;; amdgpu-corpus repo=ROCm/rocThrust kind=compiled arch=gfx906 opt=O3
	.amdgcn_target "amdgcn-amd-amdhsa--gfx906"
	.amdhsa_code_object_version 6
	.text
	.protected	_Z24AdjacentDifferenceKerneliPi ; -- Begin function _Z24AdjacentDifferenceKerneliPi
	.globl	_Z24AdjacentDifferenceKerneliPi
	.p2align	8
	.type	_Z24AdjacentDifferenceKerneliPi,@function
_Z24AdjacentDifferenceKerneliPi:        ; @_Z24AdjacentDifferenceKerneliPi
; %bb.0:
	v_cmp_eq_u32_e32 vcc, 0, v0
	s_and_saveexec_b64 s[0:1], vcc
	s_cbranch_execz .LBB0_4
; %bb.1:
	s_load_dword s0, s[4:5], 0x0
	s_waitcnt lgkmcnt(0)
	s_cmp_lt_u32 s0, 2
	s_cbranch_scc1 .LBB0_4
; %bb.2:
	s_load_dwordx2 s[2:3], s[4:5], 0x8
	s_ashr_i32 s1, s0, 31
	s_lshl_b64 s[4:5], s[0:1], 2
	v_mov_b32_e32 v0, 0
	s_waitcnt lgkmcnt(0)
	s_load_dword s6, s[2:3], 0x0
	s_add_u32 s0, s2, 4
	s_addc_u32 s1, s3, 0
	s_add_u32 s2, s4, -4
	s_addc_u32 s3, s5, -1
	s_waitcnt lgkmcnt(0)
	v_mov_b32_e32 v1, s6
.LBB0_3:                                ; =>This Inner Loop Header: Depth=1
	global_load_dword v2, v0, s[0:1]
	s_waitcnt vmcnt(0)
	v_sub_u32_e32 v1, v2, v1
	global_store_dword v0, v1, s[0:1]
	s_add_u32 s0, s0, 4
	s_addc_u32 s1, s1, 0
	s_add_u32 s2, s2, -4
	s_addc_u32 s3, s3, -1
	s_cmp_lg_u64 s[2:3], 0
	v_mov_b32_e32 v1, v2
	s_cbranch_scc1 .LBB0_3
.LBB0_4:
	s_endpgm
	.section	.rodata,"a",@progbits
	.p2align	6, 0x0
	.amdhsa_kernel _Z24AdjacentDifferenceKerneliPi
		.amdhsa_group_segment_fixed_size 0
		.amdhsa_private_segment_fixed_size 0
		.amdhsa_kernarg_size 16
		.amdhsa_user_sgpr_count 6
		.amdhsa_user_sgpr_private_segment_buffer 1
		.amdhsa_user_sgpr_dispatch_ptr 0
		.amdhsa_user_sgpr_queue_ptr 0
		.amdhsa_user_sgpr_kernarg_segment_ptr 1
		.amdhsa_user_sgpr_dispatch_id 0
		.amdhsa_user_sgpr_flat_scratch_init 0
		.amdhsa_user_sgpr_private_segment_size 0
		.amdhsa_uses_dynamic_stack 0
		.amdhsa_system_sgpr_private_segment_wavefront_offset 0
		.amdhsa_system_sgpr_workgroup_id_x 1
		.amdhsa_system_sgpr_workgroup_id_y 0
		.amdhsa_system_sgpr_workgroup_id_z 0
		.amdhsa_system_sgpr_workgroup_info 0
		.amdhsa_system_vgpr_workitem_id 0
		.amdhsa_next_free_vgpr 3
		.amdhsa_next_free_sgpr 7
		.amdhsa_reserve_vcc 1
		.amdhsa_reserve_flat_scratch 0
		.amdhsa_float_round_mode_32 0
		.amdhsa_float_round_mode_16_64 0
		.amdhsa_float_denorm_mode_32 3
		.amdhsa_float_denorm_mode_16_64 3
		.amdhsa_dx10_clamp 1
		.amdhsa_ieee_mode 1
		.amdhsa_fp16_overflow 0
		.amdhsa_exception_fp_ieee_invalid_op 0
		.amdhsa_exception_fp_denorm_src 0
		.amdhsa_exception_fp_ieee_div_zero 0
		.amdhsa_exception_fp_ieee_overflow 0
		.amdhsa_exception_fp_ieee_underflow 0
		.amdhsa_exception_fp_ieee_inexact 0
		.amdhsa_exception_int_div_zero 0
	.end_amdhsa_kernel
	.text
.Lfunc_end0:
	.size	_Z24AdjacentDifferenceKerneliPi, .Lfunc_end0-_Z24AdjacentDifferenceKerneliPi
                                        ; -- End function
	.set _Z24AdjacentDifferenceKerneliPi.num_vgpr, 3
	.set _Z24AdjacentDifferenceKerneliPi.num_agpr, 0
	.set _Z24AdjacentDifferenceKerneliPi.numbered_sgpr, 7
	.set _Z24AdjacentDifferenceKerneliPi.num_named_barrier, 0
	.set _Z24AdjacentDifferenceKerneliPi.private_seg_size, 0
	.set _Z24AdjacentDifferenceKerneliPi.uses_vcc, 1
	.set _Z24AdjacentDifferenceKerneliPi.uses_flat_scratch, 0
	.set _Z24AdjacentDifferenceKerneliPi.has_dyn_sized_stack, 0
	.set _Z24AdjacentDifferenceKerneliPi.has_recursion, 0
	.set _Z24AdjacentDifferenceKerneliPi.has_indirect_call, 0
	.section	.AMDGPU.csdata,"",@progbits
; Kernel info:
; codeLenInByte = 144
; TotalNumSgprs: 11
; NumVgprs: 3
; ScratchSize: 0
; MemoryBound: 0
; FloatMode: 240
; IeeeMode: 1
; LDSByteSize: 0 bytes/workgroup (compile time only)
; SGPRBlocks: 1
; VGPRBlocks: 0
; NumSGPRsForWavesPerEU: 11
; NumVGPRsForWavesPerEU: 3
; Occupancy: 10
; WaveLimiterHint : 0
; COMPUTE_PGM_RSRC2:SCRATCH_EN: 0
; COMPUTE_PGM_RSRC2:USER_SGPR: 6
; COMPUTE_PGM_RSRC2:TRAP_HANDLER: 0
; COMPUTE_PGM_RSRC2:TGID_X_EN: 1
; COMPUTE_PGM_RSRC2:TGID_Y_EN: 0
; COMPUTE_PGM_RSRC2:TGID_Z_EN: 0
; COMPUTE_PGM_RSRC2:TIDIG_COMP_CNT: 0
	.section	.text._ZN6thrust23THRUST_200600_302600_NS11hip_rocprim14__parallel_for6kernelILj256ENS1_20__uninitialized_fill7functorINS0_10device_ptrIdEEdEEmLj1EEEvT0_T1_SA_,"axG",@progbits,_ZN6thrust23THRUST_200600_302600_NS11hip_rocprim14__parallel_for6kernelILj256ENS1_20__uninitialized_fill7functorINS0_10device_ptrIdEEdEEmLj1EEEvT0_T1_SA_,comdat
	.protected	_ZN6thrust23THRUST_200600_302600_NS11hip_rocprim14__parallel_for6kernelILj256ENS1_20__uninitialized_fill7functorINS0_10device_ptrIdEEdEEmLj1EEEvT0_T1_SA_ ; -- Begin function _ZN6thrust23THRUST_200600_302600_NS11hip_rocprim14__parallel_for6kernelILj256ENS1_20__uninitialized_fill7functorINS0_10device_ptrIdEEdEEmLj1EEEvT0_T1_SA_
	.globl	_ZN6thrust23THRUST_200600_302600_NS11hip_rocprim14__parallel_for6kernelILj256ENS1_20__uninitialized_fill7functorINS0_10device_ptrIdEEdEEmLj1EEEvT0_T1_SA_
	.p2align	8
	.type	_ZN6thrust23THRUST_200600_302600_NS11hip_rocprim14__parallel_for6kernelILj256ENS1_20__uninitialized_fill7functorINS0_10device_ptrIdEEdEEmLj1EEEvT0_T1_SA_,@function
_ZN6thrust23THRUST_200600_302600_NS11hip_rocprim14__parallel_for6kernelILj256ENS1_20__uninitialized_fill7functorINS0_10device_ptrIdEEdEEmLj1EEEvT0_T1_SA_: ; @_ZN6thrust23THRUST_200600_302600_NS11hip_rocprim14__parallel_for6kernelILj256ENS1_20__uninitialized_fill7functorINS0_10device_ptrIdEEdEEmLj1EEEvT0_T1_SA_
; %bb.0:
	s_load_dwordx8 s[8:15], s[4:5], 0x0
	s_lshl_b32 s0, s6, 8
	v_mov_b32_e32 v1, 0xff
	v_mov_b32_e32 v2, 0
	s_mov_b64 s[4:5], -1
	s_waitcnt lgkmcnt(0)
	s_add_u32 s0, s14, s0
	s_addc_u32 s1, s15, 0
	s_sub_u32 s2, s12, s0
	s_subb_u32 s3, s13, s1
	v_cmp_gt_u64_e32 vcc, s[2:3], v[1:2]
	s_cbranch_vccz .LBB1_3
; %bb.1:
	s_andn2_b64 vcc, exec, s[4:5]
	s_cbranch_vccz .LBB1_6
.LBB1_2:
	s_endpgm
.LBB1_3:
	v_cmp_gt_u32_e32 vcc, s2, v0
	s_and_saveexec_b64 s[2:3], vcc
	s_cbranch_execz .LBB1_5
; %bb.4:
	s_lshl_b64 s[4:5], s[0:1], 3
	s_add_u32 s4, s8, s4
	s_addc_u32 s5, s9, s5
	v_lshlrev_b32_e32 v1, 3, v0
	v_mov_b32_e32 v2, s5
	v_add_co_u32_e32 v1, vcc, s4, v1
	v_mov_b32_e32 v3, s10
	v_addc_co_u32_e32 v2, vcc, 0, v2, vcc
	v_mov_b32_e32 v4, s11
	flat_store_dwordx2 v[1:2], v[3:4]
.LBB1_5:
	s_or_b64 exec, exec, s[2:3]
	s_cbranch_execnz .LBB1_2
.LBB1_6:
	s_lshl_b64 s[0:1], s[0:1], 3
	s_add_u32 s0, s8, s0
	s_addc_u32 s1, s9, s1
	v_lshlrev_b32_e32 v0, 3, v0
	v_mov_b32_e32 v1, s1
	v_add_co_u32_e32 v0, vcc, s0, v0
	v_mov_b32_e32 v2, s10
	v_addc_co_u32_e32 v1, vcc, 0, v1, vcc
	v_mov_b32_e32 v3, s11
	flat_store_dwordx2 v[0:1], v[2:3]
	s_endpgm
	.section	.rodata,"a",@progbits
	.p2align	6, 0x0
	.amdhsa_kernel _ZN6thrust23THRUST_200600_302600_NS11hip_rocprim14__parallel_for6kernelILj256ENS1_20__uninitialized_fill7functorINS0_10device_ptrIdEEdEEmLj1EEEvT0_T1_SA_
		.amdhsa_group_segment_fixed_size 0
		.amdhsa_private_segment_fixed_size 0
		.amdhsa_kernarg_size 32
		.amdhsa_user_sgpr_count 6
		.amdhsa_user_sgpr_private_segment_buffer 1
		.amdhsa_user_sgpr_dispatch_ptr 0
		.amdhsa_user_sgpr_queue_ptr 0
		.amdhsa_user_sgpr_kernarg_segment_ptr 1
		.amdhsa_user_sgpr_dispatch_id 0
		.amdhsa_user_sgpr_flat_scratch_init 0
		.amdhsa_user_sgpr_private_segment_size 0
		.amdhsa_uses_dynamic_stack 0
		.amdhsa_system_sgpr_private_segment_wavefront_offset 0
		.amdhsa_system_sgpr_workgroup_id_x 1
		.amdhsa_system_sgpr_workgroup_id_y 0
		.amdhsa_system_sgpr_workgroup_id_z 0
		.amdhsa_system_sgpr_workgroup_info 0
		.amdhsa_system_vgpr_workitem_id 0
		.amdhsa_next_free_vgpr 5
		.amdhsa_next_free_sgpr 16
		.amdhsa_reserve_vcc 1
		.amdhsa_reserve_flat_scratch 0
		.amdhsa_float_round_mode_32 0
		.amdhsa_float_round_mode_16_64 0
		.amdhsa_float_denorm_mode_32 3
		.amdhsa_float_denorm_mode_16_64 3
		.amdhsa_dx10_clamp 1
		.amdhsa_ieee_mode 1
		.amdhsa_fp16_overflow 0
		.amdhsa_exception_fp_ieee_invalid_op 0
		.amdhsa_exception_fp_denorm_src 0
		.amdhsa_exception_fp_ieee_div_zero 0
		.amdhsa_exception_fp_ieee_overflow 0
		.amdhsa_exception_fp_ieee_underflow 0
		.amdhsa_exception_fp_ieee_inexact 0
		.amdhsa_exception_int_div_zero 0
	.end_amdhsa_kernel
	.section	.text._ZN6thrust23THRUST_200600_302600_NS11hip_rocprim14__parallel_for6kernelILj256ENS1_20__uninitialized_fill7functorINS0_10device_ptrIdEEdEEmLj1EEEvT0_T1_SA_,"axG",@progbits,_ZN6thrust23THRUST_200600_302600_NS11hip_rocprim14__parallel_for6kernelILj256ENS1_20__uninitialized_fill7functorINS0_10device_ptrIdEEdEEmLj1EEEvT0_T1_SA_,comdat
.Lfunc_end1:
	.size	_ZN6thrust23THRUST_200600_302600_NS11hip_rocprim14__parallel_for6kernelILj256ENS1_20__uninitialized_fill7functorINS0_10device_ptrIdEEdEEmLj1EEEvT0_T1_SA_, .Lfunc_end1-_ZN6thrust23THRUST_200600_302600_NS11hip_rocprim14__parallel_for6kernelILj256ENS1_20__uninitialized_fill7functorINS0_10device_ptrIdEEdEEmLj1EEEvT0_T1_SA_
                                        ; -- End function
	.set _ZN6thrust23THRUST_200600_302600_NS11hip_rocprim14__parallel_for6kernelILj256ENS1_20__uninitialized_fill7functorINS0_10device_ptrIdEEdEEmLj1EEEvT0_T1_SA_.num_vgpr, 5
	.set _ZN6thrust23THRUST_200600_302600_NS11hip_rocprim14__parallel_for6kernelILj256ENS1_20__uninitialized_fill7functorINS0_10device_ptrIdEEdEEmLj1EEEvT0_T1_SA_.num_agpr, 0
	.set _ZN6thrust23THRUST_200600_302600_NS11hip_rocprim14__parallel_for6kernelILj256ENS1_20__uninitialized_fill7functorINS0_10device_ptrIdEEdEEmLj1EEEvT0_T1_SA_.numbered_sgpr, 16
	.set _ZN6thrust23THRUST_200600_302600_NS11hip_rocprim14__parallel_for6kernelILj256ENS1_20__uninitialized_fill7functorINS0_10device_ptrIdEEdEEmLj1EEEvT0_T1_SA_.num_named_barrier, 0
	.set _ZN6thrust23THRUST_200600_302600_NS11hip_rocprim14__parallel_for6kernelILj256ENS1_20__uninitialized_fill7functorINS0_10device_ptrIdEEdEEmLj1EEEvT0_T1_SA_.private_seg_size, 0
	.set _ZN6thrust23THRUST_200600_302600_NS11hip_rocprim14__parallel_for6kernelILj256ENS1_20__uninitialized_fill7functorINS0_10device_ptrIdEEdEEmLj1EEEvT0_T1_SA_.uses_vcc, 1
	.set _ZN6thrust23THRUST_200600_302600_NS11hip_rocprim14__parallel_for6kernelILj256ENS1_20__uninitialized_fill7functorINS0_10device_ptrIdEEdEEmLj1EEEvT0_T1_SA_.uses_flat_scratch, 0
	.set _ZN6thrust23THRUST_200600_302600_NS11hip_rocprim14__parallel_for6kernelILj256ENS1_20__uninitialized_fill7functorINS0_10device_ptrIdEEdEEmLj1EEEvT0_T1_SA_.has_dyn_sized_stack, 0
	.set _ZN6thrust23THRUST_200600_302600_NS11hip_rocprim14__parallel_for6kernelILj256ENS1_20__uninitialized_fill7functorINS0_10device_ptrIdEEdEEmLj1EEEvT0_T1_SA_.has_recursion, 0
	.set _ZN6thrust23THRUST_200600_302600_NS11hip_rocprim14__parallel_for6kernelILj256ENS1_20__uninitialized_fill7functorINS0_10device_ptrIdEEdEEmLj1EEEvT0_T1_SA_.has_indirect_call, 0
	.section	.AMDGPU.csdata,"",@progbits
; Kernel info:
; codeLenInByte = 180
; TotalNumSgprs: 20
; NumVgprs: 5
; ScratchSize: 0
; MemoryBound: 0
; FloatMode: 240
; IeeeMode: 1
; LDSByteSize: 0 bytes/workgroup (compile time only)
; SGPRBlocks: 2
; VGPRBlocks: 1
; NumSGPRsForWavesPerEU: 20
; NumVGPRsForWavesPerEU: 5
; Occupancy: 10
; WaveLimiterHint : 0
; COMPUTE_PGM_RSRC2:SCRATCH_EN: 0
; COMPUTE_PGM_RSRC2:USER_SGPR: 6
; COMPUTE_PGM_RSRC2:TRAP_HANDLER: 0
; COMPUTE_PGM_RSRC2:TGID_X_EN: 1
; COMPUTE_PGM_RSRC2:TGID_Y_EN: 0
; COMPUTE_PGM_RSRC2:TGID_Z_EN: 0
; COMPUTE_PGM_RSRC2:TIDIG_COMP_CNT: 0
	.section	.text._ZN7rocprim17ROCPRIM_400000_NS6detail17trampoline_kernelINS0_14default_configENS1_35adjacent_difference_config_selectorILb0EdEEZNS1_24adjacent_difference_implIS3_Lb0ELb0EPdS7_N6thrust23THRUST_200600_302600_NS5minusIdEEEE10hipError_tPvRmT2_T3_mT4_P12ihipStream_tbEUlT_E_NS1_11comp_targetILNS1_3genE0ELNS1_11target_archE4294967295ELNS1_3gpuE0ELNS1_3repE0EEENS1_30default_config_static_selectorELNS0_4arch9wavefront6targetE1EEEvT1_,"axG",@progbits,_ZN7rocprim17ROCPRIM_400000_NS6detail17trampoline_kernelINS0_14default_configENS1_35adjacent_difference_config_selectorILb0EdEEZNS1_24adjacent_difference_implIS3_Lb0ELb0EPdS7_N6thrust23THRUST_200600_302600_NS5minusIdEEEE10hipError_tPvRmT2_T3_mT4_P12ihipStream_tbEUlT_E_NS1_11comp_targetILNS1_3genE0ELNS1_11target_archE4294967295ELNS1_3gpuE0ELNS1_3repE0EEENS1_30default_config_static_selectorELNS0_4arch9wavefront6targetE1EEEvT1_,comdat
	.protected	_ZN7rocprim17ROCPRIM_400000_NS6detail17trampoline_kernelINS0_14default_configENS1_35adjacent_difference_config_selectorILb0EdEEZNS1_24adjacent_difference_implIS3_Lb0ELb0EPdS7_N6thrust23THRUST_200600_302600_NS5minusIdEEEE10hipError_tPvRmT2_T3_mT4_P12ihipStream_tbEUlT_E_NS1_11comp_targetILNS1_3genE0ELNS1_11target_archE4294967295ELNS1_3gpuE0ELNS1_3repE0EEENS1_30default_config_static_selectorELNS0_4arch9wavefront6targetE1EEEvT1_ ; -- Begin function _ZN7rocprim17ROCPRIM_400000_NS6detail17trampoline_kernelINS0_14default_configENS1_35adjacent_difference_config_selectorILb0EdEEZNS1_24adjacent_difference_implIS3_Lb0ELb0EPdS7_N6thrust23THRUST_200600_302600_NS5minusIdEEEE10hipError_tPvRmT2_T3_mT4_P12ihipStream_tbEUlT_E_NS1_11comp_targetILNS1_3genE0ELNS1_11target_archE4294967295ELNS1_3gpuE0ELNS1_3repE0EEENS1_30default_config_static_selectorELNS0_4arch9wavefront6targetE1EEEvT1_
	.globl	_ZN7rocprim17ROCPRIM_400000_NS6detail17trampoline_kernelINS0_14default_configENS1_35adjacent_difference_config_selectorILb0EdEEZNS1_24adjacent_difference_implIS3_Lb0ELb0EPdS7_N6thrust23THRUST_200600_302600_NS5minusIdEEEE10hipError_tPvRmT2_T3_mT4_P12ihipStream_tbEUlT_E_NS1_11comp_targetILNS1_3genE0ELNS1_11target_archE4294967295ELNS1_3gpuE0ELNS1_3repE0EEENS1_30default_config_static_selectorELNS0_4arch9wavefront6targetE1EEEvT1_
	.p2align	8
	.type	_ZN7rocprim17ROCPRIM_400000_NS6detail17trampoline_kernelINS0_14default_configENS1_35adjacent_difference_config_selectorILb0EdEEZNS1_24adjacent_difference_implIS3_Lb0ELb0EPdS7_N6thrust23THRUST_200600_302600_NS5minusIdEEEE10hipError_tPvRmT2_T3_mT4_P12ihipStream_tbEUlT_E_NS1_11comp_targetILNS1_3genE0ELNS1_11target_archE4294967295ELNS1_3gpuE0ELNS1_3repE0EEENS1_30default_config_static_selectorELNS0_4arch9wavefront6targetE1EEEvT1_,@function
_ZN7rocprim17ROCPRIM_400000_NS6detail17trampoline_kernelINS0_14default_configENS1_35adjacent_difference_config_selectorILb0EdEEZNS1_24adjacent_difference_implIS3_Lb0ELb0EPdS7_N6thrust23THRUST_200600_302600_NS5minusIdEEEE10hipError_tPvRmT2_T3_mT4_P12ihipStream_tbEUlT_E_NS1_11comp_targetILNS1_3genE0ELNS1_11target_archE4294967295ELNS1_3gpuE0ELNS1_3repE0EEENS1_30default_config_static_selectorELNS0_4arch9wavefront6targetE1EEEvT1_: ; @_ZN7rocprim17ROCPRIM_400000_NS6detail17trampoline_kernelINS0_14default_configENS1_35adjacent_difference_config_selectorILb0EdEEZNS1_24adjacent_difference_implIS3_Lb0ELb0EPdS7_N6thrust23THRUST_200600_302600_NS5minusIdEEEE10hipError_tPvRmT2_T3_mT4_P12ihipStream_tbEUlT_E_NS1_11comp_targetILNS1_3genE0ELNS1_11target_archE4294967295ELNS1_3gpuE0ELNS1_3repE0EEENS1_30default_config_static_selectorELNS0_4arch9wavefront6targetE1EEEvT1_
; %bb.0:
	.section	.rodata,"a",@progbits
	.p2align	6, 0x0
	.amdhsa_kernel _ZN7rocprim17ROCPRIM_400000_NS6detail17trampoline_kernelINS0_14default_configENS1_35adjacent_difference_config_selectorILb0EdEEZNS1_24adjacent_difference_implIS3_Lb0ELb0EPdS7_N6thrust23THRUST_200600_302600_NS5minusIdEEEE10hipError_tPvRmT2_T3_mT4_P12ihipStream_tbEUlT_E_NS1_11comp_targetILNS1_3genE0ELNS1_11target_archE4294967295ELNS1_3gpuE0ELNS1_3repE0EEENS1_30default_config_static_selectorELNS0_4arch9wavefront6targetE1EEEvT1_
		.amdhsa_group_segment_fixed_size 0
		.amdhsa_private_segment_fixed_size 0
		.amdhsa_kernarg_size 56
		.amdhsa_user_sgpr_count 6
		.amdhsa_user_sgpr_private_segment_buffer 1
		.amdhsa_user_sgpr_dispatch_ptr 0
		.amdhsa_user_sgpr_queue_ptr 0
		.amdhsa_user_sgpr_kernarg_segment_ptr 1
		.amdhsa_user_sgpr_dispatch_id 0
		.amdhsa_user_sgpr_flat_scratch_init 0
		.amdhsa_user_sgpr_private_segment_size 0
		.amdhsa_uses_dynamic_stack 0
		.amdhsa_system_sgpr_private_segment_wavefront_offset 0
		.amdhsa_system_sgpr_workgroup_id_x 1
		.amdhsa_system_sgpr_workgroup_id_y 0
		.amdhsa_system_sgpr_workgroup_id_z 0
		.amdhsa_system_sgpr_workgroup_info 0
		.amdhsa_system_vgpr_workitem_id 0
		.amdhsa_next_free_vgpr 1
		.amdhsa_next_free_sgpr 0
		.amdhsa_reserve_vcc 0
		.amdhsa_reserve_flat_scratch 0
		.amdhsa_float_round_mode_32 0
		.amdhsa_float_round_mode_16_64 0
		.amdhsa_float_denorm_mode_32 3
		.amdhsa_float_denorm_mode_16_64 3
		.amdhsa_dx10_clamp 1
		.amdhsa_ieee_mode 1
		.amdhsa_fp16_overflow 0
		.amdhsa_exception_fp_ieee_invalid_op 0
		.amdhsa_exception_fp_denorm_src 0
		.amdhsa_exception_fp_ieee_div_zero 0
		.amdhsa_exception_fp_ieee_overflow 0
		.amdhsa_exception_fp_ieee_underflow 0
		.amdhsa_exception_fp_ieee_inexact 0
		.amdhsa_exception_int_div_zero 0
	.end_amdhsa_kernel
	.section	.text._ZN7rocprim17ROCPRIM_400000_NS6detail17trampoline_kernelINS0_14default_configENS1_35adjacent_difference_config_selectorILb0EdEEZNS1_24adjacent_difference_implIS3_Lb0ELb0EPdS7_N6thrust23THRUST_200600_302600_NS5minusIdEEEE10hipError_tPvRmT2_T3_mT4_P12ihipStream_tbEUlT_E_NS1_11comp_targetILNS1_3genE0ELNS1_11target_archE4294967295ELNS1_3gpuE0ELNS1_3repE0EEENS1_30default_config_static_selectorELNS0_4arch9wavefront6targetE1EEEvT1_,"axG",@progbits,_ZN7rocprim17ROCPRIM_400000_NS6detail17trampoline_kernelINS0_14default_configENS1_35adjacent_difference_config_selectorILb0EdEEZNS1_24adjacent_difference_implIS3_Lb0ELb0EPdS7_N6thrust23THRUST_200600_302600_NS5minusIdEEEE10hipError_tPvRmT2_T3_mT4_P12ihipStream_tbEUlT_E_NS1_11comp_targetILNS1_3genE0ELNS1_11target_archE4294967295ELNS1_3gpuE0ELNS1_3repE0EEENS1_30default_config_static_selectorELNS0_4arch9wavefront6targetE1EEEvT1_,comdat
.Lfunc_end2:
	.size	_ZN7rocprim17ROCPRIM_400000_NS6detail17trampoline_kernelINS0_14default_configENS1_35adjacent_difference_config_selectorILb0EdEEZNS1_24adjacent_difference_implIS3_Lb0ELb0EPdS7_N6thrust23THRUST_200600_302600_NS5minusIdEEEE10hipError_tPvRmT2_T3_mT4_P12ihipStream_tbEUlT_E_NS1_11comp_targetILNS1_3genE0ELNS1_11target_archE4294967295ELNS1_3gpuE0ELNS1_3repE0EEENS1_30default_config_static_selectorELNS0_4arch9wavefront6targetE1EEEvT1_, .Lfunc_end2-_ZN7rocprim17ROCPRIM_400000_NS6detail17trampoline_kernelINS0_14default_configENS1_35adjacent_difference_config_selectorILb0EdEEZNS1_24adjacent_difference_implIS3_Lb0ELb0EPdS7_N6thrust23THRUST_200600_302600_NS5minusIdEEEE10hipError_tPvRmT2_T3_mT4_P12ihipStream_tbEUlT_E_NS1_11comp_targetILNS1_3genE0ELNS1_11target_archE4294967295ELNS1_3gpuE0ELNS1_3repE0EEENS1_30default_config_static_selectorELNS0_4arch9wavefront6targetE1EEEvT1_
                                        ; -- End function
	.set _ZN7rocprim17ROCPRIM_400000_NS6detail17trampoline_kernelINS0_14default_configENS1_35adjacent_difference_config_selectorILb0EdEEZNS1_24adjacent_difference_implIS3_Lb0ELb0EPdS7_N6thrust23THRUST_200600_302600_NS5minusIdEEEE10hipError_tPvRmT2_T3_mT4_P12ihipStream_tbEUlT_E_NS1_11comp_targetILNS1_3genE0ELNS1_11target_archE4294967295ELNS1_3gpuE0ELNS1_3repE0EEENS1_30default_config_static_selectorELNS0_4arch9wavefront6targetE1EEEvT1_.num_vgpr, 0
	.set _ZN7rocprim17ROCPRIM_400000_NS6detail17trampoline_kernelINS0_14default_configENS1_35adjacent_difference_config_selectorILb0EdEEZNS1_24adjacent_difference_implIS3_Lb0ELb0EPdS7_N6thrust23THRUST_200600_302600_NS5minusIdEEEE10hipError_tPvRmT2_T3_mT4_P12ihipStream_tbEUlT_E_NS1_11comp_targetILNS1_3genE0ELNS1_11target_archE4294967295ELNS1_3gpuE0ELNS1_3repE0EEENS1_30default_config_static_selectorELNS0_4arch9wavefront6targetE1EEEvT1_.num_agpr, 0
	.set _ZN7rocprim17ROCPRIM_400000_NS6detail17trampoline_kernelINS0_14default_configENS1_35adjacent_difference_config_selectorILb0EdEEZNS1_24adjacent_difference_implIS3_Lb0ELb0EPdS7_N6thrust23THRUST_200600_302600_NS5minusIdEEEE10hipError_tPvRmT2_T3_mT4_P12ihipStream_tbEUlT_E_NS1_11comp_targetILNS1_3genE0ELNS1_11target_archE4294967295ELNS1_3gpuE0ELNS1_3repE0EEENS1_30default_config_static_selectorELNS0_4arch9wavefront6targetE1EEEvT1_.numbered_sgpr, 0
	.set _ZN7rocprim17ROCPRIM_400000_NS6detail17trampoline_kernelINS0_14default_configENS1_35adjacent_difference_config_selectorILb0EdEEZNS1_24adjacent_difference_implIS3_Lb0ELb0EPdS7_N6thrust23THRUST_200600_302600_NS5minusIdEEEE10hipError_tPvRmT2_T3_mT4_P12ihipStream_tbEUlT_E_NS1_11comp_targetILNS1_3genE0ELNS1_11target_archE4294967295ELNS1_3gpuE0ELNS1_3repE0EEENS1_30default_config_static_selectorELNS0_4arch9wavefront6targetE1EEEvT1_.num_named_barrier, 0
	.set _ZN7rocprim17ROCPRIM_400000_NS6detail17trampoline_kernelINS0_14default_configENS1_35adjacent_difference_config_selectorILb0EdEEZNS1_24adjacent_difference_implIS3_Lb0ELb0EPdS7_N6thrust23THRUST_200600_302600_NS5minusIdEEEE10hipError_tPvRmT2_T3_mT4_P12ihipStream_tbEUlT_E_NS1_11comp_targetILNS1_3genE0ELNS1_11target_archE4294967295ELNS1_3gpuE0ELNS1_3repE0EEENS1_30default_config_static_selectorELNS0_4arch9wavefront6targetE1EEEvT1_.private_seg_size, 0
	.set _ZN7rocprim17ROCPRIM_400000_NS6detail17trampoline_kernelINS0_14default_configENS1_35adjacent_difference_config_selectorILb0EdEEZNS1_24adjacent_difference_implIS3_Lb0ELb0EPdS7_N6thrust23THRUST_200600_302600_NS5minusIdEEEE10hipError_tPvRmT2_T3_mT4_P12ihipStream_tbEUlT_E_NS1_11comp_targetILNS1_3genE0ELNS1_11target_archE4294967295ELNS1_3gpuE0ELNS1_3repE0EEENS1_30default_config_static_selectorELNS0_4arch9wavefront6targetE1EEEvT1_.uses_vcc, 0
	.set _ZN7rocprim17ROCPRIM_400000_NS6detail17trampoline_kernelINS0_14default_configENS1_35adjacent_difference_config_selectorILb0EdEEZNS1_24adjacent_difference_implIS3_Lb0ELb0EPdS7_N6thrust23THRUST_200600_302600_NS5minusIdEEEE10hipError_tPvRmT2_T3_mT4_P12ihipStream_tbEUlT_E_NS1_11comp_targetILNS1_3genE0ELNS1_11target_archE4294967295ELNS1_3gpuE0ELNS1_3repE0EEENS1_30default_config_static_selectorELNS0_4arch9wavefront6targetE1EEEvT1_.uses_flat_scratch, 0
	.set _ZN7rocprim17ROCPRIM_400000_NS6detail17trampoline_kernelINS0_14default_configENS1_35adjacent_difference_config_selectorILb0EdEEZNS1_24adjacent_difference_implIS3_Lb0ELb0EPdS7_N6thrust23THRUST_200600_302600_NS5minusIdEEEE10hipError_tPvRmT2_T3_mT4_P12ihipStream_tbEUlT_E_NS1_11comp_targetILNS1_3genE0ELNS1_11target_archE4294967295ELNS1_3gpuE0ELNS1_3repE0EEENS1_30default_config_static_selectorELNS0_4arch9wavefront6targetE1EEEvT1_.has_dyn_sized_stack, 0
	.set _ZN7rocprim17ROCPRIM_400000_NS6detail17trampoline_kernelINS0_14default_configENS1_35adjacent_difference_config_selectorILb0EdEEZNS1_24adjacent_difference_implIS3_Lb0ELb0EPdS7_N6thrust23THRUST_200600_302600_NS5minusIdEEEE10hipError_tPvRmT2_T3_mT4_P12ihipStream_tbEUlT_E_NS1_11comp_targetILNS1_3genE0ELNS1_11target_archE4294967295ELNS1_3gpuE0ELNS1_3repE0EEENS1_30default_config_static_selectorELNS0_4arch9wavefront6targetE1EEEvT1_.has_recursion, 0
	.set _ZN7rocprim17ROCPRIM_400000_NS6detail17trampoline_kernelINS0_14default_configENS1_35adjacent_difference_config_selectorILb0EdEEZNS1_24adjacent_difference_implIS3_Lb0ELb0EPdS7_N6thrust23THRUST_200600_302600_NS5minusIdEEEE10hipError_tPvRmT2_T3_mT4_P12ihipStream_tbEUlT_E_NS1_11comp_targetILNS1_3genE0ELNS1_11target_archE4294967295ELNS1_3gpuE0ELNS1_3repE0EEENS1_30default_config_static_selectorELNS0_4arch9wavefront6targetE1EEEvT1_.has_indirect_call, 0
	.section	.AMDGPU.csdata,"",@progbits
; Kernel info:
; codeLenInByte = 0
; TotalNumSgprs: 4
; NumVgprs: 0
; ScratchSize: 0
; MemoryBound: 0
; FloatMode: 240
; IeeeMode: 1
; LDSByteSize: 0 bytes/workgroup (compile time only)
; SGPRBlocks: 0
; VGPRBlocks: 0
; NumSGPRsForWavesPerEU: 4
; NumVGPRsForWavesPerEU: 1
; Occupancy: 10
; WaveLimiterHint : 0
; COMPUTE_PGM_RSRC2:SCRATCH_EN: 0
; COMPUTE_PGM_RSRC2:USER_SGPR: 6
; COMPUTE_PGM_RSRC2:TRAP_HANDLER: 0
; COMPUTE_PGM_RSRC2:TGID_X_EN: 1
; COMPUTE_PGM_RSRC2:TGID_Y_EN: 0
; COMPUTE_PGM_RSRC2:TGID_Z_EN: 0
; COMPUTE_PGM_RSRC2:TIDIG_COMP_CNT: 0
	.section	.text._ZN7rocprim17ROCPRIM_400000_NS6detail17trampoline_kernelINS0_14default_configENS1_35adjacent_difference_config_selectorILb0EdEEZNS1_24adjacent_difference_implIS3_Lb0ELb0EPdS7_N6thrust23THRUST_200600_302600_NS5minusIdEEEE10hipError_tPvRmT2_T3_mT4_P12ihipStream_tbEUlT_E_NS1_11comp_targetILNS1_3genE10ELNS1_11target_archE1201ELNS1_3gpuE5ELNS1_3repE0EEENS1_30default_config_static_selectorELNS0_4arch9wavefront6targetE1EEEvT1_,"axG",@progbits,_ZN7rocprim17ROCPRIM_400000_NS6detail17trampoline_kernelINS0_14default_configENS1_35adjacent_difference_config_selectorILb0EdEEZNS1_24adjacent_difference_implIS3_Lb0ELb0EPdS7_N6thrust23THRUST_200600_302600_NS5minusIdEEEE10hipError_tPvRmT2_T3_mT4_P12ihipStream_tbEUlT_E_NS1_11comp_targetILNS1_3genE10ELNS1_11target_archE1201ELNS1_3gpuE5ELNS1_3repE0EEENS1_30default_config_static_selectorELNS0_4arch9wavefront6targetE1EEEvT1_,comdat
	.protected	_ZN7rocprim17ROCPRIM_400000_NS6detail17trampoline_kernelINS0_14default_configENS1_35adjacent_difference_config_selectorILb0EdEEZNS1_24adjacent_difference_implIS3_Lb0ELb0EPdS7_N6thrust23THRUST_200600_302600_NS5minusIdEEEE10hipError_tPvRmT2_T3_mT4_P12ihipStream_tbEUlT_E_NS1_11comp_targetILNS1_3genE10ELNS1_11target_archE1201ELNS1_3gpuE5ELNS1_3repE0EEENS1_30default_config_static_selectorELNS0_4arch9wavefront6targetE1EEEvT1_ ; -- Begin function _ZN7rocprim17ROCPRIM_400000_NS6detail17trampoline_kernelINS0_14default_configENS1_35adjacent_difference_config_selectorILb0EdEEZNS1_24adjacent_difference_implIS3_Lb0ELb0EPdS7_N6thrust23THRUST_200600_302600_NS5minusIdEEEE10hipError_tPvRmT2_T3_mT4_P12ihipStream_tbEUlT_E_NS1_11comp_targetILNS1_3genE10ELNS1_11target_archE1201ELNS1_3gpuE5ELNS1_3repE0EEENS1_30default_config_static_selectorELNS0_4arch9wavefront6targetE1EEEvT1_
	.globl	_ZN7rocprim17ROCPRIM_400000_NS6detail17trampoline_kernelINS0_14default_configENS1_35adjacent_difference_config_selectorILb0EdEEZNS1_24adjacent_difference_implIS3_Lb0ELb0EPdS7_N6thrust23THRUST_200600_302600_NS5minusIdEEEE10hipError_tPvRmT2_T3_mT4_P12ihipStream_tbEUlT_E_NS1_11comp_targetILNS1_3genE10ELNS1_11target_archE1201ELNS1_3gpuE5ELNS1_3repE0EEENS1_30default_config_static_selectorELNS0_4arch9wavefront6targetE1EEEvT1_
	.p2align	8
	.type	_ZN7rocprim17ROCPRIM_400000_NS6detail17trampoline_kernelINS0_14default_configENS1_35adjacent_difference_config_selectorILb0EdEEZNS1_24adjacent_difference_implIS3_Lb0ELb0EPdS7_N6thrust23THRUST_200600_302600_NS5minusIdEEEE10hipError_tPvRmT2_T3_mT4_P12ihipStream_tbEUlT_E_NS1_11comp_targetILNS1_3genE10ELNS1_11target_archE1201ELNS1_3gpuE5ELNS1_3repE0EEENS1_30default_config_static_selectorELNS0_4arch9wavefront6targetE1EEEvT1_,@function
_ZN7rocprim17ROCPRIM_400000_NS6detail17trampoline_kernelINS0_14default_configENS1_35adjacent_difference_config_selectorILb0EdEEZNS1_24adjacent_difference_implIS3_Lb0ELb0EPdS7_N6thrust23THRUST_200600_302600_NS5minusIdEEEE10hipError_tPvRmT2_T3_mT4_P12ihipStream_tbEUlT_E_NS1_11comp_targetILNS1_3genE10ELNS1_11target_archE1201ELNS1_3gpuE5ELNS1_3repE0EEENS1_30default_config_static_selectorELNS0_4arch9wavefront6targetE1EEEvT1_: ; @_ZN7rocprim17ROCPRIM_400000_NS6detail17trampoline_kernelINS0_14default_configENS1_35adjacent_difference_config_selectorILb0EdEEZNS1_24adjacent_difference_implIS3_Lb0ELb0EPdS7_N6thrust23THRUST_200600_302600_NS5minusIdEEEE10hipError_tPvRmT2_T3_mT4_P12ihipStream_tbEUlT_E_NS1_11comp_targetILNS1_3genE10ELNS1_11target_archE1201ELNS1_3gpuE5ELNS1_3repE0EEENS1_30default_config_static_selectorELNS0_4arch9wavefront6targetE1EEEvT1_
; %bb.0:
	.section	.rodata,"a",@progbits
	.p2align	6, 0x0
	.amdhsa_kernel _ZN7rocprim17ROCPRIM_400000_NS6detail17trampoline_kernelINS0_14default_configENS1_35adjacent_difference_config_selectorILb0EdEEZNS1_24adjacent_difference_implIS3_Lb0ELb0EPdS7_N6thrust23THRUST_200600_302600_NS5minusIdEEEE10hipError_tPvRmT2_T3_mT4_P12ihipStream_tbEUlT_E_NS1_11comp_targetILNS1_3genE10ELNS1_11target_archE1201ELNS1_3gpuE5ELNS1_3repE0EEENS1_30default_config_static_selectorELNS0_4arch9wavefront6targetE1EEEvT1_
		.amdhsa_group_segment_fixed_size 0
		.amdhsa_private_segment_fixed_size 0
		.amdhsa_kernarg_size 56
		.amdhsa_user_sgpr_count 6
		.amdhsa_user_sgpr_private_segment_buffer 1
		.amdhsa_user_sgpr_dispatch_ptr 0
		.amdhsa_user_sgpr_queue_ptr 0
		.amdhsa_user_sgpr_kernarg_segment_ptr 1
		.amdhsa_user_sgpr_dispatch_id 0
		.amdhsa_user_sgpr_flat_scratch_init 0
		.amdhsa_user_sgpr_private_segment_size 0
		.amdhsa_uses_dynamic_stack 0
		.amdhsa_system_sgpr_private_segment_wavefront_offset 0
		.amdhsa_system_sgpr_workgroup_id_x 1
		.amdhsa_system_sgpr_workgroup_id_y 0
		.amdhsa_system_sgpr_workgroup_id_z 0
		.amdhsa_system_sgpr_workgroup_info 0
		.amdhsa_system_vgpr_workitem_id 0
		.amdhsa_next_free_vgpr 1
		.amdhsa_next_free_sgpr 0
		.amdhsa_reserve_vcc 0
		.amdhsa_reserve_flat_scratch 0
		.amdhsa_float_round_mode_32 0
		.amdhsa_float_round_mode_16_64 0
		.amdhsa_float_denorm_mode_32 3
		.amdhsa_float_denorm_mode_16_64 3
		.amdhsa_dx10_clamp 1
		.amdhsa_ieee_mode 1
		.amdhsa_fp16_overflow 0
		.amdhsa_exception_fp_ieee_invalid_op 0
		.amdhsa_exception_fp_denorm_src 0
		.amdhsa_exception_fp_ieee_div_zero 0
		.amdhsa_exception_fp_ieee_overflow 0
		.amdhsa_exception_fp_ieee_underflow 0
		.amdhsa_exception_fp_ieee_inexact 0
		.amdhsa_exception_int_div_zero 0
	.end_amdhsa_kernel
	.section	.text._ZN7rocprim17ROCPRIM_400000_NS6detail17trampoline_kernelINS0_14default_configENS1_35adjacent_difference_config_selectorILb0EdEEZNS1_24adjacent_difference_implIS3_Lb0ELb0EPdS7_N6thrust23THRUST_200600_302600_NS5minusIdEEEE10hipError_tPvRmT2_T3_mT4_P12ihipStream_tbEUlT_E_NS1_11comp_targetILNS1_3genE10ELNS1_11target_archE1201ELNS1_3gpuE5ELNS1_3repE0EEENS1_30default_config_static_selectorELNS0_4arch9wavefront6targetE1EEEvT1_,"axG",@progbits,_ZN7rocprim17ROCPRIM_400000_NS6detail17trampoline_kernelINS0_14default_configENS1_35adjacent_difference_config_selectorILb0EdEEZNS1_24adjacent_difference_implIS3_Lb0ELb0EPdS7_N6thrust23THRUST_200600_302600_NS5minusIdEEEE10hipError_tPvRmT2_T3_mT4_P12ihipStream_tbEUlT_E_NS1_11comp_targetILNS1_3genE10ELNS1_11target_archE1201ELNS1_3gpuE5ELNS1_3repE0EEENS1_30default_config_static_selectorELNS0_4arch9wavefront6targetE1EEEvT1_,comdat
.Lfunc_end3:
	.size	_ZN7rocprim17ROCPRIM_400000_NS6detail17trampoline_kernelINS0_14default_configENS1_35adjacent_difference_config_selectorILb0EdEEZNS1_24adjacent_difference_implIS3_Lb0ELb0EPdS7_N6thrust23THRUST_200600_302600_NS5minusIdEEEE10hipError_tPvRmT2_T3_mT4_P12ihipStream_tbEUlT_E_NS1_11comp_targetILNS1_3genE10ELNS1_11target_archE1201ELNS1_3gpuE5ELNS1_3repE0EEENS1_30default_config_static_selectorELNS0_4arch9wavefront6targetE1EEEvT1_, .Lfunc_end3-_ZN7rocprim17ROCPRIM_400000_NS6detail17trampoline_kernelINS0_14default_configENS1_35adjacent_difference_config_selectorILb0EdEEZNS1_24adjacent_difference_implIS3_Lb0ELb0EPdS7_N6thrust23THRUST_200600_302600_NS5minusIdEEEE10hipError_tPvRmT2_T3_mT4_P12ihipStream_tbEUlT_E_NS1_11comp_targetILNS1_3genE10ELNS1_11target_archE1201ELNS1_3gpuE5ELNS1_3repE0EEENS1_30default_config_static_selectorELNS0_4arch9wavefront6targetE1EEEvT1_
                                        ; -- End function
	.set _ZN7rocprim17ROCPRIM_400000_NS6detail17trampoline_kernelINS0_14default_configENS1_35adjacent_difference_config_selectorILb0EdEEZNS1_24adjacent_difference_implIS3_Lb0ELb0EPdS7_N6thrust23THRUST_200600_302600_NS5minusIdEEEE10hipError_tPvRmT2_T3_mT4_P12ihipStream_tbEUlT_E_NS1_11comp_targetILNS1_3genE10ELNS1_11target_archE1201ELNS1_3gpuE5ELNS1_3repE0EEENS1_30default_config_static_selectorELNS0_4arch9wavefront6targetE1EEEvT1_.num_vgpr, 0
	.set _ZN7rocprim17ROCPRIM_400000_NS6detail17trampoline_kernelINS0_14default_configENS1_35adjacent_difference_config_selectorILb0EdEEZNS1_24adjacent_difference_implIS3_Lb0ELb0EPdS7_N6thrust23THRUST_200600_302600_NS5minusIdEEEE10hipError_tPvRmT2_T3_mT4_P12ihipStream_tbEUlT_E_NS1_11comp_targetILNS1_3genE10ELNS1_11target_archE1201ELNS1_3gpuE5ELNS1_3repE0EEENS1_30default_config_static_selectorELNS0_4arch9wavefront6targetE1EEEvT1_.num_agpr, 0
	.set _ZN7rocprim17ROCPRIM_400000_NS6detail17trampoline_kernelINS0_14default_configENS1_35adjacent_difference_config_selectorILb0EdEEZNS1_24adjacent_difference_implIS3_Lb0ELb0EPdS7_N6thrust23THRUST_200600_302600_NS5minusIdEEEE10hipError_tPvRmT2_T3_mT4_P12ihipStream_tbEUlT_E_NS1_11comp_targetILNS1_3genE10ELNS1_11target_archE1201ELNS1_3gpuE5ELNS1_3repE0EEENS1_30default_config_static_selectorELNS0_4arch9wavefront6targetE1EEEvT1_.numbered_sgpr, 0
	.set _ZN7rocprim17ROCPRIM_400000_NS6detail17trampoline_kernelINS0_14default_configENS1_35adjacent_difference_config_selectorILb0EdEEZNS1_24adjacent_difference_implIS3_Lb0ELb0EPdS7_N6thrust23THRUST_200600_302600_NS5minusIdEEEE10hipError_tPvRmT2_T3_mT4_P12ihipStream_tbEUlT_E_NS1_11comp_targetILNS1_3genE10ELNS1_11target_archE1201ELNS1_3gpuE5ELNS1_3repE0EEENS1_30default_config_static_selectorELNS0_4arch9wavefront6targetE1EEEvT1_.num_named_barrier, 0
	.set _ZN7rocprim17ROCPRIM_400000_NS6detail17trampoline_kernelINS0_14default_configENS1_35adjacent_difference_config_selectorILb0EdEEZNS1_24adjacent_difference_implIS3_Lb0ELb0EPdS7_N6thrust23THRUST_200600_302600_NS5minusIdEEEE10hipError_tPvRmT2_T3_mT4_P12ihipStream_tbEUlT_E_NS1_11comp_targetILNS1_3genE10ELNS1_11target_archE1201ELNS1_3gpuE5ELNS1_3repE0EEENS1_30default_config_static_selectorELNS0_4arch9wavefront6targetE1EEEvT1_.private_seg_size, 0
	.set _ZN7rocprim17ROCPRIM_400000_NS6detail17trampoline_kernelINS0_14default_configENS1_35adjacent_difference_config_selectorILb0EdEEZNS1_24adjacent_difference_implIS3_Lb0ELb0EPdS7_N6thrust23THRUST_200600_302600_NS5minusIdEEEE10hipError_tPvRmT2_T3_mT4_P12ihipStream_tbEUlT_E_NS1_11comp_targetILNS1_3genE10ELNS1_11target_archE1201ELNS1_3gpuE5ELNS1_3repE0EEENS1_30default_config_static_selectorELNS0_4arch9wavefront6targetE1EEEvT1_.uses_vcc, 0
	.set _ZN7rocprim17ROCPRIM_400000_NS6detail17trampoline_kernelINS0_14default_configENS1_35adjacent_difference_config_selectorILb0EdEEZNS1_24adjacent_difference_implIS3_Lb0ELb0EPdS7_N6thrust23THRUST_200600_302600_NS5minusIdEEEE10hipError_tPvRmT2_T3_mT4_P12ihipStream_tbEUlT_E_NS1_11comp_targetILNS1_3genE10ELNS1_11target_archE1201ELNS1_3gpuE5ELNS1_3repE0EEENS1_30default_config_static_selectorELNS0_4arch9wavefront6targetE1EEEvT1_.uses_flat_scratch, 0
	.set _ZN7rocprim17ROCPRIM_400000_NS6detail17trampoline_kernelINS0_14default_configENS1_35adjacent_difference_config_selectorILb0EdEEZNS1_24adjacent_difference_implIS3_Lb0ELb0EPdS7_N6thrust23THRUST_200600_302600_NS5minusIdEEEE10hipError_tPvRmT2_T3_mT4_P12ihipStream_tbEUlT_E_NS1_11comp_targetILNS1_3genE10ELNS1_11target_archE1201ELNS1_3gpuE5ELNS1_3repE0EEENS1_30default_config_static_selectorELNS0_4arch9wavefront6targetE1EEEvT1_.has_dyn_sized_stack, 0
	.set _ZN7rocprim17ROCPRIM_400000_NS6detail17trampoline_kernelINS0_14default_configENS1_35adjacent_difference_config_selectorILb0EdEEZNS1_24adjacent_difference_implIS3_Lb0ELb0EPdS7_N6thrust23THRUST_200600_302600_NS5minusIdEEEE10hipError_tPvRmT2_T3_mT4_P12ihipStream_tbEUlT_E_NS1_11comp_targetILNS1_3genE10ELNS1_11target_archE1201ELNS1_3gpuE5ELNS1_3repE0EEENS1_30default_config_static_selectorELNS0_4arch9wavefront6targetE1EEEvT1_.has_recursion, 0
	.set _ZN7rocprim17ROCPRIM_400000_NS6detail17trampoline_kernelINS0_14default_configENS1_35adjacent_difference_config_selectorILb0EdEEZNS1_24adjacent_difference_implIS3_Lb0ELb0EPdS7_N6thrust23THRUST_200600_302600_NS5minusIdEEEE10hipError_tPvRmT2_T3_mT4_P12ihipStream_tbEUlT_E_NS1_11comp_targetILNS1_3genE10ELNS1_11target_archE1201ELNS1_3gpuE5ELNS1_3repE0EEENS1_30default_config_static_selectorELNS0_4arch9wavefront6targetE1EEEvT1_.has_indirect_call, 0
	.section	.AMDGPU.csdata,"",@progbits
; Kernel info:
; codeLenInByte = 0
; TotalNumSgprs: 4
; NumVgprs: 0
; ScratchSize: 0
; MemoryBound: 0
; FloatMode: 240
; IeeeMode: 1
; LDSByteSize: 0 bytes/workgroup (compile time only)
; SGPRBlocks: 0
; VGPRBlocks: 0
; NumSGPRsForWavesPerEU: 4
; NumVGPRsForWavesPerEU: 1
; Occupancy: 10
; WaveLimiterHint : 0
; COMPUTE_PGM_RSRC2:SCRATCH_EN: 0
; COMPUTE_PGM_RSRC2:USER_SGPR: 6
; COMPUTE_PGM_RSRC2:TRAP_HANDLER: 0
; COMPUTE_PGM_RSRC2:TGID_X_EN: 1
; COMPUTE_PGM_RSRC2:TGID_Y_EN: 0
; COMPUTE_PGM_RSRC2:TGID_Z_EN: 0
; COMPUTE_PGM_RSRC2:TIDIG_COMP_CNT: 0
	.section	.text._ZN7rocprim17ROCPRIM_400000_NS6detail17trampoline_kernelINS0_14default_configENS1_35adjacent_difference_config_selectorILb0EdEEZNS1_24adjacent_difference_implIS3_Lb0ELb0EPdS7_N6thrust23THRUST_200600_302600_NS5minusIdEEEE10hipError_tPvRmT2_T3_mT4_P12ihipStream_tbEUlT_E_NS1_11comp_targetILNS1_3genE5ELNS1_11target_archE942ELNS1_3gpuE9ELNS1_3repE0EEENS1_30default_config_static_selectorELNS0_4arch9wavefront6targetE1EEEvT1_,"axG",@progbits,_ZN7rocprim17ROCPRIM_400000_NS6detail17trampoline_kernelINS0_14default_configENS1_35adjacent_difference_config_selectorILb0EdEEZNS1_24adjacent_difference_implIS3_Lb0ELb0EPdS7_N6thrust23THRUST_200600_302600_NS5minusIdEEEE10hipError_tPvRmT2_T3_mT4_P12ihipStream_tbEUlT_E_NS1_11comp_targetILNS1_3genE5ELNS1_11target_archE942ELNS1_3gpuE9ELNS1_3repE0EEENS1_30default_config_static_selectorELNS0_4arch9wavefront6targetE1EEEvT1_,comdat
	.protected	_ZN7rocprim17ROCPRIM_400000_NS6detail17trampoline_kernelINS0_14default_configENS1_35adjacent_difference_config_selectorILb0EdEEZNS1_24adjacent_difference_implIS3_Lb0ELb0EPdS7_N6thrust23THRUST_200600_302600_NS5minusIdEEEE10hipError_tPvRmT2_T3_mT4_P12ihipStream_tbEUlT_E_NS1_11comp_targetILNS1_3genE5ELNS1_11target_archE942ELNS1_3gpuE9ELNS1_3repE0EEENS1_30default_config_static_selectorELNS0_4arch9wavefront6targetE1EEEvT1_ ; -- Begin function _ZN7rocprim17ROCPRIM_400000_NS6detail17trampoline_kernelINS0_14default_configENS1_35adjacent_difference_config_selectorILb0EdEEZNS1_24adjacent_difference_implIS3_Lb0ELb0EPdS7_N6thrust23THRUST_200600_302600_NS5minusIdEEEE10hipError_tPvRmT2_T3_mT4_P12ihipStream_tbEUlT_E_NS1_11comp_targetILNS1_3genE5ELNS1_11target_archE942ELNS1_3gpuE9ELNS1_3repE0EEENS1_30default_config_static_selectorELNS0_4arch9wavefront6targetE1EEEvT1_
	.globl	_ZN7rocprim17ROCPRIM_400000_NS6detail17trampoline_kernelINS0_14default_configENS1_35adjacent_difference_config_selectorILb0EdEEZNS1_24adjacent_difference_implIS3_Lb0ELb0EPdS7_N6thrust23THRUST_200600_302600_NS5minusIdEEEE10hipError_tPvRmT2_T3_mT4_P12ihipStream_tbEUlT_E_NS1_11comp_targetILNS1_3genE5ELNS1_11target_archE942ELNS1_3gpuE9ELNS1_3repE0EEENS1_30default_config_static_selectorELNS0_4arch9wavefront6targetE1EEEvT1_
	.p2align	8
	.type	_ZN7rocprim17ROCPRIM_400000_NS6detail17trampoline_kernelINS0_14default_configENS1_35adjacent_difference_config_selectorILb0EdEEZNS1_24adjacent_difference_implIS3_Lb0ELb0EPdS7_N6thrust23THRUST_200600_302600_NS5minusIdEEEE10hipError_tPvRmT2_T3_mT4_P12ihipStream_tbEUlT_E_NS1_11comp_targetILNS1_3genE5ELNS1_11target_archE942ELNS1_3gpuE9ELNS1_3repE0EEENS1_30default_config_static_selectorELNS0_4arch9wavefront6targetE1EEEvT1_,@function
_ZN7rocprim17ROCPRIM_400000_NS6detail17trampoline_kernelINS0_14default_configENS1_35adjacent_difference_config_selectorILb0EdEEZNS1_24adjacent_difference_implIS3_Lb0ELb0EPdS7_N6thrust23THRUST_200600_302600_NS5minusIdEEEE10hipError_tPvRmT2_T3_mT4_P12ihipStream_tbEUlT_E_NS1_11comp_targetILNS1_3genE5ELNS1_11target_archE942ELNS1_3gpuE9ELNS1_3repE0EEENS1_30default_config_static_selectorELNS0_4arch9wavefront6targetE1EEEvT1_: ; @_ZN7rocprim17ROCPRIM_400000_NS6detail17trampoline_kernelINS0_14default_configENS1_35adjacent_difference_config_selectorILb0EdEEZNS1_24adjacent_difference_implIS3_Lb0ELb0EPdS7_N6thrust23THRUST_200600_302600_NS5minusIdEEEE10hipError_tPvRmT2_T3_mT4_P12ihipStream_tbEUlT_E_NS1_11comp_targetILNS1_3genE5ELNS1_11target_archE942ELNS1_3gpuE9ELNS1_3repE0EEENS1_30default_config_static_selectorELNS0_4arch9wavefront6targetE1EEEvT1_
; %bb.0:
	.section	.rodata,"a",@progbits
	.p2align	6, 0x0
	.amdhsa_kernel _ZN7rocprim17ROCPRIM_400000_NS6detail17trampoline_kernelINS0_14default_configENS1_35adjacent_difference_config_selectorILb0EdEEZNS1_24adjacent_difference_implIS3_Lb0ELb0EPdS7_N6thrust23THRUST_200600_302600_NS5minusIdEEEE10hipError_tPvRmT2_T3_mT4_P12ihipStream_tbEUlT_E_NS1_11comp_targetILNS1_3genE5ELNS1_11target_archE942ELNS1_3gpuE9ELNS1_3repE0EEENS1_30default_config_static_selectorELNS0_4arch9wavefront6targetE1EEEvT1_
		.amdhsa_group_segment_fixed_size 0
		.amdhsa_private_segment_fixed_size 0
		.amdhsa_kernarg_size 56
		.amdhsa_user_sgpr_count 6
		.amdhsa_user_sgpr_private_segment_buffer 1
		.amdhsa_user_sgpr_dispatch_ptr 0
		.amdhsa_user_sgpr_queue_ptr 0
		.amdhsa_user_sgpr_kernarg_segment_ptr 1
		.amdhsa_user_sgpr_dispatch_id 0
		.amdhsa_user_sgpr_flat_scratch_init 0
		.amdhsa_user_sgpr_private_segment_size 0
		.amdhsa_uses_dynamic_stack 0
		.amdhsa_system_sgpr_private_segment_wavefront_offset 0
		.amdhsa_system_sgpr_workgroup_id_x 1
		.amdhsa_system_sgpr_workgroup_id_y 0
		.amdhsa_system_sgpr_workgroup_id_z 0
		.amdhsa_system_sgpr_workgroup_info 0
		.amdhsa_system_vgpr_workitem_id 0
		.amdhsa_next_free_vgpr 1
		.amdhsa_next_free_sgpr 0
		.amdhsa_reserve_vcc 0
		.amdhsa_reserve_flat_scratch 0
		.amdhsa_float_round_mode_32 0
		.amdhsa_float_round_mode_16_64 0
		.amdhsa_float_denorm_mode_32 3
		.amdhsa_float_denorm_mode_16_64 3
		.amdhsa_dx10_clamp 1
		.amdhsa_ieee_mode 1
		.amdhsa_fp16_overflow 0
		.amdhsa_exception_fp_ieee_invalid_op 0
		.amdhsa_exception_fp_denorm_src 0
		.amdhsa_exception_fp_ieee_div_zero 0
		.amdhsa_exception_fp_ieee_overflow 0
		.amdhsa_exception_fp_ieee_underflow 0
		.amdhsa_exception_fp_ieee_inexact 0
		.amdhsa_exception_int_div_zero 0
	.end_amdhsa_kernel
	.section	.text._ZN7rocprim17ROCPRIM_400000_NS6detail17trampoline_kernelINS0_14default_configENS1_35adjacent_difference_config_selectorILb0EdEEZNS1_24adjacent_difference_implIS3_Lb0ELb0EPdS7_N6thrust23THRUST_200600_302600_NS5minusIdEEEE10hipError_tPvRmT2_T3_mT4_P12ihipStream_tbEUlT_E_NS1_11comp_targetILNS1_3genE5ELNS1_11target_archE942ELNS1_3gpuE9ELNS1_3repE0EEENS1_30default_config_static_selectorELNS0_4arch9wavefront6targetE1EEEvT1_,"axG",@progbits,_ZN7rocprim17ROCPRIM_400000_NS6detail17trampoline_kernelINS0_14default_configENS1_35adjacent_difference_config_selectorILb0EdEEZNS1_24adjacent_difference_implIS3_Lb0ELb0EPdS7_N6thrust23THRUST_200600_302600_NS5minusIdEEEE10hipError_tPvRmT2_T3_mT4_P12ihipStream_tbEUlT_E_NS1_11comp_targetILNS1_3genE5ELNS1_11target_archE942ELNS1_3gpuE9ELNS1_3repE0EEENS1_30default_config_static_selectorELNS0_4arch9wavefront6targetE1EEEvT1_,comdat
.Lfunc_end4:
	.size	_ZN7rocprim17ROCPRIM_400000_NS6detail17trampoline_kernelINS0_14default_configENS1_35adjacent_difference_config_selectorILb0EdEEZNS1_24adjacent_difference_implIS3_Lb0ELb0EPdS7_N6thrust23THRUST_200600_302600_NS5minusIdEEEE10hipError_tPvRmT2_T3_mT4_P12ihipStream_tbEUlT_E_NS1_11comp_targetILNS1_3genE5ELNS1_11target_archE942ELNS1_3gpuE9ELNS1_3repE0EEENS1_30default_config_static_selectorELNS0_4arch9wavefront6targetE1EEEvT1_, .Lfunc_end4-_ZN7rocprim17ROCPRIM_400000_NS6detail17trampoline_kernelINS0_14default_configENS1_35adjacent_difference_config_selectorILb0EdEEZNS1_24adjacent_difference_implIS3_Lb0ELb0EPdS7_N6thrust23THRUST_200600_302600_NS5minusIdEEEE10hipError_tPvRmT2_T3_mT4_P12ihipStream_tbEUlT_E_NS1_11comp_targetILNS1_3genE5ELNS1_11target_archE942ELNS1_3gpuE9ELNS1_3repE0EEENS1_30default_config_static_selectorELNS0_4arch9wavefront6targetE1EEEvT1_
                                        ; -- End function
	.set _ZN7rocprim17ROCPRIM_400000_NS6detail17trampoline_kernelINS0_14default_configENS1_35adjacent_difference_config_selectorILb0EdEEZNS1_24adjacent_difference_implIS3_Lb0ELb0EPdS7_N6thrust23THRUST_200600_302600_NS5minusIdEEEE10hipError_tPvRmT2_T3_mT4_P12ihipStream_tbEUlT_E_NS1_11comp_targetILNS1_3genE5ELNS1_11target_archE942ELNS1_3gpuE9ELNS1_3repE0EEENS1_30default_config_static_selectorELNS0_4arch9wavefront6targetE1EEEvT1_.num_vgpr, 0
	.set _ZN7rocprim17ROCPRIM_400000_NS6detail17trampoline_kernelINS0_14default_configENS1_35adjacent_difference_config_selectorILb0EdEEZNS1_24adjacent_difference_implIS3_Lb0ELb0EPdS7_N6thrust23THRUST_200600_302600_NS5minusIdEEEE10hipError_tPvRmT2_T3_mT4_P12ihipStream_tbEUlT_E_NS1_11comp_targetILNS1_3genE5ELNS1_11target_archE942ELNS1_3gpuE9ELNS1_3repE0EEENS1_30default_config_static_selectorELNS0_4arch9wavefront6targetE1EEEvT1_.num_agpr, 0
	.set _ZN7rocprim17ROCPRIM_400000_NS6detail17trampoline_kernelINS0_14default_configENS1_35adjacent_difference_config_selectorILb0EdEEZNS1_24adjacent_difference_implIS3_Lb0ELb0EPdS7_N6thrust23THRUST_200600_302600_NS5minusIdEEEE10hipError_tPvRmT2_T3_mT4_P12ihipStream_tbEUlT_E_NS1_11comp_targetILNS1_3genE5ELNS1_11target_archE942ELNS1_3gpuE9ELNS1_3repE0EEENS1_30default_config_static_selectorELNS0_4arch9wavefront6targetE1EEEvT1_.numbered_sgpr, 0
	.set _ZN7rocprim17ROCPRIM_400000_NS6detail17trampoline_kernelINS0_14default_configENS1_35adjacent_difference_config_selectorILb0EdEEZNS1_24adjacent_difference_implIS3_Lb0ELb0EPdS7_N6thrust23THRUST_200600_302600_NS5minusIdEEEE10hipError_tPvRmT2_T3_mT4_P12ihipStream_tbEUlT_E_NS1_11comp_targetILNS1_3genE5ELNS1_11target_archE942ELNS1_3gpuE9ELNS1_3repE0EEENS1_30default_config_static_selectorELNS0_4arch9wavefront6targetE1EEEvT1_.num_named_barrier, 0
	.set _ZN7rocprim17ROCPRIM_400000_NS6detail17trampoline_kernelINS0_14default_configENS1_35adjacent_difference_config_selectorILb0EdEEZNS1_24adjacent_difference_implIS3_Lb0ELb0EPdS7_N6thrust23THRUST_200600_302600_NS5minusIdEEEE10hipError_tPvRmT2_T3_mT4_P12ihipStream_tbEUlT_E_NS1_11comp_targetILNS1_3genE5ELNS1_11target_archE942ELNS1_3gpuE9ELNS1_3repE0EEENS1_30default_config_static_selectorELNS0_4arch9wavefront6targetE1EEEvT1_.private_seg_size, 0
	.set _ZN7rocprim17ROCPRIM_400000_NS6detail17trampoline_kernelINS0_14default_configENS1_35adjacent_difference_config_selectorILb0EdEEZNS1_24adjacent_difference_implIS3_Lb0ELb0EPdS7_N6thrust23THRUST_200600_302600_NS5minusIdEEEE10hipError_tPvRmT2_T3_mT4_P12ihipStream_tbEUlT_E_NS1_11comp_targetILNS1_3genE5ELNS1_11target_archE942ELNS1_3gpuE9ELNS1_3repE0EEENS1_30default_config_static_selectorELNS0_4arch9wavefront6targetE1EEEvT1_.uses_vcc, 0
	.set _ZN7rocprim17ROCPRIM_400000_NS6detail17trampoline_kernelINS0_14default_configENS1_35adjacent_difference_config_selectorILb0EdEEZNS1_24adjacent_difference_implIS3_Lb0ELb0EPdS7_N6thrust23THRUST_200600_302600_NS5minusIdEEEE10hipError_tPvRmT2_T3_mT4_P12ihipStream_tbEUlT_E_NS1_11comp_targetILNS1_3genE5ELNS1_11target_archE942ELNS1_3gpuE9ELNS1_3repE0EEENS1_30default_config_static_selectorELNS0_4arch9wavefront6targetE1EEEvT1_.uses_flat_scratch, 0
	.set _ZN7rocprim17ROCPRIM_400000_NS6detail17trampoline_kernelINS0_14default_configENS1_35adjacent_difference_config_selectorILb0EdEEZNS1_24adjacent_difference_implIS3_Lb0ELb0EPdS7_N6thrust23THRUST_200600_302600_NS5minusIdEEEE10hipError_tPvRmT2_T3_mT4_P12ihipStream_tbEUlT_E_NS1_11comp_targetILNS1_3genE5ELNS1_11target_archE942ELNS1_3gpuE9ELNS1_3repE0EEENS1_30default_config_static_selectorELNS0_4arch9wavefront6targetE1EEEvT1_.has_dyn_sized_stack, 0
	.set _ZN7rocprim17ROCPRIM_400000_NS6detail17trampoline_kernelINS0_14default_configENS1_35adjacent_difference_config_selectorILb0EdEEZNS1_24adjacent_difference_implIS3_Lb0ELb0EPdS7_N6thrust23THRUST_200600_302600_NS5minusIdEEEE10hipError_tPvRmT2_T3_mT4_P12ihipStream_tbEUlT_E_NS1_11comp_targetILNS1_3genE5ELNS1_11target_archE942ELNS1_3gpuE9ELNS1_3repE0EEENS1_30default_config_static_selectorELNS0_4arch9wavefront6targetE1EEEvT1_.has_recursion, 0
	.set _ZN7rocprim17ROCPRIM_400000_NS6detail17trampoline_kernelINS0_14default_configENS1_35adjacent_difference_config_selectorILb0EdEEZNS1_24adjacent_difference_implIS3_Lb0ELb0EPdS7_N6thrust23THRUST_200600_302600_NS5minusIdEEEE10hipError_tPvRmT2_T3_mT4_P12ihipStream_tbEUlT_E_NS1_11comp_targetILNS1_3genE5ELNS1_11target_archE942ELNS1_3gpuE9ELNS1_3repE0EEENS1_30default_config_static_selectorELNS0_4arch9wavefront6targetE1EEEvT1_.has_indirect_call, 0
	.section	.AMDGPU.csdata,"",@progbits
; Kernel info:
; codeLenInByte = 0
; TotalNumSgprs: 4
; NumVgprs: 0
; ScratchSize: 0
; MemoryBound: 0
; FloatMode: 240
; IeeeMode: 1
; LDSByteSize: 0 bytes/workgroup (compile time only)
; SGPRBlocks: 0
; VGPRBlocks: 0
; NumSGPRsForWavesPerEU: 4
; NumVGPRsForWavesPerEU: 1
; Occupancy: 10
; WaveLimiterHint : 0
; COMPUTE_PGM_RSRC2:SCRATCH_EN: 0
; COMPUTE_PGM_RSRC2:USER_SGPR: 6
; COMPUTE_PGM_RSRC2:TRAP_HANDLER: 0
; COMPUTE_PGM_RSRC2:TGID_X_EN: 1
; COMPUTE_PGM_RSRC2:TGID_Y_EN: 0
; COMPUTE_PGM_RSRC2:TGID_Z_EN: 0
; COMPUTE_PGM_RSRC2:TIDIG_COMP_CNT: 0
	.section	.text._ZN7rocprim17ROCPRIM_400000_NS6detail17trampoline_kernelINS0_14default_configENS1_35adjacent_difference_config_selectorILb0EdEEZNS1_24adjacent_difference_implIS3_Lb0ELb0EPdS7_N6thrust23THRUST_200600_302600_NS5minusIdEEEE10hipError_tPvRmT2_T3_mT4_P12ihipStream_tbEUlT_E_NS1_11comp_targetILNS1_3genE4ELNS1_11target_archE910ELNS1_3gpuE8ELNS1_3repE0EEENS1_30default_config_static_selectorELNS0_4arch9wavefront6targetE1EEEvT1_,"axG",@progbits,_ZN7rocprim17ROCPRIM_400000_NS6detail17trampoline_kernelINS0_14default_configENS1_35adjacent_difference_config_selectorILb0EdEEZNS1_24adjacent_difference_implIS3_Lb0ELb0EPdS7_N6thrust23THRUST_200600_302600_NS5minusIdEEEE10hipError_tPvRmT2_T3_mT4_P12ihipStream_tbEUlT_E_NS1_11comp_targetILNS1_3genE4ELNS1_11target_archE910ELNS1_3gpuE8ELNS1_3repE0EEENS1_30default_config_static_selectorELNS0_4arch9wavefront6targetE1EEEvT1_,comdat
	.protected	_ZN7rocprim17ROCPRIM_400000_NS6detail17trampoline_kernelINS0_14default_configENS1_35adjacent_difference_config_selectorILb0EdEEZNS1_24adjacent_difference_implIS3_Lb0ELb0EPdS7_N6thrust23THRUST_200600_302600_NS5minusIdEEEE10hipError_tPvRmT2_T3_mT4_P12ihipStream_tbEUlT_E_NS1_11comp_targetILNS1_3genE4ELNS1_11target_archE910ELNS1_3gpuE8ELNS1_3repE0EEENS1_30default_config_static_selectorELNS0_4arch9wavefront6targetE1EEEvT1_ ; -- Begin function _ZN7rocprim17ROCPRIM_400000_NS6detail17trampoline_kernelINS0_14default_configENS1_35adjacent_difference_config_selectorILb0EdEEZNS1_24adjacent_difference_implIS3_Lb0ELb0EPdS7_N6thrust23THRUST_200600_302600_NS5minusIdEEEE10hipError_tPvRmT2_T3_mT4_P12ihipStream_tbEUlT_E_NS1_11comp_targetILNS1_3genE4ELNS1_11target_archE910ELNS1_3gpuE8ELNS1_3repE0EEENS1_30default_config_static_selectorELNS0_4arch9wavefront6targetE1EEEvT1_
	.globl	_ZN7rocprim17ROCPRIM_400000_NS6detail17trampoline_kernelINS0_14default_configENS1_35adjacent_difference_config_selectorILb0EdEEZNS1_24adjacent_difference_implIS3_Lb0ELb0EPdS7_N6thrust23THRUST_200600_302600_NS5minusIdEEEE10hipError_tPvRmT2_T3_mT4_P12ihipStream_tbEUlT_E_NS1_11comp_targetILNS1_3genE4ELNS1_11target_archE910ELNS1_3gpuE8ELNS1_3repE0EEENS1_30default_config_static_selectorELNS0_4arch9wavefront6targetE1EEEvT1_
	.p2align	8
	.type	_ZN7rocprim17ROCPRIM_400000_NS6detail17trampoline_kernelINS0_14default_configENS1_35adjacent_difference_config_selectorILb0EdEEZNS1_24adjacent_difference_implIS3_Lb0ELb0EPdS7_N6thrust23THRUST_200600_302600_NS5minusIdEEEE10hipError_tPvRmT2_T3_mT4_P12ihipStream_tbEUlT_E_NS1_11comp_targetILNS1_3genE4ELNS1_11target_archE910ELNS1_3gpuE8ELNS1_3repE0EEENS1_30default_config_static_selectorELNS0_4arch9wavefront6targetE1EEEvT1_,@function
_ZN7rocprim17ROCPRIM_400000_NS6detail17trampoline_kernelINS0_14default_configENS1_35adjacent_difference_config_selectorILb0EdEEZNS1_24adjacent_difference_implIS3_Lb0ELb0EPdS7_N6thrust23THRUST_200600_302600_NS5minusIdEEEE10hipError_tPvRmT2_T3_mT4_P12ihipStream_tbEUlT_E_NS1_11comp_targetILNS1_3genE4ELNS1_11target_archE910ELNS1_3gpuE8ELNS1_3repE0EEENS1_30default_config_static_selectorELNS0_4arch9wavefront6targetE1EEEvT1_: ; @_ZN7rocprim17ROCPRIM_400000_NS6detail17trampoline_kernelINS0_14default_configENS1_35adjacent_difference_config_selectorILb0EdEEZNS1_24adjacent_difference_implIS3_Lb0ELb0EPdS7_N6thrust23THRUST_200600_302600_NS5minusIdEEEE10hipError_tPvRmT2_T3_mT4_P12ihipStream_tbEUlT_E_NS1_11comp_targetILNS1_3genE4ELNS1_11target_archE910ELNS1_3gpuE8ELNS1_3repE0EEENS1_30default_config_static_selectorELNS0_4arch9wavefront6targetE1EEEvT1_
; %bb.0:
	.section	.rodata,"a",@progbits
	.p2align	6, 0x0
	.amdhsa_kernel _ZN7rocprim17ROCPRIM_400000_NS6detail17trampoline_kernelINS0_14default_configENS1_35adjacent_difference_config_selectorILb0EdEEZNS1_24adjacent_difference_implIS3_Lb0ELb0EPdS7_N6thrust23THRUST_200600_302600_NS5minusIdEEEE10hipError_tPvRmT2_T3_mT4_P12ihipStream_tbEUlT_E_NS1_11comp_targetILNS1_3genE4ELNS1_11target_archE910ELNS1_3gpuE8ELNS1_3repE0EEENS1_30default_config_static_selectorELNS0_4arch9wavefront6targetE1EEEvT1_
		.amdhsa_group_segment_fixed_size 0
		.amdhsa_private_segment_fixed_size 0
		.amdhsa_kernarg_size 56
		.amdhsa_user_sgpr_count 6
		.amdhsa_user_sgpr_private_segment_buffer 1
		.amdhsa_user_sgpr_dispatch_ptr 0
		.amdhsa_user_sgpr_queue_ptr 0
		.amdhsa_user_sgpr_kernarg_segment_ptr 1
		.amdhsa_user_sgpr_dispatch_id 0
		.amdhsa_user_sgpr_flat_scratch_init 0
		.amdhsa_user_sgpr_private_segment_size 0
		.amdhsa_uses_dynamic_stack 0
		.amdhsa_system_sgpr_private_segment_wavefront_offset 0
		.amdhsa_system_sgpr_workgroup_id_x 1
		.amdhsa_system_sgpr_workgroup_id_y 0
		.amdhsa_system_sgpr_workgroup_id_z 0
		.amdhsa_system_sgpr_workgroup_info 0
		.amdhsa_system_vgpr_workitem_id 0
		.amdhsa_next_free_vgpr 1
		.amdhsa_next_free_sgpr 0
		.amdhsa_reserve_vcc 0
		.amdhsa_reserve_flat_scratch 0
		.amdhsa_float_round_mode_32 0
		.amdhsa_float_round_mode_16_64 0
		.amdhsa_float_denorm_mode_32 3
		.amdhsa_float_denorm_mode_16_64 3
		.amdhsa_dx10_clamp 1
		.amdhsa_ieee_mode 1
		.amdhsa_fp16_overflow 0
		.amdhsa_exception_fp_ieee_invalid_op 0
		.amdhsa_exception_fp_denorm_src 0
		.amdhsa_exception_fp_ieee_div_zero 0
		.amdhsa_exception_fp_ieee_overflow 0
		.amdhsa_exception_fp_ieee_underflow 0
		.amdhsa_exception_fp_ieee_inexact 0
		.amdhsa_exception_int_div_zero 0
	.end_amdhsa_kernel
	.section	.text._ZN7rocprim17ROCPRIM_400000_NS6detail17trampoline_kernelINS0_14default_configENS1_35adjacent_difference_config_selectorILb0EdEEZNS1_24adjacent_difference_implIS3_Lb0ELb0EPdS7_N6thrust23THRUST_200600_302600_NS5minusIdEEEE10hipError_tPvRmT2_T3_mT4_P12ihipStream_tbEUlT_E_NS1_11comp_targetILNS1_3genE4ELNS1_11target_archE910ELNS1_3gpuE8ELNS1_3repE0EEENS1_30default_config_static_selectorELNS0_4arch9wavefront6targetE1EEEvT1_,"axG",@progbits,_ZN7rocprim17ROCPRIM_400000_NS6detail17trampoline_kernelINS0_14default_configENS1_35adjacent_difference_config_selectorILb0EdEEZNS1_24adjacent_difference_implIS3_Lb0ELb0EPdS7_N6thrust23THRUST_200600_302600_NS5minusIdEEEE10hipError_tPvRmT2_T3_mT4_P12ihipStream_tbEUlT_E_NS1_11comp_targetILNS1_3genE4ELNS1_11target_archE910ELNS1_3gpuE8ELNS1_3repE0EEENS1_30default_config_static_selectorELNS0_4arch9wavefront6targetE1EEEvT1_,comdat
.Lfunc_end5:
	.size	_ZN7rocprim17ROCPRIM_400000_NS6detail17trampoline_kernelINS0_14default_configENS1_35adjacent_difference_config_selectorILb0EdEEZNS1_24adjacent_difference_implIS3_Lb0ELb0EPdS7_N6thrust23THRUST_200600_302600_NS5minusIdEEEE10hipError_tPvRmT2_T3_mT4_P12ihipStream_tbEUlT_E_NS1_11comp_targetILNS1_3genE4ELNS1_11target_archE910ELNS1_3gpuE8ELNS1_3repE0EEENS1_30default_config_static_selectorELNS0_4arch9wavefront6targetE1EEEvT1_, .Lfunc_end5-_ZN7rocprim17ROCPRIM_400000_NS6detail17trampoline_kernelINS0_14default_configENS1_35adjacent_difference_config_selectorILb0EdEEZNS1_24adjacent_difference_implIS3_Lb0ELb0EPdS7_N6thrust23THRUST_200600_302600_NS5minusIdEEEE10hipError_tPvRmT2_T3_mT4_P12ihipStream_tbEUlT_E_NS1_11comp_targetILNS1_3genE4ELNS1_11target_archE910ELNS1_3gpuE8ELNS1_3repE0EEENS1_30default_config_static_selectorELNS0_4arch9wavefront6targetE1EEEvT1_
                                        ; -- End function
	.set _ZN7rocprim17ROCPRIM_400000_NS6detail17trampoline_kernelINS0_14default_configENS1_35adjacent_difference_config_selectorILb0EdEEZNS1_24adjacent_difference_implIS3_Lb0ELb0EPdS7_N6thrust23THRUST_200600_302600_NS5minusIdEEEE10hipError_tPvRmT2_T3_mT4_P12ihipStream_tbEUlT_E_NS1_11comp_targetILNS1_3genE4ELNS1_11target_archE910ELNS1_3gpuE8ELNS1_3repE0EEENS1_30default_config_static_selectorELNS0_4arch9wavefront6targetE1EEEvT1_.num_vgpr, 0
	.set _ZN7rocprim17ROCPRIM_400000_NS6detail17trampoline_kernelINS0_14default_configENS1_35adjacent_difference_config_selectorILb0EdEEZNS1_24adjacent_difference_implIS3_Lb0ELb0EPdS7_N6thrust23THRUST_200600_302600_NS5minusIdEEEE10hipError_tPvRmT2_T3_mT4_P12ihipStream_tbEUlT_E_NS1_11comp_targetILNS1_3genE4ELNS1_11target_archE910ELNS1_3gpuE8ELNS1_3repE0EEENS1_30default_config_static_selectorELNS0_4arch9wavefront6targetE1EEEvT1_.num_agpr, 0
	.set _ZN7rocprim17ROCPRIM_400000_NS6detail17trampoline_kernelINS0_14default_configENS1_35adjacent_difference_config_selectorILb0EdEEZNS1_24adjacent_difference_implIS3_Lb0ELb0EPdS7_N6thrust23THRUST_200600_302600_NS5minusIdEEEE10hipError_tPvRmT2_T3_mT4_P12ihipStream_tbEUlT_E_NS1_11comp_targetILNS1_3genE4ELNS1_11target_archE910ELNS1_3gpuE8ELNS1_3repE0EEENS1_30default_config_static_selectorELNS0_4arch9wavefront6targetE1EEEvT1_.numbered_sgpr, 0
	.set _ZN7rocprim17ROCPRIM_400000_NS6detail17trampoline_kernelINS0_14default_configENS1_35adjacent_difference_config_selectorILb0EdEEZNS1_24adjacent_difference_implIS3_Lb0ELb0EPdS7_N6thrust23THRUST_200600_302600_NS5minusIdEEEE10hipError_tPvRmT2_T3_mT4_P12ihipStream_tbEUlT_E_NS1_11comp_targetILNS1_3genE4ELNS1_11target_archE910ELNS1_3gpuE8ELNS1_3repE0EEENS1_30default_config_static_selectorELNS0_4arch9wavefront6targetE1EEEvT1_.num_named_barrier, 0
	.set _ZN7rocprim17ROCPRIM_400000_NS6detail17trampoline_kernelINS0_14default_configENS1_35adjacent_difference_config_selectorILb0EdEEZNS1_24adjacent_difference_implIS3_Lb0ELb0EPdS7_N6thrust23THRUST_200600_302600_NS5minusIdEEEE10hipError_tPvRmT2_T3_mT4_P12ihipStream_tbEUlT_E_NS1_11comp_targetILNS1_3genE4ELNS1_11target_archE910ELNS1_3gpuE8ELNS1_3repE0EEENS1_30default_config_static_selectorELNS0_4arch9wavefront6targetE1EEEvT1_.private_seg_size, 0
	.set _ZN7rocprim17ROCPRIM_400000_NS6detail17trampoline_kernelINS0_14default_configENS1_35adjacent_difference_config_selectorILb0EdEEZNS1_24adjacent_difference_implIS3_Lb0ELb0EPdS7_N6thrust23THRUST_200600_302600_NS5minusIdEEEE10hipError_tPvRmT2_T3_mT4_P12ihipStream_tbEUlT_E_NS1_11comp_targetILNS1_3genE4ELNS1_11target_archE910ELNS1_3gpuE8ELNS1_3repE0EEENS1_30default_config_static_selectorELNS0_4arch9wavefront6targetE1EEEvT1_.uses_vcc, 0
	.set _ZN7rocprim17ROCPRIM_400000_NS6detail17trampoline_kernelINS0_14default_configENS1_35adjacent_difference_config_selectorILb0EdEEZNS1_24adjacent_difference_implIS3_Lb0ELb0EPdS7_N6thrust23THRUST_200600_302600_NS5minusIdEEEE10hipError_tPvRmT2_T3_mT4_P12ihipStream_tbEUlT_E_NS1_11comp_targetILNS1_3genE4ELNS1_11target_archE910ELNS1_3gpuE8ELNS1_3repE0EEENS1_30default_config_static_selectorELNS0_4arch9wavefront6targetE1EEEvT1_.uses_flat_scratch, 0
	.set _ZN7rocprim17ROCPRIM_400000_NS6detail17trampoline_kernelINS0_14default_configENS1_35adjacent_difference_config_selectorILb0EdEEZNS1_24adjacent_difference_implIS3_Lb0ELb0EPdS7_N6thrust23THRUST_200600_302600_NS5minusIdEEEE10hipError_tPvRmT2_T3_mT4_P12ihipStream_tbEUlT_E_NS1_11comp_targetILNS1_3genE4ELNS1_11target_archE910ELNS1_3gpuE8ELNS1_3repE0EEENS1_30default_config_static_selectorELNS0_4arch9wavefront6targetE1EEEvT1_.has_dyn_sized_stack, 0
	.set _ZN7rocprim17ROCPRIM_400000_NS6detail17trampoline_kernelINS0_14default_configENS1_35adjacent_difference_config_selectorILb0EdEEZNS1_24adjacent_difference_implIS3_Lb0ELb0EPdS7_N6thrust23THRUST_200600_302600_NS5minusIdEEEE10hipError_tPvRmT2_T3_mT4_P12ihipStream_tbEUlT_E_NS1_11comp_targetILNS1_3genE4ELNS1_11target_archE910ELNS1_3gpuE8ELNS1_3repE0EEENS1_30default_config_static_selectorELNS0_4arch9wavefront6targetE1EEEvT1_.has_recursion, 0
	.set _ZN7rocprim17ROCPRIM_400000_NS6detail17trampoline_kernelINS0_14default_configENS1_35adjacent_difference_config_selectorILb0EdEEZNS1_24adjacent_difference_implIS3_Lb0ELb0EPdS7_N6thrust23THRUST_200600_302600_NS5minusIdEEEE10hipError_tPvRmT2_T3_mT4_P12ihipStream_tbEUlT_E_NS1_11comp_targetILNS1_3genE4ELNS1_11target_archE910ELNS1_3gpuE8ELNS1_3repE0EEENS1_30default_config_static_selectorELNS0_4arch9wavefront6targetE1EEEvT1_.has_indirect_call, 0
	.section	.AMDGPU.csdata,"",@progbits
; Kernel info:
; codeLenInByte = 0
; TotalNumSgprs: 4
; NumVgprs: 0
; ScratchSize: 0
; MemoryBound: 0
; FloatMode: 240
; IeeeMode: 1
; LDSByteSize: 0 bytes/workgroup (compile time only)
; SGPRBlocks: 0
; VGPRBlocks: 0
; NumSGPRsForWavesPerEU: 4
; NumVGPRsForWavesPerEU: 1
; Occupancy: 10
; WaveLimiterHint : 0
; COMPUTE_PGM_RSRC2:SCRATCH_EN: 0
; COMPUTE_PGM_RSRC2:USER_SGPR: 6
; COMPUTE_PGM_RSRC2:TRAP_HANDLER: 0
; COMPUTE_PGM_RSRC2:TGID_X_EN: 1
; COMPUTE_PGM_RSRC2:TGID_Y_EN: 0
; COMPUTE_PGM_RSRC2:TGID_Z_EN: 0
; COMPUTE_PGM_RSRC2:TIDIG_COMP_CNT: 0
	.section	.text._ZN7rocprim17ROCPRIM_400000_NS6detail17trampoline_kernelINS0_14default_configENS1_35adjacent_difference_config_selectorILb0EdEEZNS1_24adjacent_difference_implIS3_Lb0ELb0EPdS7_N6thrust23THRUST_200600_302600_NS5minusIdEEEE10hipError_tPvRmT2_T3_mT4_P12ihipStream_tbEUlT_E_NS1_11comp_targetILNS1_3genE3ELNS1_11target_archE908ELNS1_3gpuE7ELNS1_3repE0EEENS1_30default_config_static_selectorELNS0_4arch9wavefront6targetE1EEEvT1_,"axG",@progbits,_ZN7rocprim17ROCPRIM_400000_NS6detail17trampoline_kernelINS0_14default_configENS1_35adjacent_difference_config_selectorILb0EdEEZNS1_24adjacent_difference_implIS3_Lb0ELb0EPdS7_N6thrust23THRUST_200600_302600_NS5minusIdEEEE10hipError_tPvRmT2_T3_mT4_P12ihipStream_tbEUlT_E_NS1_11comp_targetILNS1_3genE3ELNS1_11target_archE908ELNS1_3gpuE7ELNS1_3repE0EEENS1_30default_config_static_selectorELNS0_4arch9wavefront6targetE1EEEvT1_,comdat
	.protected	_ZN7rocprim17ROCPRIM_400000_NS6detail17trampoline_kernelINS0_14default_configENS1_35adjacent_difference_config_selectorILb0EdEEZNS1_24adjacent_difference_implIS3_Lb0ELb0EPdS7_N6thrust23THRUST_200600_302600_NS5minusIdEEEE10hipError_tPvRmT2_T3_mT4_P12ihipStream_tbEUlT_E_NS1_11comp_targetILNS1_3genE3ELNS1_11target_archE908ELNS1_3gpuE7ELNS1_3repE0EEENS1_30default_config_static_selectorELNS0_4arch9wavefront6targetE1EEEvT1_ ; -- Begin function _ZN7rocprim17ROCPRIM_400000_NS6detail17trampoline_kernelINS0_14default_configENS1_35adjacent_difference_config_selectorILb0EdEEZNS1_24adjacent_difference_implIS3_Lb0ELb0EPdS7_N6thrust23THRUST_200600_302600_NS5minusIdEEEE10hipError_tPvRmT2_T3_mT4_P12ihipStream_tbEUlT_E_NS1_11comp_targetILNS1_3genE3ELNS1_11target_archE908ELNS1_3gpuE7ELNS1_3repE0EEENS1_30default_config_static_selectorELNS0_4arch9wavefront6targetE1EEEvT1_
	.globl	_ZN7rocprim17ROCPRIM_400000_NS6detail17trampoline_kernelINS0_14default_configENS1_35adjacent_difference_config_selectorILb0EdEEZNS1_24adjacent_difference_implIS3_Lb0ELb0EPdS7_N6thrust23THRUST_200600_302600_NS5minusIdEEEE10hipError_tPvRmT2_T3_mT4_P12ihipStream_tbEUlT_E_NS1_11comp_targetILNS1_3genE3ELNS1_11target_archE908ELNS1_3gpuE7ELNS1_3repE0EEENS1_30default_config_static_selectorELNS0_4arch9wavefront6targetE1EEEvT1_
	.p2align	8
	.type	_ZN7rocprim17ROCPRIM_400000_NS6detail17trampoline_kernelINS0_14default_configENS1_35adjacent_difference_config_selectorILb0EdEEZNS1_24adjacent_difference_implIS3_Lb0ELb0EPdS7_N6thrust23THRUST_200600_302600_NS5minusIdEEEE10hipError_tPvRmT2_T3_mT4_P12ihipStream_tbEUlT_E_NS1_11comp_targetILNS1_3genE3ELNS1_11target_archE908ELNS1_3gpuE7ELNS1_3repE0EEENS1_30default_config_static_selectorELNS0_4arch9wavefront6targetE1EEEvT1_,@function
_ZN7rocprim17ROCPRIM_400000_NS6detail17trampoline_kernelINS0_14default_configENS1_35adjacent_difference_config_selectorILb0EdEEZNS1_24adjacent_difference_implIS3_Lb0ELb0EPdS7_N6thrust23THRUST_200600_302600_NS5minusIdEEEE10hipError_tPvRmT2_T3_mT4_P12ihipStream_tbEUlT_E_NS1_11comp_targetILNS1_3genE3ELNS1_11target_archE908ELNS1_3gpuE7ELNS1_3repE0EEENS1_30default_config_static_selectorELNS0_4arch9wavefront6targetE1EEEvT1_: ; @_ZN7rocprim17ROCPRIM_400000_NS6detail17trampoline_kernelINS0_14default_configENS1_35adjacent_difference_config_selectorILb0EdEEZNS1_24adjacent_difference_implIS3_Lb0ELb0EPdS7_N6thrust23THRUST_200600_302600_NS5minusIdEEEE10hipError_tPvRmT2_T3_mT4_P12ihipStream_tbEUlT_E_NS1_11comp_targetILNS1_3genE3ELNS1_11target_archE908ELNS1_3gpuE7ELNS1_3repE0EEENS1_30default_config_static_selectorELNS0_4arch9wavefront6targetE1EEEvT1_
; %bb.0:
	.section	.rodata,"a",@progbits
	.p2align	6, 0x0
	.amdhsa_kernel _ZN7rocprim17ROCPRIM_400000_NS6detail17trampoline_kernelINS0_14default_configENS1_35adjacent_difference_config_selectorILb0EdEEZNS1_24adjacent_difference_implIS3_Lb0ELb0EPdS7_N6thrust23THRUST_200600_302600_NS5minusIdEEEE10hipError_tPvRmT2_T3_mT4_P12ihipStream_tbEUlT_E_NS1_11comp_targetILNS1_3genE3ELNS1_11target_archE908ELNS1_3gpuE7ELNS1_3repE0EEENS1_30default_config_static_selectorELNS0_4arch9wavefront6targetE1EEEvT1_
		.amdhsa_group_segment_fixed_size 0
		.amdhsa_private_segment_fixed_size 0
		.amdhsa_kernarg_size 56
		.amdhsa_user_sgpr_count 6
		.amdhsa_user_sgpr_private_segment_buffer 1
		.amdhsa_user_sgpr_dispatch_ptr 0
		.amdhsa_user_sgpr_queue_ptr 0
		.amdhsa_user_sgpr_kernarg_segment_ptr 1
		.amdhsa_user_sgpr_dispatch_id 0
		.amdhsa_user_sgpr_flat_scratch_init 0
		.amdhsa_user_sgpr_private_segment_size 0
		.amdhsa_uses_dynamic_stack 0
		.amdhsa_system_sgpr_private_segment_wavefront_offset 0
		.amdhsa_system_sgpr_workgroup_id_x 1
		.amdhsa_system_sgpr_workgroup_id_y 0
		.amdhsa_system_sgpr_workgroup_id_z 0
		.amdhsa_system_sgpr_workgroup_info 0
		.amdhsa_system_vgpr_workitem_id 0
		.amdhsa_next_free_vgpr 1
		.amdhsa_next_free_sgpr 0
		.amdhsa_reserve_vcc 0
		.amdhsa_reserve_flat_scratch 0
		.amdhsa_float_round_mode_32 0
		.amdhsa_float_round_mode_16_64 0
		.amdhsa_float_denorm_mode_32 3
		.amdhsa_float_denorm_mode_16_64 3
		.amdhsa_dx10_clamp 1
		.amdhsa_ieee_mode 1
		.amdhsa_fp16_overflow 0
		.amdhsa_exception_fp_ieee_invalid_op 0
		.amdhsa_exception_fp_denorm_src 0
		.amdhsa_exception_fp_ieee_div_zero 0
		.amdhsa_exception_fp_ieee_overflow 0
		.amdhsa_exception_fp_ieee_underflow 0
		.amdhsa_exception_fp_ieee_inexact 0
		.amdhsa_exception_int_div_zero 0
	.end_amdhsa_kernel
	.section	.text._ZN7rocprim17ROCPRIM_400000_NS6detail17trampoline_kernelINS0_14default_configENS1_35adjacent_difference_config_selectorILb0EdEEZNS1_24adjacent_difference_implIS3_Lb0ELb0EPdS7_N6thrust23THRUST_200600_302600_NS5minusIdEEEE10hipError_tPvRmT2_T3_mT4_P12ihipStream_tbEUlT_E_NS1_11comp_targetILNS1_3genE3ELNS1_11target_archE908ELNS1_3gpuE7ELNS1_3repE0EEENS1_30default_config_static_selectorELNS0_4arch9wavefront6targetE1EEEvT1_,"axG",@progbits,_ZN7rocprim17ROCPRIM_400000_NS6detail17trampoline_kernelINS0_14default_configENS1_35adjacent_difference_config_selectorILb0EdEEZNS1_24adjacent_difference_implIS3_Lb0ELb0EPdS7_N6thrust23THRUST_200600_302600_NS5minusIdEEEE10hipError_tPvRmT2_T3_mT4_P12ihipStream_tbEUlT_E_NS1_11comp_targetILNS1_3genE3ELNS1_11target_archE908ELNS1_3gpuE7ELNS1_3repE0EEENS1_30default_config_static_selectorELNS0_4arch9wavefront6targetE1EEEvT1_,comdat
.Lfunc_end6:
	.size	_ZN7rocprim17ROCPRIM_400000_NS6detail17trampoline_kernelINS0_14default_configENS1_35adjacent_difference_config_selectorILb0EdEEZNS1_24adjacent_difference_implIS3_Lb0ELb0EPdS7_N6thrust23THRUST_200600_302600_NS5minusIdEEEE10hipError_tPvRmT2_T3_mT4_P12ihipStream_tbEUlT_E_NS1_11comp_targetILNS1_3genE3ELNS1_11target_archE908ELNS1_3gpuE7ELNS1_3repE0EEENS1_30default_config_static_selectorELNS0_4arch9wavefront6targetE1EEEvT1_, .Lfunc_end6-_ZN7rocprim17ROCPRIM_400000_NS6detail17trampoline_kernelINS0_14default_configENS1_35adjacent_difference_config_selectorILb0EdEEZNS1_24adjacent_difference_implIS3_Lb0ELb0EPdS7_N6thrust23THRUST_200600_302600_NS5minusIdEEEE10hipError_tPvRmT2_T3_mT4_P12ihipStream_tbEUlT_E_NS1_11comp_targetILNS1_3genE3ELNS1_11target_archE908ELNS1_3gpuE7ELNS1_3repE0EEENS1_30default_config_static_selectorELNS0_4arch9wavefront6targetE1EEEvT1_
                                        ; -- End function
	.set _ZN7rocprim17ROCPRIM_400000_NS6detail17trampoline_kernelINS0_14default_configENS1_35adjacent_difference_config_selectorILb0EdEEZNS1_24adjacent_difference_implIS3_Lb0ELb0EPdS7_N6thrust23THRUST_200600_302600_NS5minusIdEEEE10hipError_tPvRmT2_T3_mT4_P12ihipStream_tbEUlT_E_NS1_11comp_targetILNS1_3genE3ELNS1_11target_archE908ELNS1_3gpuE7ELNS1_3repE0EEENS1_30default_config_static_selectorELNS0_4arch9wavefront6targetE1EEEvT1_.num_vgpr, 0
	.set _ZN7rocprim17ROCPRIM_400000_NS6detail17trampoline_kernelINS0_14default_configENS1_35adjacent_difference_config_selectorILb0EdEEZNS1_24adjacent_difference_implIS3_Lb0ELb0EPdS7_N6thrust23THRUST_200600_302600_NS5minusIdEEEE10hipError_tPvRmT2_T3_mT4_P12ihipStream_tbEUlT_E_NS1_11comp_targetILNS1_3genE3ELNS1_11target_archE908ELNS1_3gpuE7ELNS1_3repE0EEENS1_30default_config_static_selectorELNS0_4arch9wavefront6targetE1EEEvT1_.num_agpr, 0
	.set _ZN7rocprim17ROCPRIM_400000_NS6detail17trampoline_kernelINS0_14default_configENS1_35adjacent_difference_config_selectorILb0EdEEZNS1_24adjacent_difference_implIS3_Lb0ELb0EPdS7_N6thrust23THRUST_200600_302600_NS5minusIdEEEE10hipError_tPvRmT2_T3_mT4_P12ihipStream_tbEUlT_E_NS1_11comp_targetILNS1_3genE3ELNS1_11target_archE908ELNS1_3gpuE7ELNS1_3repE0EEENS1_30default_config_static_selectorELNS0_4arch9wavefront6targetE1EEEvT1_.numbered_sgpr, 0
	.set _ZN7rocprim17ROCPRIM_400000_NS6detail17trampoline_kernelINS0_14default_configENS1_35adjacent_difference_config_selectorILb0EdEEZNS1_24adjacent_difference_implIS3_Lb0ELb0EPdS7_N6thrust23THRUST_200600_302600_NS5minusIdEEEE10hipError_tPvRmT2_T3_mT4_P12ihipStream_tbEUlT_E_NS1_11comp_targetILNS1_3genE3ELNS1_11target_archE908ELNS1_3gpuE7ELNS1_3repE0EEENS1_30default_config_static_selectorELNS0_4arch9wavefront6targetE1EEEvT1_.num_named_barrier, 0
	.set _ZN7rocprim17ROCPRIM_400000_NS6detail17trampoline_kernelINS0_14default_configENS1_35adjacent_difference_config_selectorILb0EdEEZNS1_24adjacent_difference_implIS3_Lb0ELb0EPdS7_N6thrust23THRUST_200600_302600_NS5minusIdEEEE10hipError_tPvRmT2_T3_mT4_P12ihipStream_tbEUlT_E_NS1_11comp_targetILNS1_3genE3ELNS1_11target_archE908ELNS1_3gpuE7ELNS1_3repE0EEENS1_30default_config_static_selectorELNS0_4arch9wavefront6targetE1EEEvT1_.private_seg_size, 0
	.set _ZN7rocprim17ROCPRIM_400000_NS6detail17trampoline_kernelINS0_14default_configENS1_35adjacent_difference_config_selectorILb0EdEEZNS1_24adjacent_difference_implIS3_Lb0ELb0EPdS7_N6thrust23THRUST_200600_302600_NS5minusIdEEEE10hipError_tPvRmT2_T3_mT4_P12ihipStream_tbEUlT_E_NS1_11comp_targetILNS1_3genE3ELNS1_11target_archE908ELNS1_3gpuE7ELNS1_3repE0EEENS1_30default_config_static_selectorELNS0_4arch9wavefront6targetE1EEEvT1_.uses_vcc, 0
	.set _ZN7rocprim17ROCPRIM_400000_NS6detail17trampoline_kernelINS0_14default_configENS1_35adjacent_difference_config_selectorILb0EdEEZNS1_24adjacent_difference_implIS3_Lb0ELb0EPdS7_N6thrust23THRUST_200600_302600_NS5minusIdEEEE10hipError_tPvRmT2_T3_mT4_P12ihipStream_tbEUlT_E_NS1_11comp_targetILNS1_3genE3ELNS1_11target_archE908ELNS1_3gpuE7ELNS1_3repE0EEENS1_30default_config_static_selectorELNS0_4arch9wavefront6targetE1EEEvT1_.uses_flat_scratch, 0
	.set _ZN7rocprim17ROCPRIM_400000_NS6detail17trampoline_kernelINS0_14default_configENS1_35adjacent_difference_config_selectorILb0EdEEZNS1_24adjacent_difference_implIS3_Lb0ELb0EPdS7_N6thrust23THRUST_200600_302600_NS5minusIdEEEE10hipError_tPvRmT2_T3_mT4_P12ihipStream_tbEUlT_E_NS1_11comp_targetILNS1_3genE3ELNS1_11target_archE908ELNS1_3gpuE7ELNS1_3repE0EEENS1_30default_config_static_selectorELNS0_4arch9wavefront6targetE1EEEvT1_.has_dyn_sized_stack, 0
	.set _ZN7rocprim17ROCPRIM_400000_NS6detail17trampoline_kernelINS0_14default_configENS1_35adjacent_difference_config_selectorILb0EdEEZNS1_24adjacent_difference_implIS3_Lb0ELb0EPdS7_N6thrust23THRUST_200600_302600_NS5minusIdEEEE10hipError_tPvRmT2_T3_mT4_P12ihipStream_tbEUlT_E_NS1_11comp_targetILNS1_3genE3ELNS1_11target_archE908ELNS1_3gpuE7ELNS1_3repE0EEENS1_30default_config_static_selectorELNS0_4arch9wavefront6targetE1EEEvT1_.has_recursion, 0
	.set _ZN7rocprim17ROCPRIM_400000_NS6detail17trampoline_kernelINS0_14default_configENS1_35adjacent_difference_config_selectorILb0EdEEZNS1_24adjacent_difference_implIS3_Lb0ELb0EPdS7_N6thrust23THRUST_200600_302600_NS5minusIdEEEE10hipError_tPvRmT2_T3_mT4_P12ihipStream_tbEUlT_E_NS1_11comp_targetILNS1_3genE3ELNS1_11target_archE908ELNS1_3gpuE7ELNS1_3repE0EEENS1_30default_config_static_selectorELNS0_4arch9wavefront6targetE1EEEvT1_.has_indirect_call, 0
	.section	.AMDGPU.csdata,"",@progbits
; Kernel info:
; codeLenInByte = 0
; TotalNumSgprs: 4
; NumVgprs: 0
; ScratchSize: 0
; MemoryBound: 0
; FloatMode: 240
; IeeeMode: 1
; LDSByteSize: 0 bytes/workgroup (compile time only)
; SGPRBlocks: 0
; VGPRBlocks: 0
; NumSGPRsForWavesPerEU: 4
; NumVGPRsForWavesPerEU: 1
; Occupancy: 10
; WaveLimiterHint : 0
; COMPUTE_PGM_RSRC2:SCRATCH_EN: 0
; COMPUTE_PGM_RSRC2:USER_SGPR: 6
; COMPUTE_PGM_RSRC2:TRAP_HANDLER: 0
; COMPUTE_PGM_RSRC2:TGID_X_EN: 1
; COMPUTE_PGM_RSRC2:TGID_Y_EN: 0
; COMPUTE_PGM_RSRC2:TGID_Z_EN: 0
; COMPUTE_PGM_RSRC2:TIDIG_COMP_CNT: 0
	.section	.text._ZN7rocprim17ROCPRIM_400000_NS6detail17trampoline_kernelINS0_14default_configENS1_35adjacent_difference_config_selectorILb0EdEEZNS1_24adjacent_difference_implIS3_Lb0ELb0EPdS7_N6thrust23THRUST_200600_302600_NS5minusIdEEEE10hipError_tPvRmT2_T3_mT4_P12ihipStream_tbEUlT_E_NS1_11comp_targetILNS1_3genE2ELNS1_11target_archE906ELNS1_3gpuE6ELNS1_3repE0EEENS1_30default_config_static_selectorELNS0_4arch9wavefront6targetE1EEEvT1_,"axG",@progbits,_ZN7rocprim17ROCPRIM_400000_NS6detail17trampoline_kernelINS0_14default_configENS1_35adjacent_difference_config_selectorILb0EdEEZNS1_24adjacent_difference_implIS3_Lb0ELb0EPdS7_N6thrust23THRUST_200600_302600_NS5minusIdEEEE10hipError_tPvRmT2_T3_mT4_P12ihipStream_tbEUlT_E_NS1_11comp_targetILNS1_3genE2ELNS1_11target_archE906ELNS1_3gpuE6ELNS1_3repE0EEENS1_30default_config_static_selectorELNS0_4arch9wavefront6targetE1EEEvT1_,comdat
	.protected	_ZN7rocprim17ROCPRIM_400000_NS6detail17trampoline_kernelINS0_14default_configENS1_35adjacent_difference_config_selectorILb0EdEEZNS1_24adjacent_difference_implIS3_Lb0ELb0EPdS7_N6thrust23THRUST_200600_302600_NS5minusIdEEEE10hipError_tPvRmT2_T3_mT4_P12ihipStream_tbEUlT_E_NS1_11comp_targetILNS1_3genE2ELNS1_11target_archE906ELNS1_3gpuE6ELNS1_3repE0EEENS1_30default_config_static_selectorELNS0_4arch9wavefront6targetE1EEEvT1_ ; -- Begin function _ZN7rocprim17ROCPRIM_400000_NS6detail17trampoline_kernelINS0_14default_configENS1_35adjacent_difference_config_selectorILb0EdEEZNS1_24adjacent_difference_implIS3_Lb0ELb0EPdS7_N6thrust23THRUST_200600_302600_NS5minusIdEEEE10hipError_tPvRmT2_T3_mT4_P12ihipStream_tbEUlT_E_NS1_11comp_targetILNS1_3genE2ELNS1_11target_archE906ELNS1_3gpuE6ELNS1_3repE0EEENS1_30default_config_static_selectorELNS0_4arch9wavefront6targetE1EEEvT1_
	.globl	_ZN7rocprim17ROCPRIM_400000_NS6detail17trampoline_kernelINS0_14default_configENS1_35adjacent_difference_config_selectorILb0EdEEZNS1_24adjacent_difference_implIS3_Lb0ELb0EPdS7_N6thrust23THRUST_200600_302600_NS5minusIdEEEE10hipError_tPvRmT2_T3_mT4_P12ihipStream_tbEUlT_E_NS1_11comp_targetILNS1_3genE2ELNS1_11target_archE906ELNS1_3gpuE6ELNS1_3repE0EEENS1_30default_config_static_selectorELNS0_4arch9wavefront6targetE1EEEvT1_
	.p2align	8
	.type	_ZN7rocprim17ROCPRIM_400000_NS6detail17trampoline_kernelINS0_14default_configENS1_35adjacent_difference_config_selectorILb0EdEEZNS1_24adjacent_difference_implIS3_Lb0ELb0EPdS7_N6thrust23THRUST_200600_302600_NS5minusIdEEEE10hipError_tPvRmT2_T3_mT4_P12ihipStream_tbEUlT_E_NS1_11comp_targetILNS1_3genE2ELNS1_11target_archE906ELNS1_3gpuE6ELNS1_3repE0EEENS1_30default_config_static_selectorELNS0_4arch9wavefront6targetE1EEEvT1_,@function
_ZN7rocprim17ROCPRIM_400000_NS6detail17trampoline_kernelINS0_14default_configENS1_35adjacent_difference_config_selectorILb0EdEEZNS1_24adjacent_difference_implIS3_Lb0ELb0EPdS7_N6thrust23THRUST_200600_302600_NS5minusIdEEEE10hipError_tPvRmT2_T3_mT4_P12ihipStream_tbEUlT_E_NS1_11comp_targetILNS1_3genE2ELNS1_11target_archE906ELNS1_3gpuE6ELNS1_3repE0EEENS1_30default_config_static_selectorELNS0_4arch9wavefront6targetE1EEEvT1_: ; @_ZN7rocprim17ROCPRIM_400000_NS6detail17trampoline_kernelINS0_14default_configENS1_35adjacent_difference_config_selectorILb0EdEEZNS1_24adjacent_difference_implIS3_Lb0ELb0EPdS7_N6thrust23THRUST_200600_302600_NS5minusIdEEEE10hipError_tPvRmT2_T3_mT4_P12ihipStream_tbEUlT_E_NS1_11comp_targetILNS1_3genE2ELNS1_11target_archE906ELNS1_3gpuE6ELNS1_3repE0EEENS1_30default_config_static_selectorELNS0_4arch9wavefront6targetE1EEEvT1_
; %bb.0:
	s_load_dwordx8 s[8:15], s[4:5], 0x0
	s_load_dwordx2 s[0:1], s[4:5], 0x30
	s_mov_b32 s5, 0
	s_mov_b64 s[16:17], -1
	s_waitcnt lgkmcnt(0)
	s_lshl_b64 s[10:11], s[10:11], 3
	s_add_u32 s20, s8, s10
	s_addc_u32 s21, s9, s11
	s_lshl_b32 s4, s6, 11
	s_lshr_b64 s[2:3], s[14:15], 11
	s_and_b32 s8, s14, 0x7ff
	s_mov_b32 s9, s5
	s_cmp_lg_u64 s[8:9], 0
	s_cselect_b64 s[8:9], -1, 0
	v_cndmask_b32_e64 v1, 0, 1, s[8:9]
	v_readfirstlane_b32 s7, v1
	s_add_u32 s2, s2, s7
	s_addc_u32 s3, s3, 0
	s_add_u32 s8, s0, s6
	s_addc_u32 s9, s1, 0
	s_add_u32 s6, s2, -1
	s_addc_u32 s7, s3, -1
	v_mov_b32_e32 v1, s6
	v_mov_b32_e32 v2, s7
	v_cmp_ge_u64_e64 s[0:1], s[8:9], v[1:2]
	s_and_b64 vcc, exec, s[0:1]
	s_cbranch_vccz .LBB7_6
; %bb.1:
	s_lshl_b32 s15, s6, 11
	s_sub_i32 s15, s14, s15
	s_lshl_b64 s[16:17], s[4:5], 3
	s_add_u32 s16, s20, s16
	v_mov_b32_e32 v1, 0
	s_addc_u32 s17, s21, s17
	v_cmp_gt_u32_e32 vcc, s15, v0
	v_mov_b32_e32 v2, v1
	v_mov_b32_e32 v3, v1
	;; [unrolled: 1-line block ×3, first 2 shown]
	s_and_saveexec_b64 s[18:19], vcc
	s_cbranch_execz .LBB7_3
; %bb.2:
	v_lshlrev_b32_e32 v2, 3, v0
	global_load_dwordx2 v[2:3], v2, s[16:17]
	v_mov_b32_e32 v4, v1
	v_mov_b32_e32 v5, v1
	s_waitcnt vmcnt(0)
	v_mov_b32_e32 v1, v2
	v_mov_b32_e32 v2, v3
	;; [unrolled: 1-line block ×4, first 2 shown]
.LBB7_3:
	s_or_b64 exec, exec, s[18:19]
	v_or_b32_e32 v5, 0x400, v0
	v_cmp_gt_u32_e32 vcc, s15, v5
	s_and_saveexec_b64 s[18:19], vcc
	s_cbranch_execz .LBB7_5
; %bb.4:
	v_lshlrev_b32_e32 v3, 3, v5
	global_load_dwordx2 v[3:4], v3, s[16:17]
.LBB7_5:
	s_or_b64 exec, exec, s[18:19]
	v_lshrrev_b32_e32 v6, 2, v0
	v_and_b32_e32 v6, 0xf8, v6
	v_lshlrev_b32_e32 v7, 3, v0
	v_add_u32_e32 v6, v6, v7
	ds_write_b64 v6, v[1:2]
	v_lshrrev_b32_e32 v1, 2, v5
	v_and_b32_e32 v1, 0x1f8, v1
	v_add_u32_e32 v1, v1, v7
	s_mov_b64 s[16:17], 0
	s_waitcnt vmcnt(0)
	ds_write_b64 v1, v[3:4] offset:8192
	s_waitcnt lgkmcnt(0)
	s_barrier
.LBB7_6:
	s_and_b64 vcc, exec, s[16:17]
	v_lshlrev_b32_e32 v9, 3, v0
	v_lshrrev_b32_e32 v10, 2, v0
	s_cbranch_vccz .LBB7_8
; %bb.7:
	s_lshl_b64 s[16:17], s[4:5], 3
	s_add_u32 s16, s20, s16
	s_addc_u32 s17, s21, s17
	v_mov_b32_e32 v1, s17
	v_add_co_u32_e32 v2, vcc, s16, v9
	v_addc_co_u32_e32 v3, vcc, 0, v1, vcc
	v_add_co_u32_e32 v1, vcc, 0x2000, v2
	v_addc_co_u32_e32 v2, vcc, 0, v3, vcc
	global_load_dwordx2 v[3:4], v9, s[16:17]
	global_load_dwordx2 v[5:6], v[1:2], off
	v_or_b32_e32 v2, 0x400, v0
	v_and_b32_e32 v1, 0xf8, v10
	v_lshrrev_b32_e32 v2, 2, v2
	v_add_u32_e32 v1, v1, v9
	v_and_b32_e32 v2, 0x1f8, v2
	v_add_u32_e32 v2, v2, v9
	s_waitcnt vmcnt(1)
	ds_write_b64 v1, v[3:4]
	s_waitcnt vmcnt(0)
	ds_write_b64 v2, v[5:6] offset:8192
	s_waitcnt lgkmcnt(0)
	s_barrier
.LBB7_8:
	v_lshrrev_b32_e32 v11, 1, v0
	v_and_b32_e32 v1, 0x1f8, v11
	v_lshl_add_u32 v1, v0, 4, v1
	ds_read2_b64 v[1:4], v1 offset1:1
	s_cmp_eq_u64 s[8:9], 0
	s_waitcnt lgkmcnt(0)
	s_barrier
	s_cbranch_scc1 .LBB7_13
; %bb.9:
	s_lshl_b64 s[16:17], s[4:5], 3
	s_add_u32 s5, s20, s16
	s_addc_u32 s15, s21, s17
	s_add_u32 s16, s5, -8
	s_addc_u32 s17, s15, -1
	s_load_dwordx2 s[16:17], s[16:17], 0x0
	s_cmp_eq_u64 s[8:9], s[6:7]
	s_cbranch_scc1 .LBB7_14
; %bb.10:
	s_waitcnt lgkmcnt(0)
	v_mov_b32_e32 v7, s16
	v_cmp_ne_u32_e32 vcc, 0, v0
	v_mov_b32_e32 v8, s17
	ds_write_b64 v9, v[3:4]
	s_waitcnt lgkmcnt(0)
	s_barrier
	s_and_saveexec_b64 s[18:19], vcc
; %bb.11:
	v_add_u32_e32 v5, -8, v9
	ds_read_b64 v[7:8], v5
; %bb.12:
	s_or_b64 exec, exec, s[18:19]
	v_add_f64 v[5:6], v[3:4], -v[1:2]
	s_waitcnt lgkmcnt(0)
	v_add_f64 v[7:8], v[1:2], -v[7:8]
	s_branch .LBB7_18
.LBB7_13:
                                        ; implicit-def: $vgpr5_vgpr6
                                        ; implicit-def: $vgpr7_vgpr8
	s_branch .LBB7_19
.LBB7_14:
                                        ; implicit-def: $vgpr5_vgpr6
                                        ; implicit-def: $vgpr7_vgpr8
	s_cbranch_execz .LBB7_18
; %bb.15:
	v_add_f64 v[5:6], v[3:4], -v[1:2]
	s_lshl_b32 s5, s8, 11
	v_lshlrev_b32_e32 v12, 1, v0
	s_sub_i32 s5, s14, s5
	v_or_b32_e32 v7, 1, v12
	v_cmp_gt_u32_e32 vcc, s5, v7
	s_waitcnt lgkmcnt(0)
	v_mov_b32_e32 v7, s16
	v_mov_b32_e32 v8, s17
	v_cndmask_b32_e32 v6, v4, v6, vcc
	v_cndmask_b32_e32 v5, v3, v5, vcc
	v_cmp_ne_u32_e32 vcc, 0, v0
	ds_write_b64 v9, v[3:4]
	s_waitcnt lgkmcnt(0)
	s_barrier
	s_and_saveexec_b64 s[8:9], vcc
; %bb.16:
	v_add_u32_e32 v7, -8, v9
	ds_read_b64 v[7:8], v7
; %bb.17:
	s_or_b64 exec, exec, s[8:9]
	s_waitcnt lgkmcnt(0)
	v_add_f64 v[7:8], v[1:2], -v[7:8]
	v_cmp_gt_u32_e32 vcc, s5, v12
	v_cndmask_b32_e32 v8, v2, v8, vcc
	v_cndmask_b32_e32 v7, v1, v7, vcc
.LBB7_18:
	s_cbranch_execnz .LBB7_27
.LBB7_19:
	v_add_f64 v[5:6], v[3:4], -v[1:2]
	s_cmp_eq_u64 s[2:3], 1
	v_cmp_ne_u32_e32 vcc, 0, v0
	s_cbranch_scc1 .LBB7_23
; %bb.20:
	v_mov_b32_e32 v8, v2
	v_mov_b32_e32 v7, v1
	ds_write_b64 v9, v[3:4]
	s_waitcnt lgkmcnt(0)
	s_barrier
	s_and_saveexec_b64 s[2:3], vcc
	s_cbranch_execz .LBB7_22
; %bb.21:
	v_add_u32_e32 v7, -8, v9
	ds_read_b64 v[7:8], v7
	s_waitcnt lgkmcnt(0)
	v_add_f64 v[7:8], v[1:2], -v[7:8]
.LBB7_22:
	s_or_b64 exec, exec, s[2:3]
	s_cbranch_execz .LBB7_24
	s_branch .LBB7_27
.LBB7_23:
                                        ; implicit-def: $vgpr7_vgpr8
.LBB7_24:
	v_lshlrev_b32_e32 v7, 1, v0
	v_or_b32_e32 v8, 1, v7
	v_cmp_gt_u32_e32 vcc, s14, v8
	v_cndmask_b32_e32 v6, v4, v6, vcc
	v_cndmask_b32_e32 v5, v3, v5, vcc
	v_cmp_ne_u32_e32 vcc, 0, v0
	v_cmp_gt_u32_e64 s[2:3], s14, v7
	s_and_b64 s[8:9], vcc, s[2:3]
	ds_write_b64 v9, v[3:4]
	s_waitcnt lgkmcnt(0)
	s_barrier
	s_and_saveexec_b64 s[2:3], s[8:9]
	s_cbranch_execz .LBB7_26
; %bb.25:
	v_add_u32_e32 v3, -8, v9
	ds_read_b64 v[3:4], v3
	s_waitcnt lgkmcnt(0)
	v_add_f64 v[1:2], v[1:2], -v[3:4]
.LBB7_26:
	s_or_b64 exec, exec, s[2:3]
	v_mov_b32_e32 v8, v2
	v_mov_b32_e32 v7, v1
.LBB7_27:
	s_add_u32 s7, s12, s10
	s_addc_u32 s8, s13, s11
	s_and_b64 vcc, exec, s[0:1]
	s_waitcnt lgkmcnt(0)
	s_barrier
	s_cbranch_vccz .LBB7_31
; %bb.28:
	v_and_b32_e32 v1, 0x1f8, v11
	v_lshl_add_u32 v1, v0, 4, v1
	v_or_b32_e32 v12, 0x400, v0
	ds_write2_b64 v1, v[7:8], v[5:6] offset1:1
	v_lshrrev_b32_e32 v1, 2, v12
	s_lshl_b32 s0, s6, 11
	s_mov_b32 s5, 0
	v_and_b32_e32 v1, 0x1f8, v1
	s_sub_i32 s2, s14, s0
	s_lshl_b64 s[0:1], s[4:5], 3
	v_add_u32_e32 v1, v1, v9
	s_add_u32 s0, s7, s0
	s_waitcnt lgkmcnt(0)
	s_barrier
	ds_read_b64 v[1:2], v1 offset:8192
	s_addc_u32 s1, s8, s1
	v_mov_b32_e32 v4, s1
	v_add_co_u32_e32 v3, vcc, s0, v9
	v_addc_co_u32_e32 v4, vcc, 0, v4, vcc
	v_cmp_gt_u32_e32 vcc, s2, v0
	s_and_saveexec_b64 s[0:1], vcc
	s_cbranch_execz .LBB7_30
; %bb.29:
	v_and_b32_e32 v13, 0xf8, v10
	v_lshl_add_u32 v13, v0, 3, v13
	ds_read_b64 v[13:14], v13
	s_waitcnt lgkmcnt(0)
	global_store_dwordx2 v[3:4], v[13:14], off
.LBB7_30:
	s_or_b64 exec, exec, s[0:1]
	v_cmp_gt_u32_e64 s[0:1], s2, v12
	s_branch .LBB7_33
.LBB7_31:
	s_mov_b64 s[0:1], 0
                                        ; implicit-def: $vgpr1_vgpr2
                                        ; implicit-def: $vgpr3_vgpr4
	s_cbranch_execz .LBB7_33
; %bb.32:
	s_waitcnt lgkmcnt(0)
	v_and_b32_e32 v1, 0x1f8, v11
	v_lshl_add_u32 v1, v0, 4, v1
	v_or_b32_e32 v0, 0x400, v0
	s_mov_b32 s5, 0
	ds_write2_b64 v1, v[7:8], v[5:6] offset1:1
	v_and_b32_e32 v1, 0xf8, v10
	v_lshrrev_b32_e32 v0, 2, v0
	s_lshl_b64 s[2:3], s[4:5], 3
	v_add_u32_e32 v1, v1, v9
	v_and_b32_e32 v0, 0x1f8, v0
	s_add_u32 s2, s7, s2
	s_waitcnt vmcnt(0) lgkmcnt(0)
	s_barrier
	v_add_u32_e32 v0, v0, v9
	ds_read_b64 v[5:6], v1
	ds_read_b64 v[1:2], v0 offset:8192
	s_addc_u32 s3, s8, s3
	v_mov_b32_e32 v0, s3
	v_add_co_u32_e32 v3, vcc, s2, v9
	v_addc_co_u32_e32 v4, vcc, 0, v0, vcc
	s_or_b64 s[0:1], s[0:1], exec
	s_waitcnt lgkmcnt(1)
	global_store_dwordx2 v9, v[5:6], s[2:3]
.LBB7_33:
	s_and_saveexec_b64 s[2:3], s[0:1]
	s_cbranch_execnz .LBB7_35
; %bb.34:
	s_endpgm
.LBB7_35:
	v_add_co_u32_e32 v3, vcc, 0x2000, v3
	v_addc_co_u32_e32 v4, vcc, 0, v4, vcc
	s_waitcnt lgkmcnt(0)
	global_store_dwordx2 v[3:4], v[1:2], off
	s_endpgm
	.section	.rodata,"a",@progbits
	.p2align	6, 0x0
	.amdhsa_kernel _ZN7rocprim17ROCPRIM_400000_NS6detail17trampoline_kernelINS0_14default_configENS1_35adjacent_difference_config_selectorILb0EdEEZNS1_24adjacent_difference_implIS3_Lb0ELb0EPdS7_N6thrust23THRUST_200600_302600_NS5minusIdEEEE10hipError_tPvRmT2_T3_mT4_P12ihipStream_tbEUlT_E_NS1_11comp_targetILNS1_3genE2ELNS1_11target_archE906ELNS1_3gpuE6ELNS1_3repE0EEENS1_30default_config_static_selectorELNS0_4arch9wavefront6targetE1EEEvT1_
		.amdhsa_group_segment_fixed_size 16896
		.amdhsa_private_segment_fixed_size 0
		.amdhsa_kernarg_size 56
		.amdhsa_user_sgpr_count 6
		.amdhsa_user_sgpr_private_segment_buffer 1
		.amdhsa_user_sgpr_dispatch_ptr 0
		.amdhsa_user_sgpr_queue_ptr 0
		.amdhsa_user_sgpr_kernarg_segment_ptr 1
		.amdhsa_user_sgpr_dispatch_id 0
		.amdhsa_user_sgpr_flat_scratch_init 0
		.amdhsa_user_sgpr_private_segment_size 0
		.amdhsa_uses_dynamic_stack 0
		.amdhsa_system_sgpr_private_segment_wavefront_offset 0
		.amdhsa_system_sgpr_workgroup_id_x 1
		.amdhsa_system_sgpr_workgroup_id_y 0
		.amdhsa_system_sgpr_workgroup_id_z 0
		.amdhsa_system_sgpr_workgroup_info 0
		.amdhsa_system_vgpr_workitem_id 0
		.amdhsa_next_free_vgpr 29
		.amdhsa_next_free_sgpr 61
		.amdhsa_reserve_vcc 1
		.amdhsa_reserve_flat_scratch 0
		.amdhsa_float_round_mode_32 0
		.amdhsa_float_round_mode_16_64 0
		.amdhsa_float_denorm_mode_32 3
		.amdhsa_float_denorm_mode_16_64 3
		.amdhsa_dx10_clamp 1
		.amdhsa_ieee_mode 1
		.amdhsa_fp16_overflow 0
		.amdhsa_exception_fp_ieee_invalid_op 0
		.amdhsa_exception_fp_denorm_src 0
		.amdhsa_exception_fp_ieee_div_zero 0
		.amdhsa_exception_fp_ieee_overflow 0
		.amdhsa_exception_fp_ieee_underflow 0
		.amdhsa_exception_fp_ieee_inexact 0
		.amdhsa_exception_int_div_zero 0
	.end_amdhsa_kernel
	.section	.text._ZN7rocprim17ROCPRIM_400000_NS6detail17trampoline_kernelINS0_14default_configENS1_35adjacent_difference_config_selectorILb0EdEEZNS1_24adjacent_difference_implIS3_Lb0ELb0EPdS7_N6thrust23THRUST_200600_302600_NS5minusIdEEEE10hipError_tPvRmT2_T3_mT4_P12ihipStream_tbEUlT_E_NS1_11comp_targetILNS1_3genE2ELNS1_11target_archE906ELNS1_3gpuE6ELNS1_3repE0EEENS1_30default_config_static_selectorELNS0_4arch9wavefront6targetE1EEEvT1_,"axG",@progbits,_ZN7rocprim17ROCPRIM_400000_NS6detail17trampoline_kernelINS0_14default_configENS1_35adjacent_difference_config_selectorILb0EdEEZNS1_24adjacent_difference_implIS3_Lb0ELb0EPdS7_N6thrust23THRUST_200600_302600_NS5minusIdEEEE10hipError_tPvRmT2_T3_mT4_P12ihipStream_tbEUlT_E_NS1_11comp_targetILNS1_3genE2ELNS1_11target_archE906ELNS1_3gpuE6ELNS1_3repE0EEENS1_30default_config_static_selectorELNS0_4arch9wavefront6targetE1EEEvT1_,comdat
.Lfunc_end7:
	.size	_ZN7rocprim17ROCPRIM_400000_NS6detail17trampoline_kernelINS0_14default_configENS1_35adjacent_difference_config_selectorILb0EdEEZNS1_24adjacent_difference_implIS3_Lb0ELb0EPdS7_N6thrust23THRUST_200600_302600_NS5minusIdEEEE10hipError_tPvRmT2_T3_mT4_P12ihipStream_tbEUlT_E_NS1_11comp_targetILNS1_3genE2ELNS1_11target_archE906ELNS1_3gpuE6ELNS1_3repE0EEENS1_30default_config_static_selectorELNS0_4arch9wavefront6targetE1EEEvT1_, .Lfunc_end7-_ZN7rocprim17ROCPRIM_400000_NS6detail17trampoline_kernelINS0_14default_configENS1_35adjacent_difference_config_selectorILb0EdEEZNS1_24adjacent_difference_implIS3_Lb0ELb0EPdS7_N6thrust23THRUST_200600_302600_NS5minusIdEEEE10hipError_tPvRmT2_T3_mT4_P12ihipStream_tbEUlT_E_NS1_11comp_targetILNS1_3genE2ELNS1_11target_archE906ELNS1_3gpuE6ELNS1_3repE0EEENS1_30default_config_static_selectorELNS0_4arch9wavefront6targetE1EEEvT1_
                                        ; -- End function
	.set _ZN7rocprim17ROCPRIM_400000_NS6detail17trampoline_kernelINS0_14default_configENS1_35adjacent_difference_config_selectorILb0EdEEZNS1_24adjacent_difference_implIS3_Lb0ELb0EPdS7_N6thrust23THRUST_200600_302600_NS5minusIdEEEE10hipError_tPvRmT2_T3_mT4_P12ihipStream_tbEUlT_E_NS1_11comp_targetILNS1_3genE2ELNS1_11target_archE906ELNS1_3gpuE6ELNS1_3repE0EEENS1_30default_config_static_selectorELNS0_4arch9wavefront6targetE1EEEvT1_.num_vgpr, 15
	.set _ZN7rocprim17ROCPRIM_400000_NS6detail17trampoline_kernelINS0_14default_configENS1_35adjacent_difference_config_selectorILb0EdEEZNS1_24adjacent_difference_implIS3_Lb0ELb0EPdS7_N6thrust23THRUST_200600_302600_NS5minusIdEEEE10hipError_tPvRmT2_T3_mT4_P12ihipStream_tbEUlT_E_NS1_11comp_targetILNS1_3genE2ELNS1_11target_archE906ELNS1_3gpuE6ELNS1_3repE0EEENS1_30default_config_static_selectorELNS0_4arch9wavefront6targetE1EEEvT1_.num_agpr, 0
	.set _ZN7rocprim17ROCPRIM_400000_NS6detail17trampoline_kernelINS0_14default_configENS1_35adjacent_difference_config_selectorILb0EdEEZNS1_24adjacent_difference_implIS3_Lb0ELb0EPdS7_N6thrust23THRUST_200600_302600_NS5minusIdEEEE10hipError_tPvRmT2_T3_mT4_P12ihipStream_tbEUlT_E_NS1_11comp_targetILNS1_3genE2ELNS1_11target_archE906ELNS1_3gpuE6ELNS1_3repE0EEENS1_30default_config_static_selectorELNS0_4arch9wavefront6targetE1EEEvT1_.numbered_sgpr, 22
	.set _ZN7rocprim17ROCPRIM_400000_NS6detail17trampoline_kernelINS0_14default_configENS1_35adjacent_difference_config_selectorILb0EdEEZNS1_24adjacent_difference_implIS3_Lb0ELb0EPdS7_N6thrust23THRUST_200600_302600_NS5minusIdEEEE10hipError_tPvRmT2_T3_mT4_P12ihipStream_tbEUlT_E_NS1_11comp_targetILNS1_3genE2ELNS1_11target_archE906ELNS1_3gpuE6ELNS1_3repE0EEENS1_30default_config_static_selectorELNS0_4arch9wavefront6targetE1EEEvT1_.num_named_barrier, 0
	.set _ZN7rocprim17ROCPRIM_400000_NS6detail17trampoline_kernelINS0_14default_configENS1_35adjacent_difference_config_selectorILb0EdEEZNS1_24adjacent_difference_implIS3_Lb0ELb0EPdS7_N6thrust23THRUST_200600_302600_NS5minusIdEEEE10hipError_tPvRmT2_T3_mT4_P12ihipStream_tbEUlT_E_NS1_11comp_targetILNS1_3genE2ELNS1_11target_archE906ELNS1_3gpuE6ELNS1_3repE0EEENS1_30default_config_static_selectorELNS0_4arch9wavefront6targetE1EEEvT1_.private_seg_size, 0
	.set _ZN7rocprim17ROCPRIM_400000_NS6detail17trampoline_kernelINS0_14default_configENS1_35adjacent_difference_config_selectorILb0EdEEZNS1_24adjacent_difference_implIS3_Lb0ELb0EPdS7_N6thrust23THRUST_200600_302600_NS5minusIdEEEE10hipError_tPvRmT2_T3_mT4_P12ihipStream_tbEUlT_E_NS1_11comp_targetILNS1_3genE2ELNS1_11target_archE906ELNS1_3gpuE6ELNS1_3repE0EEENS1_30default_config_static_selectorELNS0_4arch9wavefront6targetE1EEEvT1_.uses_vcc, 1
	.set _ZN7rocprim17ROCPRIM_400000_NS6detail17trampoline_kernelINS0_14default_configENS1_35adjacent_difference_config_selectorILb0EdEEZNS1_24adjacent_difference_implIS3_Lb0ELb0EPdS7_N6thrust23THRUST_200600_302600_NS5minusIdEEEE10hipError_tPvRmT2_T3_mT4_P12ihipStream_tbEUlT_E_NS1_11comp_targetILNS1_3genE2ELNS1_11target_archE906ELNS1_3gpuE6ELNS1_3repE0EEENS1_30default_config_static_selectorELNS0_4arch9wavefront6targetE1EEEvT1_.uses_flat_scratch, 0
	.set _ZN7rocprim17ROCPRIM_400000_NS6detail17trampoline_kernelINS0_14default_configENS1_35adjacent_difference_config_selectorILb0EdEEZNS1_24adjacent_difference_implIS3_Lb0ELb0EPdS7_N6thrust23THRUST_200600_302600_NS5minusIdEEEE10hipError_tPvRmT2_T3_mT4_P12ihipStream_tbEUlT_E_NS1_11comp_targetILNS1_3genE2ELNS1_11target_archE906ELNS1_3gpuE6ELNS1_3repE0EEENS1_30default_config_static_selectorELNS0_4arch9wavefront6targetE1EEEvT1_.has_dyn_sized_stack, 0
	.set _ZN7rocprim17ROCPRIM_400000_NS6detail17trampoline_kernelINS0_14default_configENS1_35adjacent_difference_config_selectorILb0EdEEZNS1_24adjacent_difference_implIS3_Lb0ELb0EPdS7_N6thrust23THRUST_200600_302600_NS5minusIdEEEE10hipError_tPvRmT2_T3_mT4_P12ihipStream_tbEUlT_E_NS1_11comp_targetILNS1_3genE2ELNS1_11target_archE906ELNS1_3gpuE6ELNS1_3repE0EEENS1_30default_config_static_selectorELNS0_4arch9wavefront6targetE1EEEvT1_.has_recursion, 0
	.set _ZN7rocprim17ROCPRIM_400000_NS6detail17trampoline_kernelINS0_14default_configENS1_35adjacent_difference_config_selectorILb0EdEEZNS1_24adjacent_difference_implIS3_Lb0ELb0EPdS7_N6thrust23THRUST_200600_302600_NS5minusIdEEEE10hipError_tPvRmT2_T3_mT4_P12ihipStream_tbEUlT_E_NS1_11comp_targetILNS1_3genE2ELNS1_11target_archE906ELNS1_3gpuE6ELNS1_3repE0EEENS1_30default_config_static_selectorELNS0_4arch9wavefront6targetE1EEEvT1_.has_indirect_call, 0
	.section	.AMDGPU.csdata,"",@progbits
; Kernel info:
; codeLenInByte = 1292
; TotalNumSgprs: 26
; NumVgprs: 15
; ScratchSize: 0
; MemoryBound: 0
; FloatMode: 240
; IeeeMode: 1
; LDSByteSize: 16896 bytes/workgroup (compile time only)
; SGPRBlocks: 8
; VGPRBlocks: 7
; NumSGPRsForWavesPerEU: 65
; NumVGPRsForWavesPerEU: 29
; Occupancy: 8
; WaveLimiterHint : 1
; COMPUTE_PGM_RSRC2:SCRATCH_EN: 0
; COMPUTE_PGM_RSRC2:USER_SGPR: 6
; COMPUTE_PGM_RSRC2:TRAP_HANDLER: 0
; COMPUTE_PGM_RSRC2:TGID_X_EN: 1
; COMPUTE_PGM_RSRC2:TGID_Y_EN: 0
; COMPUTE_PGM_RSRC2:TGID_Z_EN: 0
; COMPUTE_PGM_RSRC2:TIDIG_COMP_CNT: 0
	.section	.text._ZN7rocprim17ROCPRIM_400000_NS6detail17trampoline_kernelINS0_14default_configENS1_35adjacent_difference_config_selectorILb0EdEEZNS1_24adjacent_difference_implIS3_Lb0ELb0EPdS7_N6thrust23THRUST_200600_302600_NS5minusIdEEEE10hipError_tPvRmT2_T3_mT4_P12ihipStream_tbEUlT_E_NS1_11comp_targetILNS1_3genE9ELNS1_11target_archE1100ELNS1_3gpuE3ELNS1_3repE0EEENS1_30default_config_static_selectorELNS0_4arch9wavefront6targetE1EEEvT1_,"axG",@progbits,_ZN7rocprim17ROCPRIM_400000_NS6detail17trampoline_kernelINS0_14default_configENS1_35adjacent_difference_config_selectorILb0EdEEZNS1_24adjacent_difference_implIS3_Lb0ELb0EPdS7_N6thrust23THRUST_200600_302600_NS5minusIdEEEE10hipError_tPvRmT2_T3_mT4_P12ihipStream_tbEUlT_E_NS1_11comp_targetILNS1_3genE9ELNS1_11target_archE1100ELNS1_3gpuE3ELNS1_3repE0EEENS1_30default_config_static_selectorELNS0_4arch9wavefront6targetE1EEEvT1_,comdat
	.protected	_ZN7rocprim17ROCPRIM_400000_NS6detail17trampoline_kernelINS0_14default_configENS1_35adjacent_difference_config_selectorILb0EdEEZNS1_24adjacent_difference_implIS3_Lb0ELb0EPdS7_N6thrust23THRUST_200600_302600_NS5minusIdEEEE10hipError_tPvRmT2_T3_mT4_P12ihipStream_tbEUlT_E_NS1_11comp_targetILNS1_3genE9ELNS1_11target_archE1100ELNS1_3gpuE3ELNS1_3repE0EEENS1_30default_config_static_selectorELNS0_4arch9wavefront6targetE1EEEvT1_ ; -- Begin function _ZN7rocprim17ROCPRIM_400000_NS6detail17trampoline_kernelINS0_14default_configENS1_35adjacent_difference_config_selectorILb0EdEEZNS1_24adjacent_difference_implIS3_Lb0ELb0EPdS7_N6thrust23THRUST_200600_302600_NS5minusIdEEEE10hipError_tPvRmT2_T3_mT4_P12ihipStream_tbEUlT_E_NS1_11comp_targetILNS1_3genE9ELNS1_11target_archE1100ELNS1_3gpuE3ELNS1_3repE0EEENS1_30default_config_static_selectorELNS0_4arch9wavefront6targetE1EEEvT1_
	.globl	_ZN7rocprim17ROCPRIM_400000_NS6detail17trampoline_kernelINS0_14default_configENS1_35adjacent_difference_config_selectorILb0EdEEZNS1_24adjacent_difference_implIS3_Lb0ELb0EPdS7_N6thrust23THRUST_200600_302600_NS5minusIdEEEE10hipError_tPvRmT2_T3_mT4_P12ihipStream_tbEUlT_E_NS1_11comp_targetILNS1_3genE9ELNS1_11target_archE1100ELNS1_3gpuE3ELNS1_3repE0EEENS1_30default_config_static_selectorELNS0_4arch9wavefront6targetE1EEEvT1_
	.p2align	8
	.type	_ZN7rocprim17ROCPRIM_400000_NS6detail17trampoline_kernelINS0_14default_configENS1_35adjacent_difference_config_selectorILb0EdEEZNS1_24adjacent_difference_implIS3_Lb0ELb0EPdS7_N6thrust23THRUST_200600_302600_NS5minusIdEEEE10hipError_tPvRmT2_T3_mT4_P12ihipStream_tbEUlT_E_NS1_11comp_targetILNS1_3genE9ELNS1_11target_archE1100ELNS1_3gpuE3ELNS1_3repE0EEENS1_30default_config_static_selectorELNS0_4arch9wavefront6targetE1EEEvT1_,@function
_ZN7rocprim17ROCPRIM_400000_NS6detail17trampoline_kernelINS0_14default_configENS1_35adjacent_difference_config_selectorILb0EdEEZNS1_24adjacent_difference_implIS3_Lb0ELb0EPdS7_N6thrust23THRUST_200600_302600_NS5minusIdEEEE10hipError_tPvRmT2_T3_mT4_P12ihipStream_tbEUlT_E_NS1_11comp_targetILNS1_3genE9ELNS1_11target_archE1100ELNS1_3gpuE3ELNS1_3repE0EEENS1_30default_config_static_selectorELNS0_4arch9wavefront6targetE1EEEvT1_: ; @_ZN7rocprim17ROCPRIM_400000_NS6detail17trampoline_kernelINS0_14default_configENS1_35adjacent_difference_config_selectorILb0EdEEZNS1_24adjacent_difference_implIS3_Lb0ELb0EPdS7_N6thrust23THRUST_200600_302600_NS5minusIdEEEE10hipError_tPvRmT2_T3_mT4_P12ihipStream_tbEUlT_E_NS1_11comp_targetILNS1_3genE9ELNS1_11target_archE1100ELNS1_3gpuE3ELNS1_3repE0EEENS1_30default_config_static_selectorELNS0_4arch9wavefront6targetE1EEEvT1_
; %bb.0:
	.section	.rodata,"a",@progbits
	.p2align	6, 0x0
	.amdhsa_kernel _ZN7rocprim17ROCPRIM_400000_NS6detail17trampoline_kernelINS0_14default_configENS1_35adjacent_difference_config_selectorILb0EdEEZNS1_24adjacent_difference_implIS3_Lb0ELb0EPdS7_N6thrust23THRUST_200600_302600_NS5minusIdEEEE10hipError_tPvRmT2_T3_mT4_P12ihipStream_tbEUlT_E_NS1_11comp_targetILNS1_3genE9ELNS1_11target_archE1100ELNS1_3gpuE3ELNS1_3repE0EEENS1_30default_config_static_selectorELNS0_4arch9wavefront6targetE1EEEvT1_
		.amdhsa_group_segment_fixed_size 0
		.amdhsa_private_segment_fixed_size 0
		.amdhsa_kernarg_size 56
		.amdhsa_user_sgpr_count 6
		.amdhsa_user_sgpr_private_segment_buffer 1
		.amdhsa_user_sgpr_dispatch_ptr 0
		.amdhsa_user_sgpr_queue_ptr 0
		.amdhsa_user_sgpr_kernarg_segment_ptr 1
		.amdhsa_user_sgpr_dispatch_id 0
		.amdhsa_user_sgpr_flat_scratch_init 0
		.amdhsa_user_sgpr_private_segment_size 0
		.amdhsa_uses_dynamic_stack 0
		.amdhsa_system_sgpr_private_segment_wavefront_offset 0
		.amdhsa_system_sgpr_workgroup_id_x 1
		.amdhsa_system_sgpr_workgroup_id_y 0
		.amdhsa_system_sgpr_workgroup_id_z 0
		.amdhsa_system_sgpr_workgroup_info 0
		.amdhsa_system_vgpr_workitem_id 0
		.amdhsa_next_free_vgpr 1
		.amdhsa_next_free_sgpr 0
		.amdhsa_reserve_vcc 0
		.amdhsa_reserve_flat_scratch 0
		.amdhsa_float_round_mode_32 0
		.amdhsa_float_round_mode_16_64 0
		.amdhsa_float_denorm_mode_32 3
		.amdhsa_float_denorm_mode_16_64 3
		.amdhsa_dx10_clamp 1
		.amdhsa_ieee_mode 1
		.amdhsa_fp16_overflow 0
		.amdhsa_exception_fp_ieee_invalid_op 0
		.amdhsa_exception_fp_denorm_src 0
		.amdhsa_exception_fp_ieee_div_zero 0
		.amdhsa_exception_fp_ieee_overflow 0
		.amdhsa_exception_fp_ieee_underflow 0
		.amdhsa_exception_fp_ieee_inexact 0
		.amdhsa_exception_int_div_zero 0
	.end_amdhsa_kernel
	.section	.text._ZN7rocprim17ROCPRIM_400000_NS6detail17trampoline_kernelINS0_14default_configENS1_35adjacent_difference_config_selectorILb0EdEEZNS1_24adjacent_difference_implIS3_Lb0ELb0EPdS7_N6thrust23THRUST_200600_302600_NS5minusIdEEEE10hipError_tPvRmT2_T3_mT4_P12ihipStream_tbEUlT_E_NS1_11comp_targetILNS1_3genE9ELNS1_11target_archE1100ELNS1_3gpuE3ELNS1_3repE0EEENS1_30default_config_static_selectorELNS0_4arch9wavefront6targetE1EEEvT1_,"axG",@progbits,_ZN7rocprim17ROCPRIM_400000_NS6detail17trampoline_kernelINS0_14default_configENS1_35adjacent_difference_config_selectorILb0EdEEZNS1_24adjacent_difference_implIS3_Lb0ELb0EPdS7_N6thrust23THRUST_200600_302600_NS5minusIdEEEE10hipError_tPvRmT2_T3_mT4_P12ihipStream_tbEUlT_E_NS1_11comp_targetILNS1_3genE9ELNS1_11target_archE1100ELNS1_3gpuE3ELNS1_3repE0EEENS1_30default_config_static_selectorELNS0_4arch9wavefront6targetE1EEEvT1_,comdat
.Lfunc_end8:
	.size	_ZN7rocprim17ROCPRIM_400000_NS6detail17trampoline_kernelINS0_14default_configENS1_35adjacent_difference_config_selectorILb0EdEEZNS1_24adjacent_difference_implIS3_Lb0ELb0EPdS7_N6thrust23THRUST_200600_302600_NS5minusIdEEEE10hipError_tPvRmT2_T3_mT4_P12ihipStream_tbEUlT_E_NS1_11comp_targetILNS1_3genE9ELNS1_11target_archE1100ELNS1_3gpuE3ELNS1_3repE0EEENS1_30default_config_static_selectorELNS0_4arch9wavefront6targetE1EEEvT1_, .Lfunc_end8-_ZN7rocprim17ROCPRIM_400000_NS6detail17trampoline_kernelINS0_14default_configENS1_35adjacent_difference_config_selectorILb0EdEEZNS1_24adjacent_difference_implIS3_Lb0ELb0EPdS7_N6thrust23THRUST_200600_302600_NS5minusIdEEEE10hipError_tPvRmT2_T3_mT4_P12ihipStream_tbEUlT_E_NS1_11comp_targetILNS1_3genE9ELNS1_11target_archE1100ELNS1_3gpuE3ELNS1_3repE0EEENS1_30default_config_static_selectorELNS0_4arch9wavefront6targetE1EEEvT1_
                                        ; -- End function
	.set _ZN7rocprim17ROCPRIM_400000_NS6detail17trampoline_kernelINS0_14default_configENS1_35adjacent_difference_config_selectorILb0EdEEZNS1_24adjacent_difference_implIS3_Lb0ELb0EPdS7_N6thrust23THRUST_200600_302600_NS5minusIdEEEE10hipError_tPvRmT2_T3_mT4_P12ihipStream_tbEUlT_E_NS1_11comp_targetILNS1_3genE9ELNS1_11target_archE1100ELNS1_3gpuE3ELNS1_3repE0EEENS1_30default_config_static_selectorELNS0_4arch9wavefront6targetE1EEEvT1_.num_vgpr, 0
	.set _ZN7rocprim17ROCPRIM_400000_NS6detail17trampoline_kernelINS0_14default_configENS1_35adjacent_difference_config_selectorILb0EdEEZNS1_24adjacent_difference_implIS3_Lb0ELb0EPdS7_N6thrust23THRUST_200600_302600_NS5minusIdEEEE10hipError_tPvRmT2_T3_mT4_P12ihipStream_tbEUlT_E_NS1_11comp_targetILNS1_3genE9ELNS1_11target_archE1100ELNS1_3gpuE3ELNS1_3repE0EEENS1_30default_config_static_selectorELNS0_4arch9wavefront6targetE1EEEvT1_.num_agpr, 0
	.set _ZN7rocprim17ROCPRIM_400000_NS6detail17trampoline_kernelINS0_14default_configENS1_35adjacent_difference_config_selectorILb0EdEEZNS1_24adjacent_difference_implIS3_Lb0ELb0EPdS7_N6thrust23THRUST_200600_302600_NS5minusIdEEEE10hipError_tPvRmT2_T3_mT4_P12ihipStream_tbEUlT_E_NS1_11comp_targetILNS1_3genE9ELNS1_11target_archE1100ELNS1_3gpuE3ELNS1_3repE0EEENS1_30default_config_static_selectorELNS0_4arch9wavefront6targetE1EEEvT1_.numbered_sgpr, 0
	.set _ZN7rocprim17ROCPRIM_400000_NS6detail17trampoline_kernelINS0_14default_configENS1_35adjacent_difference_config_selectorILb0EdEEZNS1_24adjacent_difference_implIS3_Lb0ELb0EPdS7_N6thrust23THRUST_200600_302600_NS5minusIdEEEE10hipError_tPvRmT2_T3_mT4_P12ihipStream_tbEUlT_E_NS1_11comp_targetILNS1_3genE9ELNS1_11target_archE1100ELNS1_3gpuE3ELNS1_3repE0EEENS1_30default_config_static_selectorELNS0_4arch9wavefront6targetE1EEEvT1_.num_named_barrier, 0
	.set _ZN7rocprim17ROCPRIM_400000_NS6detail17trampoline_kernelINS0_14default_configENS1_35adjacent_difference_config_selectorILb0EdEEZNS1_24adjacent_difference_implIS3_Lb0ELb0EPdS7_N6thrust23THRUST_200600_302600_NS5minusIdEEEE10hipError_tPvRmT2_T3_mT4_P12ihipStream_tbEUlT_E_NS1_11comp_targetILNS1_3genE9ELNS1_11target_archE1100ELNS1_3gpuE3ELNS1_3repE0EEENS1_30default_config_static_selectorELNS0_4arch9wavefront6targetE1EEEvT1_.private_seg_size, 0
	.set _ZN7rocprim17ROCPRIM_400000_NS6detail17trampoline_kernelINS0_14default_configENS1_35adjacent_difference_config_selectorILb0EdEEZNS1_24adjacent_difference_implIS3_Lb0ELb0EPdS7_N6thrust23THRUST_200600_302600_NS5minusIdEEEE10hipError_tPvRmT2_T3_mT4_P12ihipStream_tbEUlT_E_NS1_11comp_targetILNS1_3genE9ELNS1_11target_archE1100ELNS1_3gpuE3ELNS1_3repE0EEENS1_30default_config_static_selectorELNS0_4arch9wavefront6targetE1EEEvT1_.uses_vcc, 0
	.set _ZN7rocprim17ROCPRIM_400000_NS6detail17trampoline_kernelINS0_14default_configENS1_35adjacent_difference_config_selectorILb0EdEEZNS1_24adjacent_difference_implIS3_Lb0ELb0EPdS7_N6thrust23THRUST_200600_302600_NS5minusIdEEEE10hipError_tPvRmT2_T3_mT4_P12ihipStream_tbEUlT_E_NS1_11comp_targetILNS1_3genE9ELNS1_11target_archE1100ELNS1_3gpuE3ELNS1_3repE0EEENS1_30default_config_static_selectorELNS0_4arch9wavefront6targetE1EEEvT1_.uses_flat_scratch, 0
	.set _ZN7rocprim17ROCPRIM_400000_NS6detail17trampoline_kernelINS0_14default_configENS1_35adjacent_difference_config_selectorILb0EdEEZNS1_24adjacent_difference_implIS3_Lb0ELb0EPdS7_N6thrust23THRUST_200600_302600_NS5minusIdEEEE10hipError_tPvRmT2_T3_mT4_P12ihipStream_tbEUlT_E_NS1_11comp_targetILNS1_3genE9ELNS1_11target_archE1100ELNS1_3gpuE3ELNS1_3repE0EEENS1_30default_config_static_selectorELNS0_4arch9wavefront6targetE1EEEvT1_.has_dyn_sized_stack, 0
	.set _ZN7rocprim17ROCPRIM_400000_NS6detail17trampoline_kernelINS0_14default_configENS1_35adjacent_difference_config_selectorILb0EdEEZNS1_24adjacent_difference_implIS3_Lb0ELb0EPdS7_N6thrust23THRUST_200600_302600_NS5minusIdEEEE10hipError_tPvRmT2_T3_mT4_P12ihipStream_tbEUlT_E_NS1_11comp_targetILNS1_3genE9ELNS1_11target_archE1100ELNS1_3gpuE3ELNS1_3repE0EEENS1_30default_config_static_selectorELNS0_4arch9wavefront6targetE1EEEvT1_.has_recursion, 0
	.set _ZN7rocprim17ROCPRIM_400000_NS6detail17trampoline_kernelINS0_14default_configENS1_35adjacent_difference_config_selectorILb0EdEEZNS1_24adjacent_difference_implIS3_Lb0ELb0EPdS7_N6thrust23THRUST_200600_302600_NS5minusIdEEEE10hipError_tPvRmT2_T3_mT4_P12ihipStream_tbEUlT_E_NS1_11comp_targetILNS1_3genE9ELNS1_11target_archE1100ELNS1_3gpuE3ELNS1_3repE0EEENS1_30default_config_static_selectorELNS0_4arch9wavefront6targetE1EEEvT1_.has_indirect_call, 0
	.section	.AMDGPU.csdata,"",@progbits
; Kernel info:
; codeLenInByte = 0
; TotalNumSgprs: 4
; NumVgprs: 0
; ScratchSize: 0
; MemoryBound: 0
; FloatMode: 240
; IeeeMode: 1
; LDSByteSize: 0 bytes/workgroup (compile time only)
; SGPRBlocks: 0
; VGPRBlocks: 0
; NumSGPRsForWavesPerEU: 4
; NumVGPRsForWavesPerEU: 1
; Occupancy: 10
; WaveLimiterHint : 0
; COMPUTE_PGM_RSRC2:SCRATCH_EN: 0
; COMPUTE_PGM_RSRC2:USER_SGPR: 6
; COMPUTE_PGM_RSRC2:TRAP_HANDLER: 0
; COMPUTE_PGM_RSRC2:TGID_X_EN: 1
; COMPUTE_PGM_RSRC2:TGID_Y_EN: 0
; COMPUTE_PGM_RSRC2:TGID_Z_EN: 0
; COMPUTE_PGM_RSRC2:TIDIG_COMP_CNT: 0
	.section	.text._ZN7rocprim17ROCPRIM_400000_NS6detail17trampoline_kernelINS0_14default_configENS1_35adjacent_difference_config_selectorILb0EdEEZNS1_24adjacent_difference_implIS3_Lb0ELb0EPdS7_N6thrust23THRUST_200600_302600_NS5minusIdEEEE10hipError_tPvRmT2_T3_mT4_P12ihipStream_tbEUlT_E_NS1_11comp_targetILNS1_3genE8ELNS1_11target_archE1030ELNS1_3gpuE2ELNS1_3repE0EEENS1_30default_config_static_selectorELNS0_4arch9wavefront6targetE1EEEvT1_,"axG",@progbits,_ZN7rocprim17ROCPRIM_400000_NS6detail17trampoline_kernelINS0_14default_configENS1_35adjacent_difference_config_selectorILb0EdEEZNS1_24adjacent_difference_implIS3_Lb0ELb0EPdS7_N6thrust23THRUST_200600_302600_NS5minusIdEEEE10hipError_tPvRmT2_T3_mT4_P12ihipStream_tbEUlT_E_NS1_11comp_targetILNS1_3genE8ELNS1_11target_archE1030ELNS1_3gpuE2ELNS1_3repE0EEENS1_30default_config_static_selectorELNS0_4arch9wavefront6targetE1EEEvT1_,comdat
	.protected	_ZN7rocprim17ROCPRIM_400000_NS6detail17trampoline_kernelINS0_14default_configENS1_35adjacent_difference_config_selectorILb0EdEEZNS1_24adjacent_difference_implIS3_Lb0ELb0EPdS7_N6thrust23THRUST_200600_302600_NS5minusIdEEEE10hipError_tPvRmT2_T3_mT4_P12ihipStream_tbEUlT_E_NS1_11comp_targetILNS1_3genE8ELNS1_11target_archE1030ELNS1_3gpuE2ELNS1_3repE0EEENS1_30default_config_static_selectorELNS0_4arch9wavefront6targetE1EEEvT1_ ; -- Begin function _ZN7rocprim17ROCPRIM_400000_NS6detail17trampoline_kernelINS0_14default_configENS1_35adjacent_difference_config_selectorILb0EdEEZNS1_24adjacent_difference_implIS3_Lb0ELb0EPdS7_N6thrust23THRUST_200600_302600_NS5minusIdEEEE10hipError_tPvRmT2_T3_mT4_P12ihipStream_tbEUlT_E_NS1_11comp_targetILNS1_3genE8ELNS1_11target_archE1030ELNS1_3gpuE2ELNS1_3repE0EEENS1_30default_config_static_selectorELNS0_4arch9wavefront6targetE1EEEvT1_
	.globl	_ZN7rocprim17ROCPRIM_400000_NS6detail17trampoline_kernelINS0_14default_configENS1_35adjacent_difference_config_selectorILb0EdEEZNS1_24adjacent_difference_implIS3_Lb0ELb0EPdS7_N6thrust23THRUST_200600_302600_NS5minusIdEEEE10hipError_tPvRmT2_T3_mT4_P12ihipStream_tbEUlT_E_NS1_11comp_targetILNS1_3genE8ELNS1_11target_archE1030ELNS1_3gpuE2ELNS1_3repE0EEENS1_30default_config_static_selectorELNS0_4arch9wavefront6targetE1EEEvT1_
	.p2align	8
	.type	_ZN7rocprim17ROCPRIM_400000_NS6detail17trampoline_kernelINS0_14default_configENS1_35adjacent_difference_config_selectorILb0EdEEZNS1_24adjacent_difference_implIS3_Lb0ELb0EPdS7_N6thrust23THRUST_200600_302600_NS5minusIdEEEE10hipError_tPvRmT2_T3_mT4_P12ihipStream_tbEUlT_E_NS1_11comp_targetILNS1_3genE8ELNS1_11target_archE1030ELNS1_3gpuE2ELNS1_3repE0EEENS1_30default_config_static_selectorELNS0_4arch9wavefront6targetE1EEEvT1_,@function
_ZN7rocprim17ROCPRIM_400000_NS6detail17trampoline_kernelINS0_14default_configENS1_35adjacent_difference_config_selectorILb0EdEEZNS1_24adjacent_difference_implIS3_Lb0ELb0EPdS7_N6thrust23THRUST_200600_302600_NS5minusIdEEEE10hipError_tPvRmT2_T3_mT4_P12ihipStream_tbEUlT_E_NS1_11comp_targetILNS1_3genE8ELNS1_11target_archE1030ELNS1_3gpuE2ELNS1_3repE0EEENS1_30default_config_static_selectorELNS0_4arch9wavefront6targetE1EEEvT1_: ; @_ZN7rocprim17ROCPRIM_400000_NS6detail17trampoline_kernelINS0_14default_configENS1_35adjacent_difference_config_selectorILb0EdEEZNS1_24adjacent_difference_implIS3_Lb0ELb0EPdS7_N6thrust23THRUST_200600_302600_NS5minusIdEEEE10hipError_tPvRmT2_T3_mT4_P12ihipStream_tbEUlT_E_NS1_11comp_targetILNS1_3genE8ELNS1_11target_archE1030ELNS1_3gpuE2ELNS1_3repE0EEENS1_30default_config_static_selectorELNS0_4arch9wavefront6targetE1EEEvT1_
; %bb.0:
	.section	.rodata,"a",@progbits
	.p2align	6, 0x0
	.amdhsa_kernel _ZN7rocprim17ROCPRIM_400000_NS6detail17trampoline_kernelINS0_14default_configENS1_35adjacent_difference_config_selectorILb0EdEEZNS1_24adjacent_difference_implIS3_Lb0ELb0EPdS7_N6thrust23THRUST_200600_302600_NS5minusIdEEEE10hipError_tPvRmT2_T3_mT4_P12ihipStream_tbEUlT_E_NS1_11comp_targetILNS1_3genE8ELNS1_11target_archE1030ELNS1_3gpuE2ELNS1_3repE0EEENS1_30default_config_static_selectorELNS0_4arch9wavefront6targetE1EEEvT1_
		.amdhsa_group_segment_fixed_size 0
		.amdhsa_private_segment_fixed_size 0
		.amdhsa_kernarg_size 56
		.amdhsa_user_sgpr_count 6
		.amdhsa_user_sgpr_private_segment_buffer 1
		.amdhsa_user_sgpr_dispatch_ptr 0
		.amdhsa_user_sgpr_queue_ptr 0
		.amdhsa_user_sgpr_kernarg_segment_ptr 1
		.amdhsa_user_sgpr_dispatch_id 0
		.amdhsa_user_sgpr_flat_scratch_init 0
		.amdhsa_user_sgpr_private_segment_size 0
		.amdhsa_uses_dynamic_stack 0
		.amdhsa_system_sgpr_private_segment_wavefront_offset 0
		.amdhsa_system_sgpr_workgroup_id_x 1
		.amdhsa_system_sgpr_workgroup_id_y 0
		.amdhsa_system_sgpr_workgroup_id_z 0
		.amdhsa_system_sgpr_workgroup_info 0
		.amdhsa_system_vgpr_workitem_id 0
		.amdhsa_next_free_vgpr 1
		.amdhsa_next_free_sgpr 0
		.amdhsa_reserve_vcc 0
		.amdhsa_reserve_flat_scratch 0
		.amdhsa_float_round_mode_32 0
		.amdhsa_float_round_mode_16_64 0
		.amdhsa_float_denorm_mode_32 3
		.amdhsa_float_denorm_mode_16_64 3
		.amdhsa_dx10_clamp 1
		.amdhsa_ieee_mode 1
		.amdhsa_fp16_overflow 0
		.amdhsa_exception_fp_ieee_invalid_op 0
		.amdhsa_exception_fp_denorm_src 0
		.amdhsa_exception_fp_ieee_div_zero 0
		.amdhsa_exception_fp_ieee_overflow 0
		.amdhsa_exception_fp_ieee_underflow 0
		.amdhsa_exception_fp_ieee_inexact 0
		.amdhsa_exception_int_div_zero 0
	.end_amdhsa_kernel
	.section	.text._ZN7rocprim17ROCPRIM_400000_NS6detail17trampoline_kernelINS0_14default_configENS1_35adjacent_difference_config_selectorILb0EdEEZNS1_24adjacent_difference_implIS3_Lb0ELb0EPdS7_N6thrust23THRUST_200600_302600_NS5minusIdEEEE10hipError_tPvRmT2_T3_mT4_P12ihipStream_tbEUlT_E_NS1_11comp_targetILNS1_3genE8ELNS1_11target_archE1030ELNS1_3gpuE2ELNS1_3repE0EEENS1_30default_config_static_selectorELNS0_4arch9wavefront6targetE1EEEvT1_,"axG",@progbits,_ZN7rocprim17ROCPRIM_400000_NS6detail17trampoline_kernelINS0_14default_configENS1_35adjacent_difference_config_selectorILb0EdEEZNS1_24adjacent_difference_implIS3_Lb0ELb0EPdS7_N6thrust23THRUST_200600_302600_NS5minusIdEEEE10hipError_tPvRmT2_T3_mT4_P12ihipStream_tbEUlT_E_NS1_11comp_targetILNS1_3genE8ELNS1_11target_archE1030ELNS1_3gpuE2ELNS1_3repE0EEENS1_30default_config_static_selectorELNS0_4arch9wavefront6targetE1EEEvT1_,comdat
.Lfunc_end9:
	.size	_ZN7rocprim17ROCPRIM_400000_NS6detail17trampoline_kernelINS0_14default_configENS1_35adjacent_difference_config_selectorILb0EdEEZNS1_24adjacent_difference_implIS3_Lb0ELb0EPdS7_N6thrust23THRUST_200600_302600_NS5minusIdEEEE10hipError_tPvRmT2_T3_mT4_P12ihipStream_tbEUlT_E_NS1_11comp_targetILNS1_3genE8ELNS1_11target_archE1030ELNS1_3gpuE2ELNS1_3repE0EEENS1_30default_config_static_selectorELNS0_4arch9wavefront6targetE1EEEvT1_, .Lfunc_end9-_ZN7rocprim17ROCPRIM_400000_NS6detail17trampoline_kernelINS0_14default_configENS1_35adjacent_difference_config_selectorILb0EdEEZNS1_24adjacent_difference_implIS3_Lb0ELb0EPdS7_N6thrust23THRUST_200600_302600_NS5minusIdEEEE10hipError_tPvRmT2_T3_mT4_P12ihipStream_tbEUlT_E_NS1_11comp_targetILNS1_3genE8ELNS1_11target_archE1030ELNS1_3gpuE2ELNS1_3repE0EEENS1_30default_config_static_selectorELNS0_4arch9wavefront6targetE1EEEvT1_
                                        ; -- End function
	.set _ZN7rocprim17ROCPRIM_400000_NS6detail17trampoline_kernelINS0_14default_configENS1_35adjacent_difference_config_selectorILb0EdEEZNS1_24adjacent_difference_implIS3_Lb0ELb0EPdS7_N6thrust23THRUST_200600_302600_NS5minusIdEEEE10hipError_tPvRmT2_T3_mT4_P12ihipStream_tbEUlT_E_NS1_11comp_targetILNS1_3genE8ELNS1_11target_archE1030ELNS1_3gpuE2ELNS1_3repE0EEENS1_30default_config_static_selectorELNS0_4arch9wavefront6targetE1EEEvT1_.num_vgpr, 0
	.set _ZN7rocprim17ROCPRIM_400000_NS6detail17trampoline_kernelINS0_14default_configENS1_35adjacent_difference_config_selectorILb0EdEEZNS1_24adjacent_difference_implIS3_Lb0ELb0EPdS7_N6thrust23THRUST_200600_302600_NS5minusIdEEEE10hipError_tPvRmT2_T3_mT4_P12ihipStream_tbEUlT_E_NS1_11comp_targetILNS1_3genE8ELNS1_11target_archE1030ELNS1_3gpuE2ELNS1_3repE0EEENS1_30default_config_static_selectorELNS0_4arch9wavefront6targetE1EEEvT1_.num_agpr, 0
	.set _ZN7rocprim17ROCPRIM_400000_NS6detail17trampoline_kernelINS0_14default_configENS1_35adjacent_difference_config_selectorILb0EdEEZNS1_24adjacent_difference_implIS3_Lb0ELb0EPdS7_N6thrust23THRUST_200600_302600_NS5minusIdEEEE10hipError_tPvRmT2_T3_mT4_P12ihipStream_tbEUlT_E_NS1_11comp_targetILNS1_3genE8ELNS1_11target_archE1030ELNS1_3gpuE2ELNS1_3repE0EEENS1_30default_config_static_selectorELNS0_4arch9wavefront6targetE1EEEvT1_.numbered_sgpr, 0
	.set _ZN7rocprim17ROCPRIM_400000_NS6detail17trampoline_kernelINS0_14default_configENS1_35adjacent_difference_config_selectorILb0EdEEZNS1_24adjacent_difference_implIS3_Lb0ELb0EPdS7_N6thrust23THRUST_200600_302600_NS5minusIdEEEE10hipError_tPvRmT2_T3_mT4_P12ihipStream_tbEUlT_E_NS1_11comp_targetILNS1_3genE8ELNS1_11target_archE1030ELNS1_3gpuE2ELNS1_3repE0EEENS1_30default_config_static_selectorELNS0_4arch9wavefront6targetE1EEEvT1_.num_named_barrier, 0
	.set _ZN7rocprim17ROCPRIM_400000_NS6detail17trampoline_kernelINS0_14default_configENS1_35adjacent_difference_config_selectorILb0EdEEZNS1_24adjacent_difference_implIS3_Lb0ELb0EPdS7_N6thrust23THRUST_200600_302600_NS5minusIdEEEE10hipError_tPvRmT2_T3_mT4_P12ihipStream_tbEUlT_E_NS1_11comp_targetILNS1_3genE8ELNS1_11target_archE1030ELNS1_3gpuE2ELNS1_3repE0EEENS1_30default_config_static_selectorELNS0_4arch9wavefront6targetE1EEEvT1_.private_seg_size, 0
	.set _ZN7rocprim17ROCPRIM_400000_NS6detail17trampoline_kernelINS0_14default_configENS1_35adjacent_difference_config_selectorILb0EdEEZNS1_24adjacent_difference_implIS3_Lb0ELb0EPdS7_N6thrust23THRUST_200600_302600_NS5minusIdEEEE10hipError_tPvRmT2_T3_mT4_P12ihipStream_tbEUlT_E_NS1_11comp_targetILNS1_3genE8ELNS1_11target_archE1030ELNS1_3gpuE2ELNS1_3repE0EEENS1_30default_config_static_selectorELNS0_4arch9wavefront6targetE1EEEvT1_.uses_vcc, 0
	.set _ZN7rocprim17ROCPRIM_400000_NS6detail17trampoline_kernelINS0_14default_configENS1_35adjacent_difference_config_selectorILb0EdEEZNS1_24adjacent_difference_implIS3_Lb0ELb0EPdS7_N6thrust23THRUST_200600_302600_NS5minusIdEEEE10hipError_tPvRmT2_T3_mT4_P12ihipStream_tbEUlT_E_NS1_11comp_targetILNS1_3genE8ELNS1_11target_archE1030ELNS1_3gpuE2ELNS1_3repE0EEENS1_30default_config_static_selectorELNS0_4arch9wavefront6targetE1EEEvT1_.uses_flat_scratch, 0
	.set _ZN7rocprim17ROCPRIM_400000_NS6detail17trampoline_kernelINS0_14default_configENS1_35adjacent_difference_config_selectorILb0EdEEZNS1_24adjacent_difference_implIS3_Lb0ELb0EPdS7_N6thrust23THRUST_200600_302600_NS5minusIdEEEE10hipError_tPvRmT2_T3_mT4_P12ihipStream_tbEUlT_E_NS1_11comp_targetILNS1_3genE8ELNS1_11target_archE1030ELNS1_3gpuE2ELNS1_3repE0EEENS1_30default_config_static_selectorELNS0_4arch9wavefront6targetE1EEEvT1_.has_dyn_sized_stack, 0
	.set _ZN7rocprim17ROCPRIM_400000_NS6detail17trampoline_kernelINS0_14default_configENS1_35adjacent_difference_config_selectorILb0EdEEZNS1_24adjacent_difference_implIS3_Lb0ELb0EPdS7_N6thrust23THRUST_200600_302600_NS5minusIdEEEE10hipError_tPvRmT2_T3_mT4_P12ihipStream_tbEUlT_E_NS1_11comp_targetILNS1_3genE8ELNS1_11target_archE1030ELNS1_3gpuE2ELNS1_3repE0EEENS1_30default_config_static_selectorELNS0_4arch9wavefront6targetE1EEEvT1_.has_recursion, 0
	.set _ZN7rocprim17ROCPRIM_400000_NS6detail17trampoline_kernelINS0_14default_configENS1_35adjacent_difference_config_selectorILb0EdEEZNS1_24adjacent_difference_implIS3_Lb0ELb0EPdS7_N6thrust23THRUST_200600_302600_NS5minusIdEEEE10hipError_tPvRmT2_T3_mT4_P12ihipStream_tbEUlT_E_NS1_11comp_targetILNS1_3genE8ELNS1_11target_archE1030ELNS1_3gpuE2ELNS1_3repE0EEENS1_30default_config_static_selectorELNS0_4arch9wavefront6targetE1EEEvT1_.has_indirect_call, 0
	.section	.AMDGPU.csdata,"",@progbits
; Kernel info:
; codeLenInByte = 0
; TotalNumSgprs: 4
; NumVgprs: 0
; ScratchSize: 0
; MemoryBound: 0
; FloatMode: 240
; IeeeMode: 1
; LDSByteSize: 0 bytes/workgroup (compile time only)
; SGPRBlocks: 0
; VGPRBlocks: 0
; NumSGPRsForWavesPerEU: 4
; NumVGPRsForWavesPerEU: 1
; Occupancy: 10
; WaveLimiterHint : 0
; COMPUTE_PGM_RSRC2:SCRATCH_EN: 0
; COMPUTE_PGM_RSRC2:USER_SGPR: 6
; COMPUTE_PGM_RSRC2:TRAP_HANDLER: 0
; COMPUTE_PGM_RSRC2:TGID_X_EN: 1
; COMPUTE_PGM_RSRC2:TGID_Y_EN: 0
; COMPUTE_PGM_RSRC2:TGID_Z_EN: 0
; COMPUTE_PGM_RSRC2:TIDIG_COMP_CNT: 0
	.section	.text._ZN7rocprim17ROCPRIM_400000_NS6detail17trampoline_kernelINS0_14default_configENS1_25transform_config_selectorIdLb0EEEZNS1_14transform_implILb0ES3_S5_NS0_18transform_iteratorINS0_17counting_iteratorImlEEZNS1_24adjacent_difference_implIS3_Lb1ELb0EPdSB_N6thrust23THRUST_200600_302600_NS5minusIdEEEE10hipError_tPvRmT2_T3_mT4_P12ihipStream_tbEUlmE_dEESB_NS0_8identityIvEEEESG_SJ_SK_mSL_SN_bEUlT_E_NS1_11comp_targetILNS1_3genE0ELNS1_11target_archE4294967295ELNS1_3gpuE0ELNS1_3repE0EEENS1_30default_config_static_selectorELNS0_4arch9wavefront6targetE1EEEvT1_,"axG",@progbits,_ZN7rocprim17ROCPRIM_400000_NS6detail17trampoline_kernelINS0_14default_configENS1_25transform_config_selectorIdLb0EEEZNS1_14transform_implILb0ES3_S5_NS0_18transform_iteratorINS0_17counting_iteratorImlEEZNS1_24adjacent_difference_implIS3_Lb1ELb0EPdSB_N6thrust23THRUST_200600_302600_NS5minusIdEEEE10hipError_tPvRmT2_T3_mT4_P12ihipStream_tbEUlmE_dEESB_NS0_8identityIvEEEESG_SJ_SK_mSL_SN_bEUlT_E_NS1_11comp_targetILNS1_3genE0ELNS1_11target_archE4294967295ELNS1_3gpuE0ELNS1_3repE0EEENS1_30default_config_static_selectorELNS0_4arch9wavefront6targetE1EEEvT1_,comdat
	.protected	_ZN7rocprim17ROCPRIM_400000_NS6detail17trampoline_kernelINS0_14default_configENS1_25transform_config_selectorIdLb0EEEZNS1_14transform_implILb0ES3_S5_NS0_18transform_iteratorINS0_17counting_iteratorImlEEZNS1_24adjacent_difference_implIS3_Lb1ELb0EPdSB_N6thrust23THRUST_200600_302600_NS5minusIdEEEE10hipError_tPvRmT2_T3_mT4_P12ihipStream_tbEUlmE_dEESB_NS0_8identityIvEEEESG_SJ_SK_mSL_SN_bEUlT_E_NS1_11comp_targetILNS1_3genE0ELNS1_11target_archE4294967295ELNS1_3gpuE0ELNS1_3repE0EEENS1_30default_config_static_selectorELNS0_4arch9wavefront6targetE1EEEvT1_ ; -- Begin function _ZN7rocprim17ROCPRIM_400000_NS6detail17trampoline_kernelINS0_14default_configENS1_25transform_config_selectorIdLb0EEEZNS1_14transform_implILb0ES3_S5_NS0_18transform_iteratorINS0_17counting_iteratorImlEEZNS1_24adjacent_difference_implIS3_Lb1ELb0EPdSB_N6thrust23THRUST_200600_302600_NS5minusIdEEEE10hipError_tPvRmT2_T3_mT4_P12ihipStream_tbEUlmE_dEESB_NS0_8identityIvEEEESG_SJ_SK_mSL_SN_bEUlT_E_NS1_11comp_targetILNS1_3genE0ELNS1_11target_archE4294967295ELNS1_3gpuE0ELNS1_3repE0EEENS1_30default_config_static_selectorELNS0_4arch9wavefront6targetE1EEEvT1_
	.globl	_ZN7rocprim17ROCPRIM_400000_NS6detail17trampoline_kernelINS0_14default_configENS1_25transform_config_selectorIdLb0EEEZNS1_14transform_implILb0ES3_S5_NS0_18transform_iteratorINS0_17counting_iteratorImlEEZNS1_24adjacent_difference_implIS3_Lb1ELb0EPdSB_N6thrust23THRUST_200600_302600_NS5minusIdEEEE10hipError_tPvRmT2_T3_mT4_P12ihipStream_tbEUlmE_dEESB_NS0_8identityIvEEEESG_SJ_SK_mSL_SN_bEUlT_E_NS1_11comp_targetILNS1_3genE0ELNS1_11target_archE4294967295ELNS1_3gpuE0ELNS1_3repE0EEENS1_30default_config_static_selectorELNS0_4arch9wavefront6targetE1EEEvT1_
	.p2align	8
	.type	_ZN7rocprim17ROCPRIM_400000_NS6detail17trampoline_kernelINS0_14default_configENS1_25transform_config_selectorIdLb0EEEZNS1_14transform_implILb0ES3_S5_NS0_18transform_iteratorINS0_17counting_iteratorImlEEZNS1_24adjacent_difference_implIS3_Lb1ELb0EPdSB_N6thrust23THRUST_200600_302600_NS5minusIdEEEE10hipError_tPvRmT2_T3_mT4_P12ihipStream_tbEUlmE_dEESB_NS0_8identityIvEEEESG_SJ_SK_mSL_SN_bEUlT_E_NS1_11comp_targetILNS1_3genE0ELNS1_11target_archE4294967295ELNS1_3gpuE0ELNS1_3repE0EEENS1_30default_config_static_selectorELNS0_4arch9wavefront6targetE1EEEvT1_,@function
_ZN7rocprim17ROCPRIM_400000_NS6detail17trampoline_kernelINS0_14default_configENS1_25transform_config_selectorIdLb0EEEZNS1_14transform_implILb0ES3_S5_NS0_18transform_iteratorINS0_17counting_iteratorImlEEZNS1_24adjacent_difference_implIS3_Lb1ELb0EPdSB_N6thrust23THRUST_200600_302600_NS5minusIdEEEE10hipError_tPvRmT2_T3_mT4_P12ihipStream_tbEUlmE_dEESB_NS0_8identityIvEEEESG_SJ_SK_mSL_SN_bEUlT_E_NS1_11comp_targetILNS1_3genE0ELNS1_11target_archE4294967295ELNS1_3gpuE0ELNS1_3repE0EEENS1_30default_config_static_selectorELNS0_4arch9wavefront6targetE1EEEvT1_: ; @_ZN7rocprim17ROCPRIM_400000_NS6detail17trampoline_kernelINS0_14default_configENS1_25transform_config_selectorIdLb0EEEZNS1_14transform_implILb0ES3_S5_NS0_18transform_iteratorINS0_17counting_iteratorImlEEZNS1_24adjacent_difference_implIS3_Lb1ELb0EPdSB_N6thrust23THRUST_200600_302600_NS5minusIdEEEE10hipError_tPvRmT2_T3_mT4_P12ihipStream_tbEUlmE_dEESB_NS0_8identityIvEEEESG_SJ_SK_mSL_SN_bEUlT_E_NS1_11comp_targetILNS1_3genE0ELNS1_11target_archE4294967295ELNS1_3gpuE0ELNS1_3repE0EEENS1_30default_config_static_selectorELNS0_4arch9wavefront6targetE1EEEvT1_
; %bb.0:
	.section	.rodata,"a",@progbits
	.p2align	6, 0x0
	.amdhsa_kernel _ZN7rocprim17ROCPRIM_400000_NS6detail17trampoline_kernelINS0_14default_configENS1_25transform_config_selectorIdLb0EEEZNS1_14transform_implILb0ES3_S5_NS0_18transform_iteratorINS0_17counting_iteratorImlEEZNS1_24adjacent_difference_implIS3_Lb1ELb0EPdSB_N6thrust23THRUST_200600_302600_NS5minusIdEEEE10hipError_tPvRmT2_T3_mT4_P12ihipStream_tbEUlmE_dEESB_NS0_8identityIvEEEESG_SJ_SK_mSL_SN_bEUlT_E_NS1_11comp_targetILNS1_3genE0ELNS1_11target_archE4294967295ELNS1_3gpuE0ELNS1_3repE0EEENS1_30default_config_static_selectorELNS0_4arch9wavefront6targetE1EEEvT1_
		.amdhsa_group_segment_fixed_size 0
		.amdhsa_private_segment_fixed_size 0
		.amdhsa_kernarg_size 56
		.amdhsa_user_sgpr_count 6
		.amdhsa_user_sgpr_private_segment_buffer 1
		.amdhsa_user_sgpr_dispatch_ptr 0
		.amdhsa_user_sgpr_queue_ptr 0
		.amdhsa_user_sgpr_kernarg_segment_ptr 1
		.amdhsa_user_sgpr_dispatch_id 0
		.amdhsa_user_sgpr_flat_scratch_init 0
		.amdhsa_user_sgpr_private_segment_size 0
		.amdhsa_uses_dynamic_stack 0
		.amdhsa_system_sgpr_private_segment_wavefront_offset 0
		.amdhsa_system_sgpr_workgroup_id_x 1
		.amdhsa_system_sgpr_workgroup_id_y 0
		.amdhsa_system_sgpr_workgroup_id_z 0
		.amdhsa_system_sgpr_workgroup_info 0
		.amdhsa_system_vgpr_workitem_id 0
		.amdhsa_next_free_vgpr 1
		.amdhsa_next_free_sgpr 0
		.amdhsa_reserve_vcc 0
		.amdhsa_reserve_flat_scratch 0
		.amdhsa_float_round_mode_32 0
		.amdhsa_float_round_mode_16_64 0
		.amdhsa_float_denorm_mode_32 3
		.amdhsa_float_denorm_mode_16_64 3
		.amdhsa_dx10_clamp 1
		.amdhsa_ieee_mode 1
		.amdhsa_fp16_overflow 0
		.amdhsa_exception_fp_ieee_invalid_op 0
		.amdhsa_exception_fp_denorm_src 0
		.amdhsa_exception_fp_ieee_div_zero 0
		.amdhsa_exception_fp_ieee_overflow 0
		.amdhsa_exception_fp_ieee_underflow 0
		.amdhsa_exception_fp_ieee_inexact 0
		.amdhsa_exception_int_div_zero 0
	.end_amdhsa_kernel
	.section	.text._ZN7rocprim17ROCPRIM_400000_NS6detail17trampoline_kernelINS0_14default_configENS1_25transform_config_selectorIdLb0EEEZNS1_14transform_implILb0ES3_S5_NS0_18transform_iteratorINS0_17counting_iteratorImlEEZNS1_24adjacent_difference_implIS3_Lb1ELb0EPdSB_N6thrust23THRUST_200600_302600_NS5minusIdEEEE10hipError_tPvRmT2_T3_mT4_P12ihipStream_tbEUlmE_dEESB_NS0_8identityIvEEEESG_SJ_SK_mSL_SN_bEUlT_E_NS1_11comp_targetILNS1_3genE0ELNS1_11target_archE4294967295ELNS1_3gpuE0ELNS1_3repE0EEENS1_30default_config_static_selectorELNS0_4arch9wavefront6targetE1EEEvT1_,"axG",@progbits,_ZN7rocprim17ROCPRIM_400000_NS6detail17trampoline_kernelINS0_14default_configENS1_25transform_config_selectorIdLb0EEEZNS1_14transform_implILb0ES3_S5_NS0_18transform_iteratorINS0_17counting_iteratorImlEEZNS1_24adjacent_difference_implIS3_Lb1ELb0EPdSB_N6thrust23THRUST_200600_302600_NS5minusIdEEEE10hipError_tPvRmT2_T3_mT4_P12ihipStream_tbEUlmE_dEESB_NS0_8identityIvEEEESG_SJ_SK_mSL_SN_bEUlT_E_NS1_11comp_targetILNS1_3genE0ELNS1_11target_archE4294967295ELNS1_3gpuE0ELNS1_3repE0EEENS1_30default_config_static_selectorELNS0_4arch9wavefront6targetE1EEEvT1_,comdat
.Lfunc_end10:
	.size	_ZN7rocprim17ROCPRIM_400000_NS6detail17trampoline_kernelINS0_14default_configENS1_25transform_config_selectorIdLb0EEEZNS1_14transform_implILb0ES3_S5_NS0_18transform_iteratorINS0_17counting_iteratorImlEEZNS1_24adjacent_difference_implIS3_Lb1ELb0EPdSB_N6thrust23THRUST_200600_302600_NS5minusIdEEEE10hipError_tPvRmT2_T3_mT4_P12ihipStream_tbEUlmE_dEESB_NS0_8identityIvEEEESG_SJ_SK_mSL_SN_bEUlT_E_NS1_11comp_targetILNS1_3genE0ELNS1_11target_archE4294967295ELNS1_3gpuE0ELNS1_3repE0EEENS1_30default_config_static_selectorELNS0_4arch9wavefront6targetE1EEEvT1_, .Lfunc_end10-_ZN7rocprim17ROCPRIM_400000_NS6detail17trampoline_kernelINS0_14default_configENS1_25transform_config_selectorIdLb0EEEZNS1_14transform_implILb0ES3_S5_NS0_18transform_iteratorINS0_17counting_iteratorImlEEZNS1_24adjacent_difference_implIS3_Lb1ELb0EPdSB_N6thrust23THRUST_200600_302600_NS5minusIdEEEE10hipError_tPvRmT2_T3_mT4_P12ihipStream_tbEUlmE_dEESB_NS0_8identityIvEEEESG_SJ_SK_mSL_SN_bEUlT_E_NS1_11comp_targetILNS1_3genE0ELNS1_11target_archE4294967295ELNS1_3gpuE0ELNS1_3repE0EEENS1_30default_config_static_selectorELNS0_4arch9wavefront6targetE1EEEvT1_
                                        ; -- End function
	.set _ZN7rocprim17ROCPRIM_400000_NS6detail17trampoline_kernelINS0_14default_configENS1_25transform_config_selectorIdLb0EEEZNS1_14transform_implILb0ES3_S5_NS0_18transform_iteratorINS0_17counting_iteratorImlEEZNS1_24adjacent_difference_implIS3_Lb1ELb0EPdSB_N6thrust23THRUST_200600_302600_NS5minusIdEEEE10hipError_tPvRmT2_T3_mT4_P12ihipStream_tbEUlmE_dEESB_NS0_8identityIvEEEESG_SJ_SK_mSL_SN_bEUlT_E_NS1_11comp_targetILNS1_3genE0ELNS1_11target_archE4294967295ELNS1_3gpuE0ELNS1_3repE0EEENS1_30default_config_static_selectorELNS0_4arch9wavefront6targetE1EEEvT1_.num_vgpr, 0
	.set _ZN7rocprim17ROCPRIM_400000_NS6detail17trampoline_kernelINS0_14default_configENS1_25transform_config_selectorIdLb0EEEZNS1_14transform_implILb0ES3_S5_NS0_18transform_iteratorINS0_17counting_iteratorImlEEZNS1_24adjacent_difference_implIS3_Lb1ELb0EPdSB_N6thrust23THRUST_200600_302600_NS5minusIdEEEE10hipError_tPvRmT2_T3_mT4_P12ihipStream_tbEUlmE_dEESB_NS0_8identityIvEEEESG_SJ_SK_mSL_SN_bEUlT_E_NS1_11comp_targetILNS1_3genE0ELNS1_11target_archE4294967295ELNS1_3gpuE0ELNS1_3repE0EEENS1_30default_config_static_selectorELNS0_4arch9wavefront6targetE1EEEvT1_.num_agpr, 0
	.set _ZN7rocprim17ROCPRIM_400000_NS6detail17trampoline_kernelINS0_14default_configENS1_25transform_config_selectorIdLb0EEEZNS1_14transform_implILb0ES3_S5_NS0_18transform_iteratorINS0_17counting_iteratorImlEEZNS1_24adjacent_difference_implIS3_Lb1ELb0EPdSB_N6thrust23THRUST_200600_302600_NS5minusIdEEEE10hipError_tPvRmT2_T3_mT4_P12ihipStream_tbEUlmE_dEESB_NS0_8identityIvEEEESG_SJ_SK_mSL_SN_bEUlT_E_NS1_11comp_targetILNS1_3genE0ELNS1_11target_archE4294967295ELNS1_3gpuE0ELNS1_3repE0EEENS1_30default_config_static_selectorELNS0_4arch9wavefront6targetE1EEEvT1_.numbered_sgpr, 0
	.set _ZN7rocprim17ROCPRIM_400000_NS6detail17trampoline_kernelINS0_14default_configENS1_25transform_config_selectorIdLb0EEEZNS1_14transform_implILb0ES3_S5_NS0_18transform_iteratorINS0_17counting_iteratorImlEEZNS1_24adjacent_difference_implIS3_Lb1ELb0EPdSB_N6thrust23THRUST_200600_302600_NS5minusIdEEEE10hipError_tPvRmT2_T3_mT4_P12ihipStream_tbEUlmE_dEESB_NS0_8identityIvEEEESG_SJ_SK_mSL_SN_bEUlT_E_NS1_11comp_targetILNS1_3genE0ELNS1_11target_archE4294967295ELNS1_3gpuE0ELNS1_3repE0EEENS1_30default_config_static_selectorELNS0_4arch9wavefront6targetE1EEEvT1_.num_named_barrier, 0
	.set _ZN7rocprim17ROCPRIM_400000_NS6detail17trampoline_kernelINS0_14default_configENS1_25transform_config_selectorIdLb0EEEZNS1_14transform_implILb0ES3_S5_NS0_18transform_iteratorINS0_17counting_iteratorImlEEZNS1_24adjacent_difference_implIS3_Lb1ELb0EPdSB_N6thrust23THRUST_200600_302600_NS5minusIdEEEE10hipError_tPvRmT2_T3_mT4_P12ihipStream_tbEUlmE_dEESB_NS0_8identityIvEEEESG_SJ_SK_mSL_SN_bEUlT_E_NS1_11comp_targetILNS1_3genE0ELNS1_11target_archE4294967295ELNS1_3gpuE0ELNS1_3repE0EEENS1_30default_config_static_selectorELNS0_4arch9wavefront6targetE1EEEvT1_.private_seg_size, 0
	.set _ZN7rocprim17ROCPRIM_400000_NS6detail17trampoline_kernelINS0_14default_configENS1_25transform_config_selectorIdLb0EEEZNS1_14transform_implILb0ES3_S5_NS0_18transform_iteratorINS0_17counting_iteratorImlEEZNS1_24adjacent_difference_implIS3_Lb1ELb0EPdSB_N6thrust23THRUST_200600_302600_NS5minusIdEEEE10hipError_tPvRmT2_T3_mT4_P12ihipStream_tbEUlmE_dEESB_NS0_8identityIvEEEESG_SJ_SK_mSL_SN_bEUlT_E_NS1_11comp_targetILNS1_3genE0ELNS1_11target_archE4294967295ELNS1_3gpuE0ELNS1_3repE0EEENS1_30default_config_static_selectorELNS0_4arch9wavefront6targetE1EEEvT1_.uses_vcc, 0
	.set _ZN7rocprim17ROCPRIM_400000_NS6detail17trampoline_kernelINS0_14default_configENS1_25transform_config_selectorIdLb0EEEZNS1_14transform_implILb0ES3_S5_NS0_18transform_iteratorINS0_17counting_iteratorImlEEZNS1_24adjacent_difference_implIS3_Lb1ELb0EPdSB_N6thrust23THRUST_200600_302600_NS5minusIdEEEE10hipError_tPvRmT2_T3_mT4_P12ihipStream_tbEUlmE_dEESB_NS0_8identityIvEEEESG_SJ_SK_mSL_SN_bEUlT_E_NS1_11comp_targetILNS1_3genE0ELNS1_11target_archE4294967295ELNS1_3gpuE0ELNS1_3repE0EEENS1_30default_config_static_selectorELNS0_4arch9wavefront6targetE1EEEvT1_.uses_flat_scratch, 0
	.set _ZN7rocprim17ROCPRIM_400000_NS6detail17trampoline_kernelINS0_14default_configENS1_25transform_config_selectorIdLb0EEEZNS1_14transform_implILb0ES3_S5_NS0_18transform_iteratorINS0_17counting_iteratorImlEEZNS1_24adjacent_difference_implIS3_Lb1ELb0EPdSB_N6thrust23THRUST_200600_302600_NS5minusIdEEEE10hipError_tPvRmT2_T3_mT4_P12ihipStream_tbEUlmE_dEESB_NS0_8identityIvEEEESG_SJ_SK_mSL_SN_bEUlT_E_NS1_11comp_targetILNS1_3genE0ELNS1_11target_archE4294967295ELNS1_3gpuE0ELNS1_3repE0EEENS1_30default_config_static_selectorELNS0_4arch9wavefront6targetE1EEEvT1_.has_dyn_sized_stack, 0
	.set _ZN7rocprim17ROCPRIM_400000_NS6detail17trampoline_kernelINS0_14default_configENS1_25transform_config_selectorIdLb0EEEZNS1_14transform_implILb0ES3_S5_NS0_18transform_iteratorINS0_17counting_iteratorImlEEZNS1_24adjacent_difference_implIS3_Lb1ELb0EPdSB_N6thrust23THRUST_200600_302600_NS5minusIdEEEE10hipError_tPvRmT2_T3_mT4_P12ihipStream_tbEUlmE_dEESB_NS0_8identityIvEEEESG_SJ_SK_mSL_SN_bEUlT_E_NS1_11comp_targetILNS1_3genE0ELNS1_11target_archE4294967295ELNS1_3gpuE0ELNS1_3repE0EEENS1_30default_config_static_selectorELNS0_4arch9wavefront6targetE1EEEvT1_.has_recursion, 0
	.set _ZN7rocprim17ROCPRIM_400000_NS6detail17trampoline_kernelINS0_14default_configENS1_25transform_config_selectorIdLb0EEEZNS1_14transform_implILb0ES3_S5_NS0_18transform_iteratorINS0_17counting_iteratorImlEEZNS1_24adjacent_difference_implIS3_Lb1ELb0EPdSB_N6thrust23THRUST_200600_302600_NS5minusIdEEEE10hipError_tPvRmT2_T3_mT4_P12ihipStream_tbEUlmE_dEESB_NS0_8identityIvEEEESG_SJ_SK_mSL_SN_bEUlT_E_NS1_11comp_targetILNS1_3genE0ELNS1_11target_archE4294967295ELNS1_3gpuE0ELNS1_3repE0EEENS1_30default_config_static_selectorELNS0_4arch9wavefront6targetE1EEEvT1_.has_indirect_call, 0
	.section	.AMDGPU.csdata,"",@progbits
; Kernel info:
; codeLenInByte = 0
; TotalNumSgprs: 4
; NumVgprs: 0
; ScratchSize: 0
; MemoryBound: 0
; FloatMode: 240
; IeeeMode: 1
; LDSByteSize: 0 bytes/workgroup (compile time only)
; SGPRBlocks: 0
; VGPRBlocks: 0
; NumSGPRsForWavesPerEU: 4
; NumVGPRsForWavesPerEU: 1
; Occupancy: 10
; WaveLimiterHint : 0
; COMPUTE_PGM_RSRC2:SCRATCH_EN: 0
; COMPUTE_PGM_RSRC2:USER_SGPR: 6
; COMPUTE_PGM_RSRC2:TRAP_HANDLER: 0
; COMPUTE_PGM_RSRC2:TGID_X_EN: 1
; COMPUTE_PGM_RSRC2:TGID_Y_EN: 0
; COMPUTE_PGM_RSRC2:TGID_Z_EN: 0
; COMPUTE_PGM_RSRC2:TIDIG_COMP_CNT: 0
	.section	.text._ZN7rocprim17ROCPRIM_400000_NS6detail17trampoline_kernelINS0_14default_configENS1_25transform_config_selectorIdLb0EEEZNS1_14transform_implILb0ES3_S5_NS0_18transform_iteratorINS0_17counting_iteratorImlEEZNS1_24adjacent_difference_implIS3_Lb1ELb0EPdSB_N6thrust23THRUST_200600_302600_NS5minusIdEEEE10hipError_tPvRmT2_T3_mT4_P12ihipStream_tbEUlmE_dEESB_NS0_8identityIvEEEESG_SJ_SK_mSL_SN_bEUlT_E_NS1_11comp_targetILNS1_3genE5ELNS1_11target_archE942ELNS1_3gpuE9ELNS1_3repE0EEENS1_30default_config_static_selectorELNS0_4arch9wavefront6targetE1EEEvT1_,"axG",@progbits,_ZN7rocprim17ROCPRIM_400000_NS6detail17trampoline_kernelINS0_14default_configENS1_25transform_config_selectorIdLb0EEEZNS1_14transform_implILb0ES3_S5_NS0_18transform_iteratorINS0_17counting_iteratorImlEEZNS1_24adjacent_difference_implIS3_Lb1ELb0EPdSB_N6thrust23THRUST_200600_302600_NS5minusIdEEEE10hipError_tPvRmT2_T3_mT4_P12ihipStream_tbEUlmE_dEESB_NS0_8identityIvEEEESG_SJ_SK_mSL_SN_bEUlT_E_NS1_11comp_targetILNS1_3genE5ELNS1_11target_archE942ELNS1_3gpuE9ELNS1_3repE0EEENS1_30default_config_static_selectorELNS0_4arch9wavefront6targetE1EEEvT1_,comdat
	.protected	_ZN7rocprim17ROCPRIM_400000_NS6detail17trampoline_kernelINS0_14default_configENS1_25transform_config_selectorIdLb0EEEZNS1_14transform_implILb0ES3_S5_NS0_18transform_iteratorINS0_17counting_iteratorImlEEZNS1_24adjacent_difference_implIS3_Lb1ELb0EPdSB_N6thrust23THRUST_200600_302600_NS5minusIdEEEE10hipError_tPvRmT2_T3_mT4_P12ihipStream_tbEUlmE_dEESB_NS0_8identityIvEEEESG_SJ_SK_mSL_SN_bEUlT_E_NS1_11comp_targetILNS1_3genE5ELNS1_11target_archE942ELNS1_3gpuE9ELNS1_3repE0EEENS1_30default_config_static_selectorELNS0_4arch9wavefront6targetE1EEEvT1_ ; -- Begin function _ZN7rocprim17ROCPRIM_400000_NS6detail17trampoline_kernelINS0_14default_configENS1_25transform_config_selectorIdLb0EEEZNS1_14transform_implILb0ES3_S5_NS0_18transform_iteratorINS0_17counting_iteratorImlEEZNS1_24adjacent_difference_implIS3_Lb1ELb0EPdSB_N6thrust23THRUST_200600_302600_NS5minusIdEEEE10hipError_tPvRmT2_T3_mT4_P12ihipStream_tbEUlmE_dEESB_NS0_8identityIvEEEESG_SJ_SK_mSL_SN_bEUlT_E_NS1_11comp_targetILNS1_3genE5ELNS1_11target_archE942ELNS1_3gpuE9ELNS1_3repE0EEENS1_30default_config_static_selectorELNS0_4arch9wavefront6targetE1EEEvT1_
	.globl	_ZN7rocprim17ROCPRIM_400000_NS6detail17trampoline_kernelINS0_14default_configENS1_25transform_config_selectorIdLb0EEEZNS1_14transform_implILb0ES3_S5_NS0_18transform_iteratorINS0_17counting_iteratorImlEEZNS1_24adjacent_difference_implIS3_Lb1ELb0EPdSB_N6thrust23THRUST_200600_302600_NS5minusIdEEEE10hipError_tPvRmT2_T3_mT4_P12ihipStream_tbEUlmE_dEESB_NS0_8identityIvEEEESG_SJ_SK_mSL_SN_bEUlT_E_NS1_11comp_targetILNS1_3genE5ELNS1_11target_archE942ELNS1_3gpuE9ELNS1_3repE0EEENS1_30default_config_static_selectorELNS0_4arch9wavefront6targetE1EEEvT1_
	.p2align	8
	.type	_ZN7rocprim17ROCPRIM_400000_NS6detail17trampoline_kernelINS0_14default_configENS1_25transform_config_selectorIdLb0EEEZNS1_14transform_implILb0ES3_S5_NS0_18transform_iteratorINS0_17counting_iteratorImlEEZNS1_24adjacent_difference_implIS3_Lb1ELb0EPdSB_N6thrust23THRUST_200600_302600_NS5minusIdEEEE10hipError_tPvRmT2_T3_mT4_P12ihipStream_tbEUlmE_dEESB_NS0_8identityIvEEEESG_SJ_SK_mSL_SN_bEUlT_E_NS1_11comp_targetILNS1_3genE5ELNS1_11target_archE942ELNS1_3gpuE9ELNS1_3repE0EEENS1_30default_config_static_selectorELNS0_4arch9wavefront6targetE1EEEvT1_,@function
_ZN7rocprim17ROCPRIM_400000_NS6detail17trampoline_kernelINS0_14default_configENS1_25transform_config_selectorIdLb0EEEZNS1_14transform_implILb0ES3_S5_NS0_18transform_iteratorINS0_17counting_iteratorImlEEZNS1_24adjacent_difference_implIS3_Lb1ELb0EPdSB_N6thrust23THRUST_200600_302600_NS5minusIdEEEE10hipError_tPvRmT2_T3_mT4_P12ihipStream_tbEUlmE_dEESB_NS0_8identityIvEEEESG_SJ_SK_mSL_SN_bEUlT_E_NS1_11comp_targetILNS1_3genE5ELNS1_11target_archE942ELNS1_3gpuE9ELNS1_3repE0EEENS1_30default_config_static_selectorELNS0_4arch9wavefront6targetE1EEEvT1_: ; @_ZN7rocprim17ROCPRIM_400000_NS6detail17trampoline_kernelINS0_14default_configENS1_25transform_config_selectorIdLb0EEEZNS1_14transform_implILb0ES3_S5_NS0_18transform_iteratorINS0_17counting_iteratorImlEEZNS1_24adjacent_difference_implIS3_Lb1ELb0EPdSB_N6thrust23THRUST_200600_302600_NS5minusIdEEEE10hipError_tPvRmT2_T3_mT4_P12ihipStream_tbEUlmE_dEESB_NS0_8identityIvEEEESG_SJ_SK_mSL_SN_bEUlT_E_NS1_11comp_targetILNS1_3genE5ELNS1_11target_archE942ELNS1_3gpuE9ELNS1_3repE0EEENS1_30default_config_static_selectorELNS0_4arch9wavefront6targetE1EEEvT1_
; %bb.0:
	.section	.rodata,"a",@progbits
	.p2align	6, 0x0
	.amdhsa_kernel _ZN7rocprim17ROCPRIM_400000_NS6detail17trampoline_kernelINS0_14default_configENS1_25transform_config_selectorIdLb0EEEZNS1_14transform_implILb0ES3_S5_NS0_18transform_iteratorINS0_17counting_iteratorImlEEZNS1_24adjacent_difference_implIS3_Lb1ELb0EPdSB_N6thrust23THRUST_200600_302600_NS5minusIdEEEE10hipError_tPvRmT2_T3_mT4_P12ihipStream_tbEUlmE_dEESB_NS0_8identityIvEEEESG_SJ_SK_mSL_SN_bEUlT_E_NS1_11comp_targetILNS1_3genE5ELNS1_11target_archE942ELNS1_3gpuE9ELNS1_3repE0EEENS1_30default_config_static_selectorELNS0_4arch9wavefront6targetE1EEEvT1_
		.amdhsa_group_segment_fixed_size 0
		.amdhsa_private_segment_fixed_size 0
		.amdhsa_kernarg_size 56
		.amdhsa_user_sgpr_count 6
		.amdhsa_user_sgpr_private_segment_buffer 1
		.amdhsa_user_sgpr_dispatch_ptr 0
		.amdhsa_user_sgpr_queue_ptr 0
		.amdhsa_user_sgpr_kernarg_segment_ptr 1
		.amdhsa_user_sgpr_dispatch_id 0
		.amdhsa_user_sgpr_flat_scratch_init 0
		.amdhsa_user_sgpr_private_segment_size 0
		.amdhsa_uses_dynamic_stack 0
		.amdhsa_system_sgpr_private_segment_wavefront_offset 0
		.amdhsa_system_sgpr_workgroup_id_x 1
		.amdhsa_system_sgpr_workgroup_id_y 0
		.amdhsa_system_sgpr_workgroup_id_z 0
		.amdhsa_system_sgpr_workgroup_info 0
		.amdhsa_system_vgpr_workitem_id 0
		.amdhsa_next_free_vgpr 1
		.amdhsa_next_free_sgpr 0
		.amdhsa_reserve_vcc 0
		.amdhsa_reserve_flat_scratch 0
		.amdhsa_float_round_mode_32 0
		.amdhsa_float_round_mode_16_64 0
		.amdhsa_float_denorm_mode_32 3
		.amdhsa_float_denorm_mode_16_64 3
		.amdhsa_dx10_clamp 1
		.amdhsa_ieee_mode 1
		.amdhsa_fp16_overflow 0
		.amdhsa_exception_fp_ieee_invalid_op 0
		.amdhsa_exception_fp_denorm_src 0
		.amdhsa_exception_fp_ieee_div_zero 0
		.amdhsa_exception_fp_ieee_overflow 0
		.amdhsa_exception_fp_ieee_underflow 0
		.amdhsa_exception_fp_ieee_inexact 0
		.amdhsa_exception_int_div_zero 0
	.end_amdhsa_kernel
	.section	.text._ZN7rocprim17ROCPRIM_400000_NS6detail17trampoline_kernelINS0_14default_configENS1_25transform_config_selectorIdLb0EEEZNS1_14transform_implILb0ES3_S5_NS0_18transform_iteratorINS0_17counting_iteratorImlEEZNS1_24adjacent_difference_implIS3_Lb1ELb0EPdSB_N6thrust23THRUST_200600_302600_NS5minusIdEEEE10hipError_tPvRmT2_T3_mT4_P12ihipStream_tbEUlmE_dEESB_NS0_8identityIvEEEESG_SJ_SK_mSL_SN_bEUlT_E_NS1_11comp_targetILNS1_3genE5ELNS1_11target_archE942ELNS1_3gpuE9ELNS1_3repE0EEENS1_30default_config_static_selectorELNS0_4arch9wavefront6targetE1EEEvT1_,"axG",@progbits,_ZN7rocprim17ROCPRIM_400000_NS6detail17trampoline_kernelINS0_14default_configENS1_25transform_config_selectorIdLb0EEEZNS1_14transform_implILb0ES3_S5_NS0_18transform_iteratorINS0_17counting_iteratorImlEEZNS1_24adjacent_difference_implIS3_Lb1ELb0EPdSB_N6thrust23THRUST_200600_302600_NS5minusIdEEEE10hipError_tPvRmT2_T3_mT4_P12ihipStream_tbEUlmE_dEESB_NS0_8identityIvEEEESG_SJ_SK_mSL_SN_bEUlT_E_NS1_11comp_targetILNS1_3genE5ELNS1_11target_archE942ELNS1_3gpuE9ELNS1_3repE0EEENS1_30default_config_static_selectorELNS0_4arch9wavefront6targetE1EEEvT1_,comdat
.Lfunc_end11:
	.size	_ZN7rocprim17ROCPRIM_400000_NS6detail17trampoline_kernelINS0_14default_configENS1_25transform_config_selectorIdLb0EEEZNS1_14transform_implILb0ES3_S5_NS0_18transform_iteratorINS0_17counting_iteratorImlEEZNS1_24adjacent_difference_implIS3_Lb1ELb0EPdSB_N6thrust23THRUST_200600_302600_NS5minusIdEEEE10hipError_tPvRmT2_T3_mT4_P12ihipStream_tbEUlmE_dEESB_NS0_8identityIvEEEESG_SJ_SK_mSL_SN_bEUlT_E_NS1_11comp_targetILNS1_3genE5ELNS1_11target_archE942ELNS1_3gpuE9ELNS1_3repE0EEENS1_30default_config_static_selectorELNS0_4arch9wavefront6targetE1EEEvT1_, .Lfunc_end11-_ZN7rocprim17ROCPRIM_400000_NS6detail17trampoline_kernelINS0_14default_configENS1_25transform_config_selectorIdLb0EEEZNS1_14transform_implILb0ES3_S5_NS0_18transform_iteratorINS0_17counting_iteratorImlEEZNS1_24adjacent_difference_implIS3_Lb1ELb0EPdSB_N6thrust23THRUST_200600_302600_NS5minusIdEEEE10hipError_tPvRmT2_T3_mT4_P12ihipStream_tbEUlmE_dEESB_NS0_8identityIvEEEESG_SJ_SK_mSL_SN_bEUlT_E_NS1_11comp_targetILNS1_3genE5ELNS1_11target_archE942ELNS1_3gpuE9ELNS1_3repE0EEENS1_30default_config_static_selectorELNS0_4arch9wavefront6targetE1EEEvT1_
                                        ; -- End function
	.set _ZN7rocprim17ROCPRIM_400000_NS6detail17trampoline_kernelINS0_14default_configENS1_25transform_config_selectorIdLb0EEEZNS1_14transform_implILb0ES3_S5_NS0_18transform_iteratorINS0_17counting_iteratorImlEEZNS1_24adjacent_difference_implIS3_Lb1ELb0EPdSB_N6thrust23THRUST_200600_302600_NS5minusIdEEEE10hipError_tPvRmT2_T3_mT4_P12ihipStream_tbEUlmE_dEESB_NS0_8identityIvEEEESG_SJ_SK_mSL_SN_bEUlT_E_NS1_11comp_targetILNS1_3genE5ELNS1_11target_archE942ELNS1_3gpuE9ELNS1_3repE0EEENS1_30default_config_static_selectorELNS0_4arch9wavefront6targetE1EEEvT1_.num_vgpr, 0
	.set _ZN7rocprim17ROCPRIM_400000_NS6detail17trampoline_kernelINS0_14default_configENS1_25transform_config_selectorIdLb0EEEZNS1_14transform_implILb0ES3_S5_NS0_18transform_iteratorINS0_17counting_iteratorImlEEZNS1_24adjacent_difference_implIS3_Lb1ELb0EPdSB_N6thrust23THRUST_200600_302600_NS5minusIdEEEE10hipError_tPvRmT2_T3_mT4_P12ihipStream_tbEUlmE_dEESB_NS0_8identityIvEEEESG_SJ_SK_mSL_SN_bEUlT_E_NS1_11comp_targetILNS1_3genE5ELNS1_11target_archE942ELNS1_3gpuE9ELNS1_3repE0EEENS1_30default_config_static_selectorELNS0_4arch9wavefront6targetE1EEEvT1_.num_agpr, 0
	.set _ZN7rocprim17ROCPRIM_400000_NS6detail17trampoline_kernelINS0_14default_configENS1_25transform_config_selectorIdLb0EEEZNS1_14transform_implILb0ES3_S5_NS0_18transform_iteratorINS0_17counting_iteratorImlEEZNS1_24adjacent_difference_implIS3_Lb1ELb0EPdSB_N6thrust23THRUST_200600_302600_NS5minusIdEEEE10hipError_tPvRmT2_T3_mT4_P12ihipStream_tbEUlmE_dEESB_NS0_8identityIvEEEESG_SJ_SK_mSL_SN_bEUlT_E_NS1_11comp_targetILNS1_3genE5ELNS1_11target_archE942ELNS1_3gpuE9ELNS1_3repE0EEENS1_30default_config_static_selectorELNS0_4arch9wavefront6targetE1EEEvT1_.numbered_sgpr, 0
	.set _ZN7rocprim17ROCPRIM_400000_NS6detail17trampoline_kernelINS0_14default_configENS1_25transform_config_selectorIdLb0EEEZNS1_14transform_implILb0ES3_S5_NS0_18transform_iteratorINS0_17counting_iteratorImlEEZNS1_24adjacent_difference_implIS3_Lb1ELb0EPdSB_N6thrust23THRUST_200600_302600_NS5minusIdEEEE10hipError_tPvRmT2_T3_mT4_P12ihipStream_tbEUlmE_dEESB_NS0_8identityIvEEEESG_SJ_SK_mSL_SN_bEUlT_E_NS1_11comp_targetILNS1_3genE5ELNS1_11target_archE942ELNS1_3gpuE9ELNS1_3repE0EEENS1_30default_config_static_selectorELNS0_4arch9wavefront6targetE1EEEvT1_.num_named_barrier, 0
	.set _ZN7rocprim17ROCPRIM_400000_NS6detail17trampoline_kernelINS0_14default_configENS1_25transform_config_selectorIdLb0EEEZNS1_14transform_implILb0ES3_S5_NS0_18transform_iteratorINS0_17counting_iteratorImlEEZNS1_24adjacent_difference_implIS3_Lb1ELb0EPdSB_N6thrust23THRUST_200600_302600_NS5minusIdEEEE10hipError_tPvRmT2_T3_mT4_P12ihipStream_tbEUlmE_dEESB_NS0_8identityIvEEEESG_SJ_SK_mSL_SN_bEUlT_E_NS1_11comp_targetILNS1_3genE5ELNS1_11target_archE942ELNS1_3gpuE9ELNS1_3repE0EEENS1_30default_config_static_selectorELNS0_4arch9wavefront6targetE1EEEvT1_.private_seg_size, 0
	.set _ZN7rocprim17ROCPRIM_400000_NS6detail17trampoline_kernelINS0_14default_configENS1_25transform_config_selectorIdLb0EEEZNS1_14transform_implILb0ES3_S5_NS0_18transform_iteratorINS0_17counting_iteratorImlEEZNS1_24adjacent_difference_implIS3_Lb1ELb0EPdSB_N6thrust23THRUST_200600_302600_NS5minusIdEEEE10hipError_tPvRmT2_T3_mT4_P12ihipStream_tbEUlmE_dEESB_NS0_8identityIvEEEESG_SJ_SK_mSL_SN_bEUlT_E_NS1_11comp_targetILNS1_3genE5ELNS1_11target_archE942ELNS1_3gpuE9ELNS1_3repE0EEENS1_30default_config_static_selectorELNS0_4arch9wavefront6targetE1EEEvT1_.uses_vcc, 0
	.set _ZN7rocprim17ROCPRIM_400000_NS6detail17trampoline_kernelINS0_14default_configENS1_25transform_config_selectorIdLb0EEEZNS1_14transform_implILb0ES3_S5_NS0_18transform_iteratorINS0_17counting_iteratorImlEEZNS1_24adjacent_difference_implIS3_Lb1ELb0EPdSB_N6thrust23THRUST_200600_302600_NS5minusIdEEEE10hipError_tPvRmT2_T3_mT4_P12ihipStream_tbEUlmE_dEESB_NS0_8identityIvEEEESG_SJ_SK_mSL_SN_bEUlT_E_NS1_11comp_targetILNS1_3genE5ELNS1_11target_archE942ELNS1_3gpuE9ELNS1_3repE0EEENS1_30default_config_static_selectorELNS0_4arch9wavefront6targetE1EEEvT1_.uses_flat_scratch, 0
	.set _ZN7rocprim17ROCPRIM_400000_NS6detail17trampoline_kernelINS0_14default_configENS1_25transform_config_selectorIdLb0EEEZNS1_14transform_implILb0ES3_S5_NS0_18transform_iteratorINS0_17counting_iteratorImlEEZNS1_24adjacent_difference_implIS3_Lb1ELb0EPdSB_N6thrust23THRUST_200600_302600_NS5minusIdEEEE10hipError_tPvRmT2_T3_mT4_P12ihipStream_tbEUlmE_dEESB_NS0_8identityIvEEEESG_SJ_SK_mSL_SN_bEUlT_E_NS1_11comp_targetILNS1_3genE5ELNS1_11target_archE942ELNS1_3gpuE9ELNS1_3repE0EEENS1_30default_config_static_selectorELNS0_4arch9wavefront6targetE1EEEvT1_.has_dyn_sized_stack, 0
	.set _ZN7rocprim17ROCPRIM_400000_NS6detail17trampoline_kernelINS0_14default_configENS1_25transform_config_selectorIdLb0EEEZNS1_14transform_implILb0ES3_S5_NS0_18transform_iteratorINS0_17counting_iteratorImlEEZNS1_24adjacent_difference_implIS3_Lb1ELb0EPdSB_N6thrust23THRUST_200600_302600_NS5minusIdEEEE10hipError_tPvRmT2_T3_mT4_P12ihipStream_tbEUlmE_dEESB_NS0_8identityIvEEEESG_SJ_SK_mSL_SN_bEUlT_E_NS1_11comp_targetILNS1_3genE5ELNS1_11target_archE942ELNS1_3gpuE9ELNS1_3repE0EEENS1_30default_config_static_selectorELNS0_4arch9wavefront6targetE1EEEvT1_.has_recursion, 0
	.set _ZN7rocprim17ROCPRIM_400000_NS6detail17trampoline_kernelINS0_14default_configENS1_25transform_config_selectorIdLb0EEEZNS1_14transform_implILb0ES3_S5_NS0_18transform_iteratorINS0_17counting_iteratorImlEEZNS1_24adjacent_difference_implIS3_Lb1ELb0EPdSB_N6thrust23THRUST_200600_302600_NS5minusIdEEEE10hipError_tPvRmT2_T3_mT4_P12ihipStream_tbEUlmE_dEESB_NS0_8identityIvEEEESG_SJ_SK_mSL_SN_bEUlT_E_NS1_11comp_targetILNS1_3genE5ELNS1_11target_archE942ELNS1_3gpuE9ELNS1_3repE0EEENS1_30default_config_static_selectorELNS0_4arch9wavefront6targetE1EEEvT1_.has_indirect_call, 0
	.section	.AMDGPU.csdata,"",@progbits
; Kernel info:
; codeLenInByte = 0
; TotalNumSgprs: 4
; NumVgprs: 0
; ScratchSize: 0
; MemoryBound: 0
; FloatMode: 240
; IeeeMode: 1
; LDSByteSize: 0 bytes/workgroup (compile time only)
; SGPRBlocks: 0
; VGPRBlocks: 0
; NumSGPRsForWavesPerEU: 4
; NumVGPRsForWavesPerEU: 1
; Occupancy: 10
; WaveLimiterHint : 0
; COMPUTE_PGM_RSRC2:SCRATCH_EN: 0
; COMPUTE_PGM_RSRC2:USER_SGPR: 6
; COMPUTE_PGM_RSRC2:TRAP_HANDLER: 0
; COMPUTE_PGM_RSRC2:TGID_X_EN: 1
; COMPUTE_PGM_RSRC2:TGID_Y_EN: 0
; COMPUTE_PGM_RSRC2:TGID_Z_EN: 0
; COMPUTE_PGM_RSRC2:TIDIG_COMP_CNT: 0
	.section	.text._ZN7rocprim17ROCPRIM_400000_NS6detail17trampoline_kernelINS0_14default_configENS1_25transform_config_selectorIdLb0EEEZNS1_14transform_implILb0ES3_S5_NS0_18transform_iteratorINS0_17counting_iteratorImlEEZNS1_24adjacent_difference_implIS3_Lb1ELb0EPdSB_N6thrust23THRUST_200600_302600_NS5minusIdEEEE10hipError_tPvRmT2_T3_mT4_P12ihipStream_tbEUlmE_dEESB_NS0_8identityIvEEEESG_SJ_SK_mSL_SN_bEUlT_E_NS1_11comp_targetILNS1_3genE4ELNS1_11target_archE910ELNS1_3gpuE8ELNS1_3repE0EEENS1_30default_config_static_selectorELNS0_4arch9wavefront6targetE1EEEvT1_,"axG",@progbits,_ZN7rocprim17ROCPRIM_400000_NS6detail17trampoline_kernelINS0_14default_configENS1_25transform_config_selectorIdLb0EEEZNS1_14transform_implILb0ES3_S5_NS0_18transform_iteratorINS0_17counting_iteratorImlEEZNS1_24adjacent_difference_implIS3_Lb1ELb0EPdSB_N6thrust23THRUST_200600_302600_NS5minusIdEEEE10hipError_tPvRmT2_T3_mT4_P12ihipStream_tbEUlmE_dEESB_NS0_8identityIvEEEESG_SJ_SK_mSL_SN_bEUlT_E_NS1_11comp_targetILNS1_3genE4ELNS1_11target_archE910ELNS1_3gpuE8ELNS1_3repE0EEENS1_30default_config_static_selectorELNS0_4arch9wavefront6targetE1EEEvT1_,comdat
	.protected	_ZN7rocprim17ROCPRIM_400000_NS6detail17trampoline_kernelINS0_14default_configENS1_25transform_config_selectorIdLb0EEEZNS1_14transform_implILb0ES3_S5_NS0_18transform_iteratorINS0_17counting_iteratorImlEEZNS1_24adjacent_difference_implIS3_Lb1ELb0EPdSB_N6thrust23THRUST_200600_302600_NS5minusIdEEEE10hipError_tPvRmT2_T3_mT4_P12ihipStream_tbEUlmE_dEESB_NS0_8identityIvEEEESG_SJ_SK_mSL_SN_bEUlT_E_NS1_11comp_targetILNS1_3genE4ELNS1_11target_archE910ELNS1_3gpuE8ELNS1_3repE0EEENS1_30default_config_static_selectorELNS0_4arch9wavefront6targetE1EEEvT1_ ; -- Begin function _ZN7rocprim17ROCPRIM_400000_NS6detail17trampoline_kernelINS0_14default_configENS1_25transform_config_selectorIdLb0EEEZNS1_14transform_implILb0ES3_S5_NS0_18transform_iteratorINS0_17counting_iteratorImlEEZNS1_24adjacent_difference_implIS3_Lb1ELb0EPdSB_N6thrust23THRUST_200600_302600_NS5minusIdEEEE10hipError_tPvRmT2_T3_mT4_P12ihipStream_tbEUlmE_dEESB_NS0_8identityIvEEEESG_SJ_SK_mSL_SN_bEUlT_E_NS1_11comp_targetILNS1_3genE4ELNS1_11target_archE910ELNS1_3gpuE8ELNS1_3repE0EEENS1_30default_config_static_selectorELNS0_4arch9wavefront6targetE1EEEvT1_
	.globl	_ZN7rocprim17ROCPRIM_400000_NS6detail17trampoline_kernelINS0_14default_configENS1_25transform_config_selectorIdLb0EEEZNS1_14transform_implILb0ES3_S5_NS0_18transform_iteratorINS0_17counting_iteratorImlEEZNS1_24adjacent_difference_implIS3_Lb1ELb0EPdSB_N6thrust23THRUST_200600_302600_NS5minusIdEEEE10hipError_tPvRmT2_T3_mT4_P12ihipStream_tbEUlmE_dEESB_NS0_8identityIvEEEESG_SJ_SK_mSL_SN_bEUlT_E_NS1_11comp_targetILNS1_3genE4ELNS1_11target_archE910ELNS1_3gpuE8ELNS1_3repE0EEENS1_30default_config_static_selectorELNS0_4arch9wavefront6targetE1EEEvT1_
	.p2align	8
	.type	_ZN7rocprim17ROCPRIM_400000_NS6detail17trampoline_kernelINS0_14default_configENS1_25transform_config_selectorIdLb0EEEZNS1_14transform_implILb0ES3_S5_NS0_18transform_iteratorINS0_17counting_iteratorImlEEZNS1_24adjacent_difference_implIS3_Lb1ELb0EPdSB_N6thrust23THRUST_200600_302600_NS5minusIdEEEE10hipError_tPvRmT2_T3_mT4_P12ihipStream_tbEUlmE_dEESB_NS0_8identityIvEEEESG_SJ_SK_mSL_SN_bEUlT_E_NS1_11comp_targetILNS1_3genE4ELNS1_11target_archE910ELNS1_3gpuE8ELNS1_3repE0EEENS1_30default_config_static_selectorELNS0_4arch9wavefront6targetE1EEEvT1_,@function
_ZN7rocprim17ROCPRIM_400000_NS6detail17trampoline_kernelINS0_14default_configENS1_25transform_config_selectorIdLb0EEEZNS1_14transform_implILb0ES3_S5_NS0_18transform_iteratorINS0_17counting_iteratorImlEEZNS1_24adjacent_difference_implIS3_Lb1ELb0EPdSB_N6thrust23THRUST_200600_302600_NS5minusIdEEEE10hipError_tPvRmT2_T3_mT4_P12ihipStream_tbEUlmE_dEESB_NS0_8identityIvEEEESG_SJ_SK_mSL_SN_bEUlT_E_NS1_11comp_targetILNS1_3genE4ELNS1_11target_archE910ELNS1_3gpuE8ELNS1_3repE0EEENS1_30default_config_static_selectorELNS0_4arch9wavefront6targetE1EEEvT1_: ; @_ZN7rocprim17ROCPRIM_400000_NS6detail17trampoline_kernelINS0_14default_configENS1_25transform_config_selectorIdLb0EEEZNS1_14transform_implILb0ES3_S5_NS0_18transform_iteratorINS0_17counting_iteratorImlEEZNS1_24adjacent_difference_implIS3_Lb1ELb0EPdSB_N6thrust23THRUST_200600_302600_NS5minusIdEEEE10hipError_tPvRmT2_T3_mT4_P12ihipStream_tbEUlmE_dEESB_NS0_8identityIvEEEESG_SJ_SK_mSL_SN_bEUlT_E_NS1_11comp_targetILNS1_3genE4ELNS1_11target_archE910ELNS1_3gpuE8ELNS1_3repE0EEENS1_30default_config_static_selectorELNS0_4arch9wavefront6targetE1EEEvT1_
; %bb.0:
	.section	.rodata,"a",@progbits
	.p2align	6, 0x0
	.amdhsa_kernel _ZN7rocprim17ROCPRIM_400000_NS6detail17trampoline_kernelINS0_14default_configENS1_25transform_config_selectorIdLb0EEEZNS1_14transform_implILb0ES3_S5_NS0_18transform_iteratorINS0_17counting_iteratorImlEEZNS1_24adjacent_difference_implIS3_Lb1ELb0EPdSB_N6thrust23THRUST_200600_302600_NS5minusIdEEEE10hipError_tPvRmT2_T3_mT4_P12ihipStream_tbEUlmE_dEESB_NS0_8identityIvEEEESG_SJ_SK_mSL_SN_bEUlT_E_NS1_11comp_targetILNS1_3genE4ELNS1_11target_archE910ELNS1_3gpuE8ELNS1_3repE0EEENS1_30default_config_static_selectorELNS0_4arch9wavefront6targetE1EEEvT1_
		.amdhsa_group_segment_fixed_size 0
		.amdhsa_private_segment_fixed_size 0
		.amdhsa_kernarg_size 56
		.amdhsa_user_sgpr_count 6
		.amdhsa_user_sgpr_private_segment_buffer 1
		.amdhsa_user_sgpr_dispatch_ptr 0
		.amdhsa_user_sgpr_queue_ptr 0
		.amdhsa_user_sgpr_kernarg_segment_ptr 1
		.amdhsa_user_sgpr_dispatch_id 0
		.amdhsa_user_sgpr_flat_scratch_init 0
		.amdhsa_user_sgpr_private_segment_size 0
		.amdhsa_uses_dynamic_stack 0
		.amdhsa_system_sgpr_private_segment_wavefront_offset 0
		.amdhsa_system_sgpr_workgroup_id_x 1
		.amdhsa_system_sgpr_workgroup_id_y 0
		.amdhsa_system_sgpr_workgroup_id_z 0
		.amdhsa_system_sgpr_workgroup_info 0
		.amdhsa_system_vgpr_workitem_id 0
		.amdhsa_next_free_vgpr 1
		.amdhsa_next_free_sgpr 0
		.amdhsa_reserve_vcc 0
		.amdhsa_reserve_flat_scratch 0
		.amdhsa_float_round_mode_32 0
		.amdhsa_float_round_mode_16_64 0
		.amdhsa_float_denorm_mode_32 3
		.amdhsa_float_denorm_mode_16_64 3
		.amdhsa_dx10_clamp 1
		.amdhsa_ieee_mode 1
		.amdhsa_fp16_overflow 0
		.amdhsa_exception_fp_ieee_invalid_op 0
		.amdhsa_exception_fp_denorm_src 0
		.amdhsa_exception_fp_ieee_div_zero 0
		.amdhsa_exception_fp_ieee_overflow 0
		.amdhsa_exception_fp_ieee_underflow 0
		.amdhsa_exception_fp_ieee_inexact 0
		.amdhsa_exception_int_div_zero 0
	.end_amdhsa_kernel
	.section	.text._ZN7rocprim17ROCPRIM_400000_NS6detail17trampoline_kernelINS0_14default_configENS1_25transform_config_selectorIdLb0EEEZNS1_14transform_implILb0ES3_S5_NS0_18transform_iteratorINS0_17counting_iteratorImlEEZNS1_24adjacent_difference_implIS3_Lb1ELb0EPdSB_N6thrust23THRUST_200600_302600_NS5minusIdEEEE10hipError_tPvRmT2_T3_mT4_P12ihipStream_tbEUlmE_dEESB_NS0_8identityIvEEEESG_SJ_SK_mSL_SN_bEUlT_E_NS1_11comp_targetILNS1_3genE4ELNS1_11target_archE910ELNS1_3gpuE8ELNS1_3repE0EEENS1_30default_config_static_selectorELNS0_4arch9wavefront6targetE1EEEvT1_,"axG",@progbits,_ZN7rocprim17ROCPRIM_400000_NS6detail17trampoline_kernelINS0_14default_configENS1_25transform_config_selectorIdLb0EEEZNS1_14transform_implILb0ES3_S5_NS0_18transform_iteratorINS0_17counting_iteratorImlEEZNS1_24adjacent_difference_implIS3_Lb1ELb0EPdSB_N6thrust23THRUST_200600_302600_NS5minusIdEEEE10hipError_tPvRmT2_T3_mT4_P12ihipStream_tbEUlmE_dEESB_NS0_8identityIvEEEESG_SJ_SK_mSL_SN_bEUlT_E_NS1_11comp_targetILNS1_3genE4ELNS1_11target_archE910ELNS1_3gpuE8ELNS1_3repE0EEENS1_30default_config_static_selectorELNS0_4arch9wavefront6targetE1EEEvT1_,comdat
.Lfunc_end12:
	.size	_ZN7rocprim17ROCPRIM_400000_NS6detail17trampoline_kernelINS0_14default_configENS1_25transform_config_selectorIdLb0EEEZNS1_14transform_implILb0ES3_S5_NS0_18transform_iteratorINS0_17counting_iteratorImlEEZNS1_24adjacent_difference_implIS3_Lb1ELb0EPdSB_N6thrust23THRUST_200600_302600_NS5minusIdEEEE10hipError_tPvRmT2_T3_mT4_P12ihipStream_tbEUlmE_dEESB_NS0_8identityIvEEEESG_SJ_SK_mSL_SN_bEUlT_E_NS1_11comp_targetILNS1_3genE4ELNS1_11target_archE910ELNS1_3gpuE8ELNS1_3repE0EEENS1_30default_config_static_selectorELNS0_4arch9wavefront6targetE1EEEvT1_, .Lfunc_end12-_ZN7rocprim17ROCPRIM_400000_NS6detail17trampoline_kernelINS0_14default_configENS1_25transform_config_selectorIdLb0EEEZNS1_14transform_implILb0ES3_S5_NS0_18transform_iteratorINS0_17counting_iteratorImlEEZNS1_24adjacent_difference_implIS3_Lb1ELb0EPdSB_N6thrust23THRUST_200600_302600_NS5minusIdEEEE10hipError_tPvRmT2_T3_mT4_P12ihipStream_tbEUlmE_dEESB_NS0_8identityIvEEEESG_SJ_SK_mSL_SN_bEUlT_E_NS1_11comp_targetILNS1_3genE4ELNS1_11target_archE910ELNS1_3gpuE8ELNS1_3repE0EEENS1_30default_config_static_selectorELNS0_4arch9wavefront6targetE1EEEvT1_
                                        ; -- End function
	.set _ZN7rocprim17ROCPRIM_400000_NS6detail17trampoline_kernelINS0_14default_configENS1_25transform_config_selectorIdLb0EEEZNS1_14transform_implILb0ES3_S5_NS0_18transform_iteratorINS0_17counting_iteratorImlEEZNS1_24adjacent_difference_implIS3_Lb1ELb0EPdSB_N6thrust23THRUST_200600_302600_NS5minusIdEEEE10hipError_tPvRmT2_T3_mT4_P12ihipStream_tbEUlmE_dEESB_NS0_8identityIvEEEESG_SJ_SK_mSL_SN_bEUlT_E_NS1_11comp_targetILNS1_3genE4ELNS1_11target_archE910ELNS1_3gpuE8ELNS1_3repE0EEENS1_30default_config_static_selectorELNS0_4arch9wavefront6targetE1EEEvT1_.num_vgpr, 0
	.set _ZN7rocprim17ROCPRIM_400000_NS6detail17trampoline_kernelINS0_14default_configENS1_25transform_config_selectorIdLb0EEEZNS1_14transform_implILb0ES3_S5_NS0_18transform_iteratorINS0_17counting_iteratorImlEEZNS1_24adjacent_difference_implIS3_Lb1ELb0EPdSB_N6thrust23THRUST_200600_302600_NS5minusIdEEEE10hipError_tPvRmT2_T3_mT4_P12ihipStream_tbEUlmE_dEESB_NS0_8identityIvEEEESG_SJ_SK_mSL_SN_bEUlT_E_NS1_11comp_targetILNS1_3genE4ELNS1_11target_archE910ELNS1_3gpuE8ELNS1_3repE0EEENS1_30default_config_static_selectorELNS0_4arch9wavefront6targetE1EEEvT1_.num_agpr, 0
	.set _ZN7rocprim17ROCPRIM_400000_NS6detail17trampoline_kernelINS0_14default_configENS1_25transform_config_selectorIdLb0EEEZNS1_14transform_implILb0ES3_S5_NS0_18transform_iteratorINS0_17counting_iteratorImlEEZNS1_24adjacent_difference_implIS3_Lb1ELb0EPdSB_N6thrust23THRUST_200600_302600_NS5minusIdEEEE10hipError_tPvRmT2_T3_mT4_P12ihipStream_tbEUlmE_dEESB_NS0_8identityIvEEEESG_SJ_SK_mSL_SN_bEUlT_E_NS1_11comp_targetILNS1_3genE4ELNS1_11target_archE910ELNS1_3gpuE8ELNS1_3repE0EEENS1_30default_config_static_selectorELNS0_4arch9wavefront6targetE1EEEvT1_.numbered_sgpr, 0
	.set _ZN7rocprim17ROCPRIM_400000_NS6detail17trampoline_kernelINS0_14default_configENS1_25transform_config_selectorIdLb0EEEZNS1_14transform_implILb0ES3_S5_NS0_18transform_iteratorINS0_17counting_iteratorImlEEZNS1_24adjacent_difference_implIS3_Lb1ELb0EPdSB_N6thrust23THRUST_200600_302600_NS5minusIdEEEE10hipError_tPvRmT2_T3_mT4_P12ihipStream_tbEUlmE_dEESB_NS0_8identityIvEEEESG_SJ_SK_mSL_SN_bEUlT_E_NS1_11comp_targetILNS1_3genE4ELNS1_11target_archE910ELNS1_3gpuE8ELNS1_3repE0EEENS1_30default_config_static_selectorELNS0_4arch9wavefront6targetE1EEEvT1_.num_named_barrier, 0
	.set _ZN7rocprim17ROCPRIM_400000_NS6detail17trampoline_kernelINS0_14default_configENS1_25transform_config_selectorIdLb0EEEZNS1_14transform_implILb0ES3_S5_NS0_18transform_iteratorINS0_17counting_iteratorImlEEZNS1_24adjacent_difference_implIS3_Lb1ELb0EPdSB_N6thrust23THRUST_200600_302600_NS5minusIdEEEE10hipError_tPvRmT2_T3_mT4_P12ihipStream_tbEUlmE_dEESB_NS0_8identityIvEEEESG_SJ_SK_mSL_SN_bEUlT_E_NS1_11comp_targetILNS1_3genE4ELNS1_11target_archE910ELNS1_3gpuE8ELNS1_3repE0EEENS1_30default_config_static_selectorELNS0_4arch9wavefront6targetE1EEEvT1_.private_seg_size, 0
	.set _ZN7rocprim17ROCPRIM_400000_NS6detail17trampoline_kernelINS0_14default_configENS1_25transform_config_selectorIdLb0EEEZNS1_14transform_implILb0ES3_S5_NS0_18transform_iteratorINS0_17counting_iteratorImlEEZNS1_24adjacent_difference_implIS3_Lb1ELb0EPdSB_N6thrust23THRUST_200600_302600_NS5minusIdEEEE10hipError_tPvRmT2_T3_mT4_P12ihipStream_tbEUlmE_dEESB_NS0_8identityIvEEEESG_SJ_SK_mSL_SN_bEUlT_E_NS1_11comp_targetILNS1_3genE4ELNS1_11target_archE910ELNS1_3gpuE8ELNS1_3repE0EEENS1_30default_config_static_selectorELNS0_4arch9wavefront6targetE1EEEvT1_.uses_vcc, 0
	.set _ZN7rocprim17ROCPRIM_400000_NS6detail17trampoline_kernelINS0_14default_configENS1_25transform_config_selectorIdLb0EEEZNS1_14transform_implILb0ES3_S5_NS0_18transform_iteratorINS0_17counting_iteratorImlEEZNS1_24adjacent_difference_implIS3_Lb1ELb0EPdSB_N6thrust23THRUST_200600_302600_NS5minusIdEEEE10hipError_tPvRmT2_T3_mT4_P12ihipStream_tbEUlmE_dEESB_NS0_8identityIvEEEESG_SJ_SK_mSL_SN_bEUlT_E_NS1_11comp_targetILNS1_3genE4ELNS1_11target_archE910ELNS1_3gpuE8ELNS1_3repE0EEENS1_30default_config_static_selectorELNS0_4arch9wavefront6targetE1EEEvT1_.uses_flat_scratch, 0
	.set _ZN7rocprim17ROCPRIM_400000_NS6detail17trampoline_kernelINS0_14default_configENS1_25transform_config_selectorIdLb0EEEZNS1_14transform_implILb0ES3_S5_NS0_18transform_iteratorINS0_17counting_iteratorImlEEZNS1_24adjacent_difference_implIS3_Lb1ELb0EPdSB_N6thrust23THRUST_200600_302600_NS5minusIdEEEE10hipError_tPvRmT2_T3_mT4_P12ihipStream_tbEUlmE_dEESB_NS0_8identityIvEEEESG_SJ_SK_mSL_SN_bEUlT_E_NS1_11comp_targetILNS1_3genE4ELNS1_11target_archE910ELNS1_3gpuE8ELNS1_3repE0EEENS1_30default_config_static_selectorELNS0_4arch9wavefront6targetE1EEEvT1_.has_dyn_sized_stack, 0
	.set _ZN7rocprim17ROCPRIM_400000_NS6detail17trampoline_kernelINS0_14default_configENS1_25transform_config_selectorIdLb0EEEZNS1_14transform_implILb0ES3_S5_NS0_18transform_iteratorINS0_17counting_iteratorImlEEZNS1_24adjacent_difference_implIS3_Lb1ELb0EPdSB_N6thrust23THRUST_200600_302600_NS5minusIdEEEE10hipError_tPvRmT2_T3_mT4_P12ihipStream_tbEUlmE_dEESB_NS0_8identityIvEEEESG_SJ_SK_mSL_SN_bEUlT_E_NS1_11comp_targetILNS1_3genE4ELNS1_11target_archE910ELNS1_3gpuE8ELNS1_3repE0EEENS1_30default_config_static_selectorELNS0_4arch9wavefront6targetE1EEEvT1_.has_recursion, 0
	.set _ZN7rocprim17ROCPRIM_400000_NS6detail17trampoline_kernelINS0_14default_configENS1_25transform_config_selectorIdLb0EEEZNS1_14transform_implILb0ES3_S5_NS0_18transform_iteratorINS0_17counting_iteratorImlEEZNS1_24adjacent_difference_implIS3_Lb1ELb0EPdSB_N6thrust23THRUST_200600_302600_NS5minusIdEEEE10hipError_tPvRmT2_T3_mT4_P12ihipStream_tbEUlmE_dEESB_NS0_8identityIvEEEESG_SJ_SK_mSL_SN_bEUlT_E_NS1_11comp_targetILNS1_3genE4ELNS1_11target_archE910ELNS1_3gpuE8ELNS1_3repE0EEENS1_30default_config_static_selectorELNS0_4arch9wavefront6targetE1EEEvT1_.has_indirect_call, 0
	.section	.AMDGPU.csdata,"",@progbits
; Kernel info:
; codeLenInByte = 0
; TotalNumSgprs: 4
; NumVgprs: 0
; ScratchSize: 0
; MemoryBound: 0
; FloatMode: 240
; IeeeMode: 1
; LDSByteSize: 0 bytes/workgroup (compile time only)
; SGPRBlocks: 0
; VGPRBlocks: 0
; NumSGPRsForWavesPerEU: 4
; NumVGPRsForWavesPerEU: 1
; Occupancy: 10
; WaveLimiterHint : 0
; COMPUTE_PGM_RSRC2:SCRATCH_EN: 0
; COMPUTE_PGM_RSRC2:USER_SGPR: 6
; COMPUTE_PGM_RSRC2:TRAP_HANDLER: 0
; COMPUTE_PGM_RSRC2:TGID_X_EN: 1
; COMPUTE_PGM_RSRC2:TGID_Y_EN: 0
; COMPUTE_PGM_RSRC2:TGID_Z_EN: 0
; COMPUTE_PGM_RSRC2:TIDIG_COMP_CNT: 0
	.section	.text._ZN7rocprim17ROCPRIM_400000_NS6detail17trampoline_kernelINS0_14default_configENS1_25transform_config_selectorIdLb0EEEZNS1_14transform_implILb0ES3_S5_NS0_18transform_iteratorINS0_17counting_iteratorImlEEZNS1_24adjacent_difference_implIS3_Lb1ELb0EPdSB_N6thrust23THRUST_200600_302600_NS5minusIdEEEE10hipError_tPvRmT2_T3_mT4_P12ihipStream_tbEUlmE_dEESB_NS0_8identityIvEEEESG_SJ_SK_mSL_SN_bEUlT_E_NS1_11comp_targetILNS1_3genE3ELNS1_11target_archE908ELNS1_3gpuE7ELNS1_3repE0EEENS1_30default_config_static_selectorELNS0_4arch9wavefront6targetE1EEEvT1_,"axG",@progbits,_ZN7rocprim17ROCPRIM_400000_NS6detail17trampoline_kernelINS0_14default_configENS1_25transform_config_selectorIdLb0EEEZNS1_14transform_implILb0ES3_S5_NS0_18transform_iteratorINS0_17counting_iteratorImlEEZNS1_24adjacent_difference_implIS3_Lb1ELb0EPdSB_N6thrust23THRUST_200600_302600_NS5minusIdEEEE10hipError_tPvRmT2_T3_mT4_P12ihipStream_tbEUlmE_dEESB_NS0_8identityIvEEEESG_SJ_SK_mSL_SN_bEUlT_E_NS1_11comp_targetILNS1_3genE3ELNS1_11target_archE908ELNS1_3gpuE7ELNS1_3repE0EEENS1_30default_config_static_selectorELNS0_4arch9wavefront6targetE1EEEvT1_,comdat
	.protected	_ZN7rocprim17ROCPRIM_400000_NS6detail17trampoline_kernelINS0_14default_configENS1_25transform_config_selectorIdLb0EEEZNS1_14transform_implILb0ES3_S5_NS0_18transform_iteratorINS0_17counting_iteratorImlEEZNS1_24adjacent_difference_implIS3_Lb1ELb0EPdSB_N6thrust23THRUST_200600_302600_NS5minusIdEEEE10hipError_tPvRmT2_T3_mT4_P12ihipStream_tbEUlmE_dEESB_NS0_8identityIvEEEESG_SJ_SK_mSL_SN_bEUlT_E_NS1_11comp_targetILNS1_3genE3ELNS1_11target_archE908ELNS1_3gpuE7ELNS1_3repE0EEENS1_30default_config_static_selectorELNS0_4arch9wavefront6targetE1EEEvT1_ ; -- Begin function _ZN7rocprim17ROCPRIM_400000_NS6detail17trampoline_kernelINS0_14default_configENS1_25transform_config_selectorIdLb0EEEZNS1_14transform_implILb0ES3_S5_NS0_18transform_iteratorINS0_17counting_iteratorImlEEZNS1_24adjacent_difference_implIS3_Lb1ELb0EPdSB_N6thrust23THRUST_200600_302600_NS5minusIdEEEE10hipError_tPvRmT2_T3_mT4_P12ihipStream_tbEUlmE_dEESB_NS0_8identityIvEEEESG_SJ_SK_mSL_SN_bEUlT_E_NS1_11comp_targetILNS1_3genE3ELNS1_11target_archE908ELNS1_3gpuE7ELNS1_3repE0EEENS1_30default_config_static_selectorELNS0_4arch9wavefront6targetE1EEEvT1_
	.globl	_ZN7rocprim17ROCPRIM_400000_NS6detail17trampoline_kernelINS0_14default_configENS1_25transform_config_selectorIdLb0EEEZNS1_14transform_implILb0ES3_S5_NS0_18transform_iteratorINS0_17counting_iteratorImlEEZNS1_24adjacent_difference_implIS3_Lb1ELb0EPdSB_N6thrust23THRUST_200600_302600_NS5minusIdEEEE10hipError_tPvRmT2_T3_mT4_P12ihipStream_tbEUlmE_dEESB_NS0_8identityIvEEEESG_SJ_SK_mSL_SN_bEUlT_E_NS1_11comp_targetILNS1_3genE3ELNS1_11target_archE908ELNS1_3gpuE7ELNS1_3repE0EEENS1_30default_config_static_selectorELNS0_4arch9wavefront6targetE1EEEvT1_
	.p2align	8
	.type	_ZN7rocprim17ROCPRIM_400000_NS6detail17trampoline_kernelINS0_14default_configENS1_25transform_config_selectorIdLb0EEEZNS1_14transform_implILb0ES3_S5_NS0_18transform_iteratorINS0_17counting_iteratorImlEEZNS1_24adjacent_difference_implIS3_Lb1ELb0EPdSB_N6thrust23THRUST_200600_302600_NS5minusIdEEEE10hipError_tPvRmT2_T3_mT4_P12ihipStream_tbEUlmE_dEESB_NS0_8identityIvEEEESG_SJ_SK_mSL_SN_bEUlT_E_NS1_11comp_targetILNS1_3genE3ELNS1_11target_archE908ELNS1_3gpuE7ELNS1_3repE0EEENS1_30default_config_static_selectorELNS0_4arch9wavefront6targetE1EEEvT1_,@function
_ZN7rocprim17ROCPRIM_400000_NS6detail17trampoline_kernelINS0_14default_configENS1_25transform_config_selectorIdLb0EEEZNS1_14transform_implILb0ES3_S5_NS0_18transform_iteratorINS0_17counting_iteratorImlEEZNS1_24adjacent_difference_implIS3_Lb1ELb0EPdSB_N6thrust23THRUST_200600_302600_NS5minusIdEEEE10hipError_tPvRmT2_T3_mT4_P12ihipStream_tbEUlmE_dEESB_NS0_8identityIvEEEESG_SJ_SK_mSL_SN_bEUlT_E_NS1_11comp_targetILNS1_3genE3ELNS1_11target_archE908ELNS1_3gpuE7ELNS1_3repE0EEENS1_30default_config_static_selectorELNS0_4arch9wavefront6targetE1EEEvT1_: ; @_ZN7rocprim17ROCPRIM_400000_NS6detail17trampoline_kernelINS0_14default_configENS1_25transform_config_selectorIdLb0EEEZNS1_14transform_implILb0ES3_S5_NS0_18transform_iteratorINS0_17counting_iteratorImlEEZNS1_24adjacent_difference_implIS3_Lb1ELb0EPdSB_N6thrust23THRUST_200600_302600_NS5minusIdEEEE10hipError_tPvRmT2_T3_mT4_P12ihipStream_tbEUlmE_dEESB_NS0_8identityIvEEEESG_SJ_SK_mSL_SN_bEUlT_E_NS1_11comp_targetILNS1_3genE3ELNS1_11target_archE908ELNS1_3gpuE7ELNS1_3repE0EEENS1_30default_config_static_selectorELNS0_4arch9wavefront6targetE1EEEvT1_
; %bb.0:
	.section	.rodata,"a",@progbits
	.p2align	6, 0x0
	.amdhsa_kernel _ZN7rocprim17ROCPRIM_400000_NS6detail17trampoline_kernelINS0_14default_configENS1_25transform_config_selectorIdLb0EEEZNS1_14transform_implILb0ES3_S5_NS0_18transform_iteratorINS0_17counting_iteratorImlEEZNS1_24adjacent_difference_implIS3_Lb1ELb0EPdSB_N6thrust23THRUST_200600_302600_NS5minusIdEEEE10hipError_tPvRmT2_T3_mT4_P12ihipStream_tbEUlmE_dEESB_NS0_8identityIvEEEESG_SJ_SK_mSL_SN_bEUlT_E_NS1_11comp_targetILNS1_3genE3ELNS1_11target_archE908ELNS1_3gpuE7ELNS1_3repE0EEENS1_30default_config_static_selectorELNS0_4arch9wavefront6targetE1EEEvT1_
		.amdhsa_group_segment_fixed_size 0
		.amdhsa_private_segment_fixed_size 0
		.amdhsa_kernarg_size 56
		.amdhsa_user_sgpr_count 6
		.amdhsa_user_sgpr_private_segment_buffer 1
		.amdhsa_user_sgpr_dispatch_ptr 0
		.amdhsa_user_sgpr_queue_ptr 0
		.amdhsa_user_sgpr_kernarg_segment_ptr 1
		.amdhsa_user_sgpr_dispatch_id 0
		.amdhsa_user_sgpr_flat_scratch_init 0
		.amdhsa_user_sgpr_private_segment_size 0
		.amdhsa_uses_dynamic_stack 0
		.amdhsa_system_sgpr_private_segment_wavefront_offset 0
		.amdhsa_system_sgpr_workgroup_id_x 1
		.amdhsa_system_sgpr_workgroup_id_y 0
		.amdhsa_system_sgpr_workgroup_id_z 0
		.amdhsa_system_sgpr_workgroup_info 0
		.amdhsa_system_vgpr_workitem_id 0
		.amdhsa_next_free_vgpr 1
		.amdhsa_next_free_sgpr 0
		.amdhsa_reserve_vcc 0
		.amdhsa_reserve_flat_scratch 0
		.amdhsa_float_round_mode_32 0
		.amdhsa_float_round_mode_16_64 0
		.amdhsa_float_denorm_mode_32 3
		.amdhsa_float_denorm_mode_16_64 3
		.amdhsa_dx10_clamp 1
		.amdhsa_ieee_mode 1
		.amdhsa_fp16_overflow 0
		.amdhsa_exception_fp_ieee_invalid_op 0
		.amdhsa_exception_fp_denorm_src 0
		.amdhsa_exception_fp_ieee_div_zero 0
		.amdhsa_exception_fp_ieee_overflow 0
		.amdhsa_exception_fp_ieee_underflow 0
		.amdhsa_exception_fp_ieee_inexact 0
		.amdhsa_exception_int_div_zero 0
	.end_amdhsa_kernel
	.section	.text._ZN7rocprim17ROCPRIM_400000_NS6detail17trampoline_kernelINS0_14default_configENS1_25transform_config_selectorIdLb0EEEZNS1_14transform_implILb0ES3_S5_NS0_18transform_iteratorINS0_17counting_iteratorImlEEZNS1_24adjacent_difference_implIS3_Lb1ELb0EPdSB_N6thrust23THRUST_200600_302600_NS5minusIdEEEE10hipError_tPvRmT2_T3_mT4_P12ihipStream_tbEUlmE_dEESB_NS0_8identityIvEEEESG_SJ_SK_mSL_SN_bEUlT_E_NS1_11comp_targetILNS1_3genE3ELNS1_11target_archE908ELNS1_3gpuE7ELNS1_3repE0EEENS1_30default_config_static_selectorELNS0_4arch9wavefront6targetE1EEEvT1_,"axG",@progbits,_ZN7rocprim17ROCPRIM_400000_NS6detail17trampoline_kernelINS0_14default_configENS1_25transform_config_selectorIdLb0EEEZNS1_14transform_implILb0ES3_S5_NS0_18transform_iteratorINS0_17counting_iteratorImlEEZNS1_24adjacent_difference_implIS3_Lb1ELb0EPdSB_N6thrust23THRUST_200600_302600_NS5minusIdEEEE10hipError_tPvRmT2_T3_mT4_P12ihipStream_tbEUlmE_dEESB_NS0_8identityIvEEEESG_SJ_SK_mSL_SN_bEUlT_E_NS1_11comp_targetILNS1_3genE3ELNS1_11target_archE908ELNS1_3gpuE7ELNS1_3repE0EEENS1_30default_config_static_selectorELNS0_4arch9wavefront6targetE1EEEvT1_,comdat
.Lfunc_end13:
	.size	_ZN7rocprim17ROCPRIM_400000_NS6detail17trampoline_kernelINS0_14default_configENS1_25transform_config_selectorIdLb0EEEZNS1_14transform_implILb0ES3_S5_NS0_18transform_iteratorINS0_17counting_iteratorImlEEZNS1_24adjacent_difference_implIS3_Lb1ELb0EPdSB_N6thrust23THRUST_200600_302600_NS5minusIdEEEE10hipError_tPvRmT2_T3_mT4_P12ihipStream_tbEUlmE_dEESB_NS0_8identityIvEEEESG_SJ_SK_mSL_SN_bEUlT_E_NS1_11comp_targetILNS1_3genE3ELNS1_11target_archE908ELNS1_3gpuE7ELNS1_3repE0EEENS1_30default_config_static_selectorELNS0_4arch9wavefront6targetE1EEEvT1_, .Lfunc_end13-_ZN7rocprim17ROCPRIM_400000_NS6detail17trampoline_kernelINS0_14default_configENS1_25transform_config_selectorIdLb0EEEZNS1_14transform_implILb0ES3_S5_NS0_18transform_iteratorINS0_17counting_iteratorImlEEZNS1_24adjacent_difference_implIS3_Lb1ELb0EPdSB_N6thrust23THRUST_200600_302600_NS5minusIdEEEE10hipError_tPvRmT2_T3_mT4_P12ihipStream_tbEUlmE_dEESB_NS0_8identityIvEEEESG_SJ_SK_mSL_SN_bEUlT_E_NS1_11comp_targetILNS1_3genE3ELNS1_11target_archE908ELNS1_3gpuE7ELNS1_3repE0EEENS1_30default_config_static_selectorELNS0_4arch9wavefront6targetE1EEEvT1_
                                        ; -- End function
	.set _ZN7rocprim17ROCPRIM_400000_NS6detail17trampoline_kernelINS0_14default_configENS1_25transform_config_selectorIdLb0EEEZNS1_14transform_implILb0ES3_S5_NS0_18transform_iteratorINS0_17counting_iteratorImlEEZNS1_24adjacent_difference_implIS3_Lb1ELb0EPdSB_N6thrust23THRUST_200600_302600_NS5minusIdEEEE10hipError_tPvRmT2_T3_mT4_P12ihipStream_tbEUlmE_dEESB_NS0_8identityIvEEEESG_SJ_SK_mSL_SN_bEUlT_E_NS1_11comp_targetILNS1_3genE3ELNS1_11target_archE908ELNS1_3gpuE7ELNS1_3repE0EEENS1_30default_config_static_selectorELNS0_4arch9wavefront6targetE1EEEvT1_.num_vgpr, 0
	.set _ZN7rocprim17ROCPRIM_400000_NS6detail17trampoline_kernelINS0_14default_configENS1_25transform_config_selectorIdLb0EEEZNS1_14transform_implILb0ES3_S5_NS0_18transform_iteratorINS0_17counting_iteratorImlEEZNS1_24adjacent_difference_implIS3_Lb1ELb0EPdSB_N6thrust23THRUST_200600_302600_NS5minusIdEEEE10hipError_tPvRmT2_T3_mT4_P12ihipStream_tbEUlmE_dEESB_NS0_8identityIvEEEESG_SJ_SK_mSL_SN_bEUlT_E_NS1_11comp_targetILNS1_3genE3ELNS1_11target_archE908ELNS1_3gpuE7ELNS1_3repE0EEENS1_30default_config_static_selectorELNS0_4arch9wavefront6targetE1EEEvT1_.num_agpr, 0
	.set _ZN7rocprim17ROCPRIM_400000_NS6detail17trampoline_kernelINS0_14default_configENS1_25transform_config_selectorIdLb0EEEZNS1_14transform_implILb0ES3_S5_NS0_18transform_iteratorINS0_17counting_iteratorImlEEZNS1_24adjacent_difference_implIS3_Lb1ELb0EPdSB_N6thrust23THRUST_200600_302600_NS5minusIdEEEE10hipError_tPvRmT2_T3_mT4_P12ihipStream_tbEUlmE_dEESB_NS0_8identityIvEEEESG_SJ_SK_mSL_SN_bEUlT_E_NS1_11comp_targetILNS1_3genE3ELNS1_11target_archE908ELNS1_3gpuE7ELNS1_3repE0EEENS1_30default_config_static_selectorELNS0_4arch9wavefront6targetE1EEEvT1_.numbered_sgpr, 0
	.set _ZN7rocprim17ROCPRIM_400000_NS6detail17trampoline_kernelINS0_14default_configENS1_25transform_config_selectorIdLb0EEEZNS1_14transform_implILb0ES3_S5_NS0_18transform_iteratorINS0_17counting_iteratorImlEEZNS1_24adjacent_difference_implIS3_Lb1ELb0EPdSB_N6thrust23THRUST_200600_302600_NS5minusIdEEEE10hipError_tPvRmT2_T3_mT4_P12ihipStream_tbEUlmE_dEESB_NS0_8identityIvEEEESG_SJ_SK_mSL_SN_bEUlT_E_NS1_11comp_targetILNS1_3genE3ELNS1_11target_archE908ELNS1_3gpuE7ELNS1_3repE0EEENS1_30default_config_static_selectorELNS0_4arch9wavefront6targetE1EEEvT1_.num_named_barrier, 0
	.set _ZN7rocprim17ROCPRIM_400000_NS6detail17trampoline_kernelINS0_14default_configENS1_25transform_config_selectorIdLb0EEEZNS1_14transform_implILb0ES3_S5_NS0_18transform_iteratorINS0_17counting_iteratorImlEEZNS1_24adjacent_difference_implIS3_Lb1ELb0EPdSB_N6thrust23THRUST_200600_302600_NS5minusIdEEEE10hipError_tPvRmT2_T3_mT4_P12ihipStream_tbEUlmE_dEESB_NS0_8identityIvEEEESG_SJ_SK_mSL_SN_bEUlT_E_NS1_11comp_targetILNS1_3genE3ELNS1_11target_archE908ELNS1_3gpuE7ELNS1_3repE0EEENS1_30default_config_static_selectorELNS0_4arch9wavefront6targetE1EEEvT1_.private_seg_size, 0
	.set _ZN7rocprim17ROCPRIM_400000_NS6detail17trampoline_kernelINS0_14default_configENS1_25transform_config_selectorIdLb0EEEZNS1_14transform_implILb0ES3_S5_NS0_18transform_iteratorINS0_17counting_iteratorImlEEZNS1_24adjacent_difference_implIS3_Lb1ELb0EPdSB_N6thrust23THRUST_200600_302600_NS5minusIdEEEE10hipError_tPvRmT2_T3_mT4_P12ihipStream_tbEUlmE_dEESB_NS0_8identityIvEEEESG_SJ_SK_mSL_SN_bEUlT_E_NS1_11comp_targetILNS1_3genE3ELNS1_11target_archE908ELNS1_3gpuE7ELNS1_3repE0EEENS1_30default_config_static_selectorELNS0_4arch9wavefront6targetE1EEEvT1_.uses_vcc, 0
	.set _ZN7rocprim17ROCPRIM_400000_NS6detail17trampoline_kernelINS0_14default_configENS1_25transform_config_selectorIdLb0EEEZNS1_14transform_implILb0ES3_S5_NS0_18transform_iteratorINS0_17counting_iteratorImlEEZNS1_24adjacent_difference_implIS3_Lb1ELb0EPdSB_N6thrust23THRUST_200600_302600_NS5minusIdEEEE10hipError_tPvRmT2_T3_mT4_P12ihipStream_tbEUlmE_dEESB_NS0_8identityIvEEEESG_SJ_SK_mSL_SN_bEUlT_E_NS1_11comp_targetILNS1_3genE3ELNS1_11target_archE908ELNS1_3gpuE7ELNS1_3repE0EEENS1_30default_config_static_selectorELNS0_4arch9wavefront6targetE1EEEvT1_.uses_flat_scratch, 0
	.set _ZN7rocprim17ROCPRIM_400000_NS6detail17trampoline_kernelINS0_14default_configENS1_25transform_config_selectorIdLb0EEEZNS1_14transform_implILb0ES3_S5_NS0_18transform_iteratorINS0_17counting_iteratorImlEEZNS1_24adjacent_difference_implIS3_Lb1ELb0EPdSB_N6thrust23THRUST_200600_302600_NS5minusIdEEEE10hipError_tPvRmT2_T3_mT4_P12ihipStream_tbEUlmE_dEESB_NS0_8identityIvEEEESG_SJ_SK_mSL_SN_bEUlT_E_NS1_11comp_targetILNS1_3genE3ELNS1_11target_archE908ELNS1_3gpuE7ELNS1_3repE0EEENS1_30default_config_static_selectorELNS0_4arch9wavefront6targetE1EEEvT1_.has_dyn_sized_stack, 0
	.set _ZN7rocprim17ROCPRIM_400000_NS6detail17trampoline_kernelINS0_14default_configENS1_25transform_config_selectorIdLb0EEEZNS1_14transform_implILb0ES3_S5_NS0_18transform_iteratorINS0_17counting_iteratorImlEEZNS1_24adjacent_difference_implIS3_Lb1ELb0EPdSB_N6thrust23THRUST_200600_302600_NS5minusIdEEEE10hipError_tPvRmT2_T3_mT4_P12ihipStream_tbEUlmE_dEESB_NS0_8identityIvEEEESG_SJ_SK_mSL_SN_bEUlT_E_NS1_11comp_targetILNS1_3genE3ELNS1_11target_archE908ELNS1_3gpuE7ELNS1_3repE0EEENS1_30default_config_static_selectorELNS0_4arch9wavefront6targetE1EEEvT1_.has_recursion, 0
	.set _ZN7rocprim17ROCPRIM_400000_NS6detail17trampoline_kernelINS0_14default_configENS1_25transform_config_selectorIdLb0EEEZNS1_14transform_implILb0ES3_S5_NS0_18transform_iteratorINS0_17counting_iteratorImlEEZNS1_24adjacent_difference_implIS3_Lb1ELb0EPdSB_N6thrust23THRUST_200600_302600_NS5minusIdEEEE10hipError_tPvRmT2_T3_mT4_P12ihipStream_tbEUlmE_dEESB_NS0_8identityIvEEEESG_SJ_SK_mSL_SN_bEUlT_E_NS1_11comp_targetILNS1_3genE3ELNS1_11target_archE908ELNS1_3gpuE7ELNS1_3repE0EEENS1_30default_config_static_selectorELNS0_4arch9wavefront6targetE1EEEvT1_.has_indirect_call, 0
	.section	.AMDGPU.csdata,"",@progbits
; Kernel info:
; codeLenInByte = 0
; TotalNumSgprs: 4
; NumVgprs: 0
; ScratchSize: 0
; MemoryBound: 0
; FloatMode: 240
; IeeeMode: 1
; LDSByteSize: 0 bytes/workgroup (compile time only)
; SGPRBlocks: 0
; VGPRBlocks: 0
; NumSGPRsForWavesPerEU: 4
; NumVGPRsForWavesPerEU: 1
; Occupancy: 10
; WaveLimiterHint : 0
; COMPUTE_PGM_RSRC2:SCRATCH_EN: 0
; COMPUTE_PGM_RSRC2:USER_SGPR: 6
; COMPUTE_PGM_RSRC2:TRAP_HANDLER: 0
; COMPUTE_PGM_RSRC2:TGID_X_EN: 1
; COMPUTE_PGM_RSRC2:TGID_Y_EN: 0
; COMPUTE_PGM_RSRC2:TGID_Z_EN: 0
; COMPUTE_PGM_RSRC2:TIDIG_COMP_CNT: 0
	.section	.text._ZN7rocprim17ROCPRIM_400000_NS6detail17trampoline_kernelINS0_14default_configENS1_25transform_config_selectorIdLb0EEEZNS1_14transform_implILb0ES3_S5_NS0_18transform_iteratorINS0_17counting_iteratorImlEEZNS1_24adjacent_difference_implIS3_Lb1ELb0EPdSB_N6thrust23THRUST_200600_302600_NS5minusIdEEEE10hipError_tPvRmT2_T3_mT4_P12ihipStream_tbEUlmE_dEESB_NS0_8identityIvEEEESG_SJ_SK_mSL_SN_bEUlT_E_NS1_11comp_targetILNS1_3genE2ELNS1_11target_archE906ELNS1_3gpuE6ELNS1_3repE0EEENS1_30default_config_static_selectorELNS0_4arch9wavefront6targetE1EEEvT1_,"axG",@progbits,_ZN7rocprim17ROCPRIM_400000_NS6detail17trampoline_kernelINS0_14default_configENS1_25transform_config_selectorIdLb0EEEZNS1_14transform_implILb0ES3_S5_NS0_18transform_iteratorINS0_17counting_iteratorImlEEZNS1_24adjacent_difference_implIS3_Lb1ELb0EPdSB_N6thrust23THRUST_200600_302600_NS5minusIdEEEE10hipError_tPvRmT2_T3_mT4_P12ihipStream_tbEUlmE_dEESB_NS0_8identityIvEEEESG_SJ_SK_mSL_SN_bEUlT_E_NS1_11comp_targetILNS1_3genE2ELNS1_11target_archE906ELNS1_3gpuE6ELNS1_3repE0EEENS1_30default_config_static_selectorELNS0_4arch9wavefront6targetE1EEEvT1_,comdat
	.protected	_ZN7rocprim17ROCPRIM_400000_NS6detail17trampoline_kernelINS0_14default_configENS1_25transform_config_selectorIdLb0EEEZNS1_14transform_implILb0ES3_S5_NS0_18transform_iteratorINS0_17counting_iteratorImlEEZNS1_24adjacent_difference_implIS3_Lb1ELb0EPdSB_N6thrust23THRUST_200600_302600_NS5minusIdEEEE10hipError_tPvRmT2_T3_mT4_P12ihipStream_tbEUlmE_dEESB_NS0_8identityIvEEEESG_SJ_SK_mSL_SN_bEUlT_E_NS1_11comp_targetILNS1_3genE2ELNS1_11target_archE906ELNS1_3gpuE6ELNS1_3repE0EEENS1_30default_config_static_selectorELNS0_4arch9wavefront6targetE1EEEvT1_ ; -- Begin function _ZN7rocprim17ROCPRIM_400000_NS6detail17trampoline_kernelINS0_14default_configENS1_25transform_config_selectorIdLb0EEEZNS1_14transform_implILb0ES3_S5_NS0_18transform_iteratorINS0_17counting_iteratorImlEEZNS1_24adjacent_difference_implIS3_Lb1ELb0EPdSB_N6thrust23THRUST_200600_302600_NS5minusIdEEEE10hipError_tPvRmT2_T3_mT4_P12ihipStream_tbEUlmE_dEESB_NS0_8identityIvEEEESG_SJ_SK_mSL_SN_bEUlT_E_NS1_11comp_targetILNS1_3genE2ELNS1_11target_archE906ELNS1_3gpuE6ELNS1_3repE0EEENS1_30default_config_static_selectorELNS0_4arch9wavefront6targetE1EEEvT1_
	.globl	_ZN7rocprim17ROCPRIM_400000_NS6detail17trampoline_kernelINS0_14default_configENS1_25transform_config_selectorIdLb0EEEZNS1_14transform_implILb0ES3_S5_NS0_18transform_iteratorINS0_17counting_iteratorImlEEZNS1_24adjacent_difference_implIS3_Lb1ELb0EPdSB_N6thrust23THRUST_200600_302600_NS5minusIdEEEE10hipError_tPvRmT2_T3_mT4_P12ihipStream_tbEUlmE_dEESB_NS0_8identityIvEEEESG_SJ_SK_mSL_SN_bEUlT_E_NS1_11comp_targetILNS1_3genE2ELNS1_11target_archE906ELNS1_3gpuE6ELNS1_3repE0EEENS1_30default_config_static_selectorELNS0_4arch9wavefront6targetE1EEEvT1_
	.p2align	8
	.type	_ZN7rocprim17ROCPRIM_400000_NS6detail17trampoline_kernelINS0_14default_configENS1_25transform_config_selectorIdLb0EEEZNS1_14transform_implILb0ES3_S5_NS0_18transform_iteratorINS0_17counting_iteratorImlEEZNS1_24adjacent_difference_implIS3_Lb1ELb0EPdSB_N6thrust23THRUST_200600_302600_NS5minusIdEEEE10hipError_tPvRmT2_T3_mT4_P12ihipStream_tbEUlmE_dEESB_NS0_8identityIvEEEESG_SJ_SK_mSL_SN_bEUlT_E_NS1_11comp_targetILNS1_3genE2ELNS1_11target_archE906ELNS1_3gpuE6ELNS1_3repE0EEENS1_30default_config_static_selectorELNS0_4arch9wavefront6targetE1EEEvT1_,@function
_ZN7rocprim17ROCPRIM_400000_NS6detail17trampoline_kernelINS0_14default_configENS1_25transform_config_selectorIdLb0EEEZNS1_14transform_implILb0ES3_S5_NS0_18transform_iteratorINS0_17counting_iteratorImlEEZNS1_24adjacent_difference_implIS3_Lb1ELb0EPdSB_N6thrust23THRUST_200600_302600_NS5minusIdEEEE10hipError_tPvRmT2_T3_mT4_P12ihipStream_tbEUlmE_dEESB_NS0_8identityIvEEEESG_SJ_SK_mSL_SN_bEUlT_E_NS1_11comp_targetILNS1_3genE2ELNS1_11target_archE906ELNS1_3gpuE6ELNS1_3repE0EEENS1_30default_config_static_selectorELNS0_4arch9wavefront6targetE1EEEvT1_: ; @_ZN7rocprim17ROCPRIM_400000_NS6detail17trampoline_kernelINS0_14default_configENS1_25transform_config_selectorIdLb0EEEZNS1_14transform_implILb0ES3_S5_NS0_18transform_iteratorINS0_17counting_iteratorImlEEZNS1_24adjacent_difference_implIS3_Lb1ELb0EPdSB_N6thrust23THRUST_200600_302600_NS5minusIdEEEE10hipError_tPvRmT2_T3_mT4_P12ihipStream_tbEUlmE_dEESB_NS0_8identityIvEEEESG_SJ_SK_mSL_SN_bEUlT_E_NS1_11comp_targetILNS1_3genE2ELNS1_11target_archE906ELNS1_3gpuE6ELNS1_3repE0EEENS1_30default_config_static_selectorELNS0_4arch9wavefront6targetE1EEEvT1_
; %bb.0:
	s_load_dword s1, s[4:5], 0x38
	s_load_dword s7, s[4:5], 0x20
	s_lshl_b32 s0, s6, 10
	s_waitcnt lgkmcnt(0)
	s_add_i32 s1, s1, -1
	s_cmp_lg_u32 s6, s1
	s_cselect_b64 s[2:3], -1, 0
	s_sub_i32 s1, s7, s0
	v_cmp_gt_u32_e32 vcc, s1, v0
	s_or_b64 s[2:3], s[2:3], vcc
	s_and_saveexec_b64 s[6:7], s[2:3]
	s_cbranch_execz .LBB14_2
; %bb.1:
	s_load_dwordx2 s[2:3], s[4:5], 0x18
	s_load_dwordx2 s[6:7], s[4:5], 0x28
	s_load_dwordx4 s[8:11], s[4:5], 0x0
	s_load_dword s1, s[4:5], 0x10
	v_or_b32_e32 v1, s0, v0
	s_waitcnt lgkmcnt(0)
	s_lshl_b64 s[4:5], s[2:3], 3
	s_add_u32 s4, s6, s4
	s_addc_u32 s5, s7, s5
	s_add_u32 s2, s8, s2
	s_addc_u32 s3, s9, s3
	v_mov_b32_e32 v2, s3
	v_add_co_u32_e32 v1, vcc, s2, v1
	v_addc_co_u32_e32 v3, vcc, 0, v2, vcc
	v_mad_u64_u32 v[1:2], s[2:3], v1, s1, 0
	v_mad_u64_u32 v[2:3], s[2:3], v3, s1, v[2:3]
	v_mov_b32_e32 v3, s11
	s_mov_b32 s1, 0
	v_lshlrev_b64 v[1:2], 3, v[1:2]
	s_lshl_b64 s[0:1], s[0:1], 3
	v_add_co_u32_e32 v1, vcc, s10, v1
	v_addc_co_u32_e32 v2, vcc, v3, v2, vcc
	global_load_dwordx2 v[2:3], v[1:2], off
	v_mov_b32_e32 v1, 0
	s_add_u32 s0, s4, s0
	v_lshlrev_b64 v[0:1], 3, v[0:1]
	s_addc_u32 s1, s5, s1
	v_mov_b32_e32 v4, s1
	v_add_co_u32_e32 v0, vcc, s0, v0
	v_addc_co_u32_e32 v1, vcc, v4, v1, vcc
	s_waitcnt vmcnt(0)
	global_store_dwordx2 v[0:1], v[2:3], off
.LBB14_2:
	s_endpgm
	.section	.rodata,"a",@progbits
	.p2align	6, 0x0
	.amdhsa_kernel _ZN7rocprim17ROCPRIM_400000_NS6detail17trampoline_kernelINS0_14default_configENS1_25transform_config_selectorIdLb0EEEZNS1_14transform_implILb0ES3_S5_NS0_18transform_iteratorINS0_17counting_iteratorImlEEZNS1_24adjacent_difference_implIS3_Lb1ELb0EPdSB_N6thrust23THRUST_200600_302600_NS5minusIdEEEE10hipError_tPvRmT2_T3_mT4_P12ihipStream_tbEUlmE_dEESB_NS0_8identityIvEEEESG_SJ_SK_mSL_SN_bEUlT_E_NS1_11comp_targetILNS1_3genE2ELNS1_11target_archE906ELNS1_3gpuE6ELNS1_3repE0EEENS1_30default_config_static_selectorELNS0_4arch9wavefront6targetE1EEEvT1_
		.amdhsa_group_segment_fixed_size 0
		.amdhsa_private_segment_fixed_size 0
		.amdhsa_kernarg_size 312
		.amdhsa_user_sgpr_count 6
		.amdhsa_user_sgpr_private_segment_buffer 1
		.amdhsa_user_sgpr_dispatch_ptr 0
		.amdhsa_user_sgpr_queue_ptr 0
		.amdhsa_user_sgpr_kernarg_segment_ptr 1
		.amdhsa_user_sgpr_dispatch_id 0
		.amdhsa_user_sgpr_flat_scratch_init 0
		.amdhsa_user_sgpr_private_segment_size 0
		.amdhsa_uses_dynamic_stack 0
		.amdhsa_system_sgpr_private_segment_wavefront_offset 0
		.amdhsa_system_sgpr_workgroup_id_x 1
		.amdhsa_system_sgpr_workgroup_id_y 0
		.amdhsa_system_sgpr_workgroup_id_z 0
		.amdhsa_system_sgpr_workgroup_info 0
		.amdhsa_system_vgpr_workitem_id 0
		.amdhsa_next_free_vgpr 5
		.amdhsa_next_free_sgpr 12
		.amdhsa_reserve_vcc 1
		.amdhsa_reserve_flat_scratch 0
		.amdhsa_float_round_mode_32 0
		.amdhsa_float_round_mode_16_64 0
		.amdhsa_float_denorm_mode_32 3
		.amdhsa_float_denorm_mode_16_64 3
		.amdhsa_dx10_clamp 1
		.amdhsa_ieee_mode 1
		.amdhsa_fp16_overflow 0
		.amdhsa_exception_fp_ieee_invalid_op 0
		.amdhsa_exception_fp_denorm_src 0
		.amdhsa_exception_fp_ieee_div_zero 0
		.amdhsa_exception_fp_ieee_overflow 0
		.amdhsa_exception_fp_ieee_underflow 0
		.amdhsa_exception_fp_ieee_inexact 0
		.amdhsa_exception_int_div_zero 0
	.end_amdhsa_kernel
	.section	.text._ZN7rocprim17ROCPRIM_400000_NS6detail17trampoline_kernelINS0_14default_configENS1_25transform_config_selectorIdLb0EEEZNS1_14transform_implILb0ES3_S5_NS0_18transform_iteratorINS0_17counting_iteratorImlEEZNS1_24adjacent_difference_implIS3_Lb1ELb0EPdSB_N6thrust23THRUST_200600_302600_NS5minusIdEEEE10hipError_tPvRmT2_T3_mT4_P12ihipStream_tbEUlmE_dEESB_NS0_8identityIvEEEESG_SJ_SK_mSL_SN_bEUlT_E_NS1_11comp_targetILNS1_3genE2ELNS1_11target_archE906ELNS1_3gpuE6ELNS1_3repE0EEENS1_30default_config_static_selectorELNS0_4arch9wavefront6targetE1EEEvT1_,"axG",@progbits,_ZN7rocprim17ROCPRIM_400000_NS6detail17trampoline_kernelINS0_14default_configENS1_25transform_config_selectorIdLb0EEEZNS1_14transform_implILb0ES3_S5_NS0_18transform_iteratorINS0_17counting_iteratorImlEEZNS1_24adjacent_difference_implIS3_Lb1ELb0EPdSB_N6thrust23THRUST_200600_302600_NS5minusIdEEEE10hipError_tPvRmT2_T3_mT4_P12ihipStream_tbEUlmE_dEESB_NS0_8identityIvEEEESG_SJ_SK_mSL_SN_bEUlT_E_NS1_11comp_targetILNS1_3genE2ELNS1_11target_archE906ELNS1_3gpuE6ELNS1_3repE0EEENS1_30default_config_static_selectorELNS0_4arch9wavefront6targetE1EEEvT1_,comdat
.Lfunc_end14:
	.size	_ZN7rocprim17ROCPRIM_400000_NS6detail17trampoline_kernelINS0_14default_configENS1_25transform_config_selectorIdLb0EEEZNS1_14transform_implILb0ES3_S5_NS0_18transform_iteratorINS0_17counting_iteratorImlEEZNS1_24adjacent_difference_implIS3_Lb1ELb0EPdSB_N6thrust23THRUST_200600_302600_NS5minusIdEEEE10hipError_tPvRmT2_T3_mT4_P12ihipStream_tbEUlmE_dEESB_NS0_8identityIvEEEESG_SJ_SK_mSL_SN_bEUlT_E_NS1_11comp_targetILNS1_3genE2ELNS1_11target_archE906ELNS1_3gpuE6ELNS1_3repE0EEENS1_30default_config_static_selectorELNS0_4arch9wavefront6targetE1EEEvT1_, .Lfunc_end14-_ZN7rocprim17ROCPRIM_400000_NS6detail17trampoline_kernelINS0_14default_configENS1_25transform_config_selectorIdLb0EEEZNS1_14transform_implILb0ES3_S5_NS0_18transform_iteratorINS0_17counting_iteratorImlEEZNS1_24adjacent_difference_implIS3_Lb1ELb0EPdSB_N6thrust23THRUST_200600_302600_NS5minusIdEEEE10hipError_tPvRmT2_T3_mT4_P12ihipStream_tbEUlmE_dEESB_NS0_8identityIvEEEESG_SJ_SK_mSL_SN_bEUlT_E_NS1_11comp_targetILNS1_3genE2ELNS1_11target_archE906ELNS1_3gpuE6ELNS1_3repE0EEENS1_30default_config_static_selectorELNS0_4arch9wavefront6targetE1EEEvT1_
                                        ; -- End function
	.set _ZN7rocprim17ROCPRIM_400000_NS6detail17trampoline_kernelINS0_14default_configENS1_25transform_config_selectorIdLb0EEEZNS1_14transform_implILb0ES3_S5_NS0_18transform_iteratorINS0_17counting_iteratorImlEEZNS1_24adjacent_difference_implIS3_Lb1ELb0EPdSB_N6thrust23THRUST_200600_302600_NS5minusIdEEEE10hipError_tPvRmT2_T3_mT4_P12ihipStream_tbEUlmE_dEESB_NS0_8identityIvEEEESG_SJ_SK_mSL_SN_bEUlT_E_NS1_11comp_targetILNS1_3genE2ELNS1_11target_archE906ELNS1_3gpuE6ELNS1_3repE0EEENS1_30default_config_static_selectorELNS0_4arch9wavefront6targetE1EEEvT1_.num_vgpr, 5
	.set _ZN7rocprim17ROCPRIM_400000_NS6detail17trampoline_kernelINS0_14default_configENS1_25transform_config_selectorIdLb0EEEZNS1_14transform_implILb0ES3_S5_NS0_18transform_iteratorINS0_17counting_iteratorImlEEZNS1_24adjacent_difference_implIS3_Lb1ELb0EPdSB_N6thrust23THRUST_200600_302600_NS5minusIdEEEE10hipError_tPvRmT2_T3_mT4_P12ihipStream_tbEUlmE_dEESB_NS0_8identityIvEEEESG_SJ_SK_mSL_SN_bEUlT_E_NS1_11comp_targetILNS1_3genE2ELNS1_11target_archE906ELNS1_3gpuE6ELNS1_3repE0EEENS1_30default_config_static_selectorELNS0_4arch9wavefront6targetE1EEEvT1_.num_agpr, 0
	.set _ZN7rocprim17ROCPRIM_400000_NS6detail17trampoline_kernelINS0_14default_configENS1_25transform_config_selectorIdLb0EEEZNS1_14transform_implILb0ES3_S5_NS0_18transform_iteratorINS0_17counting_iteratorImlEEZNS1_24adjacent_difference_implIS3_Lb1ELb0EPdSB_N6thrust23THRUST_200600_302600_NS5minusIdEEEE10hipError_tPvRmT2_T3_mT4_P12ihipStream_tbEUlmE_dEESB_NS0_8identityIvEEEESG_SJ_SK_mSL_SN_bEUlT_E_NS1_11comp_targetILNS1_3genE2ELNS1_11target_archE906ELNS1_3gpuE6ELNS1_3repE0EEENS1_30default_config_static_selectorELNS0_4arch9wavefront6targetE1EEEvT1_.numbered_sgpr, 12
	.set _ZN7rocprim17ROCPRIM_400000_NS6detail17trampoline_kernelINS0_14default_configENS1_25transform_config_selectorIdLb0EEEZNS1_14transform_implILb0ES3_S5_NS0_18transform_iteratorINS0_17counting_iteratorImlEEZNS1_24adjacent_difference_implIS3_Lb1ELb0EPdSB_N6thrust23THRUST_200600_302600_NS5minusIdEEEE10hipError_tPvRmT2_T3_mT4_P12ihipStream_tbEUlmE_dEESB_NS0_8identityIvEEEESG_SJ_SK_mSL_SN_bEUlT_E_NS1_11comp_targetILNS1_3genE2ELNS1_11target_archE906ELNS1_3gpuE6ELNS1_3repE0EEENS1_30default_config_static_selectorELNS0_4arch9wavefront6targetE1EEEvT1_.num_named_barrier, 0
	.set _ZN7rocprim17ROCPRIM_400000_NS6detail17trampoline_kernelINS0_14default_configENS1_25transform_config_selectorIdLb0EEEZNS1_14transform_implILb0ES3_S5_NS0_18transform_iteratorINS0_17counting_iteratorImlEEZNS1_24adjacent_difference_implIS3_Lb1ELb0EPdSB_N6thrust23THRUST_200600_302600_NS5minusIdEEEE10hipError_tPvRmT2_T3_mT4_P12ihipStream_tbEUlmE_dEESB_NS0_8identityIvEEEESG_SJ_SK_mSL_SN_bEUlT_E_NS1_11comp_targetILNS1_3genE2ELNS1_11target_archE906ELNS1_3gpuE6ELNS1_3repE0EEENS1_30default_config_static_selectorELNS0_4arch9wavefront6targetE1EEEvT1_.private_seg_size, 0
	.set _ZN7rocprim17ROCPRIM_400000_NS6detail17trampoline_kernelINS0_14default_configENS1_25transform_config_selectorIdLb0EEEZNS1_14transform_implILb0ES3_S5_NS0_18transform_iteratorINS0_17counting_iteratorImlEEZNS1_24adjacent_difference_implIS3_Lb1ELb0EPdSB_N6thrust23THRUST_200600_302600_NS5minusIdEEEE10hipError_tPvRmT2_T3_mT4_P12ihipStream_tbEUlmE_dEESB_NS0_8identityIvEEEESG_SJ_SK_mSL_SN_bEUlT_E_NS1_11comp_targetILNS1_3genE2ELNS1_11target_archE906ELNS1_3gpuE6ELNS1_3repE0EEENS1_30default_config_static_selectorELNS0_4arch9wavefront6targetE1EEEvT1_.uses_vcc, 1
	.set _ZN7rocprim17ROCPRIM_400000_NS6detail17trampoline_kernelINS0_14default_configENS1_25transform_config_selectorIdLb0EEEZNS1_14transform_implILb0ES3_S5_NS0_18transform_iteratorINS0_17counting_iteratorImlEEZNS1_24adjacent_difference_implIS3_Lb1ELb0EPdSB_N6thrust23THRUST_200600_302600_NS5minusIdEEEE10hipError_tPvRmT2_T3_mT4_P12ihipStream_tbEUlmE_dEESB_NS0_8identityIvEEEESG_SJ_SK_mSL_SN_bEUlT_E_NS1_11comp_targetILNS1_3genE2ELNS1_11target_archE906ELNS1_3gpuE6ELNS1_3repE0EEENS1_30default_config_static_selectorELNS0_4arch9wavefront6targetE1EEEvT1_.uses_flat_scratch, 0
	.set _ZN7rocprim17ROCPRIM_400000_NS6detail17trampoline_kernelINS0_14default_configENS1_25transform_config_selectorIdLb0EEEZNS1_14transform_implILb0ES3_S5_NS0_18transform_iteratorINS0_17counting_iteratorImlEEZNS1_24adjacent_difference_implIS3_Lb1ELb0EPdSB_N6thrust23THRUST_200600_302600_NS5minusIdEEEE10hipError_tPvRmT2_T3_mT4_P12ihipStream_tbEUlmE_dEESB_NS0_8identityIvEEEESG_SJ_SK_mSL_SN_bEUlT_E_NS1_11comp_targetILNS1_3genE2ELNS1_11target_archE906ELNS1_3gpuE6ELNS1_3repE0EEENS1_30default_config_static_selectorELNS0_4arch9wavefront6targetE1EEEvT1_.has_dyn_sized_stack, 0
	.set _ZN7rocprim17ROCPRIM_400000_NS6detail17trampoline_kernelINS0_14default_configENS1_25transform_config_selectorIdLb0EEEZNS1_14transform_implILb0ES3_S5_NS0_18transform_iteratorINS0_17counting_iteratorImlEEZNS1_24adjacent_difference_implIS3_Lb1ELb0EPdSB_N6thrust23THRUST_200600_302600_NS5minusIdEEEE10hipError_tPvRmT2_T3_mT4_P12ihipStream_tbEUlmE_dEESB_NS0_8identityIvEEEESG_SJ_SK_mSL_SN_bEUlT_E_NS1_11comp_targetILNS1_3genE2ELNS1_11target_archE906ELNS1_3gpuE6ELNS1_3repE0EEENS1_30default_config_static_selectorELNS0_4arch9wavefront6targetE1EEEvT1_.has_recursion, 0
	.set _ZN7rocprim17ROCPRIM_400000_NS6detail17trampoline_kernelINS0_14default_configENS1_25transform_config_selectorIdLb0EEEZNS1_14transform_implILb0ES3_S5_NS0_18transform_iteratorINS0_17counting_iteratorImlEEZNS1_24adjacent_difference_implIS3_Lb1ELb0EPdSB_N6thrust23THRUST_200600_302600_NS5minusIdEEEE10hipError_tPvRmT2_T3_mT4_P12ihipStream_tbEUlmE_dEESB_NS0_8identityIvEEEESG_SJ_SK_mSL_SN_bEUlT_E_NS1_11comp_targetILNS1_3genE2ELNS1_11target_archE906ELNS1_3gpuE6ELNS1_3repE0EEENS1_30default_config_static_selectorELNS0_4arch9wavefront6targetE1EEEvT1_.has_indirect_call, 0
	.section	.AMDGPU.csdata,"",@progbits
; Kernel info:
; codeLenInByte = 228
; TotalNumSgprs: 16
; NumVgprs: 5
; ScratchSize: 0
; MemoryBound: 0
; FloatMode: 240
; IeeeMode: 1
; LDSByteSize: 0 bytes/workgroup (compile time only)
; SGPRBlocks: 1
; VGPRBlocks: 1
; NumSGPRsForWavesPerEU: 16
; NumVGPRsForWavesPerEU: 5
; Occupancy: 10
; WaveLimiterHint : 0
; COMPUTE_PGM_RSRC2:SCRATCH_EN: 0
; COMPUTE_PGM_RSRC2:USER_SGPR: 6
; COMPUTE_PGM_RSRC2:TRAP_HANDLER: 0
; COMPUTE_PGM_RSRC2:TGID_X_EN: 1
; COMPUTE_PGM_RSRC2:TGID_Y_EN: 0
; COMPUTE_PGM_RSRC2:TGID_Z_EN: 0
; COMPUTE_PGM_RSRC2:TIDIG_COMP_CNT: 0
	.section	.text._ZN7rocprim17ROCPRIM_400000_NS6detail17trampoline_kernelINS0_14default_configENS1_25transform_config_selectorIdLb0EEEZNS1_14transform_implILb0ES3_S5_NS0_18transform_iteratorINS0_17counting_iteratorImlEEZNS1_24adjacent_difference_implIS3_Lb1ELb0EPdSB_N6thrust23THRUST_200600_302600_NS5minusIdEEEE10hipError_tPvRmT2_T3_mT4_P12ihipStream_tbEUlmE_dEESB_NS0_8identityIvEEEESG_SJ_SK_mSL_SN_bEUlT_E_NS1_11comp_targetILNS1_3genE10ELNS1_11target_archE1201ELNS1_3gpuE5ELNS1_3repE0EEENS1_30default_config_static_selectorELNS0_4arch9wavefront6targetE1EEEvT1_,"axG",@progbits,_ZN7rocprim17ROCPRIM_400000_NS6detail17trampoline_kernelINS0_14default_configENS1_25transform_config_selectorIdLb0EEEZNS1_14transform_implILb0ES3_S5_NS0_18transform_iteratorINS0_17counting_iteratorImlEEZNS1_24adjacent_difference_implIS3_Lb1ELb0EPdSB_N6thrust23THRUST_200600_302600_NS5minusIdEEEE10hipError_tPvRmT2_T3_mT4_P12ihipStream_tbEUlmE_dEESB_NS0_8identityIvEEEESG_SJ_SK_mSL_SN_bEUlT_E_NS1_11comp_targetILNS1_3genE10ELNS1_11target_archE1201ELNS1_3gpuE5ELNS1_3repE0EEENS1_30default_config_static_selectorELNS0_4arch9wavefront6targetE1EEEvT1_,comdat
	.protected	_ZN7rocprim17ROCPRIM_400000_NS6detail17trampoline_kernelINS0_14default_configENS1_25transform_config_selectorIdLb0EEEZNS1_14transform_implILb0ES3_S5_NS0_18transform_iteratorINS0_17counting_iteratorImlEEZNS1_24adjacent_difference_implIS3_Lb1ELb0EPdSB_N6thrust23THRUST_200600_302600_NS5minusIdEEEE10hipError_tPvRmT2_T3_mT4_P12ihipStream_tbEUlmE_dEESB_NS0_8identityIvEEEESG_SJ_SK_mSL_SN_bEUlT_E_NS1_11comp_targetILNS1_3genE10ELNS1_11target_archE1201ELNS1_3gpuE5ELNS1_3repE0EEENS1_30default_config_static_selectorELNS0_4arch9wavefront6targetE1EEEvT1_ ; -- Begin function _ZN7rocprim17ROCPRIM_400000_NS6detail17trampoline_kernelINS0_14default_configENS1_25transform_config_selectorIdLb0EEEZNS1_14transform_implILb0ES3_S5_NS0_18transform_iteratorINS0_17counting_iteratorImlEEZNS1_24adjacent_difference_implIS3_Lb1ELb0EPdSB_N6thrust23THRUST_200600_302600_NS5minusIdEEEE10hipError_tPvRmT2_T3_mT4_P12ihipStream_tbEUlmE_dEESB_NS0_8identityIvEEEESG_SJ_SK_mSL_SN_bEUlT_E_NS1_11comp_targetILNS1_3genE10ELNS1_11target_archE1201ELNS1_3gpuE5ELNS1_3repE0EEENS1_30default_config_static_selectorELNS0_4arch9wavefront6targetE1EEEvT1_
	.globl	_ZN7rocprim17ROCPRIM_400000_NS6detail17trampoline_kernelINS0_14default_configENS1_25transform_config_selectorIdLb0EEEZNS1_14transform_implILb0ES3_S5_NS0_18transform_iteratorINS0_17counting_iteratorImlEEZNS1_24adjacent_difference_implIS3_Lb1ELb0EPdSB_N6thrust23THRUST_200600_302600_NS5minusIdEEEE10hipError_tPvRmT2_T3_mT4_P12ihipStream_tbEUlmE_dEESB_NS0_8identityIvEEEESG_SJ_SK_mSL_SN_bEUlT_E_NS1_11comp_targetILNS1_3genE10ELNS1_11target_archE1201ELNS1_3gpuE5ELNS1_3repE0EEENS1_30default_config_static_selectorELNS0_4arch9wavefront6targetE1EEEvT1_
	.p2align	8
	.type	_ZN7rocprim17ROCPRIM_400000_NS6detail17trampoline_kernelINS0_14default_configENS1_25transform_config_selectorIdLb0EEEZNS1_14transform_implILb0ES3_S5_NS0_18transform_iteratorINS0_17counting_iteratorImlEEZNS1_24adjacent_difference_implIS3_Lb1ELb0EPdSB_N6thrust23THRUST_200600_302600_NS5minusIdEEEE10hipError_tPvRmT2_T3_mT4_P12ihipStream_tbEUlmE_dEESB_NS0_8identityIvEEEESG_SJ_SK_mSL_SN_bEUlT_E_NS1_11comp_targetILNS1_3genE10ELNS1_11target_archE1201ELNS1_3gpuE5ELNS1_3repE0EEENS1_30default_config_static_selectorELNS0_4arch9wavefront6targetE1EEEvT1_,@function
_ZN7rocprim17ROCPRIM_400000_NS6detail17trampoline_kernelINS0_14default_configENS1_25transform_config_selectorIdLb0EEEZNS1_14transform_implILb0ES3_S5_NS0_18transform_iteratorINS0_17counting_iteratorImlEEZNS1_24adjacent_difference_implIS3_Lb1ELb0EPdSB_N6thrust23THRUST_200600_302600_NS5minusIdEEEE10hipError_tPvRmT2_T3_mT4_P12ihipStream_tbEUlmE_dEESB_NS0_8identityIvEEEESG_SJ_SK_mSL_SN_bEUlT_E_NS1_11comp_targetILNS1_3genE10ELNS1_11target_archE1201ELNS1_3gpuE5ELNS1_3repE0EEENS1_30default_config_static_selectorELNS0_4arch9wavefront6targetE1EEEvT1_: ; @_ZN7rocprim17ROCPRIM_400000_NS6detail17trampoline_kernelINS0_14default_configENS1_25transform_config_selectorIdLb0EEEZNS1_14transform_implILb0ES3_S5_NS0_18transform_iteratorINS0_17counting_iteratorImlEEZNS1_24adjacent_difference_implIS3_Lb1ELb0EPdSB_N6thrust23THRUST_200600_302600_NS5minusIdEEEE10hipError_tPvRmT2_T3_mT4_P12ihipStream_tbEUlmE_dEESB_NS0_8identityIvEEEESG_SJ_SK_mSL_SN_bEUlT_E_NS1_11comp_targetILNS1_3genE10ELNS1_11target_archE1201ELNS1_3gpuE5ELNS1_3repE0EEENS1_30default_config_static_selectorELNS0_4arch9wavefront6targetE1EEEvT1_
; %bb.0:
	.section	.rodata,"a",@progbits
	.p2align	6, 0x0
	.amdhsa_kernel _ZN7rocprim17ROCPRIM_400000_NS6detail17trampoline_kernelINS0_14default_configENS1_25transform_config_selectorIdLb0EEEZNS1_14transform_implILb0ES3_S5_NS0_18transform_iteratorINS0_17counting_iteratorImlEEZNS1_24adjacent_difference_implIS3_Lb1ELb0EPdSB_N6thrust23THRUST_200600_302600_NS5minusIdEEEE10hipError_tPvRmT2_T3_mT4_P12ihipStream_tbEUlmE_dEESB_NS0_8identityIvEEEESG_SJ_SK_mSL_SN_bEUlT_E_NS1_11comp_targetILNS1_3genE10ELNS1_11target_archE1201ELNS1_3gpuE5ELNS1_3repE0EEENS1_30default_config_static_selectorELNS0_4arch9wavefront6targetE1EEEvT1_
		.amdhsa_group_segment_fixed_size 0
		.amdhsa_private_segment_fixed_size 0
		.amdhsa_kernarg_size 56
		.amdhsa_user_sgpr_count 6
		.amdhsa_user_sgpr_private_segment_buffer 1
		.amdhsa_user_sgpr_dispatch_ptr 0
		.amdhsa_user_sgpr_queue_ptr 0
		.amdhsa_user_sgpr_kernarg_segment_ptr 1
		.amdhsa_user_sgpr_dispatch_id 0
		.amdhsa_user_sgpr_flat_scratch_init 0
		.amdhsa_user_sgpr_private_segment_size 0
		.amdhsa_uses_dynamic_stack 0
		.amdhsa_system_sgpr_private_segment_wavefront_offset 0
		.amdhsa_system_sgpr_workgroup_id_x 1
		.amdhsa_system_sgpr_workgroup_id_y 0
		.amdhsa_system_sgpr_workgroup_id_z 0
		.amdhsa_system_sgpr_workgroup_info 0
		.amdhsa_system_vgpr_workitem_id 0
		.amdhsa_next_free_vgpr 1
		.amdhsa_next_free_sgpr 0
		.amdhsa_reserve_vcc 0
		.amdhsa_reserve_flat_scratch 0
		.amdhsa_float_round_mode_32 0
		.amdhsa_float_round_mode_16_64 0
		.amdhsa_float_denorm_mode_32 3
		.amdhsa_float_denorm_mode_16_64 3
		.amdhsa_dx10_clamp 1
		.amdhsa_ieee_mode 1
		.amdhsa_fp16_overflow 0
		.amdhsa_exception_fp_ieee_invalid_op 0
		.amdhsa_exception_fp_denorm_src 0
		.amdhsa_exception_fp_ieee_div_zero 0
		.amdhsa_exception_fp_ieee_overflow 0
		.amdhsa_exception_fp_ieee_underflow 0
		.amdhsa_exception_fp_ieee_inexact 0
		.amdhsa_exception_int_div_zero 0
	.end_amdhsa_kernel
	.section	.text._ZN7rocprim17ROCPRIM_400000_NS6detail17trampoline_kernelINS0_14default_configENS1_25transform_config_selectorIdLb0EEEZNS1_14transform_implILb0ES3_S5_NS0_18transform_iteratorINS0_17counting_iteratorImlEEZNS1_24adjacent_difference_implIS3_Lb1ELb0EPdSB_N6thrust23THRUST_200600_302600_NS5minusIdEEEE10hipError_tPvRmT2_T3_mT4_P12ihipStream_tbEUlmE_dEESB_NS0_8identityIvEEEESG_SJ_SK_mSL_SN_bEUlT_E_NS1_11comp_targetILNS1_3genE10ELNS1_11target_archE1201ELNS1_3gpuE5ELNS1_3repE0EEENS1_30default_config_static_selectorELNS0_4arch9wavefront6targetE1EEEvT1_,"axG",@progbits,_ZN7rocprim17ROCPRIM_400000_NS6detail17trampoline_kernelINS0_14default_configENS1_25transform_config_selectorIdLb0EEEZNS1_14transform_implILb0ES3_S5_NS0_18transform_iteratorINS0_17counting_iteratorImlEEZNS1_24adjacent_difference_implIS3_Lb1ELb0EPdSB_N6thrust23THRUST_200600_302600_NS5minusIdEEEE10hipError_tPvRmT2_T3_mT4_P12ihipStream_tbEUlmE_dEESB_NS0_8identityIvEEEESG_SJ_SK_mSL_SN_bEUlT_E_NS1_11comp_targetILNS1_3genE10ELNS1_11target_archE1201ELNS1_3gpuE5ELNS1_3repE0EEENS1_30default_config_static_selectorELNS0_4arch9wavefront6targetE1EEEvT1_,comdat
.Lfunc_end15:
	.size	_ZN7rocprim17ROCPRIM_400000_NS6detail17trampoline_kernelINS0_14default_configENS1_25transform_config_selectorIdLb0EEEZNS1_14transform_implILb0ES3_S5_NS0_18transform_iteratorINS0_17counting_iteratorImlEEZNS1_24adjacent_difference_implIS3_Lb1ELb0EPdSB_N6thrust23THRUST_200600_302600_NS5minusIdEEEE10hipError_tPvRmT2_T3_mT4_P12ihipStream_tbEUlmE_dEESB_NS0_8identityIvEEEESG_SJ_SK_mSL_SN_bEUlT_E_NS1_11comp_targetILNS1_3genE10ELNS1_11target_archE1201ELNS1_3gpuE5ELNS1_3repE0EEENS1_30default_config_static_selectorELNS0_4arch9wavefront6targetE1EEEvT1_, .Lfunc_end15-_ZN7rocprim17ROCPRIM_400000_NS6detail17trampoline_kernelINS0_14default_configENS1_25transform_config_selectorIdLb0EEEZNS1_14transform_implILb0ES3_S5_NS0_18transform_iteratorINS0_17counting_iteratorImlEEZNS1_24adjacent_difference_implIS3_Lb1ELb0EPdSB_N6thrust23THRUST_200600_302600_NS5minusIdEEEE10hipError_tPvRmT2_T3_mT4_P12ihipStream_tbEUlmE_dEESB_NS0_8identityIvEEEESG_SJ_SK_mSL_SN_bEUlT_E_NS1_11comp_targetILNS1_3genE10ELNS1_11target_archE1201ELNS1_3gpuE5ELNS1_3repE0EEENS1_30default_config_static_selectorELNS0_4arch9wavefront6targetE1EEEvT1_
                                        ; -- End function
	.set _ZN7rocprim17ROCPRIM_400000_NS6detail17trampoline_kernelINS0_14default_configENS1_25transform_config_selectorIdLb0EEEZNS1_14transform_implILb0ES3_S5_NS0_18transform_iteratorINS0_17counting_iteratorImlEEZNS1_24adjacent_difference_implIS3_Lb1ELb0EPdSB_N6thrust23THRUST_200600_302600_NS5minusIdEEEE10hipError_tPvRmT2_T3_mT4_P12ihipStream_tbEUlmE_dEESB_NS0_8identityIvEEEESG_SJ_SK_mSL_SN_bEUlT_E_NS1_11comp_targetILNS1_3genE10ELNS1_11target_archE1201ELNS1_3gpuE5ELNS1_3repE0EEENS1_30default_config_static_selectorELNS0_4arch9wavefront6targetE1EEEvT1_.num_vgpr, 0
	.set _ZN7rocprim17ROCPRIM_400000_NS6detail17trampoline_kernelINS0_14default_configENS1_25transform_config_selectorIdLb0EEEZNS1_14transform_implILb0ES3_S5_NS0_18transform_iteratorINS0_17counting_iteratorImlEEZNS1_24adjacent_difference_implIS3_Lb1ELb0EPdSB_N6thrust23THRUST_200600_302600_NS5minusIdEEEE10hipError_tPvRmT2_T3_mT4_P12ihipStream_tbEUlmE_dEESB_NS0_8identityIvEEEESG_SJ_SK_mSL_SN_bEUlT_E_NS1_11comp_targetILNS1_3genE10ELNS1_11target_archE1201ELNS1_3gpuE5ELNS1_3repE0EEENS1_30default_config_static_selectorELNS0_4arch9wavefront6targetE1EEEvT1_.num_agpr, 0
	.set _ZN7rocprim17ROCPRIM_400000_NS6detail17trampoline_kernelINS0_14default_configENS1_25transform_config_selectorIdLb0EEEZNS1_14transform_implILb0ES3_S5_NS0_18transform_iteratorINS0_17counting_iteratorImlEEZNS1_24adjacent_difference_implIS3_Lb1ELb0EPdSB_N6thrust23THRUST_200600_302600_NS5minusIdEEEE10hipError_tPvRmT2_T3_mT4_P12ihipStream_tbEUlmE_dEESB_NS0_8identityIvEEEESG_SJ_SK_mSL_SN_bEUlT_E_NS1_11comp_targetILNS1_3genE10ELNS1_11target_archE1201ELNS1_3gpuE5ELNS1_3repE0EEENS1_30default_config_static_selectorELNS0_4arch9wavefront6targetE1EEEvT1_.numbered_sgpr, 0
	.set _ZN7rocprim17ROCPRIM_400000_NS6detail17trampoline_kernelINS0_14default_configENS1_25transform_config_selectorIdLb0EEEZNS1_14transform_implILb0ES3_S5_NS0_18transform_iteratorINS0_17counting_iteratorImlEEZNS1_24adjacent_difference_implIS3_Lb1ELb0EPdSB_N6thrust23THRUST_200600_302600_NS5minusIdEEEE10hipError_tPvRmT2_T3_mT4_P12ihipStream_tbEUlmE_dEESB_NS0_8identityIvEEEESG_SJ_SK_mSL_SN_bEUlT_E_NS1_11comp_targetILNS1_3genE10ELNS1_11target_archE1201ELNS1_3gpuE5ELNS1_3repE0EEENS1_30default_config_static_selectorELNS0_4arch9wavefront6targetE1EEEvT1_.num_named_barrier, 0
	.set _ZN7rocprim17ROCPRIM_400000_NS6detail17trampoline_kernelINS0_14default_configENS1_25transform_config_selectorIdLb0EEEZNS1_14transform_implILb0ES3_S5_NS0_18transform_iteratorINS0_17counting_iteratorImlEEZNS1_24adjacent_difference_implIS3_Lb1ELb0EPdSB_N6thrust23THRUST_200600_302600_NS5minusIdEEEE10hipError_tPvRmT2_T3_mT4_P12ihipStream_tbEUlmE_dEESB_NS0_8identityIvEEEESG_SJ_SK_mSL_SN_bEUlT_E_NS1_11comp_targetILNS1_3genE10ELNS1_11target_archE1201ELNS1_3gpuE5ELNS1_3repE0EEENS1_30default_config_static_selectorELNS0_4arch9wavefront6targetE1EEEvT1_.private_seg_size, 0
	.set _ZN7rocprim17ROCPRIM_400000_NS6detail17trampoline_kernelINS0_14default_configENS1_25transform_config_selectorIdLb0EEEZNS1_14transform_implILb0ES3_S5_NS0_18transform_iteratorINS0_17counting_iteratorImlEEZNS1_24adjacent_difference_implIS3_Lb1ELb0EPdSB_N6thrust23THRUST_200600_302600_NS5minusIdEEEE10hipError_tPvRmT2_T3_mT4_P12ihipStream_tbEUlmE_dEESB_NS0_8identityIvEEEESG_SJ_SK_mSL_SN_bEUlT_E_NS1_11comp_targetILNS1_3genE10ELNS1_11target_archE1201ELNS1_3gpuE5ELNS1_3repE0EEENS1_30default_config_static_selectorELNS0_4arch9wavefront6targetE1EEEvT1_.uses_vcc, 0
	.set _ZN7rocprim17ROCPRIM_400000_NS6detail17trampoline_kernelINS0_14default_configENS1_25transform_config_selectorIdLb0EEEZNS1_14transform_implILb0ES3_S5_NS0_18transform_iteratorINS0_17counting_iteratorImlEEZNS1_24adjacent_difference_implIS3_Lb1ELb0EPdSB_N6thrust23THRUST_200600_302600_NS5minusIdEEEE10hipError_tPvRmT2_T3_mT4_P12ihipStream_tbEUlmE_dEESB_NS0_8identityIvEEEESG_SJ_SK_mSL_SN_bEUlT_E_NS1_11comp_targetILNS1_3genE10ELNS1_11target_archE1201ELNS1_3gpuE5ELNS1_3repE0EEENS1_30default_config_static_selectorELNS0_4arch9wavefront6targetE1EEEvT1_.uses_flat_scratch, 0
	.set _ZN7rocprim17ROCPRIM_400000_NS6detail17trampoline_kernelINS0_14default_configENS1_25transform_config_selectorIdLb0EEEZNS1_14transform_implILb0ES3_S5_NS0_18transform_iteratorINS0_17counting_iteratorImlEEZNS1_24adjacent_difference_implIS3_Lb1ELb0EPdSB_N6thrust23THRUST_200600_302600_NS5minusIdEEEE10hipError_tPvRmT2_T3_mT4_P12ihipStream_tbEUlmE_dEESB_NS0_8identityIvEEEESG_SJ_SK_mSL_SN_bEUlT_E_NS1_11comp_targetILNS1_3genE10ELNS1_11target_archE1201ELNS1_3gpuE5ELNS1_3repE0EEENS1_30default_config_static_selectorELNS0_4arch9wavefront6targetE1EEEvT1_.has_dyn_sized_stack, 0
	.set _ZN7rocprim17ROCPRIM_400000_NS6detail17trampoline_kernelINS0_14default_configENS1_25transform_config_selectorIdLb0EEEZNS1_14transform_implILb0ES3_S5_NS0_18transform_iteratorINS0_17counting_iteratorImlEEZNS1_24adjacent_difference_implIS3_Lb1ELb0EPdSB_N6thrust23THRUST_200600_302600_NS5minusIdEEEE10hipError_tPvRmT2_T3_mT4_P12ihipStream_tbEUlmE_dEESB_NS0_8identityIvEEEESG_SJ_SK_mSL_SN_bEUlT_E_NS1_11comp_targetILNS1_3genE10ELNS1_11target_archE1201ELNS1_3gpuE5ELNS1_3repE0EEENS1_30default_config_static_selectorELNS0_4arch9wavefront6targetE1EEEvT1_.has_recursion, 0
	.set _ZN7rocprim17ROCPRIM_400000_NS6detail17trampoline_kernelINS0_14default_configENS1_25transform_config_selectorIdLb0EEEZNS1_14transform_implILb0ES3_S5_NS0_18transform_iteratorINS0_17counting_iteratorImlEEZNS1_24adjacent_difference_implIS3_Lb1ELb0EPdSB_N6thrust23THRUST_200600_302600_NS5minusIdEEEE10hipError_tPvRmT2_T3_mT4_P12ihipStream_tbEUlmE_dEESB_NS0_8identityIvEEEESG_SJ_SK_mSL_SN_bEUlT_E_NS1_11comp_targetILNS1_3genE10ELNS1_11target_archE1201ELNS1_3gpuE5ELNS1_3repE0EEENS1_30default_config_static_selectorELNS0_4arch9wavefront6targetE1EEEvT1_.has_indirect_call, 0
	.section	.AMDGPU.csdata,"",@progbits
; Kernel info:
; codeLenInByte = 0
; TotalNumSgprs: 4
; NumVgprs: 0
; ScratchSize: 0
; MemoryBound: 0
; FloatMode: 240
; IeeeMode: 1
; LDSByteSize: 0 bytes/workgroup (compile time only)
; SGPRBlocks: 0
; VGPRBlocks: 0
; NumSGPRsForWavesPerEU: 4
; NumVGPRsForWavesPerEU: 1
; Occupancy: 10
; WaveLimiterHint : 0
; COMPUTE_PGM_RSRC2:SCRATCH_EN: 0
; COMPUTE_PGM_RSRC2:USER_SGPR: 6
; COMPUTE_PGM_RSRC2:TRAP_HANDLER: 0
; COMPUTE_PGM_RSRC2:TGID_X_EN: 1
; COMPUTE_PGM_RSRC2:TGID_Y_EN: 0
; COMPUTE_PGM_RSRC2:TGID_Z_EN: 0
; COMPUTE_PGM_RSRC2:TIDIG_COMP_CNT: 0
	.section	.text._ZN7rocprim17ROCPRIM_400000_NS6detail17trampoline_kernelINS0_14default_configENS1_25transform_config_selectorIdLb0EEEZNS1_14transform_implILb0ES3_S5_NS0_18transform_iteratorINS0_17counting_iteratorImlEEZNS1_24adjacent_difference_implIS3_Lb1ELb0EPdSB_N6thrust23THRUST_200600_302600_NS5minusIdEEEE10hipError_tPvRmT2_T3_mT4_P12ihipStream_tbEUlmE_dEESB_NS0_8identityIvEEEESG_SJ_SK_mSL_SN_bEUlT_E_NS1_11comp_targetILNS1_3genE10ELNS1_11target_archE1200ELNS1_3gpuE4ELNS1_3repE0EEENS1_30default_config_static_selectorELNS0_4arch9wavefront6targetE1EEEvT1_,"axG",@progbits,_ZN7rocprim17ROCPRIM_400000_NS6detail17trampoline_kernelINS0_14default_configENS1_25transform_config_selectorIdLb0EEEZNS1_14transform_implILb0ES3_S5_NS0_18transform_iteratorINS0_17counting_iteratorImlEEZNS1_24adjacent_difference_implIS3_Lb1ELb0EPdSB_N6thrust23THRUST_200600_302600_NS5minusIdEEEE10hipError_tPvRmT2_T3_mT4_P12ihipStream_tbEUlmE_dEESB_NS0_8identityIvEEEESG_SJ_SK_mSL_SN_bEUlT_E_NS1_11comp_targetILNS1_3genE10ELNS1_11target_archE1200ELNS1_3gpuE4ELNS1_3repE0EEENS1_30default_config_static_selectorELNS0_4arch9wavefront6targetE1EEEvT1_,comdat
	.protected	_ZN7rocprim17ROCPRIM_400000_NS6detail17trampoline_kernelINS0_14default_configENS1_25transform_config_selectorIdLb0EEEZNS1_14transform_implILb0ES3_S5_NS0_18transform_iteratorINS0_17counting_iteratorImlEEZNS1_24adjacent_difference_implIS3_Lb1ELb0EPdSB_N6thrust23THRUST_200600_302600_NS5minusIdEEEE10hipError_tPvRmT2_T3_mT4_P12ihipStream_tbEUlmE_dEESB_NS0_8identityIvEEEESG_SJ_SK_mSL_SN_bEUlT_E_NS1_11comp_targetILNS1_3genE10ELNS1_11target_archE1200ELNS1_3gpuE4ELNS1_3repE0EEENS1_30default_config_static_selectorELNS0_4arch9wavefront6targetE1EEEvT1_ ; -- Begin function _ZN7rocprim17ROCPRIM_400000_NS6detail17trampoline_kernelINS0_14default_configENS1_25transform_config_selectorIdLb0EEEZNS1_14transform_implILb0ES3_S5_NS0_18transform_iteratorINS0_17counting_iteratorImlEEZNS1_24adjacent_difference_implIS3_Lb1ELb0EPdSB_N6thrust23THRUST_200600_302600_NS5minusIdEEEE10hipError_tPvRmT2_T3_mT4_P12ihipStream_tbEUlmE_dEESB_NS0_8identityIvEEEESG_SJ_SK_mSL_SN_bEUlT_E_NS1_11comp_targetILNS1_3genE10ELNS1_11target_archE1200ELNS1_3gpuE4ELNS1_3repE0EEENS1_30default_config_static_selectorELNS0_4arch9wavefront6targetE1EEEvT1_
	.globl	_ZN7rocprim17ROCPRIM_400000_NS6detail17trampoline_kernelINS0_14default_configENS1_25transform_config_selectorIdLb0EEEZNS1_14transform_implILb0ES3_S5_NS0_18transform_iteratorINS0_17counting_iteratorImlEEZNS1_24adjacent_difference_implIS3_Lb1ELb0EPdSB_N6thrust23THRUST_200600_302600_NS5minusIdEEEE10hipError_tPvRmT2_T3_mT4_P12ihipStream_tbEUlmE_dEESB_NS0_8identityIvEEEESG_SJ_SK_mSL_SN_bEUlT_E_NS1_11comp_targetILNS1_3genE10ELNS1_11target_archE1200ELNS1_3gpuE4ELNS1_3repE0EEENS1_30default_config_static_selectorELNS0_4arch9wavefront6targetE1EEEvT1_
	.p2align	8
	.type	_ZN7rocprim17ROCPRIM_400000_NS6detail17trampoline_kernelINS0_14default_configENS1_25transform_config_selectorIdLb0EEEZNS1_14transform_implILb0ES3_S5_NS0_18transform_iteratorINS0_17counting_iteratorImlEEZNS1_24adjacent_difference_implIS3_Lb1ELb0EPdSB_N6thrust23THRUST_200600_302600_NS5minusIdEEEE10hipError_tPvRmT2_T3_mT4_P12ihipStream_tbEUlmE_dEESB_NS0_8identityIvEEEESG_SJ_SK_mSL_SN_bEUlT_E_NS1_11comp_targetILNS1_3genE10ELNS1_11target_archE1200ELNS1_3gpuE4ELNS1_3repE0EEENS1_30default_config_static_selectorELNS0_4arch9wavefront6targetE1EEEvT1_,@function
_ZN7rocprim17ROCPRIM_400000_NS6detail17trampoline_kernelINS0_14default_configENS1_25transform_config_selectorIdLb0EEEZNS1_14transform_implILb0ES3_S5_NS0_18transform_iteratorINS0_17counting_iteratorImlEEZNS1_24adjacent_difference_implIS3_Lb1ELb0EPdSB_N6thrust23THRUST_200600_302600_NS5minusIdEEEE10hipError_tPvRmT2_T3_mT4_P12ihipStream_tbEUlmE_dEESB_NS0_8identityIvEEEESG_SJ_SK_mSL_SN_bEUlT_E_NS1_11comp_targetILNS1_3genE10ELNS1_11target_archE1200ELNS1_3gpuE4ELNS1_3repE0EEENS1_30default_config_static_selectorELNS0_4arch9wavefront6targetE1EEEvT1_: ; @_ZN7rocprim17ROCPRIM_400000_NS6detail17trampoline_kernelINS0_14default_configENS1_25transform_config_selectorIdLb0EEEZNS1_14transform_implILb0ES3_S5_NS0_18transform_iteratorINS0_17counting_iteratorImlEEZNS1_24adjacent_difference_implIS3_Lb1ELb0EPdSB_N6thrust23THRUST_200600_302600_NS5minusIdEEEE10hipError_tPvRmT2_T3_mT4_P12ihipStream_tbEUlmE_dEESB_NS0_8identityIvEEEESG_SJ_SK_mSL_SN_bEUlT_E_NS1_11comp_targetILNS1_3genE10ELNS1_11target_archE1200ELNS1_3gpuE4ELNS1_3repE0EEENS1_30default_config_static_selectorELNS0_4arch9wavefront6targetE1EEEvT1_
; %bb.0:
	.section	.rodata,"a",@progbits
	.p2align	6, 0x0
	.amdhsa_kernel _ZN7rocprim17ROCPRIM_400000_NS6detail17trampoline_kernelINS0_14default_configENS1_25transform_config_selectorIdLb0EEEZNS1_14transform_implILb0ES3_S5_NS0_18transform_iteratorINS0_17counting_iteratorImlEEZNS1_24adjacent_difference_implIS3_Lb1ELb0EPdSB_N6thrust23THRUST_200600_302600_NS5minusIdEEEE10hipError_tPvRmT2_T3_mT4_P12ihipStream_tbEUlmE_dEESB_NS0_8identityIvEEEESG_SJ_SK_mSL_SN_bEUlT_E_NS1_11comp_targetILNS1_3genE10ELNS1_11target_archE1200ELNS1_3gpuE4ELNS1_3repE0EEENS1_30default_config_static_selectorELNS0_4arch9wavefront6targetE1EEEvT1_
		.amdhsa_group_segment_fixed_size 0
		.amdhsa_private_segment_fixed_size 0
		.amdhsa_kernarg_size 56
		.amdhsa_user_sgpr_count 6
		.amdhsa_user_sgpr_private_segment_buffer 1
		.amdhsa_user_sgpr_dispatch_ptr 0
		.amdhsa_user_sgpr_queue_ptr 0
		.amdhsa_user_sgpr_kernarg_segment_ptr 1
		.amdhsa_user_sgpr_dispatch_id 0
		.amdhsa_user_sgpr_flat_scratch_init 0
		.amdhsa_user_sgpr_private_segment_size 0
		.amdhsa_uses_dynamic_stack 0
		.amdhsa_system_sgpr_private_segment_wavefront_offset 0
		.amdhsa_system_sgpr_workgroup_id_x 1
		.amdhsa_system_sgpr_workgroup_id_y 0
		.amdhsa_system_sgpr_workgroup_id_z 0
		.amdhsa_system_sgpr_workgroup_info 0
		.amdhsa_system_vgpr_workitem_id 0
		.amdhsa_next_free_vgpr 1
		.amdhsa_next_free_sgpr 0
		.amdhsa_reserve_vcc 0
		.amdhsa_reserve_flat_scratch 0
		.amdhsa_float_round_mode_32 0
		.amdhsa_float_round_mode_16_64 0
		.amdhsa_float_denorm_mode_32 3
		.amdhsa_float_denorm_mode_16_64 3
		.amdhsa_dx10_clamp 1
		.amdhsa_ieee_mode 1
		.amdhsa_fp16_overflow 0
		.amdhsa_exception_fp_ieee_invalid_op 0
		.amdhsa_exception_fp_denorm_src 0
		.amdhsa_exception_fp_ieee_div_zero 0
		.amdhsa_exception_fp_ieee_overflow 0
		.amdhsa_exception_fp_ieee_underflow 0
		.amdhsa_exception_fp_ieee_inexact 0
		.amdhsa_exception_int_div_zero 0
	.end_amdhsa_kernel
	.section	.text._ZN7rocprim17ROCPRIM_400000_NS6detail17trampoline_kernelINS0_14default_configENS1_25transform_config_selectorIdLb0EEEZNS1_14transform_implILb0ES3_S5_NS0_18transform_iteratorINS0_17counting_iteratorImlEEZNS1_24adjacent_difference_implIS3_Lb1ELb0EPdSB_N6thrust23THRUST_200600_302600_NS5minusIdEEEE10hipError_tPvRmT2_T3_mT4_P12ihipStream_tbEUlmE_dEESB_NS0_8identityIvEEEESG_SJ_SK_mSL_SN_bEUlT_E_NS1_11comp_targetILNS1_3genE10ELNS1_11target_archE1200ELNS1_3gpuE4ELNS1_3repE0EEENS1_30default_config_static_selectorELNS0_4arch9wavefront6targetE1EEEvT1_,"axG",@progbits,_ZN7rocprim17ROCPRIM_400000_NS6detail17trampoline_kernelINS0_14default_configENS1_25transform_config_selectorIdLb0EEEZNS1_14transform_implILb0ES3_S5_NS0_18transform_iteratorINS0_17counting_iteratorImlEEZNS1_24adjacent_difference_implIS3_Lb1ELb0EPdSB_N6thrust23THRUST_200600_302600_NS5minusIdEEEE10hipError_tPvRmT2_T3_mT4_P12ihipStream_tbEUlmE_dEESB_NS0_8identityIvEEEESG_SJ_SK_mSL_SN_bEUlT_E_NS1_11comp_targetILNS1_3genE10ELNS1_11target_archE1200ELNS1_3gpuE4ELNS1_3repE0EEENS1_30default_config_static_selectorELNS0_4arch9wavefront6targetE1EEEvT1_,comdat
.Lfunc_end16:
	.size	_ZN7rocprim17ROCPRIM_400000_NS6detail17trampoline_kernelINS0_14default_configENS1_25transform_config_selectorIdLb0EEEZNS1_14transform_implILb0ES3_S5_NS0_18transform_iteratorINS0_17counting_iteratorImlEEZNS1_24adjacent_difference_implIS3_Lb1ELb0EPdSB_N6thrust23THRUST_200600_302600_NS5minusIdEEEE10hipError_tPvRmT2_T3_mT4_P12ihipStream_tbEUlmE_dEESB_NS0_8identityIvEEEESG_SJ_SK_mSL_SN_bEUlT_E_NS1_11comp_targetILNS1_3genE10ELNS1_11target_archE1200ELNS1_3gpuE4ELNS1_3repE0EEENS1_30default_config_static_selectorELNS0_4arch9wavefront6targetE1EEEvT1_, .Lfunc_end16-_ZN7rocprim17ROCPRIM_400000_NS6detail17trampoline_kernelINS0_14default_configENS1_25transform_config_selectorIdLb0EEEZNS1_14transform_implILb0ES3_S5_NS0_18transform_iteratorINS0_17counting_iteratorImlEEZNS1_24adjacent_difference_implIS3_Lb1ELb0EPdSB_N6thrust23THRUST_200600_302600_NS5minusIdEEEE10hipError_tPvRmT2_T3_mT4_P12ihipStream_tbEUlmE_dEESB_NS0_8identityIvEEEESG_SJ_SK_mSL_SN_bEUlT_E_NS1_11comp_targetILNS1_3genE10ELNS1_11target_archE1200ELNS1_3gpuE4ELNS1_3repE0EEENS1_30default_config_static_selectorELNS0_4arch9wavefront6targetE1EEEvT1_
                                        ; -- End function
	.set _ZN7rocprim17ROCPRIM_400000_NS6detail17trampoline_kernelINS0_14default_configENS1_25transform_config_selectorIdLb0EEEZNS1_14transform_implILb0ES3_S5_NS0_18transform_iteratorINS0_17counting_iteratorImlEEZNS1_24adjacent_difference_implIS3_Lb1ELb0EPdSB_N6thrust23THRUST_200600_302600_NS5minusIdEEEE10hipError_tPvRmT2_T3_mT4_P12ihipStream_tbEUlmE_dEESB_NS0_8identityIvEEEESG_SJ_SK_mSL_SN_bEUlT_E_NS1_11comp_targetILNS1_3genE10ELNS1_11target_archE1200ELNS1_3gpuE4ELNS1_3repE0EEENS1_30default_config_static_selectorELNS0_4arch9wavefront6targetE1EEEvT1_.num_vgpr, 0
	.set _ZN7rocprim17ROCPRIM_400000_NS6detail17trampoline_kernelINS0_14default_configENS1_25transform_config_selectorIdLb0EEEZNS1_14transform_implILb0ES3_S5_NS0_18transform_iteratorINS0_17counting_iteratorImlEEZNS1_24adjacent_difference_implIS3_Lb1ELb0EPdSB_N6thrust23THRUST_200600_302600_NS5minusIdEEEE10hipError_tPvRmT2_T3_mT4_P12ihipStream_tbEUlmE_dEESB_NS0_8identityIvEEEESG_SJ_SK_mSL_SN_bEUlT_E_NS1_11comp_targetILNS1_3genE10ELNS1_11target_archE1200ELNS1_3gpuE4ELNS1_3repE0EEENS1_30default_config_static_selectorELNS0_4arch9wavefront6targetE1EEEvT1_.num_agpr, 0
	.set _ZN7rocprim17ROCPRIM_400000_NS6detail17trampoline_kernelINS0_14default_configENS1_25transform_config_selectorIdLb0EEEZNS1_14transform_implILb0ES3_S5_NS0_18transform_iteratorINS0_17counting_iteratorImlEEZNS1_24adjacent_difference_implIS3_Lb1ELb0EPdSB_N6thrust23THRUST_200600_302600_NS5minusIdEEEE10hipError_tPvRmT2_T3_mT4_P12ihipStream_tbEUlmE_dEESB_NS0_8identityIvEEEESG_SJ_SK_mSL_SN_bEUlT_E_NS1_11comp_targetILNS1_3genE10ELNS1_11target_archE1200ELNS1_3gpuE4ELNS1_3repE0EEENS1_30default_config_static_selectorELNS0_4arch9wavefront6targetE1EEEvT1_.numbered_sgpr, 0
	.set _ZN7rocprim17ROCPRIM_400000_NS6detail17trampoline_kernelINS0_14default_configENS1_25transform_config_selectorIdLb0EEEZNS1_14transform_implILb0ES3_S5_NS0_18transform_iteratorINS0_17counting_iteratorImlEEZNS1_24adjacent_difference_implIS3_Lb1ELb0EPdSB_N6thrust23THRUST_200600_302600_NS5minusIdEEEE10hipError_tPvRmT2_T3_mT4_P12ihipStream_tbEUlmE_dEESB_NS0_8identityIvEEEESG_SJ_SK_mSL_SN_bEUlT_E_NS1_11comp_targetILNS1_3genE10ELNS1_11target_archE1200ELNS1_3gpuE4ELNS1_3repE0EEENS1_30default_config_static_selectorELNS0_4arch9wavefront6targetE1EEEvT1_.num_named_barrier, 0
	.set _ZN7rocprim17ROCPRIM_400000_NS6detail17trampoline_kernelINS0_14default_configENS1_25transform_config_selectorIdLb0EEEZNS1_14transform_implILb0ES3_S5_NS0_18transform_iteratorINS0_17counting_iteratorImlEEZNS1_24adjacent_difference_implIS3_Lb1ELb0EPdSB_N6thrust23THRUST_200600_302600_NS5minusIdEEEE10hipError_tPvRmT2_T3_mT4_P12ihipStream_tbEUlmE_dEESB_NS0_8identityIvEEEESG_SJ_SK_mSL_SN_bEUlT_E_NS1_11comp_targetILNS1_3genE10ELNS1_11target_archE1200ELNS1_3gpuE4ELNS1_3repE0EEENS1_30default_config_static_selectorELNS0_4arch9wavefront6targetE1EEEvT1_.private_seg_size, 0
	.set _ZN7rocprim17ROCPRIM_400000_NS6detail17trampoline_kernelINS0_14default_configENS1_25transform_config_selectorIdLb0EEEZNS1_14transform_implILb0ES3_S5_NS0_18transform_iteratorINS0_17counting_iteratorImlEEZNS1_24adjacent_difference_implIS3_Lb1ELb0EPdSB_N6thrust23THRUST_200600_302600_NS5minusIdEEEE10hipError_tPvRmT2_T3_mT4_P12ihipStream_tbEUlmE_dEESB_NS0_8identityIvEEEESG_SJ_SK_mSL_SN_bEUlT_E_NS1_11comp_targetILNS1_3genE10ELNS1_11target_archE1200ELNS1_3gpuE4ELNS1_3repE0EEENS1_30default_config_static_selectorELNS0_4arch9wavefront6targetE1EEEvT1_.uses_vcc, 0
	.set _ZN7rocprim17ROCPRIM_400000_NS6detail17trampoline_kernelINS0_14default_configENS1_25transform_config_selectorIdLb0EEEZNS1_14transform_implILb0ES3_S5_NS0_18transform_iteratorINS0_17counting_iteratorImlEEZNS1_24adjacent_difference_implIS3_Lb1ELb0EPdSB_N6thrust23THRUST_200600_302600_NS5minusIdEEEE10hipError_tPvRmT2_T3_mT4_P12ihipStream_tbEUlmE_dEESB_NS0_8identityIvEEEESG_SJ_SK_mSL_SN_bEUlT_E_NS1_11comp_targetILNS1_3genE10ELNS1_11target_archE1200ELNS1_3gpuE4ELNS1_3repE0EEENS1_30default_config_static_selectorELNS0_4arch9wavefront6targetE1EEEvT1_.uses_flat_scratch, 0
	.set _ZN7rocprim17ROCPRIM_400000_NS6detail17trampoline_kernelINS0_14default_configENS1_25transform_config_selectorIdLb0EEEZNS1_14transform_implILb0ES3_S5_NS0_18transform_iteratorINS0_17counting_iteratorImlEEZNS1_24adjacent_difference_implIS3_Lb1ELb0EPdSB_N6thrust23THRUST_200600_302600_NS5minusIdEEEE10hipError_tPvRmT2_T3_mT4_P12ihipStream_tbEUlmE_dEESB_NS0_8identityIvEEEESG_SJ_SK_mSL_SN_bEUlT_E_NS1_11comp_targetILNS1_3genE10ELNS1_11target_archE1200ELNS1_3gpuE4ELNS1_3repE0EEENS1_30default_config_static_selectorELNS0_4arch9wavefront6targetE1EEEvT1_.has_dyn_sized_stack, 0
	.set _ZN7rocprim17ROCPRIM_400000_NS6detail17trampoline_kernelINS0_14default_configENS1_25transform_config_selectorIdLb0EEEZNS1_14transform_implILb0ES3_S5_NS0_18transform_iteratorINS0_17counting_iteratorImlEEZNS1_24adjacent_difference_implIS3_Lb1ELb0EPdSB_N6thrust23THRUST_200600_302600_NS5minusIdEEEE10hipError_tPvRmT2_T3_mT4_P12ihipStream_tbEUlmE_dEESB_NS0_8identityIvEEEESG_SJ_SK_mSL_SN_bEUlT_E_NS1_11comp_targetILNS1_3genE10ELNS1_11target_archE1200ELNS1_3gpuE4ELNS1_3repE0EEENS1_30default_config_static_selectorELNS0_4arch9wavefront6targetE1EEEvT1_.has_recursion, 0
	.set _ZN7rocprim17ROCPRIM_400000_NS6detail17trampoline_kernelINS0_14default_configENS1_25transform_config_selectorIdLb0EEEZNS1_14transform_implILb0ES3_S5_NS0_18transform_iteratorINS0_17counting_iteratorImlEEZNS1_24adjacent_difference_implIS3_Lb1ELb0EPdSB_N6thrust23THRUST_200600_302600_NS5minusIdEEEE10hipError_tPvRmT2_T3_mT4_P12ihipStream_tbEUlmE_dEESB_NS0_8identityIvEEEESG_SJ_SK_mSL_SN_bEUlT_E_NS1_11comp_targetILNS1_3genE10ELNS1_11target_archE1200ELNS1_3gpuE4ELNS1_3repE0EEENS1_30default_config_static_selectorELNS0_4arch9wavefront6targetE1EEEvT1_.has_indirect_call, 0
	.section	.AMDGPU.csdata,"",@progbits
; Kernel info:
; codeLenInByte = 0
; TotalNumSgprs: 4
; NumVgprs: 0
; ScratchSize: 0
; MemoryBound: 0
; FloatMode: 240
; IeeeMode: 1
; LDSByteSize: 0 bytes/workgroup (compile time only)
; SGPRBlocks: 0
; VGPRBlocks: 0
; NumSGPRsForWavesPerEU: 4
; NumVGPRsForWavesPerEU: 1
; Occupancy: 10
; WaveLimiterHint : 0
; COMPUTE_PGM_RSRC2:SCRATCH_EN: 0
; COMPUTE_PGM_RSRC2:USER_SGPR: 6
; COMPUTE_PGM_RSRC2:TRAP_HANDLER: 0
; COMPUTE_PGM_RSRC2:TGID_X_EN: 1
; COMPUTE_PGM_RSRC2:TGID_Y_EN: 0
; COMPUTE_PGM_RSRC2:TGID_Z_EN: 0
; COMPUTE_PGM_RSRC2:TIDIG_COMP_CNT: 0
	.section	.text._ZN7rocprim17ROCPRIM_400000_NS6detail17trampoline_kernelINS0_14default_configENS1_25transform_config_selectorIdLb0EEEZNS1_14transform_implILb0ES3_S5_NS0_18transform_iteratorINS0_17counting_iteratorImlEEZNS1_24adjacent_difference_implIS3_Lb1ELb0EPdSB_N6thrust23THRUST_200600_302600_NS5minusIdEEEE10hipError_tPvRmT2_T3_mT4_P12ihipStream_tbEUlmE_dEESB_NS0_8identityIvEEEESG_SJ_SK_mSL_SN_bEUlT_E_NS1_11comp_targetILNS1_3genE9ELNS1_11target_archE1100ELNS1_3gpuE3ELNS1_3repE0EEENS1_30default_config_static_selectorELNS0_4arch9wavefront6targetE1EEEvT1_,"axG",@progbits,_ZN7rocprim17ROCPRIM_400000_NS6detail17trampoline_kernelINS0_14default_configENS1_25transform_config_selectorIdLb0EEEZNS1_14transform_implILb0ES3_S5_NS0_18transform_iteratorINS0_17counting_iteratorImlEEZNS1_24adjacent_difference_implIS3_Lb1ELb0EPdSB_N6thrust23THRUST_200600_302600_NS5minusIdEEEE10hipError_tPvRmT2_T3_mT4_P12ihipStream_tbEUlmE_dEESB_NS0_8identityIvEEEESG_SJ_SK_mSL_SN_bEUlT_E_NS1_11comp_targetILNS1_3genE9ELNS1_11target_archE1100ELNS1_3gpuE3ELNS1_3repE0EEENS1_30default_config_static_selectorELNS0_4arch9wavefront6targetE1EEEvT1_,comdat
	.protected	_ZN7rocprim17ROCPRIM_400000_NS6detail17trampoline_kernelINS0_14default_configENS1_25transform_config_selectorIdLb0EEEZNS1_14transform_implILb0ES3_S5_NS0_18transform_iteratorINS0_17counting_iteratorImlEEZNS1_24adjacent_difference_implIS3_Lb1ELb0EPdSB_N6thrust23THRUST_200600_302600_NS5minusIdEEEE10hipError_tPvRmT2_T3_mT4_P12ihipStream_tbEUlmE_dEESB_NS0_8identityIvEEEESG_SJ_SK_mSL_SN_bEUlT_E_NS1_11comp_targetILNS1_3genE9ELNS1_11target_archE1100ELNS1_3gpuE3ELNS1_3repE0EEENS1_30default_config_static_selectorELNS0_4arch9wavefront6targetE1EEEvT1_ ; -- Begin function _ZN7rocprim17ROCPRIM_400000_NS6detail17trampoline_kernelINS0_14default_configENS1_25transform_config_selectorIdLb0EEEZNS1_14transform_implILb0ES3_S5_NS0_18transform_iteratorINS0_17counting_iteratorImlEEZNS1_24adjacent_difference_implIS3_Lb1ELb0EPdSB_N6thrust23THRUST_200600_302600_NS5minusIdEEEE10hipError_tPvRmT2_T3_mT4_P12ihipStream_tbEUlmE_dEESB_NS0_8identityIvEEEESG_SJ_SK_mSL_SN_bEUlT_E_NS1_11comp_targetILNS1_3genE9ELNS1_11target_archE1100ELNS1_3gpuE3ELNS1_3repE0EEENS1_30default_config_static_selectorELNS0_4arch9wavefront6targetE1EEEvT1_
	.globl	_ZN7rocprim17ROCPRIM_400000_NS6detail17trampoline_kernelINS0_14default_configENS1_25transform_config_selectorIdLb0EEEZNS1_14transform_implILb0ES3_S5_NS0_18transform_iteratorINS0_17counting_iteratorImlEEZNS1_24adjacent_difference_implIS3_Lb1ELb0EPdSB_N6thrust23THRUST_200600_302600_NS5minusIdEEEE10hipError_tPvRmT2_T3_mT4_P12ihipStream_tbEUlmE_dEESB_NS0_8identityIvEEEESG_SJ_SK_mSL_SN_bEUlT_E_NS1_11comp_targetILNS1_3genE9ELNS1_11target_archE1100ELNS1_3gpuE3ELNS1_3repE0EEENS1_30default_config_static_selectorELNS0_4arch9wavefront6targetE1EEEvT1_
	.p2align	8
	.type	_ZN7rocprim17ROCPRIM_400000_NS6detail17trampoline_kernelINS0_14default_configENS1_25transform_config_selectorIdLb0EEEZNS1_14transform_implILb0ES3_S5_NS0_18transform_iteratorINS0_17counting_iteratorImlEEZNS1_24adjacent_difference_implIS3_Lb1ELb0EPdSB_N6thrust23THRUST_200600_302600_NS5minusIdEEEE10hipError_tPvRmT2_T3_mT4_P12ihipStream_tbEUlmE_dEESB_NS0_8identityIvEEEESG_SJ_SK_mSL_SN_bEUlT_E_NS1_11comp_targetILNS1_3genE9ELNS1_11target_archE1100ELNS1_3gpuE3ELNS1_3repE0EEENS1_30default_config_static_selectorELNS0_4arch9wavefront6targetE1EEEvT1_,@function
_ZN7rocprim17ROCPRIM_400000_NS6detail17trampoline_kernelINS0_14default_configENS1_25transform_config_selectorIdLb0EEEZNS1_14transform_implILb0ES3_S5_NS0_18transform_iteratorINS0_17counting_iteratorImlEEZNS1_24adjacent_difference_implIS3_Lb1ELb0EPdSB_N6thrust23THRUST_200600_302600_NS5minusIdEEEE10hipError_tPvRmT2_T3_mT4_P12ihipStream_tbEUlmE_dEESB_NS0_8identityIvEEEESG_SJ_SK_mSL_SN_bEUlT_E_NS1_11comp_targetILNS1_3genE9ELNS1_11target_archE1100ELNS1_3gpuE3ELNS1_3repE0EEENS1_30default_config_static_selectorELNS0_4arch9wavefront6targetE1EEEvT1_: ; @_ZN7rocprim17ROCPRIM_400000_NS6detail17trampoline_kernelINS0_14default_configENS1_25transform_config_selectorIdLb0EEEZNS1_14transform_implILb0ES3_S5_NS0_18transform_iteratorINS0_17counting_iteratorImlEEZNS1_24adjacent_difference_implIS3_Lb1ELb0EPdSB_N6thrust23THRUST_200600_302600_NS5minusIdEEEE10hipError_tPvRmT2_T3_mT4_P12ihipStream_tbEUlmE_dEESB_NS0_8identityIvEEEESG_SJ_SK_mSL_SN_bEUlT_E_NS1_11comp_targetILNS1_3genE9ELNS1_11target_archE1100ELNS1_3gpuE3ELNS1_3repE0EEENS1_30default_config_static_selectorELNS0_4arch9wavefront6targetE1EEEvT1_
; %bb.0:
	.section	.rodata,"a",@progbits
	.p2align	6, 0x0
	.amdhsa_kernel _ZN7rocprim17ROCPRIM_400000_NS6detail17trampoline_kernelINS0_14default_configENS1_25transform_config_selectorIdLb0EEEZNS1_14transform_implILb0ES3_S5_NS0_18transform_iteratorINS0_17counting_iteratorImlEEZNS1_24adjacent_difference_implIS3_Lb1ELb0EPdSB_N6thrust23THRUST_200600_302600_NS5minusIdEEEE10hipError_tPvRmT2_T3_mT4_P12ihipStream_tbEUlmE_dEESB_NS0_8identityIvEEEESG_SJ_SK_mSL_SN_bEUlT_E_NS1_11comp_targetILNS1_3genE9ELNS1_11target_archE1100ELNS1_3gpuE3ELNS1_3repE0EEENS1_30default_config_static_selectorELNS0_4arch9wavefront6targetE1EEEvT1_
		.amdhsa_group_segment_fixed_size 0
		.amdhsa_private_segment_fixed_size 0
		.amdhsa_kernarg_size 56
		.amdhsa_user_sgpr_count 6
		.amdhsa_user_sgpr_private_segment_buffer 1
		.amdhsa_user_sgpr_dispatch_ptr 0
		.amdhsa_user_sgpr_queue_ptr 0
		.amdhsa_user_sgpr_kernarg_segment_ptr 1
		.amdhsa_user_sgpr_dispatch_id 0
		.amdhsa_user_sgpr_flat_scratch_init 0
		.amdhsa_user_sgpr_private_segment_size 0
		.amdhsa_uses_dynamic_stack 0
		.amdhsa_system_sgpr_private_segment_wavefront_offset 0
		.amdhsa_system_sgpr_workgroup_id_x 1
		.amdhsa_system_sgpr_workgroup_id_y 0
		.amdhsa_system_sgpr_workgroup_id_z 0
		.amdhsa_system_sgpr_workgroup_info 0
		.amdhsa_system_vgpr_workitem_id 0
		.amdhsa_next_free_vgpr 1
		.amdhsa_next_free_sgpr 0
		.amdhsa_reserve_vcc 0
		.amdhsa_reserve_flat_scratch 0
		.amdhsa_float_round_mode_32 0
		.amdhsa_float_round_mode_16_64 0
		.amdhsa_float_denorm_mode_32 3
		.amdhsa_float_denorm_mode_16_64 3
		.amdhsa_dx10_clamp 1
		.amdhsa_ieee_mode 1
		.amdhsa_fp16_overflow 0
		.amdhsa_exception_fp_ieee_invalid_op 0
		.amdhsa_exception_fp_denorm_src 0
		.amdhsa_exception_fp_ieee_div_zero 0
		.amdhsa_exception_fp_ieee_overflow 0
		.amdhsa_exception_fp_ieee_underflow 0
		.amdhsa_exception_fp_ieee_inexact 0
		.amdhsa_exception_int_div_zero 0
	.end_amdhsa_kernel
	.section	.text._ZN7rocprim17ROCPRIM_400000_NS6detail17trampoline_kernelINS0_14default_configENS1_25transform_config_selectorIdLb0EEEZNS1_14transform_implILb0ES3_S5_NS0_18transform_iteratorINS0_17counting_iteratorImlEEZNS1_24adjacent_difference_implIS3_Lb1ELb0EPdSB_N6thrust23THRUST_200600_302600_NS5minusIdEEEE10hipError_tPvRmT2_T3_mT4_P12ihipStream_tbEUlmE_dEESB_NS0_8identityIvEEEESG_SJ_SK_mSL_SN_bEUlT_E_NS1_11comp_targetILNS1_3genE9ELNS1_11target_archE1100ELNS1_3gpuE3ELNS1_3repE0EEENS1_30default_config_static_selectorELNS0_4arch9wavefront6targetE1EEEvT1_,"axG",@progbits,_ZN7rocprim17ROCPRIM_400000_NS6detail17trampoline_kernelINS0_14default_configENS1_25transform_config_selectorIdLb0EEEZNS1_14transform_implILb0ES3_S5_NS0_18transform_iteratorINS0_17counting_iteratorImlEEZNS1_24adjacent_difference_implIS3_Lb1ELb0EPdSB_N6thrust23THRUST_200600_302600_NS5minusIdEEEE10hipError_tPvRmT2_T3_mT4_P12ihipStream_tbEUlmE_dEESB_NS0_8identityIvEEEESG_SJ_SK_mSL_SN_bEUlT_E_NS1_11comp_targetILNS1_3genE9ELNS1_11target_archE1100ELNS1_3gpuE3ELNS1_3repE0EEENS1_30default_config_static_selectorELNS0_4arch9wavefront6targetE1EEEvT1_,comdat
.Lfunc_end17:
	.size	_ZN7rocprim17ROCPRIM_400000_NS6detail17trampoline_kernelINS0_14default_configENS1_25transform_config_selectorIdLb0EEEZNS1_14transform_implILb0ES3_S5_NS0_18transform_iteratorINS0_17counting_iteratorImlEEZNS1_24adjacent_difference_implIS3_Lb1ELb0EPdSB_N6thrust23THRUST_200600_302600_NS5minusIdEEEE10hipError_tPvRmT2_T3_mT4_P12ihipStream_tbEUlmE_dEESB_NS0_8identityIvEEEESG_SJ_SK_mSL_SN_bEUlT_E_NS1_11comp_targetILNS1_3genE9ELNS1_11target_archE1100ELNS1_3gpuE3ELNS1_3repE0EEENS1_30default_config_static_selectorELNS0_4arch9wavefront6targetE1EEEvT1_, .Lfunc_end17-_ZN7rocprim17ROCPRIM_400000_NS6detail17trampoline_kernelINS0_14default_configENS1_25transform_config_selectorIdLb0EEEZNS1_14transform_implILb0ES3_S5_NS0_18transform_iteratorINS0_17counting_iteratorImlEEZNS1_24adjacent_difference_implIS3_Lb1ELb0EPdSB_N6thrust23THRUST_200600_302600_NS5minusIdEEEE10hipError_tPvRmT2_T3_mT4_P12ihipStream_tbEUlmE_dEESB_NS0_8identityIvEEEESG_SJ_SK_mSL_SN_bEUlT_E_NS1_11comp_targetILNS1_3genE9ELNS1_11target_archE1100ELNS1_3gpuE3ELNS1_3repE0EEENS1_30default_config_static_selectorELNS0_4arch9wavefront6targetE1EEEvT1_
                                        ; -- End function
	.set _ZN7rocprim17ROCPRIM_400000_NS6detail17trampoline_kernelINS0_14default_configENS1_25transform_config_selectorIdLb0EEEZNS1_14transform_implILb0ES3_S5_NS0_18transform_iteratorINS0_17counting_iteratorImlEEZNS1_24adjacent_difference_implIS3_Lb1ELb0EPdSB_N6thrust23THRUST_200600_302600_NS5minusIdEEEE10hipError_tPvRmT2_T3_mT4_P12ihipStream_tbEUlmE_dEESB_NS0_8identityIvEEEESG_SJ_SK_mSL_SN_bEUlT_E_NS1_11comp_targetILNS1_3genE9ELNS1_11target_archE1100ELNS1_3gpuE3ELNS1_3repE0EEENS1_30default_config_static_selectorELNS0_4arch9wavefront6targetE1EEEvT1_.num_vgpr, 0
	.set _ZN7rocprim17ROCPRIM_400000_NS6detail17trampoline_kernelINS0_14default_configENS1_25transform_config_selectorIdLb0EEEZNS1_14transform_implILb0ES3_S5_NS0_18transform_iteratorINS0_17counting_iteratorImlEEZNS1_24adjacent_difference_implIS3_Lb1ELb0EPdSB_N6thrust23THRUST_200600_302600_NS5minusIdEEEE10hipError_tPvRmT2_T3_mT4_P12ihipStream_tbEUlmE_dEESB_NS0_8identityIvEEEESG_SJ_SK_mSL_SN_bEUlT_E_NS1_11comp_targetILNS1_3genE9ELNS1_11target_archE1100ELNS1_3gpuE3ELNS1_3repE0EEENS1_30default_config_static_selectorELNS0_4arch9wavefront6targetE1EEEvT1_.num_agpr, 0
	.set _ZN7rocprim17ROCPRIM_400000_NS6detail17trampoline_kernelINS0_14default_configENS1_25transform_config_selectorIdLb0EEEZNS1_14transform_implILb0ES3_S5_NS0_18transform_iteratorINS0_17counting_iteratorImlEEZNS1_24adjacent_difference_implIS3_Lb1ELb0EPdSB_N6thrust23THRUST_200600_302600_NS5minusIdEEEE10hipError_tPvRmT2_T3_mT4_P12ihipStream_tbEUlmE_dEESB_NS0_8identityIvEEEESG_SJ_SK_mSL_SN_bEUlT_E_NS1_11comp_targetILNS1_3genE9ELNS1_11target_archE1100ELNS1_3gpuE3ELNS1_3repE0EEENS1_30default_config_static_selectorELNS0_4arch9wavefront6targetE1EEEvT1_.numbered_sgpr, 0
	.set _ZN7rocprim17ROCPRIM_400000_NS6detail17trampoline_kernelINS0_14default_configENS1_25transform_config_selectorIdLb0EEEZNS1_14transform_implILb0ES3_S5_NS0_18transform_iteratorINS0_17counting_iteratorImlEEZNS1_24adjacent_difference_implIS3_Lb1ELb0EPdSB_N6thrust23THRUST_200600_302600_NS5minusIdEEEE10hipError_tPvRmT2_T3_mT4_P12ihipStream_tbEUlmE_dEESB_NS0_8identityIvEEEESG_SJ_SK_mSL_SN_bEUlT_E_NS1_11comp_targetILNS1_3genE9ELNS1_11target_archE1100ELNS1_3gpuE3ELNS1_3repE0EEENS1_30default_config_static_selectorELNS0_4arch9wavefront6targetE1EEEvT1_.num_named_barrier, 0
	.set _ZN7rocprim17ROCPRIM_400000_NS6detail17trampoline_kernelINS0_14default_configENS1_25transform_config_selectorIdLb0EEEZNS1_14transform_implILb0ES3_S5_NS0_18transform_iteratorINS0_17counting_iteratorImlEEZNS1_24adjacent_difference_implIS3_Lb1ELb0EPdSB_N6thrust23THRUST_200600_302600_NS5minusIdEEEE10hipError_tPvRmT2_T3_mT4_P12ihipStream_tbEUlmE_dEESB_NS0_8identityIvEEEESG_SJ_SK_mSL_SN_bEUlT_E_NS1_11comp_targetILNS1_3genE9ELNS1_11target_archE1100ELNS1_3gpuE3ELNS1_3repE0EEENS1_30default_config_static_selectorELNS0_4arch9wavefront6targetE1EEEvT1_.private_seg_size, 0
	.set _ZN7rocprim17ROCPRIM_400000_NS6detail17trampoline_kernelINS0_14default_configENS1_25transform_config_selectorIdLb0EEEZNS1_14transform_implILb0ES3_S5_NS0_18transform_iteratorINS0_17counting_iteratorImlEEZNS1_24adjacent_difference_implIS3_Lb1ELb0EPdSB_N6thrust23THRUST_200600_302600_NS5minusIdEEEE10hipError_tPvRmT2_T3_mT4_P12ihipStream_tbEUlmE_dEESB_NS0_8identityIvEEEESG_SJ_SK_mSL_SN_bEUlT_E_NS1_11comp_targetILNS1_3genE9ELNS1_11target_archE1100ELNS1_3gpuE3ELNS1_3repE0EEENS1_30default_config_static_selectorELNS0_4arch9wavefront6targetE1EEEvT1_.uses_vcc, 0
	.set _ZN7rocprim17ROCPRIM_400000_NS6detail17trampoline_kernelINS0_14default_configENS1_25transform_config_selectorIdLb0EEEZNS1_14transform_implILb0ES3_S5_NS0_18transform_iteratorINS0_17counting_iteratorImlEEZNS1_24adjacent_difference_implIS3_Lb1ELb0EPdSB_N6thrust23THRUST_200600_302600_NS5minusIdEEEE10hipError_tPvRmT2_T3_mT4_P12ihipStream_tbEUlmE_dEESB_NS0_8identityIvEEEESG_SJ_SK_mSL_SN_bEUlT_E_NS1_11comp_targetILNS1_3genE9ELNS1_11target_archE1100ELNS1_3gpuE3ELNS1_3repE0EEENS1_30default_config_static_selectorELNS0_4arch9wavefront6targetE1EEEvT1_.uses_flat_scratch, 0
	.set _ZN7rocprim17ROCPRIM_400000_NS6detail17trampoline_kernelINS0_14default_configENS1_25transform_config_selectorIdLb0EEEZNS1_14transform_implILb0ES3_S5_NS0_18transform_iteratorINS0_17counting_iteratorImlEEZNS1_24adjacent_difference_implIS3_Lb1ELb0EPdSB_N6thrust23THRUST_200600_302600_NS5minusIdEEEE10hipError_tPvRmT2_T3_mT4_P12ihipStream_tbEUlmE_dEESB_NS0_8identityIvEEEESG_SJ_SK_mSL_SN_bEUlT_E_NS1_11comp_targetILNS1_3genE9ELNS1_11target_archE1100ELNS1_3gpuE3ELNS1_3repE0EEENS1_30default_config_static_selectorELNS0_4arch9wavefront6targetE1EEEvT1_.has_dyn_sized_stack, 0
	.set _ZN7rocprim17ROCPRIM_400000_NS6detail17trampoline_kernelINS0_14default_configENS1_25transform_config_selectorIdLb0EEEZNS1_14transform_implILb0ES3_S5_NS0_18transform_iteratorINS0_17counting_iteratorImlEEZNS1_24adjacent_difference_implIS3_Lb1ELb0EPdSB_N6thrust23THRUST_200600_302600_NS5minusIdEEEE10hipError_tPvRmT2_T3_mT4_P12ihipStream_tbEUlmE_dEESB_NS0_8identityIvEEEESG_SJ_SK_mSL_SN_bEUlT_E_NS1_11comp_targetILNS1_3genE9ELNS1_11target_archE1100ELNS1_3gpuE3ELNS1_3repE0EEENS1_30default_config_static_selectorELNS0_4arch9wavefront6targetE1EEEvT1_.has_recursion, 0
	.set _ZN7rocprim17ROCPRIM_400000_NS6detail17trampoline_kernelINS0_14default_configENS1_25transform_config_selectorIdLb0EEEZNS1_14transform_implILb0ES3_S5_NS0_18transform_iteratorINS0_17counting_iteratorImlEEZNS1_24adjacent_difference_implIS3_Lb1ELb0EPdSB_N6thrust23THRUST_200600_302600_NS5minusIdEEEE10hipError_tPvRmT2_T3_mT4_P12ihipStream_tbEUlmE_dEESB_NS0_8identityIvEEEESG_SJ_SK_mSL_SN_bEUlT_E_NS1_11comp_targetILNS1_3genE9ELNS1_11target_archE1100ELNS1_3gpuE3ELNS1_3repE0EEENS1_30default_config_static_selectorELNS0_4arch9wavefront6targetE1EEEvT1_.has_indirect_call, 0
	.section	.AMDGPU.csdata,"",@progbits
; Kernel info:
; codeLenInByte = 0
; TotalNumSgprs: 4
; NumVgprs: 0
; ScratchSize: 0
; MemoryBound: 0
; FloatMode: 240
; IeeeMode: 1
; LDSByteSize: 0 bytes/workgroup (compile time only)
; SGPRBlocks: 0
; VGPRBlocks: 0
; NumSGPRsForWavesPerEU: 4
; NumVGPRsForWavesPerEU: 1
; Occupancy: 10
; WaveLimiterHint : 0
; COMPUTE_PGM_RSRC2:SCRATCH_EN: 0
; COMPUTE_PGM_RSRC2:USER_SGPR: 6
; COMPUTE_PGM_RSRC2:TRAP_HANDLER: 0
; COMPUTE_PGM_RSRC2:TGID_X_EN: 1
; COMPUTE_PGM_RSRC2:TGID_Y_EN: 0
; COMPUTE_PGM_RSRC2:TGID_Z_EN: 0
; COMPUTE_PGM_RSRC2:TIDIG_COMP_CNT: 0
	.section	.text._ZN7rocprim17ROCPRIM_400000_NS6detail17trampoline_kernelINS0_14default_configENS1_25transform_config_selectorIdLb0EEEZNS1_14transform_implILb0ES3_S5_NS0_18transform_iteratorINS0_17counting_iteratorImlEEZNS1_24adjacent_difference_implIS3_Lb1ELb0EPdSB_N6thrust23THRUST_200600_302600_NS5minusIdEEEE10hipError_tPvRmT2_T3_mT4_P12ihipStream_tbEUlmE_dEESB_NS0_8identityIvEEEESG_SJ_SK_mSL_SN_bEUlT_E_NS1_11comp_targetILNS1_3genE8ELNS1_11target_archE1030ELNS1_3gpuE2ELNS1_3repE0EEENS1_30default_config_static_selectorELNS0_4arch9wavefront6targetE1EEEvT1_,"axG",@progbits,_ZN7rocprim17ROCPRIM_400000_NS6detail17trampoline_kernelINS0_14default_configENS1_25transform_config_selectorIdLb0EEEZNS1_14transform_implILb0ES3_S5_NS0_18transform_iteratorINS0_17counting_iteratorImlEEZNS1_24adjacent_difference_implIS3_Lb1ELb0EPdSB_N6thrust23THRUST_200600_302600_NS5minusIdEEEE10hipError_tPvRmT2_T3_mT4_P12ihipStream_tbEUlmE_dEESB_NS0_8identityIvEEEESG_SJ_SK_mSL_SN_bEUlT_E_NS1_11comp_targetILNS1_3genE8ELNS1_11target_archE1030ELNS1_3gpuE2ELNS1_3repE0EEENS1_30default_config_static_selectorELNS0_4arch9wavefront6targetE1EEEvT1_,comdat
	.protected	_ZN7rocprim17ROCPRIM_400000_NS6detail17trampoline_kernelINS0_14default_configENS1_25transform_config_selectorIdLb0EEEZNS1_14transform_implILb0ES3_S5_NS0_18transform_iteratorINS0_17counting_iteratorImlEEZNS1_24adjacent_difference_implIS3_Lb1ELb0EPdSB_N6thrust23THRUST_200600_302600_NS5minusIdEEEE10hipError_tPvRmT2_T3_mT4_P12ihipStream_tbEUlmE_dEESB_NS0_8identityIvEEEESG_SJ_SK_mSL_SN_bEUlT_E_NS1_11comp_targetILNS1_3genE8ELNS1_11target_archE1030ELNS1_3gpuE2ELNS1_3repE0EEENS1_30default_config_static_selectorELNS0_4arch9wavefront6targetE1EEEvT1_ ; -- Begin function _ZN7rocprim17ROCPRIM_400000_NS6detail17trampoline_kernelINS0_14default_configENS1_25transform_config_selectorIdLb0EEEZNS1_14transform_implILb0ES3_S5_NS0_18transform_iteratorINS0_17counting_iteratorImlEEZNS1_24adjacent_difference_implIS3_Lb1ELb0EPdSB_N6thrust23THRUST_200600_302600_NS5minusIdEEEE10hipError_tPvRmT2_T3_mT4_P12ihipStream_tbEUlmE_dEESB_NS0_8identityIvEEEESG_SJ_SK_mSL_SN_bEUlT_E_NS1_11comp_targetILNS1_3genE8ELNS1_11target_archE1030ELNS1_3gpuE2ELNS1_3repE0EEENS1_30default_config_static_selectorELNS0_4arch9wavefront6targetE1EEEvT1_
	.globl	_ZN7rocprim17ROCPRIM_400000_NS6detail17trampoline_kernelINS0_14default_configENS1_25transform_config_selectorIdLb0EEEZNS1_14transform_implILb0ES3_S5_NS0_18transform_iteratorINS0_17counting_iteratorImlEEZNS1_24adjacent_difference_implIS3_Lb1ELb0EPdSB_N6thrust23THRUST_200600_302600_NS5minusIdEEEE10hipError_tPvRmT2_T3_mT4_P12ihipStream_tbEUlmE_dEESB_NS0_8identityIvEEEESG_SJ_SK_mSL_SN_bEUlT_E_NS1_11comp_targetILNS1_3genE8ELNS1_11target_archE1030ELNS1_3gpuE2ELNS1_3repE0EEENS1_30default_config_static_selectorELNS0_4arch9wavefront6targetE1EEEvT1_
	.p2align	8
	.type	_ZN7rocprim17ROCPRIM_400000_NS6detail17trampoline_kernelINS0_14default_configENS1_25transform_config_selectorIdLb0EEEZNS1_14transform_implILb0ES3_S5_NS0_18transform_iteratorINS0_17counting_iteratorImlEEZNS1_24adjacent_difference_implIS3_Lb1ELb0EPdSB_N6thrust23THRUST_200600_302600_NS5minusIdEEEE10hipError_tPvRmT2_T3_mT4_P12ihipStream_tbEUlmE_dEESB_NS0_8identityIvEEEESG_SJ_SK_mSL_SN_bEUlT_E_NS1_11comp_targetILNS1_3genE8ELNS1_11target_archE1030ELNS1_3gpuE2ELNS1_3repE0EEENS1_30default_config_static_selectorELNS0_4arch9wavefront6targetE1EEEvT1_,@function
_ZN7rocprim17ROCPRIM_400000_NS6detail17trampoline_kernelINS0_14default_configENS1_25transform_config_selectorIdLb0EEEZNS1_14transform_implILb0ES3_S5_NS0_18transform_iteratorINS0_17counting_iteratorImlEEZNS1_24adjacent_difference_implIS3_Lb1ELb0EPdSB_N6thrust23THRUST_200600_302600_NS5minusIdEEEE10hipError_tPvRmT2_T3_mT4_P12ihipStream_tbEUlmE_dEESB_NS0_8identityIvEEEESG_SJ_SK_mSL_SN_bEUlT_E_NS1_11comp_targetILNS1_3genE8ELNS1_11target_archE1030ELNS1_3gpuE2ELNS1_3repE0EEENS1_30default_config_static_selectorELNS0_4arch9wavefront6targetE1EEEvT1_: ; @_ZN7rocprim17ROCPRIM_400000_NS6detail17trampoline_kernelINS0_14default_configENS1_25transform_config_selectorIdLb0EEEZNS1_14transform_implILb0ES3_S5_NS0_18transform_iteratorINS0_17counting_iteratorImlEEZNS1_24adjacent_difference_implIS3_Lb1ELb0EPdSB_N6thrust23THRUST_200600_302600_NS5minusIdEEEE10hipError_tPvRmT2_T3_mT4_P12ihipStream_tbEUlmE_dEESB_NS0_8identityIvEEEESG_SJ_SK_mSL_SN_bEUlT_E_NS1_11comp_targetILNS1_3genE8ELNS1_11target_archE1030ELNS1_3gpuE2ELNS1_3repE0EEENS1_30default_config_static_selectorELNS0_4arch9wavefront6targetE1EEEvT1_
; %bb.0:
	.section	.rodata,"a",@progbits
	.p2align	6, 0x0
	.amdhsa_kernel _ZN7rocprim17ROCPRIM_400000_NS6detail17trampoline_kernelINS0_14default_configENS1_25transform_config_selectorIdLb0EEEZNS1_14transform_implILb0ES3_S5_NS0_18transform_iteratorINS0_17counting_iteratorImlEEZNS1_24adjacent_difference_implIS3_Lb1ELb0EPdSB_N6thrust23THRUST_200600_302600_NS5minusIdEEEE10hipError_tPvRmT2_T3_mT4_P12ihipStream_tbEUlmE_dEESB_NS0_8identityIvEEEESG_SJ_SK_mSL_SN_bEUlT_E_NS1_11comp_targetILNS1_3genE8ELNS1_11target_archE1030ELNS1_3gpuE2ELNS1_3repE0EEENS1_30default_config_static_selectorELNS0_4arch9wavefront6targetE1EEEvT1_
		.amdhsa_group_segment_fixed_size 0
		.amdhsa_private_segment_fixed_size 0
		.amdhsa_kernarg_size 56
		.amdhsa_user_sgpr_count 6
		.amdhsa_user_sgpr_private_segment_buffer 1
		.amdhsa_user_sgpr_dispatch_ptr 0
		.amdhsa_user_sgpr_queue_ptr 0
		.amdhsa_user_sgpr_kernarg_segment_ptr 1
		.amdhsa_user_sgpr_dispatch_id 0
		.amdhsa_user_sgpr_flat_scratch_init 0
		.amdhsa_user_sgpr_private_segment_size 0
		.amdhsa_uses_dynamic_stack 0
		.amdhsa_system_sgpr_private_segment_wavefront_offset 0
		.amdhsa_system_sgpr_workgroup_id_x 1
		.amdhsa_system_sgpr_workgroup_id_y 0
		.amdhsa_system_sgpr_workgroup_id_z 0
		.amdhsa_system_sgpr_workgroup_info 0
		.amdhsa_system_vgpr_workitem_id 0
		.amdhsa_next_free_vgpr 1
		.amdhsa_next_free_sgpr 0
		.amdhsa_reserve_vcc 0
		.amdhsa_reserve_flat_scratch 0
		.amdhsa_float_round_mode_32 0
		.amdhsa_float_round_mode_16_64 0
		.amdhsa_float_denorm_mode_32 3
		.amdhsa_float_denorm_mode_16_64 3
		.amdhsa_dx10_clamp 1
		.amdhsa_ieee_mode 1
		.amdhsa_fp16_overflow 0
		.amdhsa_exception_fp_ieee_invalid_op 0
		.amdhsa_exception_fp_denorm_src 0
		.amdhsa_exception_fp_ieee_div_zero 0
		.amdhsa_exception_fp_ieee_overflow 0
		.amdhsa_exception_fp_ieee_underflow 0
		.amdhsa_exception_fp_ieee_inexact 0
		.amdhsa_exception_int_div_zero 0
	.end_amdhsa_kernel
	.section	.text._ZN7rocprim17ROCPRIM_400000_NS6detail17trampoline_kernelINS0_14default_configENS1_25transform_config_selectorIdLb0EEEZNS1_14transform_implILb0ES3_S5_NS0_18transform_iteratorINS0_17counting_iteratorImlEEZNS1_24adjacent_difference_implIS3_Lb1ELb0EPdSB_N6thrust23THRUST_200600_302600_NS5minusIdEEEE10hipError_tPvRmT2_T3_mT4_P12ihipStream_tbEUlmE_dEESB_NS0_8identityIvEEEESG_SJ_SK_mSL_SN_bEUlT_E_NS1_11comp_targetILNS1_3genE8ELNS1_11target_archE1030ELNS1_3gpuE2ELNS1_3repE0EEENS1_30default_config_static_selectorELNS0_4arch9wavefront6targetE1EEEvT1_,"axG",@progbits,_ZN7rocprim17ROCPRIM_400000_NS6detail17trampoline_kernelINS0_14default_configENS1_25transform_config_selectorIdLb0EEEZNS1_14transform_implILb0ES3_S5_NS0_18transform_iteratorINS0_17counting_iteratorImlEEZNS1_24adjacent_difference_implIS3_Lb1ELb0EPdSB_N6thrust23THRUST_200600_302600_NS5minusIdEEEE10hipError_tPvRmT2_T3_mT4_P12ihipStream_tbEUlmE_dEESB_NS0_8identityIvEEEESG_SJ_SK_mSL_SN_bEUlT_E_NS1_11comp_targetILNS1_3genE8ELNS1_11target_archE1030ELNS1_3gpuE2ELNS1_3repE0EEENS1_30default_config_static_selectorELNS0_4arch9wavefront6targetE1EEEvT1_,comdat
.Lfunc_end18:
	.size	_ZN7rocprim17ROCPRIM_400000_NS6detail17trampoline_kernelINS0_14default_configENS1_25transform_config_selectorIdLb0EEEZNS1_14transform_implILb0ES3_S5_NS0_18transform_iteratorINS0_17counting_iteratorImlEEZNS1_24adjacent_difference_implIS3_Lb1ELb0EPdSB_N6thrust23THRUST_200600_302600_NS5minusIdEEEE10hipError_tPvRmT2_T3_mT4_P12ihipStream_tbEUlmE_dEESB_NS0_8identityIvEEEESG_SJ_SK_mSL_SN_bEUlT_E_NS1_11comp_targetILNS1_3genE8ELNS1_11target_archE1030ELNS1_3gpuE2ELNS1_3repE0EEENS1_30default_config_static_selectorELNS0_4arch9wavefront6targetE1EEEvT1_, .Lfunc_end18-_ZN7rocprim17ROCPRIM_400000_NS6detail17trampoline_kernelINS0_14default_configENS1_25transform_config_selectorIdLb0EEEZNS1_14transform_implILb0ES3_S5_NS0_18transform_iteratorINS0_17counting_iteratorImlEEZNS1_24adjacent_difference_implIS3_Lb1ELb0EPdSB_N6thrust23THRUST_200600_302600_NS5minusIdEEEE10hipError_tPvRmT2_T3_mT4_P12ihipStream_tbEUlmE_dEESB_NS0_8identityIvEEEESG_SJ_SK_mSL_SN_bEUlT_E_NS1_11comp_targetILNS1_3genE8ELNS1_11target_archE1030ELNS1_3gpuE2ELNS1_3repE0EEENS1_30default_config_static_selectorELNS0_4arch9wavefront6targetE1EEEvT1_
                                        ; -- End function
	.set _ZN7rocprim17ROCPRIM_400000_NS6detail17trampoline_kernelINS0_14default_configENS1_25transform_config_selectorIdLb0EEEZNS1_14transform_implILb0ES3_S5_NS0_18transform_iteratorINS0_17counting_iteratorImlEEZNS1_24adjacent_difference_implIS3_Lb1ELb0EPdSB_N6thrust23THRUST_200600_302600_NS5minusIdEEEE10hipError_tPvRmT2_T3_mT4_P12ihipStream_tbEUlmE_dEESB_NS0_8identityIvEEEESG_SJ_SK_mSL_SN_bEUlT_E_NS1_11comp_targetILNS1_3genE8ELNS1_11target_archE1030ELNS1_3gpuE2ELNS1_3repE0EEENS1_30default_config_static_selectorELNS0_4arch9wavefront6targetE1EEEvT1_.num_vgpr, 0
	.set _ZN7rocprim17ROCPRIM_400000_NS6detail17trampoline_kernelINS0_14default_configENS1_25transform_config_selectorIdLb0EEEZNS1_14transform_implILb0ES3_S5_NS0_18transform_iteratorINS0_17counting_iteratorImlEEZNS1_24adjacent_difference_implIS3_Lb1ELb0EPdSB_N6thrust23THRUST_200600_302600_NS5minusIdEEEE10hipError_tPvRmT2_T3_mT4_P12ihipStream_tbEUlmE_dEESB_NS0_8identityIvEEEESG_SJ_SK_mSL_SN_bEUlT_E_NS1_11comp_targetILNS1_3genE8ELNS1_11target_archE1030ELNS1_3gpuE2ELNS1_3repE0EEENS1_30default_config_static_selectorELNS0_4arch9wavefront6targetE1EEEvT1_.num_agpr, 0
	.set _ZN7rocprim17ROCPRIM_400000_NS6detail17trampoline_kernelINS0_14default_configENS1_25transform_config_selectorIdLb0EEEZNS1_14transform_implILb0ES3_S5_NS0_18transform_iteratorINS0_17counting_iteratorImlEEZNS1_24adjacent_difference_implIS3_Lb1ELb0EPdSB_N6thrust23THRUST_200600_302600_NS5minusIdEEEE10hipError_tPvRmT2_T3_mT4_P12ihipStream_tbEUlmE_dEESB_NS0_8identityIvEEEESG_SJ_SK_mSL_SN_bEUlT_E_NS1_11comp_targetILNS1_3genE8ELNS1_11target_archE1030ELNS1_3gpuE2ELNS1_3repE0EEENS1_30default_config_static_selectorELNS0_4arch9wavefront6targetE1EEEvT1_.numbered_sgpr, 0
	.set _ZN7rocprim17ROCPRIM_400000_NS6detail17trampoline_kernelINS0_14default_configENS1_25transform_config_selectorIdLb0EEEZNS1_14transform_implILb0ES3_S5_NS0_18transform_iteratorINS0_17counting_iteratorImlEEZNS1_24adjacent_difference_implIS3_Lb1ELb0EPdSB_N6thrust23THRUST_200600_302600_NS5minusIdEEEE10hipError_tPvRmT2_T3_mT4_P12ihipStream_tbEUlmE_dEESB_NS0_8identityIvEEEESG_SJ_SK_mSL_SN_bEUlT_E_NS1_11comp_targetILNS1_3genE8ELNS1_11target_archE1030ELNS1_3gpuE2ELNS1_3repE0EEENS1_30default_config_static_selectorELNS0_4arch9wavefront6targetE1EEEvT1_.num_named_barrier, 0
	.set _ZN7rocprim17ROCPRIM_400000_NS6detail17trampoline_kernelINS0_14default_configENS1_25transform_config_selectorIdLb0EEEZNS1_14transform_implILb0ES3_S5_NS0_18transform_iteratorINS0_17counting_iteratorImlEEZNS1_24adjacent_difference_implIS3_Lb1ELb0EPdSB_N6thrust23THRUST_200600_302600_NS5minusIdEEEE10hipError_tPvRmT2_T3_mT4_P12ihipStream_tbEUlmE_dEESB_NS0_8identityIvEEEESG_SJ_SK_mSL_SN_bEUlT_E_NS1_11comp_targetILNS1_3genE8ELNS1_11target_archE1030ELNS1_3gpuE2ELNS1_3repE0EEENS1_30default_config_static_selectorELNS0_4arch9wavefront6targetE1EEEvT1_.private_seg_size, 0
	.set _ZN7rocprim17ROCPRIM_400000_NS6detail17trampoline_kernelINS0_14default_configENS1_25transform_config_selectorIdLb0EEEZNS1_14transform_implILb0ES3_S5_NS0_18transform_iteratorINS0_17counting_iteratorImlEEZNS1_24adjacent_difference_implIS3_Lb1ELb0EPdSB_N6thrust23THRUST_200600_302600_NS5minusIdEEEE10hipError_tPvRmT2_T3_mT4_P12ihipStream_tbEUlmE_dEESB_NS0_8identityIvEEEESG_SJ_SK_mSL_SN_bEUlT_E_NS1_11comp_targetILNS1_3genE8ELNS1_11target_archE1030ELNS1_3gpuE2ELNS1_3repE0EEENS1_30default_config_static_selectorELNS0_4arch9wavefront6targetE1EEEvT1_.uses_vcc, 0
	.set _ZN7rocprim17ROCPRIM_400000_NS6detail17trampoline_kernelINS0_14default_configENS1_25transform_config_selectorIdLb0EEEZNS1_14transform_implILb0ES3_S5_NS0_18transform_iteratorINS0_17counting_iteratorImlEEZNS1_24adjacent_difference_implIS3_Lb1ELb0EPdSB_N6thrust23THRUST_200600_302600_NS5minusIdEEEE10hipError_tPvRmT2_T3_mT4_P12ihipStream_tbEUlmE_dEESB_NS0_8identityIvEEEESG_SJ_SK_mSL_SN_bEUlT_E_NS1_11comp_targetILNS1_3genE8ELNS1_11target_archE1030ELNS1_3gpuE2ELNS1_3repE0EEENS1_30default_config_static_selectorELNS0_4arch9wavefront6targetE1EEEvT1_.uses_flat_scratch, 0
	.set _ZN7rocprim17ROCPRIM_400000_NS6detail17trampoline_kernelINS0_14default_configENS1_25transform_config_selectorIdLb0EEEZNS1_14transform_implILb0ES3_S5_NS0_18transform_iteratorINS0_17counting_iteratorImlEEZNS1_24adjacent_difference_implIS3_Lb1ELb0EPdSB_N6thrust23THRUST_200600_302600_NS5minusIdEEEE10hipError_tPvRmT2_T3_mT4_P12ihipStream_tbEUlmE_dEESB_NS0_8identityIvEEEESG_SJ_SK_mSL_SN_bEUlT_E_NS1_11comp_targetILNS1_3genE8ELNS1_11target_archE1030ELNS1_3gpuE2ELNS1_3repE0EEENS1_30default_config_static_selectorELNS0_4arch9wavefront6targetE1EEEvT1_.has_dyn_sized_stack, 0
	.set _ZN7rocprim17ROCPRIM_400000_NS6detail17trampoline_kernelINS0_14default_configENS1_25transform_config_selectorIdLb0EEEZNS1_14transform_implILb0ES3_S5_NS0_18transform_iteratorINS0_17counting_iteratorImlEEZNS1_24adjacent_difference_implIS3_Lb1ELb0EPdSB_N6thrust23THRUST_200600_302600_NS5minusIdEEEE10hipError_tPvRmT2_T3_mT4_P12ihipStream_tbEUlmE_dEESB_NS0_8identityIvEEEESG_SJ_SK_mSL_SN_bEUlT_E_NS1_11comp_targetILNS1_3genE8ELNS1_11target_archE1030ELNS1_3gpuE2ELNS1_3repE0EEENS1_30default_config_static_selectorELNS0_4arch9wavefront6targetE1EEEvT1_.has_recursion, 0
	.set _ZN7rocprim17ROCPRIM_400000_NS6detail17trampoline_kernelINS0_14default_configENS1_25transform_config_selectorIdLb0EEEZNS1_14transform_implILb0ES3_S5_NS0_18transform_iteratorINS0_17counting_iteratorImlEEZNS1_24adjacent_difference_implIS3_Lb1ELb0EPdSB_N6thrust23THRUST_200600_302600_NS5minusIdEEEE10hipError_tPvRmT2_T3_mT4_P12ihipStream_tbEUlmE_dEESB_NS0_8identityIvEEEESG_SJ_SK_mSL_SN_bEUlT_E_NS1_11comp_targetILNS1_3genE8ELNS1_11target_archE1030ELNS1_3gpuE2ELNS1_3repE0EEENS1_30default_config_static_selectorELNS0_4arch9wavefront6targetE1EEEvT1_.has_indirect_call, 0
	.section	.AMDGPU.csdata,"",@progbits
; Kernel info:
; codeLenInByte = 0
; TotalNumSgprs: 4
; NumVgprs: 0
; ScratchSize: 0
; MemoryBound: 0
; FloatMode: 240
; IeeeMode: 1
; LDSByteSize: 0 bytes/workgroup (compile time only)
; SGPRBlocks: 0
; VGPRBlocks: 0
; NumSGPRsForWavesPerEU: 4
; NumVGPRsForWavesPerEU: 1
; Occupancy: 10
; WaveLimiterHint : 0
; COMPUTE_PGM_RSRC2:SCRATCH_EN: 0
; COMPUTE_PGM_RSRC2:USER_SGPR: 6
; COMPUTE_PGM_RSRC2:TRAP_HANDLER: 0
; COMPUTE_PGM_RSRC2:TGID_X_EN: 1
; COMPUTE_PGM_RSRC2:TGID_Y_EN: 0
; COMPUTE_PGM_RSRC2:TGID_Z_EN: 0
; COMPUTE_PGM_RSRC2:TIDIG_COMP_CNT: 0
	.section	.text._ZN7rocprim17ROCPRIM_400000_NS6detail17trampoline_kernelINS0_14default_configENS1_35adjacent_difference_config_selectorILb1EdEEZNS1_24adjacent_difference_implIS3_Lb1ELb0EPdS7_N6thrust23THRUST_200600_302600_NS5minusIdEEEE10hipError_tPvRmT2_T3_mT4_P12ihipStream_tbEUlT_E_NS1_11comp_targetILNS1_3genE0ELNS1_11target_archE4294967295ELNS1_3gpuE0ELNS1_3repE0EEENS1_30default_config_static_selectorELNS0_4arch9wavefront6targetE1EEEvT1_,"axG",@progbits,_ZN7rocprim17ROCPRIM_400000_NS6detail17trampoline_kernelINS0_14default_configENS1_35adjacent_difference_config_selectorILb1EdEEZNS1_24adjacent_difference_implIS3_Lb1ELb0EPdS7_N6thrust23THRUST_200600_302600_NS5minusIdEEEE10hipError_tPvRmT2_T3_mT4_P12ihipStream_tbEUlT_E_NS1_11comp_targetILNS1_3genE0ELNS1_11target_archE4294967295ELNS1_3gpuE0ELNS1_3repE0EEENS1_30default_config_static_selectorELNS0_4arch9wavefront6targetE1EEEvT1_,comdat
	.protected	_ZN7rocprim17ROCPRIM_400000_NS6detail17trampoline_kernelINS0_14default_configENS1_35adjacent_difference_config_selectorILb1EdEEZNS1_24adjacent_difference_implIS3_Lb1ELb0EPdS7_N6thrust23THRUST_200600_302600_NS5minusIdEEEE10hipError_tPvRmT2_T3_mT4_P12ihipStream_tbEUlT_E_NS1_11comp_targetILNS1_3genE0ELNS1_11target_archE4294967295ELNS1_3gpuE0ELNS1_3repE0EEENS1_30default_config_static_selectorELNS0_4arch9wavefront6targetE1EEEvT1_ ; -- Begin function _ZN7rocprim17ROCPRIM_400000_NS6detail17trampoline_kernelINS0_14default_configENS1_35adjacent_difference_config_selectorILb1EdEEZNS1_24adjacent_difference_implIS3_Lb1ELb0EPdS7_N6thrust23THRUST_200600_302600_NS5minusIdEEEE10hipError_tPvRmT2_T3_mT4_P12ihipStream_tbEUlT_E_NS1_11comp_targetILNS1_3genE0ELNS1_11target_archE4294967295ELNS1_3gpuE0ELNS1_3repE0EEENS1_30default_config_static_selectorELNS0_4arch9wavefront6targetE1EEEvT1_
	.globl	_ZN7rocprim17ROCPRIM_400000_NS6detail17trampoline_kernelINS0_14default_configENS1_35adjacent_difference_config_selectorILb1EdEEZNS1_24adjacent_difference_implIS3_Lb1ELb0EPdS7_N6thrust23THRUST_200600_302600_NS5minusIdEEEE10hipError_tPvRmT2_T3_mT4_P12ihipStream_tbEUlT_E_NS1_11comp_targetILNS1_3genE0ELNS1_11target_archE4294967295ELNS1_3gpuE0ELNS1_3repE0EEENS1_30default_config_static_selectorELNS0_4arch9wavefront6targetE1EEEvT1_
	.p2align	8
	.type	_ZN7rocprim17ROCPRIM_400000_NS6detail17trampoline_kernelINS0_14default_configENS1_35adjacent_difference_config_selectorILb1EdEEZNS1_24adjacent_difference_implIS3_Lb1ELb0EPdS7_N6thrust23THRUST_200600_302600_NS5minusIdEEEE10hipError_tPvRmT2_T3_mT4_P12ihipStream_tbEUlT_E_NS1_11comp_targetILNS1_3genE0ELNS1_11target_archE4294967295ELNS1_3gpuE0ELNS1_3repE0EEENS1_30default_config_static_selectorELNS0_4arch9wavefront6targetE1EEEvT1_,@function
_ZN7rocprim17ROCPRIM_400000_NS6detail17trampoline_kernelINS0_14default_configENS1_35adjacent_difference_config_selectorILb1EdEEZNS1_24adjacent_difference_implIS3_Lb1ELb0EPdS7_N6thrust23THRUST_200600_302600_NS5minusIdEEEE10hipError_tPvRmT2_T3_mT4_P12ihipStream_tbEUlT_E_NS1_11comp_targetILNS1_3genE0ELNS1_11target_archE4294967295ELNS1_3gpuE0ELNS1_3repE0EEENS1_30default_config_static_selectorELNS0_4arch9wavefront6targetE1EEEvT1_: ; @_ZN7rocprim17ROCPRIM_400000_NS6detail17trampoline_kernelINS0_14default_configENS1_35adjacent_difference_config_selectorILb1EdEEZNS1_24adjacent_difference_implIS3_Lb1ELb0EPdS7_N6thrust23THRUST_200600_302600_NS5minusIdEEEE10hipError_tPvRmT2_T3_mT4_P12ihipStream_tbEUlT_E_NS1_11comp_targetILNS1_3genE0ELNS1_11target_archE4294967295ELNS1_3gpuE0ELNS1_3repE0EEENS1_30default_config_static_selectorELNS0_4arch9wavefront6targetE1EEEvT1_
; %bb.0:
	.section	.rodata,"a",@progbits
	.p2align	6, 0x0
	.amdhsa_kernel _ZN7rocprim17ROCPRIM_400000_NS6detail17trampoline_kernelINS0_14default_configENS1_35adjacent_difference_config_selectorILb1EdEEZNS1_24adjacent_difference_implIS3_Lb1ELb0EPdS7_N6thrust23THRUST_200600_302600_NS5minusIdEEEE10hipError_tPvRmT2_T3_mT4_P12ihipStream_tbEUlT_E_NS1_11comp_targetILNS1_3genE0ELNS1_11target_archE4294967295ELNS1_3gpuE0ELNS1_3repE0EEENS1_30default_config_static_selectorELNS0_4arch9wavefront6targetE1EEEvT1_
		.amdhsa_group_segment_fixed_size 0
		.amdhsa_private_segment_fixed_size 0
		.amdhsa_kernarg_size 56
		.amdhsa_user_sgpr_count 6
		.amdhsa_user_sgpr_private_segment_buffer 1
		.amdhsa_user_sgpr_dispatch_ptr 0
		.amdhsa_user_sgpr_queue_ptr 0
		.amdhsa_user_sgpr_kernarg_segment_ptr 1
		.amdhsa_user_sgpr_dispatch_id 0
		.amdhsa_user_sgpr_flat_scratch_init 0
		.amdhsa_user_sgpr_private_segment_size 0
		.amdhsa_uses_dynamic_stack 0
		.amdhsa_system_sgpr_private_segment_wavefront_offset 0
		.amdhsa_system_sgpr_workgroup_id_x 1
		.amdhsa_system_sgpr_workgroup_id_y 0
		.amdhsa_system_sgpr_workgroup_id_z 0
		.amdhsa_system_sgpr_workgroup_info 0
		.amdhsa_system_vgpr_workitem_id 0
		.amdhsa_next_free_vgpr 1
		.amdhsa_next_free_sgpr 0
		.amdhsa_reserve_vcc 0
		.amdhsa_reserve_flat_scratch 0
		.amdhsa_float_round_mode_32 0
		.amdhsa_float_round_mode_16_64 0
		.amdhsa_float_denorm_mode_32 3
		.amdhsa_float_denorm_mode_16_64 3
		.amdhsa_dx10_clamp 1
		.amdhsa_ieee_mode 1
		.amdhsa_fp16_overflow 0
		.amdhsa_exception_fp_ieee_invalid_op 0
		.amdhsa_exception_fp_denorm_src 0
		.amdhsa_exception_fp_ieee_div_zero 0
		.amdhsa_exception_fp_ieee_overflow 0
		.amdhsa_exception_fp_ieee_underflow 0
		.amdhsa_exception_fp_ieee_inexact 0
		.amdhsa_exception_int_div_zero 0
	.end_amdhsa_kernel
	.section	.text._ZN7rocprim17ROCPRIM_400000_NS6detail17trampoline_kernelINS0_14default_configENS1_35adjacent_difference_config_selectorILb1EdEEZNS1_24adjacent_difference_implIS3_Lb1ELb0EPdS7_N6thrust23THRUST_200600_302600_NS5minusIdEEEE10hipError_tPvRmT2_T3_mT4_P12ihipStream_tbEUlT_E_NS1_11comp_targetILNS1_3genE0ELNS1_11target_archE4294967295ELNS1_3gpuE0ELNS1_3repE0EEENS1_30default_config_static_selectorELNS0_4arch9wavefront6targetE1EEEvT1_,"axG",@progbits,_ZN7rocprim17ROCPRIM_400000_NS6detail17trampoline_kernelINS0_14default_configENS1_35adjacent_difference_config_selectorILb1EdEEZNS1_24adjacent_difference_implIS3_Lb1ELb0EPdS7_N6thrust23THRUST_200600_302600_NS5minusIdEEEE10hipError_tPvRmT2_T3_mT4_P12ihipStream_tbEUlT_E_NS1_11comp_targetILNS1_3genE0ELNS1_11target_archE4294967295ELNS1_3gpuE0ELNS1_3repE0EEENS1_30default_config_static_selectorELNS0_4arch9wavefront6targetE1EEEvT1_,comdat
.Lfunc_end19:
	.size	_ZN7rocprim17ROCPRIM_400000_NS6detail17trampoline_kernelINS0_14default_configENS1_35adjacent_difference_config_selectorILb1EdEEZNS1_24adjacent_difference_implIS3_Lb1ELb0EPdS7_N6thrust23THRUST_200600_302600_NS5minusIdEEEE10hipError_tPvRmT2_T3_mT4_P12ihipStream_tbEUlT_E_NS1_11comp_targetILNS1_3genE0ELNS1_11target_archE4294967295ELNS1_3gpuE0ELNS1_3repE0EEENS1_30default_config_static_selectorELNS0_4arch9wavefront6targetE1EEEvT1_, .Lfunc_end19-_ZN7rocprim17ROCPRIM_400000_NS6detail17trampoline_kernelINS0_14default_configENS1_35adjacent_difference_config_selectorILb1EdEEZNS1_24adjacent_difference_implIS3_Lb1ELb0EPdS7_N6thrust23THRUST_200600_302600_NS5minusIdEEEE10hipError_tPvRmT2_T3_mT4_P12ihipStream_tbEUlT_E_NS1_11comp_targetILNS1_3genE0ELNS1_11target_archE4294967295ELNS1_3gpuE0ELNS1_3repE0EEENS1_30default_config_static_selectorELNS0_4arch9wavefront6targetE1EEEvT1_
                                        ; -- End function
	.set _ZN7rocprim17ROCPRIM_400000_NS6detail17trampoline_kernelINS0_14default_configENS1_35adjacent_difference_config_selectorILb1EdEEZNS1_24adjacent_difference_implIS3_Lb1ELb0EPdS7_N6thrust23THRUST_200600_302600_NS5minusIdEEEE10hipError_tPvRmT2_T3_mT4_P12ihipStream_tbEUlT_E_NS1_11comp_targetILNS1_3genE0ELNS1_11target_archE4294967295ELNS1_3gpuE0ELNS1_3repE0EEENS1_30default_config_static_selectorELNS0_4arch9wavefront6targetE1EEEvT1_.num_vgpr, 0
	.set _ZN7rocprim17ROCPRIM_400000_NS6detail17trampoline_kernelINS0_14default_configENS1_35adjacent_difference_config_selectorILb1EdEEZNS1_24adjacent_difference_implIS3_Lb1ELb0EPdS7_N6thrust23THRUST_200600_302600_NS5minusIdEEEE10hipError_tPvRmT2_T3_mT4_P12ihipStream_tbEUlT_E_NS1_11comp_targetILNS1_3genE0ELNS1_11target_archE4294967295ELNS1_3gpuE0ELNS1_3repE0EEENS1_30default_config_static_selectorELNS0_4arch9wavefront6targetE1EEEvT1_.num_agpr, 0
	.set _ZN7rocprim17ROCPRIM_400000_NS6detail17trampoline_kernelINS0_14default_configENS1_35adjacent_difference_config_selectorILb1EdEEZNS1_24adjacent_difference_implIS3_Lb1ELb0EPdS7_N6thrust23THRUST_200600_302600_NS5minusIdEEEE10hipError_tPvRmT2_T3_mT4_P12ihipStream_tbEUlT_E_NS1_11comp_targetILNS1_3genE0ELNS1_11target_archE4294967295ELNS1_3gpuE0ELNS1_3repE0EEENS1_30default_config_static_selectorELNS0_4arch9wavefront6targetE1EEEvT1_.numbered_sgpr, 0
	.set _ZN7rocprim17ROCPRIM_400000_NS6detail17trampoline_kernelINS0_14default_configENS1_35adjacent_difference_config_selectorILb1EdEEZNS1_24adjacent_difference_implIS3_Lb1ELb0EPdS7_N6thrust23THRUST_200600_302600_NS5minusIdEEEE10hipError_tPvRmT2_T3_mT4_P12ihipStream_tbEUlT_E_NS1_11comp_targetILNS1_3genE0ELNS1_11target_archE4294967295ELNS1_3gpuE0ELNS1_3repE0EEENS1_30default_config_static_selectorELNS0_4arch9wavefront6targetE1EEEvT1_.num_named_barrier, 0
	.set _ZN7rocprim17ROCPRIM_400000_NS6detail17trampoline_kernelINS0_14default_configENS1_35adjacent_difference_config_selectorILb1EdEEZNS1_24adjacent_difference_implIS3_Lb1ELb0EPdS7_N6thrust23THRUST_200600_302600_NS5minusIdEEEE10hipError_tPvRmT2_T3_mT4_P12ihipStream_tbEUlT_E_NS1_11comp_targetILNS1_3genE0ELNS1_11target_archE4294967295ELNS1_3gpuE0ELNS1_3repE0EEENS1_30default_config_static_selectorELNS0_4arch9wavefront6targetE1EEEvT1_.private_seg_size, 0
	.set _ZN7rocprim17ROCPRIM_400000_NS6detail17trampoline_kernelINS0_14default_configENS1_35adjacent_difference_config_selectorILb1EdEEZNS1_24adjacent_difference_implIS3_Lb1ELb0EPdS7_N6thrust23THRUST_200600_302600_NS5minusIdEEEE10hipError_tPvRmT2_T3_mT4_P12ihipStream_tbEUlT_E_NS1_11comp_targetILNS1_3genE0ELNS1_11target_archE4294967295ELNS1_3gpuE0ELNS1_3repE0EEENS1_30default_config_static_selectorELNS0_4arch9wavefront6targetE1EEEvT1_.uses_vcc, 0
	.set _ZN7rocprim17ROCPRIM_400000_NS6detail17trampoline_kernelINS0_14default_configENS1_35adjacent_difference_config_selectorILb1EdEEZNS1_24adjacent_difference_implIS3_Lb1ELb0EPdS7_N6thrust23THRUST_200600_302600_NS5minusIdEEEE10hipError_tPvRmT2_T3_mT4_P12ihipStream_tbEUlT_E_NS1_11comp_targetILNS1_3genE0ELNS1_11target_archE4294967295ELNS1_3gpuE0ELNS1_3repE0EEENS1_30default_config_static_selectorELNS0_4arch9wavefront6targetE1EEEvT1_.uses_flat_scratch, 0
	.set _ZN7rocprim17ROCPRIM_400000_NS6detail17trampoline_kernelINS0_14default_configENS1_35adjacent_difference_config_selectorILb1EdEEZNS1_24adjacent_difference_implIS3_Lb1ELb0EPdS7_N6thrust23THRUST_200600_302600_NS5minusIdEEEE10hipError_tPvRmT2_T3_mT4_P12ihipStream_tbEUlT_E_NS1_11comp_targetILNS1_3genE0ELNS1_11target_archE4294967295ELNS1_3gpuE0ELNS1_3repE0EEENS1_30default_config_static_selectorELNS0_4arch9wavefront6targetE1EEEvT1_.has_dyn_sized_stack, 0
	.set _ZN7rocprim17ROCPRIM_400000_NS6detail17trampoline_kernelINS0_14default_configENS1_35adjacent_difference_config_selectorILb1EdEEZNS1_24adjacent_difference_implIS3_Lb1ELb0EPdS7_N6thrust23THRUST_200600_302600_NS5minusIdEEEE10hipError_tPvRmT2_T3_mT4_P12ihipStream_tbEUlT_E_NS1_11comp_targetILNS1_3genE0ELNS1_11target_archE4294967295ELNS1_3gpuE0ELNS1_3repE0EEENS1_30default_config_static_selectorELNS0_4arch9wavefront6targetE1EEEvT1_.has_recursion, 0
	.set _ZN7rocprim17ROCPRIM_400000_NS6detail17trampoline_kernelINS0_14default_configENS1_35adjacent_difference_config_selectorILb1EdEEZNS1_24adjacent_difference_implIS3_Lb1ELb0EPdS7_N6thrust23THRUST_200600_302600_NS5minusIdEEEE10hipError_tPvRmT2_T3_mT4_P12ihipStream_tbEUlT_E_NS1_11comp_targetILNS1_3genE0ELNS1_11target_archE4294967295ELNS1_3gpuE0ELNS1_3repE0EEENS1_30default_config_static_selectorELNS0_4arch9wavefront6targetE1EEEvT1_.has_indirect_call, 0
	.section	.AMDGPU.csdata,"",@progbits
; Kernel info:
; codeLenInByte = 0
; TotalNumSgprs: 4
; NumVgprs: 0
; ScratchSize: 0
; MemoryBound: 0
; FloatMode: 240
; IeeeMode: 1
; LDSByteSize: 0 bytes/workgroup (compile time only)
; SGPRBlocks: 0
; VGPRBlocks: 0
; NumSGPRsForWavesPerEU: 4
; NumVGPRsForWavesPerEU: 1
; Occupancy: 10
; WaveLimiterHint : 0
; COMPUTE_PGM_RSRC2:SCRATCH_EN: 0
; COMPUTE_PGM_RSRC2:USER_SGPR: 6
; COMPUTE_PGM_RSRC2:TRAP_HANDLER: 0
; COMPUTE_PGM_RSRC2:TGID_X_EN: 1
; COMPUTE_PGM_RSRC2:TGID_Y_EN: 0
; COMPUTE_PGM_RSRC2:TGID_Z_EN: 0
; COMPUTE_PGM_RSRC2:TIDIG_COMP_CNT: 0
	.section	.text._ZN7rocprim17ROCPRIM_400000_NS6detail17trampoline_kernelINS0_14default_configENS1_35adjacent_difference_config_selectorILb1EdEEZNS1_24adjacent_difference_implIS3_Lb1ELb0EPdS7_N6thrust23THRUST_200600_302600_NS5minusIdEEEE10hipError_tPvRmT2_T3_mT4_P12ihipStream_tbEUlT_E_NS1_11comp_targetILNS1_3genE10ELNS1_11target_archE1201ELNS1_3gpuE5ELNS1_3repE0EEENS1_30default_config_static_selectorELNS0_4arch9wavefront6targetE1EEEvT1_,"axG",@progbits,_ZN7rocprim17ROCPRIM_400000_NS6detail17trampoline_kernelINS0_14default_configENS1_35adjacent_difference_config_selectorILb1EdEEZNS1_24adjacent_difference_implIS3_Lb1ELb0EPdS7_N6thrust23THRUST_200600_302600_NS5minusIdEEEE10hipError_tPvRmT2_T3_mT4_P12ihipStream_tbEUlT_E_NS1_11comp_targetILNS1_3genE10ELNS1_11target_archE1201ELNS1_3gpuE5ELNS1_3repE0EEENS1_30default_config_static_selectorELNS0_4arch9wavefront6targetE1EEEvT1_,comdat
	.protected	_ZN7rocprim17ROCPRIM_400000_NS6detail17trampoline_kernelINS0_14default_configENS1_35adjacent_difference_config_selectorILb1EdEEZNS1_24adjacent_difference_implIS3_Lb1ELb0EPdS7_N6thrust23THRUST_200600_302600_NS5minusIdEEEE10hipError_tPvRmT2_T3_mT4_P12ihipStream_tbEUlT_E_NS1_11comp_targetILNS1_3genE10ELNS1_11target_archE1201ELNS1_3gpuE5ELNS1_3repE0EEENS1_30default_config_static_selectorELNS0_4arch9wavefront6targetE1EEEvT1_ ; -- Begin function _ZN7rocprim17ROCPRIM_400000_NS6detail17trampoline_kernelINS0_14default_configENS1_35adjacent_difference_config_selectorILb1EdEEZNS1_24adjacent_difference_implIS3_Lb1ELb0EPdS7_N6thrust23THRUST_200600_302600_NS5minusIdEEEE10hipError_tPvRmT2_T3_mT4_P12ihipStream_tbEUlT_E_NS1_11comp_targetILNS1_3genE10ELNS1_11target_archE1201ELNS1_3gpuE5ELNS1_3repE0EEENS1_30default_config_static_selectorELNS0_4arch9wavefront6targetE1EEEvT1_
	.globl	_ZN7rocprim17ROCPRIM_400000_NS6detail17trampoline_kernelINS0_14default_configENS1_35adjacent_difference_config_selectorILb1EdEEZNS1_24adjacent_difference_implIS3_Lb1ELb0EPdS7_N6thrust23THRUST_200600_302600_NS5minusIdEEEE10hipError_tPvRmT2_T3_mT4_P12ihipStream_tbEUlT_E_NS1_11comp_targetILNS1_3genE10ELNS1_11target_archE1201ELNS1_3gpuE5ELNS1_3repE0EEENS1_30default_config_static_selectorELNS0_4arch9wavefront6targetE1EEEvT1_
	.p2align	8
	.type	_ZN7rocprim17ROCPRIM_400000_NS6detail17trampoline_kernelINS0_14default_configENS1_35adjacent_difference_config_selectorILb1EdEEZNS1_24adjacent_difference_implIS3_Lb1ELb0EPdS7_N6thrust23THRUST_200600_302600_NS5minusIdEEEE10hipError_tPvRmT2_T3_mT4_P12ihipStream_tbEUlT_E_NS1_11comp_targetILNS1_3genE10ELNS1_11target_archE1201ELNS1_3gpuE5ELNS1_3repE0EEENS1_30default_config_static_selectorELNS0_4arch9wavefront6targetE1EEEvT1_,@function
_ZN7rocprim17ROCPRIM_400000_NS6detail17trampoline_kernelINS0_14default_configENS1_35adjacent_difference_config_selectorILb1EdEEZNS1_24adjacent_difference_implIS3_Lb1ELb0EPdS7_N6thrust23THRUST_200600_302600_NS5minusIdEEEE10hipError_tPvRmT2_T3_mT4_P12ihipStream_tbEUlT_E_NS1_11comp_targetILNS1_3genE10ELNS1_11target_archE1201ELNS1_3gpuE5ELNS1_3repE0EEENS1_30default_config_static_selectorELNS0_4arch9wavefront6targetE1EEEvT1_: ; @_ZN7rocprim17ROCPRIM_400000_NS6detail17trampoline_kernelINS0_14default_configENS1_35adjacent_difference_config_selectorILb1EdEEZNS1_24adjacent_difference_implIS3_Lb1ELb0EPdS7_N6thrust23THRUST_200600_302600_NS5minusIdEEEE10hipError_tPvRmT2_T3_mT4_P12ihipStream_tbEUlT_E_NS1_11comp_targetILNS1_3genE10ELNS1_11target_archE1201ELNS1_3gpuE5ELNS1_3repE0EEENS1_30default_config_static_selectorELNS0_4arch9wavefront6targetE1EEEvT1_
; %bb.0:
	.section	.rodata,"a",@progbits
	.p2align	6, 0x0
	.amdhsa_kernel _ZN7rocprim17ROCPRIM_400000_NS6detail17trampoline_kernelINS0_14default_configENS1_35adjacent_difference_config_selectorILb1EdEEZNS1_24adjacent_difference_implIS3_Lb1ELb0EPdS7_N6thrust23THRUST_200600_302600_NS5minusIdEEEE10hipError_tPvRmT2_T3_mT4_P12ihipStream_tbEUlT_E_NS1_11comp_targetILNS1_3genE10ELNS1_11target_archE1201ELNS1_3gpuE5ELNS1_3repE0EEENS1_30default_config_static_selectorELNS0_4arch9wavefront6targetE1EEEvT1_
		.amdhsa_group_segment_fixed_size 0
		.amdhsa_private_segment_fixed_size 0
		.amdhsa_kernarg_size 56
		.amdhsa_user_sgpr_count 6
		.amdhsa_user_sgpr_private_segment_buffer 1
		.amdhsa_user_sgpr_dispatch_ptr 0
		.amdhsa_user_sgpr_queue_ptr 0
		.amdhsa_user_sgpr_kernarg_segment_ptr 1
		.amdhsa_user_sgpr_dispatch_id 0
		.amdhsa_user_sgpr_flat_scratch_init 0
		.amdhsa_user_sgpr_private_segment_size 0
		.amdhsa_uses_dynamic_stack 0
		.amdhsa_system_sgpr_private_segment_wavefront_offset 0
		.amdhsa_system_sgpr_workgroup_id_x 1
		.amdhsa_system_sgpr_workgroup_id_y 0
		.amdhsa_system_sgpr_workgroup_id_z 0
		.amdhsa_system_sgpr_workgroup_info 0
		.amdhsa_system_vgpr_workitem_id 0
		.amdhsa_next_free_vgpr 1
		.amdhsa_next_free_sgpr 0
		.amdhsa_reserve_vcc 0
		.amdhsa_reserve_flat_scratch 0
		.amdhsa_float_round_mode_32 0
		.amdhsa_float_round_mode_16_64 0
		.amdhsa_float_denorm_mode_32 3
		.amdhsa_float_denorm_mode_16_64 3
		.amdhsa_dx10_clamp 1
		.amdhsa_ieee_mode 1
		.amdhsa_fp16_overflow 0
		.amdhsa_exception_fp_ieee_invalid_op 0
		.amdhsa_exception_fp_denorm_src 0
		.amdhsa_exception_fp_ieee_div_zero 0
		.amdhsa_exception_fp_ieee_overflow 0
		.amdhsa_exception_fp_ieee_underflow 0
		.amdhsa_exception_fp_ieee_inexact 0
		.amdhsa_exception_int_div_zero 0
	.end_amdhsa_kernel
	.section	.text._ZN7rocprim17ROCPRIM_400000_NS6detail17trampoline_kernelINS0_14default_configENS1_35adjacent_difference_config_selectorILb1EdEEZNS1_24adjacent_difference_implIS3_Lb1ELb0EPdS7_N6thrust23THRUST_200600_302600_NS5minusIdEEEE10hipError_tPvRmT2_T3_mT4_P12ihipStream_tbEUlT_E_NS1_11comp_targetILNS1_3genE10ELNS1_11target_archE1201ELNS1_3gpuE5ELNS1_3repE0EEENS1_30default_config_static_selectorELNS0_4arch9wavefront6targetE1EEEvT1_,"axG",@progbits,_ZN7rocprim17ROCPRIM_400000_NS6detail17trampoline_kernelINS0_14default_configENS1_35adjacent_difference_config_selectorILb1EdEEZNS1_24adjacent_difference_implIS3_Lb1ELb0EPdS7_N6thrust23THRUST_200600_302600_NS5minusIdEEEE10hipError_tPvRmT2_T3_mT4_P12ihipStream_tbEUlT_E_NS1_11comp_targetILNS1_3genE10ELNS1_11target_archE1201ELNS1_3gpuE5ELNS1_3repE0EEENS1_30default_config_static_selectorELNS0_4arch9wavefront6targetE1EEEvT1_,comdat
.Lfunc_end20:
	.size	_ZN7rocprim17ROCPRIM_400000_NS6detail17trampoline_kernelINS0_14default_configENS1_35adjacent_difference_config_selectorILb1EdEEZNS1_24adjacent_difference_implIS3_Lb1ELb0EPdS7_N6thrust23THRUST_200600_302600_NS5minusIdEEEE10hipError_tPvRmT2_T3_mT4_P12ihipStream_tbEUlT_E_NS1_11comp_targetILNS1_3genE10ELNS1_11target_archE1201ELNS1_3gpuE5ELNS1_3repE0EEENS1_30default_config_static_selectorELNS0_4arch9wavefront6targetE1EEEvT1_, .Lfunc_end20-_ZN7rocprim17ROCPRIM_400000_NS6detail17trampoline_kernelINS0_14default_configENS1_35adjacent_difference_config_selectorILb1EdEEZNS1_24adjacent_difference_implIS3_Lb1ELb0EPdS7_N6thrust23THRUST_200600_302600_NS5minusIdEEEE10hipError_tPvRmT2_T3_mT4_P12ihipStream_tbEUlT_E_NS1_11comp_targetILNS1_3genE10ELNS1_11target_archE1201ELNS1_3gpuE5ELNS1_3repE0EEENS1_30default_config_static_selectorELNS0_4arch9wavefront6targetE1EEEvT1_
                                        ; -- End function
	.set _ZN7rocprim17ROCPRIM_400000_NS6detail17trampoline_kernelINS0_14default_configENS1_35adjacent_difference_config_selectorILb1EdEEZNS1_24adjacent_difference_implIS3_Lb1ELb0EPdS7_N6thrust23THRUST_200600_302600_NS5minusIdEEEE10hipError_tPvRmT2_T3_mT4_P12ihipStream_tbEUlT_E_NS1_11comp_targetILNS1_3genE10ELNS1_11target_archE1201ELNS1_3gpuE5ELNS1_3repE0EEENS1_30default_config_static_selectorELNS0_4arch9wavefront6targetE1EEEvT1_.num_vgpr, 0
	.set _ZN7rocprim17ROCPRIM_400000_NS6detail17trampoline_kernelINS0_14default_configENS1_35adjacent_difference_config_selectorILb1EdEEZNS1_24adjacent_difference_implIS3_Lb1ELb0EPdS7_N6thrust23THRUST_200600_302600_NS5minusIdEEEE10hipError_tPvRmT2_T3_mT4_P12ihipStream_tbEUlT_E_NS1_11comp_targetILNS1_3genE10ELNS1_11target_archE1201ELNS1_3gpuE5ELNS1_3repE0EEENS1_30default_config_static_selectorELNS0_4arch9wavefront6targetE1EEEvT1_.num_agpr, 0
	.set _ZN7rocprim17ROCPRIM_400000_NS6detail17trampoline_kernelINS0_14default_configENS1_35adjacent_difference_config_selectorILb1EdEEZNS1_24adjacent_difference_implIS3_Lb1ELb0EPdS7_N6thrust23THRUST_200600_302600_NS5minusIdEEEE10hipError_tPvRmT2_T3_mT4_P12ihipStream_tbEUlT_E_NS1_11comp_targetILNS1_3genE10ELNS1_11target_archE1201ELNS1_3gpuE5ELNS1_3repE0EEENS1_30default_config_static_selectorELNS0_4arch9wavefront6targetE1EEEvT1_.numbered_sgpr, 0
	.set _ZN7rocprim17ROCPRIM_400000_NS6detail17trampoline_kernelINS0_14default_configENS1_35adjacent_difference_config_selectorILb1EdEEZNS1_24adjacent_difference_implIS3_Lb1ELb0EPdS7_N6thrust23THRUST_200600_302600_NS5minusIdEEEE10hipError_tPvRmT2_T3_mT4_P12ihipStream_tbEUlT_E_NS1_11comp_targetILNS1_3genE10ELNS1_11target_archE1201ELNS1_3gpuE5ELNS1_3repE0EEENS1_30default_config_static_selectorELNS0_4arch9wavefront6targetE1EEEvT1_.num_named_barrier, 0
	.set _ZN7rocprim17ROCPRIM_400000_NS6detail17trampoline_kernelINS0_14default_configENS1_35adjacent_difference_config_selectorILb1EdEEZNS1_24adjacent_difference_implIS3_Lb1ELb0EPdS7_N6thrust23THRUST_200600_302600_NS5minusIdEEEE10hipError_tPvRmT2_T3_mT4_P12ihipStream_tbEUlT_E_NS1_11comp_targetILNS1_3genE10ELNS1_11target_archE1201ELNS1_3gpuE5ELNS1_3repE0EEENS1_30default_config_static_selectorELNS0_4arch9wavefront6targetE1EEEvT1_.private_seg_size, 0
	.set _ZN7rocprim17ROCPRIM_400000_NS6detail17trampoline_kernelINS0_14default_configENS1_35adjacent_difference_config_selectorILb1EdEEZNS1_24adjacent_difference_implIS3_Lb1ELb0EPdS7_N6thrust23THRUST_200600_302600_NS5minusIdEEEE10hipError_tPvRmT2_T3_mT4_P12ihipStream_tbEUlT_E_NS1_11comp_targetILNS1_3genE10ELNS1_11target_archE1201ELNS1_3gpuE5ELNS1_3repE0EEENS1_30default_config_static_selectorELNS0_4arch9wavefront6targetE1EEEvT1_.uses_vcc, 0
	.set _ZN7rocprim17ROCPRIM_400000_NS6detail17trampoline_kernelINS0_14default_configENS1_35adjacent_difference_config_selectorILb1EdEEZNS1_24adjacent_difference_implIS3_Lb1ELb0EPdS7_N6thrust23THRUST_200600_302600_NS5minusIdEEEE10hipError_tPvRmT2_T3_mT4_P12ihipStream_tbEUlT_E_NS1_11comp_targetILNS1_3genE10ELNS1_11target_archE1201ELNS1_3gpuE5ELNS1_3repE0EEENS1_30default_config_static_selectorELNS0_4arch9wavefront6targetE1EEEvT1_.uses_flat_scratch, 0
	.set _ZN7rocprim17ROCPRIM_400000_NS6detail17trampoline_kernelINS0_14default_configENS1_35adjacent_difference_config_selectorILb1EdEEZNS1_24adjacent_difference_implIS3_Lb1ELb0EPdS7_N6thrust23THRUST_200600_302600_NS5minusIdEEEE10hipError_tPvRmT2_T3_mT4_P12ihipStream_tbEUlT_E_NS1_11comp_targetILNS1_3genE10ELNS1_11target_archE1201ELNS1_3gpuE5ELNS1_3repE0EEENS1_30default_config_static_selectorELNS0_4arch9wavefront6targetE1EEEvT1_.has_dyn_sized_stack, 0
	.set _ZN7rocprim17ROCPRIM_400000_NS6detail17trampoline_kernelINS0_14default_configENS1_35adjacent_difference_config_selectorILb1EdEEZNS1_24adjacent_difference_implIS3_Lb1ELb0EPdS7_N6thrust23THRUST_200600_302600_NS5minusIdEEEE10hipError_tPvRmT2_T3_mT4_P12ihipStream_tbEUlT_E_NS1_11comp_targetILNS1_3genE10ELNS1_11target_archE1201ELNS1_3gpuE5ELNS1_3repE0EEENS1_30default_config_static_selectorELNS0_4arch9wavefront6targetE1EEEvT1_.has_recursion, 0
	.set _ZN7rocprim17ROCPRIM_400000_NS6detail17trampoline_kernelINS0_14default_configENS1_35adjacent_difference_config_selectorILb1EdEEZNS1_24adjacent_difference_implIS3_Lb1ELb0EPdS7_N6thrust23THRUST_200600_302600_NS5minusIdEEEE10hipError_tPvRmT2_T3_mT4_P12ihipStream_tbEUlT_E_NS1_11comp_targetILNS1_3genE10ELNS1_11target_archE1201ELNS1_3gpuE5ELNS1_3repE0EEENS1_30default_config_static_selectorELNS0_4arch9wavefront6targetE1EEEvT1_.has_indirect_call, 0
	.section	.AMDGPU.csdata,"",@progbits
; Kernel info:
; codeLenInByte = 0
; TotalNumSgprs: 4
; NumVgprs: 0
; ScratchSize: 0
; MemoryBound: 0
; FloatMode: 240
; IeeeMode: 1
; LDSByteSize: 0 bytes/workgroup (compile time only)
; SGPRBlocks: 0
; VGPRBlocks: 0
; NumSGPRsForWavesPerEU: 4
; NumVGPRsForWavesPerEU: 1
; Occupancy: 10
; WaveLimiterHint : 0
; COMPUTE_PGM_RSRC2:SCRATCH_EN: 0
; COMPUTE_PGM_RSRC2:USER_SGPR: 6
; COMPUTE_PGM_RSRC2:TRAP_HANDLER: 0
; COMPUTE_PGM_RSRC2:TGID_X_EN: 1
; COMPUTE_PGM_RSRC2:TGID_Y_EN: 0
; COMPUTE_PGM_RSRC2:TGID_Z_EN: 0
; COMPUTE_PGM_RSRC2:TIDIG_COMP_CNT: 0
	.section	.text._ZN7rocprim17ROCPRIM_400000_NS6detail17trampoline_kernelINS0_14default_configENS1_35adjacent_difference_config_selectorILb1EdEEZNS1_24adjacent_difference_implIS3_Lb1ELb0EPdS7_N6thrust23THRUST_200600_302600_NS5minusIdEEEE10hipError_tPvRmT2_T3_mT4_P12ihipStream_tbEUlT_E_NS1_11comp_targetILNS1_3genE5ELNS1_11target_archE942ELNS1_3gpuE9ELNS1_3repE0EEENS1_30default_config_static_selectorELNS0_4arch9wavefront6targetE1EEEvT1_,"axG",@progbits,_ZN7rocprim17ROCPRIM_400000_NS6detail17trampoline_kernelINS0_14default_configENS1_35adjacent_difference_config_selectorILb1EdEEZNS1_24adjacent_difference_implIS3_Lb1ELb0EPdS7_N6thrust23THRUST_200600_302600_NS5minusIdEEEE10hipError_tPvRmT2_T3_mT4_P12ihipStream_tbEUlT_E_NS1_11comp_targetILNS1_3genE5ELNS1_11target_archE942ELNS1_3gpuE9ELNS1_3repE0EEENS1_30default_config_static_selectorELNS0_4arch9wavefront6targetE1EEEvT1_,comdat
	.protected	_ZN7rocprim17ROCPRIM_400000_NS6detail17trampoline_kernelINS0_14default_configENS1_35adjacent_difference_config_selectorILb1EdEEZNS1_24adjacent_difference_implIS3_Lb1ELb0EPdS7_N6thrust23THRUST_200600_302600_NS5minusIdEEEE10hipError_tPvRmT2_T3_mT4_P12ihipStream_tbEUlT_E_NS1_11comp_targetILNS1_3genE5ELNS1_11target_archE942ELNS1_3gpuE9ELNS1_3repE0EEENS1_30default_config_static_selectorELNS0_4arch9wavefront6targetE1EEEvT1_ ; -- Begin function _ZN7rocprim17ROCPRIM_400000_NS6detail17trampoline_kernelINS0_14default_configENS1_35adjacent_difference_config_selectorILb1EdEEZNS1_24adjacent_difference_implIS3_Lb1ELb0EPdS7_N6thrust23THRUST_200600_302600_NS5minusIdEEEE10hipError_tPvRmT2_T3_mT4_P12ihipStream_tbEUlT_E_NS1_11comp_targetILNS1_3genE5ELNS1_11target_archE942ELNS1_3gpuE9ELNS1_3repE0EEENS1_30default_config_static_selectorELNS0_4arch9wavefront6targetE1EEEvT1_
	.globl	_ZN7rocprim17ROCPRIM_400000_NS6detail17trampoline_kernelINS0_14default_configENS1_35adjacent_difference_config_selectorILb1EdEEZNS1_24adjacent_difference_implIS3_Lb1ELb0EPdS7_N6thrust23THRUST_200600_302600_NS5minusIdEEEE10hipError_tPvRmT2_T3_mT4_P12ihipStream_tbEUlT_E_NS1_11comp_targetILNS1_3genE5ELNS1_11target_archE942ELNS1_3gpuE9ELNS1_3repE0EEENS1_30default_config_static_selectorELNS0_4arch9wavefront6targetE1EEEvT1_
	.p2align	8
	.type	_ZN7rocprim17ROCPRIM_400000_NS6detail17trampoline_kernelINS0_14default_configENS1_35adjacent_difference_config_selectorILb1EdEEZNS1_24adjacent_difference_implIS3_Lb1ELb0EPdS7_N6thrust23THRUST_200600_302600_NS5minusIdEEEE10hipError_tPvRmT2_T3_mT4_P12ihipStream_tbEUlT_E_NS1_11comp_targetILNS1_3genE5ELNS1_11target_archE942ELNS1_3gpuE9ELNS1_3repE0EEENS1_30default_config_static_selectorELNS0_4arch9wavefront6targetE1EEEvT1_,@function
_ZN7rocprim17ROCPRIM_400000_NS6detail17trampoline_kernelINS0_14default_configENS1_35adjacent_difference_config_selectorILb1EdEEZNS1_24adjacent_difference_implIS3_Lb1ELb0EPdS7_N6thrust23THRUST_200600_302600_NS5minusIdEEEE10hipError_tPvRmT2_T3_mT4_P12ihipStream_tbEUlT_E_NS1_11comp_targetILNS1_3genE5ELNS1_11target_archE942ELNS1_3gpuE9ELNS1_3repE0EEENS1_30default_config_static_selectorELNS0_4arch9wavefront6targetE1EEEvT1_: ; @_ZN7rocprim17ROCPRIM_400000_NS6detail17trampoline_kernelINS0_14default_configENS1_35adjacent_difference_config_selectorILb1EdEEZNS1_24adjacent_difference_implIS3_Lb1ELb0EPdS7_N6thrust23THRUST_200600_302600_NS5minusIdEEEE10hipError_tPvRmT2_T3_mT4_P12ihipStream_tbEUlT_E_NS1_11comp_targetILNS1_3genE5ELNS1_11target_archE942ELNS1_3gpuE9ELNS1_3repE0EEENS1_30default_config_static_selectorELNS0_4arch9wavefront6targetE1EEEvT1_
; %bb.0:
	.section	.rodata,"a",@progbits
	.p2align	6, 0x0
	.amdhsa_kernel _ZN7rocprim17ROCPRIM_400000_NS6detail17trampoline_kernelINS0_14default_configENS1_35adjacent_difference_config_selectorILb1EdEEZNS1_24adjacent_difference_implIS3_Lb1ELb0EPdS7_N6thrust23THRUST_200600_302600_NS5minusIdEEEE10hipError_tPvRmT2_T3_mT4_P12ihipStream_tbEUlT_E_NS1_11comp_targetILNS1_3genE5ELNS1_11target_archE942ELNS1_3gpuE9ELNS1_3repE0EEENS1_30default_config_static_selectorELNS0_4arch9wavefront6targetE1EEEvT1_
		.amdhsa_group_segment_fixed_size 0
		.amdhsa_private_segment_fixed_size 0
		.amdhsa_kernarg_size 56
		.amdhsa_user_sgpr_count 6
		.amdhsa_user_sgpr_private_segment_buffer 1
		.amdhsa_user_sgpr_dispatch_ptr 0
		.amdhsa_user_sgpr_queue_ptr 0
		.amdhsa_user_sgpr_kernarg_segment_ptr 1
		.amdhsa_user_sgpr_dispatch_id 0
		.amdhsa_user_sgpr_flat_scratch_init 0
		.amdhsa_user_sgpr_private_segment_size 0
		.amdhsa_uses_dynamic_stack 0
		.amdhsa_system_sgpr_private_segment_wavefront_offset 0
		.amdhsa_system_sgpr_workgroup_id_x 1
		.amdhsa_system_sgpr_workgroup_id_y 0
		.amdhsa_system_sgpr_workgroup_id_z 0
		.amdhsa_system_sgpr_workgroup_info 0
		.amdhsa_system_vgpr_workitem_id 0
		.amdhsa_next_free_vgpr 1
		.amdhsa_next_free_sgpr 0
		.amdhsa_reserve_vcc 0
		.amdhsa_reserve_flat_scratch 0
		.amdhsa_float_round_mode_32 0
		.amdhsa_float_round_mode_16_64 0
		.amdhsa_float_denorm_mode_32 3
		.amdhsa_float_denorm_mode_16_64 3
		.amdhsa_dx10_clamp 1
		.amdhsa_ieee_mode 1
		.amdhsa_fp16_overflow 0
		.amdhsa_exception_fp_ieee_invalid_op 0
		.amdhsa_exception_fp_denorm_src 0
		.amdhsa_exception_fp_ieee_div_zero 0
		.amdhsa_exception_fp_ieee_overflow 0
		.amdhsa_exception_fp_ieee_underflow 0
		.amdhsa_exception_fp_ieee_inexact 0
		.amdhsa_exception_int_div_zero 0
	.end_amdhsa_kernel
	.section	.text._ZN7rocprim17ROCPRIM_400000_NS6detail17trampoline_kernelINS0_14default_configENS1_35adjacent_difference_config_selectorILb1EdEEZNS1_24adjacent_difference_implIS3_Lb1ELb0EPdS7_N6thrust23THRUST_200600_302600_NS5minusIdEEEE10hipError_tPvRmT2_T3_mT4_P12ihipStream_tbEUlT_E_NS1_11comp_targetILNS1_3genE5ELNS1_11target_archE942ELNS1_3gpuE9ELNS1_3repE0EEENS1_30default_config_static_selectorELNS0_4arch9wavefront6targetE1EEEvT1_,"axG",@progbits,_ZN7rocprim17ROCPRIM_400000_NS6detail17trampoline_kernelINS0_14default_configENS1_35adjacent_difference_config_selectorILb1EdEEZNS1_24adjacent_difference_implIS3_Lb1ELb0EPdS7_N6thrust23THRUST_200600_302600_NS5minusIdEEEE10hipError_tPvRmT2_T3_mT4_P12ihipStream_tbEUlT_E_NS1_11comp_targetILNS1_3genE5ELNS1_11target_archE942ELNS1_3gpuE9ELNS1_3repE0EEENS1_30default_config_static_selectorELNS0_4arch9wavefront6targetE1EEEvT1_,comdat
.Lfunc_end21:
	.size	_ZN7rocprim17ROCPRIM_400000_NS6detail17trampoline_kernelINS0_14default_configENS1_35adjacent_difference_config_selectorILb1EdEEZNS1_24adjacent_difference_implIS3_Lb1ELb0EPdS7_N6thrust23THRUST_200600_302600_NS5minusIdEEEE10hipError_tPvRmT2_T3_mT4_P12ihipStream_tbEUlT_E_NS1_11comp_targetILNS1_3genE5ELNS1_11target_archE942ELNS1_3gpuE9ELNS1_3repE0EEENS1_30default_config_static_selectorELNS0_4arch9wavefront6targetE1EEEvT1_, .Lfunc_end21-_ZN7rocprim17ROCPRIM_400000_NS6detail17trampoline_kernelINS0_14default_configENS1_35adjacent_difference_config_selectorILb1EdEEZNS1_24adjacent_difference_implIS3_Lb1ELb0EPdS7_N6thrust23THRUST_200600_302600_NS5minusIdEEEE10hipError_tPvRmT2_T3_mT4_P12ihipStream_tbEUlT_E_NS1_11comp_targetILNS1_3genE5ELNS1_11target_archE942ELNS1_3gpuE9ELNS1_3repE0EEENS1_30default_config_static_selectorELNS0_4arch9wavefront6targetE1EEEvT1_
                                        ; -- End function
	.set _ZN7rocprim17ROCPRIM_400000_NS6detail17trampoline_kernelINS0_14default_configENS1_35adjacent_difference_config_selectorILb1EdEEZNS1_24adjacent_difference_implIS3_Lb1ELb0EPdS7_N6thrust23THRUST_200600_302600_NS5minusIdEEEE10hipError_tPvRmT2_T3_mT4_P12ihipStream_tbEUlT_E_NS1_11comp_targetILNS1_3genE5ELNS1_11target_archE942ELNS1_3gpuE9ELNS1_3repE0EEENS1_30default_config_static_selectorELNS0_4arch9wavefront6targetE1EEEvT1_.num_vgpr, 0
	.set _ZN7rocprim17ROCPRIM_400000_NS6detail17trampoline_kernelINS0_14default_configENS1_35adjacent_difference_config_selectorILb1EdEEZNS1_24adjacent_difference_implIS3_Lb1ELb0EPdS7_N6thrust23THRUST_200600_302600_NS5minusIdEEEE10hipError_tPvRmT2_T3_mT4_P12ihipStream_tbEUlT_E_NS1_11comp_targetILNS1_3genE5ELNS1_11target_archE942ELNS1_3gpuE9ELNS1_3repE0EEENS1_30default_config_static_selectorELNS0_4arch9wavefront6targetE1EEEvT1_.num_agpr, 0
	.set _ZN7rocprim17ROCPRIM_400000_NS6detail17trampoline_kernelINS0_14default_configENS1_35adjacent_difference_config_selectorILb1EdEEZNS1_24adjacent_difference_implIS3_Lb1ELb0EPdS7_N6thrust23THRUST_200600_302600_NS5minusIdEEEE10hipError_tPvRmT2_T3_mT4_P12ihipStream_tbEUlT_E_NS1_11comp_targetILNS1_3genE5ELNS1_11target_archE942ELNS1_3gpuE9ELNS1_3repE0EEENS1_30default_config_static_selectorELNS0_4arch9wavefront6targetE1EEEvT1_.numbered_sgpr, 0
	.set _ZN7rocprim17ROCPRIM_400000_NS6detail17trampoline_kernelINS0_14default_configENS1_35adjacent_difference_config_selectorILb1EdEEZNS1_24adjacent_difference_implIS3_Lb1ELb0EPdS7_N6thrust23THRUST_200600_302600_NS5minusIdEEEE10hipError_tPvRmT2_T3_mT4_P12ihipStream_tbEUlT_E_NS1_11comp_targetILNS1_3genE5ELNS1_11target_archE942ELNS1_3gpuE9ELNS1_3repE0EEENS1_30default_config_static_selectorELNS0_4arch9wavefront6targetE1EEEvT1_.num_named_barrier, 0
	.set _ZN7rocprim17ROCPRIM_400000_NS6detail17trampoline_kernelINS0_14default_configENS1_35adjacent_difference_config_selectorILb1EdEEZNS1_24adjacent_difference_implIS3_Lb1ELb0EPdS7_N6thrust23THRUST_200600_302600_NS5minusIdEEEE10hipError_tPvRmT2_T3_mT4_P12ihipStream_tbEUlT_E_NS1_11comp_targetILNS1_3genE5ELNS1_11target_archE942ELNS1_3gpuE9ELNS1_3repE0EEENS1_30default_config_static_selectorELNS0_4arch9wavefront6targetE1EEEvT1_.private_seg_size, 0
	.set _ZN7rocprim17ROCPRIM_400000_NS6detail17trampoline_kernelINS0_14default_configENS1_35adjacent_difference_config_selectorILb1EdEEZNS1_24adjacent_difference_implIS3_Lb1ELb0EPdS7_N6thrust23THRUST_200600_302600_NS5minusIdEEEE10hipError_tPvRmT2_T3_mT4_P12ihipStream_tbEUlT_E_NS1_11comp_targetILNS1_3genE5ELNS1_11target_archE942ELNS1_3gpuE9ELNS1_3repE0EEENS1_30default_config_static_selectorELNS0_4arch9wavefront6targetE1EEEvT1_.uses_vcc, 0
	.set _ZN7rocprim17ROCPRIM_400000_NS6detail17trampoline_kernelINS0_14default_configENS1_35adjacent_difference_config_selectorILb1EdEEZNS1_24adjacent_difference_implIS3_Lb1ELb0EPdS7_N6thrust23THRUST_200600_302600_NS5minusIdEEEE10hipError_tPvRmT2_T3_mT4_P12ihipStream_tbEUlT_E_NS1_11comp_targetILNS1_3genE5ELNS1_11target_archE942ELNS1_3gpuE9ELNS1_3repE0EEENS1_30default_config_static_selectorELNS0_4arch9wavefront6targetE1EEEvT1_.uses_flat_scratch, 0
	.set _ZN7rocprim17ROCPRIM_400000_NS6detail17trampoline_kernelINS0_14default_configENS1_35adjacent_difference_config_selectorILb1EdEEZNS1_24adjacent_difference_implIS3_Lb1ELb0EPdS7_N6thrust23THRUST_200600_302600_NS5minusIdEEEE10hipError_tPvRmT2_T3_mT4_P12ihipStream_tbEUlT_E_NS1_11comp_targetILNS1_3genE5ELNS1_11target_archE942ELNS1_3gpuE9ELNS1_3repE0EEENS1_30default_config_static_selectorELNS0_4arch9wavefront6targetE1EEEvT1_.has_dyn_sized_stack, 0
	.set _ZN7rocprim17ROCPRIM_400000_NS6detail17trampoline_kernelINS0_14default_configENS1_35adjacent_difference_config_selectorILb1EdEEZNS1_24adjacent_difference_implIS3_Lb1ELb0EPdS7_N6thrust23THRUST_200600_302600_NS5minusIdEEEE10hipError_tPvRmT2_T3_mT4_P12ihipStream_tbEUlT_E_NS1_11comp_targetILNS1_3genE5ELNS1_11target_archE942ELNS1_3gpuE9ELNS1_3repE0EEENS1_30default_config_static_selectorELNS0_4arch9wavefront6targetE1EEEvT1_.has_recursion, 0
	.set _ZN7rocprim17ROCPRIM_400000_NS6detail17trampoline_kernelINS0_14default_configENS1_35adjacent_difference_config_selectorILb1EdEEZNS1_24adjacent_difference_implIS3_Lb1ELb0EPdS7_N6thrust23THRUST_200600_302600_NS5minusIdEEEE10hipError_tPvRmT2_T3_mT4_P12ihipStream_tbEUlT_E_NS1_11comp_targetILNS1_3genE5ELNS1_11target_archE942ELNS1_3gpuE9ELNS1_3repE0EEENS1_30default_config_static_selectorELNS0_4arch9wavefront6targetE1EEEvT1_.has_indirect_call, 0
	.section	.AMDGPU.csdata,"",@progbits
; Kernel info:
; codeLenInByte = 0
; TotalNumSgprs: 4
; NumVgprs: 0
; ScratchSize: 0
; MemoryBound: 0
; FloatMode: 240
; IeeeMode: 1
; LDSByteSize: 0 bytes/workgroup (compile time only)
; SGPRBlocks: 0
; VGPRBlocks: 0
; NumSGPRsForWavesPerEU: 4
; NumVGPRsForWavesPerEU: 1
; Occupancy: 10
; WaveLimiterHint : 0
; COMPUTE_PGM_RSRC2:SCRATCH_EN: 0
; COMPUTE_PGM_RSRC2:USER_SGPR: 6
; COMPUTE_PGM_RSRC2:TRAP_HANDLER: 0
; COMPUTE_PGM_RSRC2:TGID_X_EN: 1
; COMPUTE_PGM_RSRC2:TGID_Y_EN: 0
; COMPUTE_PGM_RSRC2:TGID_Z_EN: 0
; COMPUTE_PGM_RSRC2:TIDIG_COMP_CNT: 0
	.section	.text._ZN7rocprim17ROCPRIM_400000_NS6detail17trampoline_kernelINS0_14default_configENS1_35adjacent_difference_config_selectorILb1EdEEZNS1_24adjacent_difference_implIS3_Lb1ELb0EPdS7_N6thrust23THRUST_200600_302600_NS5minusIdEEEE10hipError_tPvRmT2_T3_mT4_P12ihipStream_tbEUlT_E_NS1_11comp_targetILNS1_3genE4ELNS1_11target_archE910ELNS1_3gpuE8ELNS1_3repE0EEENS1_30default_config_static_selectorELNS0_4arch9wavefront6targetE1EEEvT1_,"axG",@progbits,_ZN7rocprim17ROCPRIM_400000_NS6detail17trampoline_kernelINS0_14default_configENS1_35adjacent_difference_config_selectorILb1EdEEZNS1_24adjacent_difference_implIS3_Lb1ELb0EPdS7_N6thrust23THRUST_200600_302600_NS5minusIdEEEE10hipError_tPvRmT2_T3_mT4_P12ihipStream_tbEUlT_E_NS1_11comp_targetILNS1_3genE4ELNS1_11target_archE910ELNS1_3gpuE8ELNS1_3repE0EEENS1_30default_config_static_selectorELNS0_4arch9wavefront6targetE1EEEvT1_,comdat
	.protected	_ZN7rocprim17ROCPRIM_400000_NS6detail17trampoline_kernelINS0_14default_configENS1_35adjacent_difference_config_selectorILb1EdEEZNS1_24adjacent_difference_implIS3_Lb1ELb0EPdS7_N6thrust23THRUST_200600_302600_NS5minusIdEEEE10hipError_tPvRmT2_T3_mT4_P12ihipStream_tbEUlT_E_NS1_11comp_targetILNS1_3genE4ELNS1_11target_archE910ELNS1_3gpuE8ELNS1_3repE0EEENS1_30default_config_static_selectorELNS0_4arch9wavefront6targetE1EEEvT1_ ; -- Begin function _ZN7rocprim17ROCPRIM_400000_NS6detail17trampoline_kernelINS0_14default_configENS1_35adjacent_difference_config_selectorILb1EdEEZNS1_24adjacent_difference_implIS3_Lb1ELb0EPdS7_N6thrust23THRUST_200600_302600_NS5minusIdEEEE10hipError_tPvRmT2_T3_mT4_P12ihipStream_tbEUlT_E_NS1_11comp_targetILNS1_3genE4ELNS1_11target_archE910ELNS1_3gpuE8ELNS1_3repE0EEENS1_30default_config_static_selectorELNS0_4arch9wavefront6targetE1EEEvT1_
	.globl	_ZN7rocprim17ROCPRIM_400000_NS6detail17trampoline_kernelINS0_14default_configENS1_35adjacent_difference_config_selectorILb1EdEEZNS1_24adjacent_difference_implIS3_Lb1ELb0EPdS7_N6thrust23THRUST_200600_302600_NS5minusIdEEEE10hipError_tPvRmT2_T3_mT4_P12ihipStream_tbEUlT_E_NS1_11comp_targetILNS1_3genE4ELNS1_11target_archE910ELNS1_3gpuE8ELNS1_3repE0EEENS1_30default_config_static_selectorELNS0_4arch9wavefront6targetE1EEEvT1_
	.p2align	8
	.type	_ZN7rocprim17ROCPRIM_400000_NS6detail17trampoline_kernelINS0_14default_configENS1_35adjacent_difference_config_selectorILb1EdEEZNS1_24adjacent_difference_implIS3_Lb1ELb0EPdS7_N6thrust23THRUST_200600_302600_NS5minusIdEEEE10hipError_tPvRmT2_T3_mT4_P12ihipStream_tbEUlT_E_NS1_11comp_targetILNS1_3genE4ELNS1_11target_archE910ELNS1_3gpuE8ELNS1_3repE0EEENS1_30default_config_static_selectorELNS0_4arch9wavefront6targetE1EEEvT1_,@function
_ZN7rocprim17ROCPRIM_400000_NS6detail17trampoline_kernelINS0_14default_configENS1_35adjacent_difference_config_selectorILb1EdEEZNS1_24adjacent_difference_implIS3_Lb1ELb0EPdS7_N6thrust23THRUST_200600_302600_NS5minusIdEEEE10hipError_tPvRmT2_T3_mT4_P12ihipStream_tbEUlT_E_NS1_11comp_targetILNS1_3genE4ELNS1_11target_archE910ELNS1_3gpuE8ELNS1_3repE0EEENS1_30default_config_static_selectorELNS0_4arch9wavefront6targetE1EEEvT1_: ; @_ZN7rocprim17ROCPRIM_400000_NS6detail17trampoline_kernelINS0_14default_configENS1_35adjacent_difference_config_selectorILb1EdEEZNS1_24adjacent_difference_implIS3_Lb1ELb0EPdS7_N6thrust23THRUST_200600_302600_NS5minusIdEEEE10hipError_tPvRmT2_T3_mT4_P12ihipStream_tbEUlT_E_NS1_11comp_targetILNS1_3genE4ELNS1_11target_archE910ELNS1_3gpuE8ELNS1_3repE0EEENS1_30default_config_static_selectorELNS0_4arch9wavefront6targetE1EEEvT1_
; %bb.0:
	.section	.rodata,"a",@progbits
	.p2align	6, 0x0
	.amdhsa_kernel _ZN7rocprim17ROCPRIM_400000_NS6detail17trampoline_kernelINS0_14default_configENS1_35adjacent_difference_config_selectorILb1EdEEZNS1_24adjacent_difference_implIS3_Lb1ELb0EPdS7_N6thrust23THRUST_200600_302600_NS5minusIdEEEE10hipError_tPvRmT2_T3_mT4_P12ihipStream_tbEUlT_E_NS1_11comp_targetILNS1_3genE4ELNS1_11target_archE910ELNS1_3gpuE8ELNS1_3repE0EEENS1_30default_config_static_selectorELNS0_4arch9wavefront6targetE1EEEvT1_
		.amdhsa_group_segment_fixed_size 0
		.amdhsa_private_segment_fixed_size 0
		.amdhsa_kernarg_size 56
		.amdhsa_user_sgpr_count 6
		.amdhsa_user_sgpr_private_segment_buffer 1
		.amdhsa_user_sgpr_dispatch_ptr 0
		.amdhsa_user_sgpr_queue_ptr 0
		.amdhsa_user_sgpr_kernarg_segment_ptr 1
		.amdhsa_user_sgpr_dispatch_id 0
		.amdhsa_user_sgpr_flat_scratch_init 0
		.amdhsa_user_sgpr_private_segment_size 0
		.amdhsa_uses_dynamic_stack 0
		.amdhsa_system_sgpr_private_segment_wavefront_offset 0
		.amdhsa_system_sgpr_workgroup_id_x 1
		.amdhsa_system_sgpr_workgroup_id_y 0
		.amdhsa_system_sgpr_workgroup_id_z 0
		.amdhsa_system_sgpr_workgroup_info 0
		.amdhsa_system_vgpr_workitem_id 0
		.amdhsa_next_free_vgpr 1
		.amdhsa_next_free_sgpr 0
		.amdhsa_reserve_vcc 0
		.amdhsa_reserve_flat_scratch 0
		.amdhsa_float_round_mode_32 0
		.amdhsa_float_round_mode_16_64 0
		.amdhsa_float_denorm_mode_32 3
		.amdhsa_float_denorm_mode_16_64 3
		.amdhsa_dx10_clamp 1
		.amdhsa_ieee_mode 1
		.amdhsa_fp16_overflow 0
		.amdhsa_exception_fp_ieee_invalid_op 0
		.amdhsa_exception_fp_denorm_src 0
		.amdhsa_exception_fp_ieee_div_zero 0
		.amdhsa_exception_fp_ieee_overflow 0
		.amdhsa_exception_fp_ieee_underflow 0
		.amdhsa_exception_fp_ieee_inexact 0
		.amdhsa_exception_int_div_zero 0
	.end_amdhsa_kernel
	.section	.text._ZN7rocprim17ROCPRIM_400000_NS6detail17trampoline_kernelINS0_14default_configENS1_35adjacent_difference_config_selectorILb1EdEEZNS1_24adjacent_difference_implIS3_Lb1ELb0EPdS7_N6thrust23THRUST_200600_302600_NS5minusIdEEEE10hipError_tPvRmT2_T3_mT4_P12ihipStream_tbEUlT_E_NS1_11comp_targetILNS1_3genE4ELNS1_11target_archE910ELNS1_3gpuE8ELNS1_3repE0EEENS1_30default_config_static_selectorELNS0_4arch9wavefront6targetE1EEEvT1_,"axG",@progbits,_ZN7rocprim17ROCPRIM_400000_NS6detail17trampoline_kernelINS0_14default_configENS1_35adjacent_difference_config_selectorILb1EdEEZNS1_24adjacent_difference_implIS3_Lb1ELb0EPdS7_N6thrust23THRUST_200600_302600_NS5minusIdEEEE10hipError_tPvRmT2_T3_mT4_P12ihipStream_tbEUlT_E_NS1_11comp_targetILNS1_3genE4ELNS1_11target_archE910ELNS1_3gpuE8ELNS1_3repE0EEENS1_30default_config_static_selectorELNS0_4arch9wavefront6targetE1EEEvT1_,comdat
.Lfunc_end22:
	.size	_ZN7rocprim17ROCPRIM_400000_NS6detail17trampoline_kernelINS0_14default_configENS1_35adjacent_difference_config_selectorILb1EdEEZNS1_24adjacent_difference_implIS3_Lb1ELb0EPdS7_N6thrust23THRUST_200600_302600_NS5minusIdEEEE10hipError_tPvRmT2_T3_mT4_P12ihipStream_tbEUlT_E_NS1_11comp_targetILNS1_3genE4ELNS1_11target_archE910ELNS1_3gpuE8ELNS1_3repE0EEENS1_30default_config_static_selectorELNS0_4arch9wavefront6targetE1EEEvT1_, .Lfunc_end22-_ZN7rocprim17ROCPRIM_400000_NS6detail17trampoline_kernelINS0_14default_configENS1_35adjacent_difference_config_selectorILb1EdEEZNS1_24adjacent_difference_implIS3_Lb1ELb0EPdS7_N6thrust23THRUST_200600_302600_NS5minusIdEEEE10hipError_tPvRmT2_T3_mT4_P12ihipStream_tbEUlT_E_NS1_11comp_targetILNS1_3genE4ELNS1_11target_archE910ELNS1_3gpuE8ELNS1_3repE0EEENS1_30default_config_static_selectorELNS0_4arch9wavefront6targetE1EEEvT1_
                                        ; -- End function
	.set _ZN7rocprim17ROCPRIM_400000_NS6detail17trampoline_kernelINS0_14default_configENS1_35adjacent_difference_config_selectorILb1EdEEZNS1_24adjacent_difference_implIS3_Lb1ELb0EPdS7_N6thrust23THRUST_200600_302600_NS5minusIdEEEE10hipError_tPvRmT2_T3_mT4_P12ihipStream_tbEUlT_E_NS1_11comp_targetILNS1_3genE4ELNS1_11target_archE910ELNS1_3gpuE8ELNS1_3repE0EEENS1_30default_config_static_selectorELNS0_4arch9wavefront6targetE1EEEvT1_.num_vgpr, 0
	.set _ZN7rocprim17ROCPRIM_400000_NS6detail17trampoline_kernelINS0_14default_configENS1_35adjacent_difference_config_selectorILb1EdEEZNS1_24adjacent_difference_implIS3_Lb1ELb0EPdS7_N6thrust23THRUST_200600_302600_NS5minusIdEEEE10hipError_tPvRmT2_T3_mT4_P12ihipStream_tbEUlT_E_NS1_11comp_targetILNS1_3genE4ELNS1_11target_archE910ELNS1_3gpuE8ELNS1_3repE0EEENS1_30default_config_static_selectorELNS0_4arch9wavefront6targetE1EEEvT1_.num_agpr, 0
	.set _ZN7rocprim17ROCPRIM_400000_NS6detail17trampoline_kernelINS0_14default_configENS1_35adjacent_difference_config_selectorILb1EdEEZNS1_24adjacent_difference_implIS3_Lb1ELb0EPdS7_N6thrust23THRUST_200600_302600_NS5minusIdEEEE10hipError_tPvRmT2_T3_mT4_P12ihipStream_tbEUlT_E_NS1_11comp_targetILNS1_3genE4ELNS1_11target_archE910ELNS1_3gpuE8ELNS1_3repE0EEENS1_30default_config_static_selectorELNS0_4arch9wavefront6targetE1EEEvT1_.numbered_sgpr, 0
	.set _ZN7rocprim17ROCPRIM_400000_NS6detail17trampoline_kernelINS0_14default_configENS1_35adjacent_difference_config_selectorILb1EdEEZNS1_24adjacent_difference_implIS3_Lb1ELb0EPdS7_N6thrust23THRUST_200600_302600_NS5minusIdEEEE10hipError_tPvRmT2_T3_mT4_P12ihipStream_tbEUlT_E_NS1_11comp_targetILNS1_3genE4ELNS1_11target_archE910ELNS1_3gpuE8ELNS1_3repE0EEENS1_30default_config_static_selectorELNS0_4arch9wavefront6targetE1EEEvT1_.num_named_barrier, 0
	.set _ZN7rocprim17ROCPRIM_400000_NS6detail17trampoline_kernelINS0_14default_configENS1_35adjacent_difference_config_selectorILb1EdEEZNS1_24adjacent_difference_implIS3_Lb1ELb0EPdS7_N6thrust23THRUST_200600_302600_NS5minusIdEEEE10hipError_tPvRmT2_T3_mT4_P12ihipStream_tbEUlT_E_NS1_11comp_targetILNS1_3genE4ELNS1_11target_archE910ELNS1_3gpuE8ELNS1_3repE0EEENS1_30default_config_static_selectorELNS0_4arch9wavefront6targetE1EEEvT1_.private_seg_size, 0
	.set _ZN7rocprim17ROCPRIM_400000_NS6detail17trampoline_kernelINS0_14default_configENS1_35adjacent_difference_config_selectorILb1EdEEZNS1_24adjacent_difference_implIS3_Lb1ELb0EPdS7_N6thrust23THRUST_200600_302600_NS5minusIdEEEE10hipError_tPvRmT2_T3_mT4_P12ihipStream_tbEUlT_E_NS1_11comp_targetILNS1_3genE4ELNS1_11target_archE910ELNS1_3gpuE8ELNS1_3repE0EEENS1_30default_config_static_selectorELNS0_4arch9wavefront6targetE1EEEvT1_.uses_vcc, 0
	.set _ZN7rocprim17ROCPRIM_400000_NS6detail17trampoline_kernelINS0_14default_configENS1_35adjacent_difference_config_selectorILb1EdEEZNS1_24adjacent_difference_implIS3_Lb1ELb0EPdS7_N6thrust23THRUST_200600_302600_NS5minusIdEEEE10hipError_tPvRmT2_T3_mT4_P12ihipStream_tbEUlT_E_NS1_11comp_targetILNS1_3genE4ELNS1_11target_archE910ELNS1_3gpuE8ELNS1_3repE0EEENS1_30default_config_static_selectorELNS0_4arch9wavefront6targetE1EEEvT1_.uses_flat_scratch, 0
	.set _ZN7rocprim17ROCPRIM_400000_NS6detail17trampoline_kernelINS0_14default_configENS1_35adjacent_difference_config_selectorILb1EdEEZNS1_24adjacent_difference_implIS3_Lb1ELb0EPdS7_N6thrust23THRUST_200600_302600_NS5minusIdEEEE10hipError_tPvRmT2_T3_mT4_P12ihipStream_tbEUlT_E_NS1_11comp_targetILNS1_3genE4ELNS1_11target_archE910ELNS1_3gpuE8ELNS1_3repE0EEENS1_30default_config_static_selectorELNS0_4arch9wavefront6targetE1EEEvT1_.has_dyn_sized_stack, 0
	.set _ZN7rocprim17ROCPRIM_400000_NS6detail17trampoline_kernelINS0_14default_configENS1_35adjacent_difference_config_selectorILb1EdEEZNS1_24adjacent_difference_implIS3_Lb1ELb0EPdS7_N6thrust23THRUST_200600_302600_NS5minusIdEEEE10hipError_tPvRmT2_T3_mT4_P12ihipStream_tbEUlT_E_NS1_11comp_targetILNS1_3genE4ELNS1_11target_archE910ELNS1_3gpuE8ELNS1_3repE0EEENS1_30default_config_static_selectorELNS0_4arch9wavefront6targetE1EEEvT1_.has_recursion, 0
	.set _ZN7rocprim17ROCPRIM_400000_NS6detail17trampoline_kernelINS0_14default_configENS1_35adjacent_difference_config_selectorILb1EdEEZNS1_24adjacent_difference_implIS3_Lb1ELb0EPdS7_N6thrust23THRUST_200600_302600_NS5minusIdEEEE10hipError_tPvRmT2_T3_mT4_P12ihipStream_tbEUlT_E_NS1_11comp_targetILNS1_3genE4ELNS1_11target_archE910ELNS1_3gpuE8ELNS1_3repE0EEENS1_30default_config_static_selectorELNS0_4arch9wavefront6targetE1EEEvT1_.has_indirect_call, 0
	.section	.AMDGPU.csdata,"",@progbits
; Kernel info:
; codeLenInByte = 0
; TotalNumSgprs: 4
; NumVgprs: 0
; ScratchSize: 0
; MemoryBound: 0
; FloatMode: 240
; IeeeMode: 1
; LDSByteSize: 0 bytes/workgroup (compile time only)
; SGPRBlocks: 0
; VGPRBlocks: 0
; NumSGPRsForWavesPerEU: 4
; NumVGPRsForWavesPerEU: 1
; Occupancy: 10
; WaveLimiterHint : 0
; COMPUTE_PGM_RSRC2:SCRATCH_EN: 0
; COMPUTE_PGM_RSRC2:USER_SGPR: 6
; COMPUTE_PGM_RSRC2:TRAP_HANDLER: 0
; COMPUTE_PGM_RSRC2:TGID_X_EN: 1
; COMPUTE_PGM_RSRC2:TGID_Y_EN: 0
; COMPUTE_PGM_RSRC2:TGID_Z_EN: 0
; COMPUTE_PGM_RSRC2:TIDIG_COMP_CNT: 0
	.section	.text._ZN7rocprim17ROCPRIM_400000_NS6detail17trampoline_kernelINS0_14default_configENS1_35adjacent_difference_config_selectorILb1EdEEZNS1_24adjacent_difference_implIS3_Lb1ELb0EPdS7_N6thrust23THRUST_200600_302600_NS5minusIdEEEE10hipError_tPvRmT2_T3_mT4_P12ihipStream_tbEUlT_E_NS1_11comp_targetILNS1_3genE3ELNS1_11target_archE908ELNS1_3gpuE7ELNS1_3repE0EEENS1_30default_config_static_selectorELNS0_4arch9wavefront6targetE1EEEvT1_,"axG",@progbits,_ZN7rocprim17ROCPRIM_400000_NS6detail17trampoline_kernelINS0_14default_configENS1_35adjacent_difference_config_selectorILb1EdEEZNS1_24adjacent_difference_implIS3_Lb1ELb0EPdS7_N6thrust23THRUST_200600_302600_NS5minusIdEEEE10hipError_tPvRmT2_T3_mT4_P12ihipStream_tbEUlT_E_NS1_11comp_targetILNS1_3genE3ELNS1_11target_archE908ELNS1_3gpuE7ELNS1_3repE0EEENS1_30default_config_static_selectorELNS0_4arch9wavefront6targetE1EEEvT1_,comdat
	.protected	_ZN7rocprim17ROCPRIM_400000_NS6detail17trampoline_kernelINS0_14default_configENS1_35adjacent_difference_config_selectorILb1EdEEZNS1_24adjacent_difference_implIS3_Lb1ELb0EPdS7_N6thrust23THRUST_200600_302600_NS5minusIdEEEE10hipError_tPvRmT2_T3_mT4_P12ihipStream_tbEUlT_E_NS1_11comp_targetILNS1_3genE3ELNS1_11target_archE908ELNS1_3gpuE7ELNS1_3repE0EEENS1_30default_config_static_selectorELNS0_4arch9wavefront6targetE1EEEvT1_ ; -- Begin function _ZN7rocprim17ROCPRIM_400000_NS6detail17trampoline_kernelINS0_14default_configENS1_35adjacent_difference_config_selectorILb1EdEEZNS1_24adjacent_difference_implIS3_Lb1ELb0EPdS7_N6thrust23THRUST_200600_302600_NS5minusIdEEEE10hipError_tPvRmT2_T3_mT4_P12ihipStream_tbEUlT_E_NS1_11comp_targetILNS1_3genE3ELNS1_11target_archE908ELNS1_3gpuE7ELNS1_3repE0EEENS1_30default_config_static_selectorELNS0_4arch9wavefront6targetE1EEEvT1_
	.globl	_ZN7rocprim17ROCPRIM_400000_NS6detail17trampoline_kernelINS0_14default_configENS1_35adjacent_difference_config_selectorILb1EdEEZNS1_24adjacent_difference_implIS3_Lb1ELb0EPdS7_N6thrust23THRUST_200600_302600_NS5minusIdEEEE10hipError_tPvRmT2_T3_mT4_P12ihipStream_tbEUlT_E_NS1_11comp_targetILNS1_3genE3ELNS1_11target_archE908ELNS1_3gpuE7ELNS1_3repE0EEENS1_30default_config_static_selectorELNS0_4arch9wavefront6targetE1EEEvT1_
	.p2align	8
	.type	_ZN7rocprim17ROCPRIM_400000_NS6detail17trampoline_kernelINS0_14default_configENS1_35adjacent_difference_config_selectorILb1EdEEZNS1_24adjacent_difference_implIS3_Lb1ELb0EPdS7_N6thrust23THRUST_200600_302600_NS5minusIdEEEE10hipError_tPvRmT2_T3_mT4_P12ihipStream_tbEUlT_E_NS1_11comp_targetILNS1_3genE3ELNS1_11target_archE908ELNS1_3gpuE7ELNS1_3repE0EEENS1_30default_config_static_selectorELNS0_4arch9wavefront6targetE1EEEvT1_,@function
_ZN7rocprim17ROCPRIM_400000_NS6detail17trampoline_kernelINS0_14default_configENS1_35adjacent_difference_config_selectorILb1EdEEZNS1_24adjacent_difference_implIS3_Lb1ELb0EPdS7_N6thrust23THRUST_200600_302600_NS5minusIdEEEE10hipError_tPvRmT2_T3_mT4_P12ihipStream_tbEUlT_E_NS1_11comp_targetILNS1_3genE3ELNS1_11target_archE908ELNS1_3gpuE7ELNS1_3repE0EEENS1_30default_config_static_selectorELNS0_4arch9wavefront6targetE1EEEvT1_: ; @_ZN7rocprim17ROCPRIM_400000_NS6detail17trampoline_kernelINS0_14default_configENS1_35adjacent_difference_config_selectorILb1EdEEZNS1_24adjacent_difference_implIS3_Lb1ELb0EPdS7_N6thrust23THRUST_200600_302600_NS5minusIdEEEE10hipError_tPvRmT2_T3_mT4_P12ihipStream_tbEUlT_E_NS1_11comp_targetILNS1_3genE3ELNS1_11target_archE908ELNS1_3gpuE7ELNS1_3repE0EEENS1_30default_config_static_selectorELNS0_4arch9wavefront6targetE1EEEvT1_
; %bb.0:
	.section	.rodata,"a",@progbits
	.p2align	6, 0x0
	.amdhsa_kernel _ZN7rocprim17ROCPRIM_400000_NS6detail17trampoline_kernelINS0_14default_configENS1_35adjacent_difference_config_selectorILb1EdEEZNS1_24adjacent_difference_implIS3_Lb1ELb0EPdS7_N6thrust23THRUST_200600_302600_NS5minusIdEEEE10hipError_tPvRmT2_T3_mT4_P12ihipStream_tbEUlT_E_NS1_11comp_targetILNS1_3genE3ELNS1_11target_archE908ELNS1_3gpuE7ELNS1_3repE0EEENS1_30default_config_static_selectorELNS0_4arch9wavefront6targetE1EEEvT1_
		.amdhsa_group_segment_fixed_size 0
		.amdhsa_private_segment_fixed_size 0
		.amdhsa_kernarg_size 56
		.amdhsa_user_sgpr_count 6
		.amdhsa_user_sgpr_private_segment_buffer 1
		.amdhsa_user_sgpr_dispatch_ptr 0
		.amdhsa_user_sgpr_queue_ptr 0
		.amdhsa_user_sgpr_kernarg_segment_ptr 1
		.amdhsa_user_sgpr_dispatch_id 0
		.amdhsa_user_sgpr_flat_scratch_init 0
		.amdhsa_user_sgpr_private_segment_size 0
		.amdhsa_uses_dynamic_stack 0
		.amdhsa_system_sgpr_private_segment_wavefront_offset 0
		.amdhsa_system_sgpr_workgroup_id_x 1
		.amdhsa_system_sgpr_workgroup_id_y 0
		.amdhsa_system_sgpr_workgroup_id_z 0
		.amdhsa_system_sgpr_workgroup_info 0
		.amdhsa_system_vgpr_workitem_id 0
		.amdhsa_next_free_vgpr 1
		.amdhsa_next_free_sgpr 0
		.amdhsa_reserve_vcc 0
		.amdhsa_reserve_flat_scratch 0
		.amdhsa_float_round_mode_32 0
		.amdhsa_float_round_mode_16_64 0
		.amdhsa_float_denorm_mode_32 3
		.amdhsa_float_denorm_mode_16_64 3
		.amdhsa_dx10_clamp 1
		.amdhsa_ieee_mode 1
		.amdhsa_fp16_overflow 0
		.amdhsa_exception_fp_ieee_invalid_op 0
		.amdhsa_exception_fp_denorm_src 0
		.amdhsa_exception_fp_ieee_div_zero 0
		.amdhsa_exception_fp_ieee_overflow 0
		.amdhsa_exception_fp_ieee_underflow 0
		.amdhsa_exception_fp_ieee_inexact 0
		.amdhsa_exception_int_div_zero 0
	.end_amdhsa_kernel
	.section	.text._ZN7rocprim17ROCPRIM_400000_NS6detail17trampoline_kernelINS0_14default_configENS1_35adjacent_difference_config_selectorILb1EdEEZNS1_24adjacent_difference_implIS3_Lb1ELb0EPdS7_N6thrust23THRUST_200600_302600_NS5minusIdEEEE10hipError_tPvRmT2_T3_mT4_P12ihipStream_tbEUlT_E_NS1_11comp_targetILNS1_3genE3ELNS1_11target_archE908ELNS1_3gpuE7ELNS1_3repE0EEENS1_30default_config_static_selectorELNS0_4arch9wavefront6targetE1EEEvT1_,"axG",@progbits,_ZN7rocprim17ROCPRIM_400000_NS6detail17trampoline_kernelINS0_14default_configENS1_35adjacent_difference_config_selectorILb1EdEEZNS1_24adjacent_difference_implIS3_Lb1ELb0EPdS7_N6thrust23THRUST_200600_302600_NS5minusIdEEEE10hipError_tPvRmT2_T3_mT4_P12ihipStream_tbEUlT_E_NS1_11comp_targetILNS1_3genE3ELNS1_11target_archE908ELNS1_3gpuE7ELNS1_3repE0EEENS1_30default_config_static_selectorELNS0_4arch9wavefront6targetE1EEEvT1_,comdat
.Lfunc_end23:
	.size	_ZN7rocprim17ROCPRIM_400000_NS6detail17trampoline_kernelINS0_14default_configENS1_35adjacent_difference_config_selectorILb1EdEEZNS1_24adjacent_difference_implIS3_Lb1ELb0EPdS7_N6thrust23THRUST_200600_302600_NS5minusIdEEEE10hipError_tPvRmT2_T3_mT4_P12ihipStream_tbEUlT_E_NS1_11comp_targetILNS1_3genE3ELNS1_11target_archE908ELNS1_3gpuE7ELNS1_3repE0EEENS1_30default_config_static_selectorELNS0_4arch9wavefront6targetE1EEEvT1_, .Lfunc_end23-_ZN7rocprim17ROCPRIM_400000_NS6detail17trampoline_kernelINS0_14default_configENS1_35adjacent_difference_config_selectorILb1EdEEZNS1_24adjacent_difference_implIS3_Lb1ELb0EPdS7_N6thrust23THRUST_200600_302600_NS5minusIdEEEE10hipError_tPvRmT2_T3_mT4_P12ihipStream_tbEUlT_E_NS1_11comp_targetILNS1_3genE3ELNS1_11target_archE908ELNS1_3gpuE7ELNS1_3repE0EEENS1_30default_config_static_selectorELNS0_4arch9wavefront6targetE1EEEvT1_
                                        ; -- End function
	.set _ZN7rocprim17ROCPRIM_400000_NS6detail17trampoline_kernelINS0_14default_configENS1_35adjacent_difference_config_selectorILb1EdEEZNS1_24adjacent_difference_implIS3_Lb1ELb0EPdS7_N6thrust23THRUST_200600_302600_NS5minusIdEEEE10hipError_tPvRmT2_T3_mT4_P12ihipStream_tbEUlT_E_NS1_11comp_targetILNS1_3genE3ELNS1_11target_archE908ELNS1_3gpuE7ELNS1_3repE0EEENS1_30default_config_static_selectorELNS0_4arch9wavefront6targetE1EEEvT1_.num_vgpr, 0
	.set _ZN7rocprim17ROCPRIM_400000_NS6detail17trampoline_kernelINS0_14default_configENS1_35adjacent_difference_config_selectorILb1EdEEZNS1_24adjacent_difference_implIS3_Lb1ELb0EPdS7_N6thrust23THRUST_200600_302600_NS5minusIdEEEE10hipError_tPvRmT2_T3_mT4_P12ihipStream_tbEUlT_E_NS1_11comp_targetILNS1_3genE3ELNS1_11target_archE908ELNS1_3gpuE7ELNS1_3repE0EEENS1_30default_config_static_selectorELNS0_4arch9wavefront6targetE1EEEvT1_.num_agpr, 0
	.set _ZN7rocprim17ROCPRIM_400000_NS6detail17trampoline_kernelINS0_14default_configENS1_35adjacent_difference_config_selectorILb1EdEEZNS1_24adjacent_difference_implIS3_Lb1ELb0EPdS7_N6thrust23THRUST_200600_302600_NS5minusIdEEEE10hipError_tPvRmT2_T3_mT4_P12ihipStream_tbEUlT_E_NS1_11comp_targetILNS1_3genE3ELNS1_11target_archE908ELNS1_3gpuE7ELNS1_3repE0EEENS1_30default_config_static_selectorELNS0_4arch9wavefront6targetE1EEEvT1_.numbered_sgpr, 0
	.set _ZN7rocprim17ROCPRIM_400000_NS6detail17trampoline_kernelINS0_14default_configENS1_35adjacent_difference_config_selectorILb1EdEEZNS1_24adjacent_difference_implIS3_Lb1ELb0EPdS7_N6thrust23THRUST_200600_302600_NS5minusIdEEEE10hipError_tPvRmT2_T3_mT4_P12ihipStream_tbEUlT_E_NS1_11comp_targetILNS1_3genE3ELNS1_11target_archE908ELNS1_3gpuE7ELNS1_3repE0EEENS1_30default_config_static_selectorELNS0_4arch9wavefront6targetE1EEEvT1_.num_named_barrier, 0
	.set _ZN7rocprim17ROCPRIM_400000_NS6detail17trampoline_kernelINS0_14default_configENS1_35adjacent_difference_config_selectorILb1EdEEZNS1_24adjacent_difference_implIS3_Lb1ELb0EPdS7_N6thrust23THRUST_200600_302600_NS5minusIdEEEE10hipError_tPvRmT2_T3_mT4_P12ihipStream_tbEUlT_E_NS1_11comp_targetILNS1_3genE3ELNS1_11target_archE908ELNS1_3gpuE7ELNS1_3repE0EEENS1_30default_config_static_selectorELNS0_4arch9wavefront6targetE1EEEvT1_.private_seg_size, 0
	.set _ZN7rocprim17ROCPRIM_400000_NS6detail17trampoline_kernelINS0_14default_configENS1_35adjacent_difference_config_selectorILb1EdEEZNS1_24adjacent_difference_implIS3_Lb1ELb0EPdS7_N6thrust23THRUST_200600_302600_NS5minusIdEEEE10hipError_tPvRmT2_T3_mT4_P12ihipStream_tbEUlT_E_NS1_11comp_targetILNS1_3genE3ELNS1_11target_archE908ELNS1_3gpuE7ELNS1_3repE0EEENS1_30default_config_static_selectorELNS0_4arch9wavefront6targetE1EEEvT1_.uses_vcc, 0
	.set _ZN7rocprim17ROCPRIM_400000_NS6detail17trampoline_kernelINS0_14default_configENS1_35adjacent_difference_config_selectorILb1EdEEZNS1_24adjacent_difference_implIS3_Lb1ELb0EPdS7_N6thrust23THRUST_200600_302600_NS5minusIdEEEE10hipError_tPvRmT2_T3_mT4_P12ihipStream_tbEUlT_E_NS1_11comp_targetILNS1_3genE3ELNS1_11target_archE908ELNS1_3gpuE7ELNS1_3repE0EEENS1_30default_config_static_selectorELNS0_4arch9wavefront6targetE1EEEvT1_.uses_flat_scratch, 0
	.set _ZN7rocprim17ROCPRIM_400000_NS6detail17trampoline_kernelINS0_14default_configENS1_35adjacent_difference_config_selectorILb1EdEEZNS1_24adjacent_difference_implIS3_Lb1ELb0EPdS7_N6thrust23THRUST_200600_302600_NS5minusIdEEEE10hipError_tPvRmT2_T3_mT4_P12ihipStream_tbEUlT_E_NS1_11comp_targetILNS1_3genE3ELNS1_11target_archE908ELNS1_3gpuE7ELNS1_3repE0EEENS1_30default_config_static_selectorELNS0_4arch9wavefront6targetE1EEEvT1_.has_dyn_sized_stack, 0
	.set _ZN7rocprim17ROCPRIM_400000_NS6detail17trampoline_kernelINS0_14default_configENS1_35adjacent_difference_config_selectorILb1EdEEZNS1_24adjacent_difference_implIS3_Lb1ELb0EPdS7_N6thrust23THRUST_200600_302600_NS5minusIdEEEE10hipError_tPvRmT2_T3_mT4_P12ihipStream_tbEUlT_E_NS1_11comp_targetILNS1_3genE3ELNS1_11target_archE908ELNS1_3gpuE7ELNS1_3repE0EEENS1_30default_config_static_selectorELNS0_4arch9wavefront6targetE1EEEvT1_.has_recursion, 0
	.set _ZN7rocprim17ROCPRIM_400000_NS6detail17trampoline_kernelINS0_14default_configENS1_35adjacent_difference_config_selectorILb1EdEEZNS1_24adjacent_difference_implIS3_Lb1ELb0EPdS7_N6thrust23THRUST_200600_302600_NS5minusIdEEEE10hipError_tPvRmT2_T3_mT4_P12ihipStream_tbEUlT_E_NS1_11comp_targetILNS1_3genE3ELNS1_11target_archE908ELNS1_3gpuE7ELNS1_3repE0EEENS1_30default_config_static_selectorELNS0_4arch9wavefront6targetE1EEEvT1_.has_indirect_call, 0
	.section	.AMDGPU.csdata,"",@progbits
; Kernel info:
; codeLenInByte = 0
; TotalNumSgprs: 4
; NumVgprs: 0
; ScratchSize: 0
; MemoryBound: 0
; FloatMode: 240
; IeeeMode: 1
; LDSByteSize: 0 bytes/workgroup (compile time only)
; SGPRBlocks: 0
; VGPRBlocks: 0
; NumSGPRsForWavesPerEU: 4
; NumVGPRsForWavesPerEU: 1
; Occupancy: 10
; WaveLimiterHint : 0
; COMPUTE_PGM_RSRC2:SCRATCH_EN: 0
; COMPUTE_PGM_RSRC2:USER_SGPR: 6
; COMPUTE_PGM_RSRC2:TRAP_HANDLER: 0
; COMPUTE_PGM_RSRC2:TGID_X_EN: 1
; COMPUTE_PGM_RSRC2:TGID_Y_EN: 0
; COMPUTE_PGM_RSRC2:TGID_Z_EN: 0
; COMPUTE_PGM_RSRC2:TIDIG_COMP_CNT: 0
	.section	.text._ZN7rocprim17ROCPRIM_400000_NS6detail17trampoline_kernelINS0_14default_configENS1_35adjacent_difference_config_selectorILb1EdEEZNS1_24adjacent_difference_implIS3_Lb1ELb0EPdS7_N6thrust23THRUST_200600_302600_NS5minusIdEEEE10hipError_tPvRmT2_T3_mT4_P12ihipStream_tbEUlT_E_NS1_11comp_targetILNS1_3genE2ELNS1_11target_archE906ELNS1_3gpuE6ELNS1_3repE0EEENS1_30default_config_static_selectorELNS0_4arch9wavefront6targetE1EEEvT1_,"axG",@progbits,_ZN7rocprim17ROCPRIM_400000_NS6detail17trampoline_kernelINS0_14default_configENS1_35adjacent_difference_config_selectorILb1EdEEZNS1_24adjacent_difference_implIS3_Lb1ELb0EPdS7_N6thrust23THRUST_200600_302600_NS5minusIdEEEE10hipError_tPvRmT2_T3_mT4_P12ihipStream_tbEUlT_E_NS1_11comp_targetILNS1_3genE2ELNS1_11target_archE906ELNS1_3gpuE6ELNS1_3repE0EEENS1_30default_config_static_selectorELNS0_4arch9wavefront6targetE1EEEvT1_,comdat
	.protected	_ZN7rocprim17ROCPRIM_400000_NS6detail17trampoline_kernelINS0_14default_configENS1_35adjacent_difference_config_selectorILb1EdEEZNS1_24adjacent_difference_implIS3_Lb1ELb0EPdS7_N6thrust23THRUST_200600_302600_NS5minusIdEEEE10hipError_tPvRmT2_T3_mT4_P12ihipStream_tbEUlT_E_NS1_11comp_targetILNS1_3genE2ELNS1_11target_archE906ELNS1_3gpuE6ELNS1_3repE0EEENS1_30default_config_static_selectorELNS0_4arch9wavefront6targetE1EEEvT1_ ; -- Begin function _ZN7rocprim17ROCPRIM_400000_NS6detail17trampoline_kernelINS0_14default_configENS1_35adjacent_difference_config_selectorILb1EdEEZNS1_24adjacent_difference_implIS3_Lb1ELb0EPdS7_N6thrust23THRUST_200600_302600_NS5minusIdEEEE10hipError_tPvRmT2_T3_mT4_P12ihipStream_tbEUlT_E_NS1_11comp_targetILNS1_3genE2ELNS1_11target_archE906ELNS1_3gpuE6ELNS1_3repE0EEENS1_30default_config_static_selectorELNS0_4arch9wavefront6targetE1EEEvT1_
	.globl	_ZN7rocprim17ROCPRIM_400000_NS6detail17trampoline_kernelINS0_14default_configENS1_35adjacent_difference_config_selectorILb1EdEEZNS1_24adjacent_difference_implIS3_Lb1ELb0EPdS7_N6thrust23THRUST_200600_302600_NS5minusIdEEEE10hipError_tPvRmT2_T3_mT4_P12ihipStream_tbEUlT_E_NS1_11comp_targetILNS1_3genE2ELNS1_11target_archE906ELNS1_3gpuE6ELNS1_3repE0EEENS1_30default_config_static_selectorELNS0_4arch9wavefront6targetE1EEEvT1_
	.p2align	8
	.type	_ZN7rocprim17ROCPRIM_400000_NS6detail17trampoline_kernelINS0_14default_configENS1_35adjacent_difference_config_selectorILb1EdEEZNS1_24adjacent_difference_implIS3_Lb1ELb0EPdS7_N6thrust23THRUST_200600_302600_NS5minusIdEEEE10hipError_tPvRmT2_T3_mT4_P12ihipStream_tbEUlT_E_NS1_11comp_targetILNS1_3genE2ELNS1_11target_archE906ELNS1_3gpuE6ELNS1_3repE0EEENS1_30default_config_static_selectorELNS0_4arch9wavefront6targetE1EEEvT1_,@function
_ZN7rocprim17ROCPRIM_400000_NS6detail17trampoline_kernelINS0_14default_configENS1_35adjacent_difference_config_selectorILb1EdEEZNS1_24adjacent_difference_implIS3_Lb1ELb0EPdS7_N6thrust23THRUST_200600_302600_NS5minusIdEEEE10hipError_tPvRmT2_T3_mT4_P12ihipStream_tbEUlT_E_NS1_11comp_targetILNS1_3genE2ELNS1_11target_archE906ELNS1_3gpuE6ELNS1_3repE0EEENS1_30default_config_static_selectorELNS0_4arch9wavefront6targetE1EEEvT1_: ; @_ZN7rocprim17ROCPRIM_400000_NS6detail17trampoline_kernelINS0_14default_configENS1_35adjacent_difference_config_selectorILb1EdEEZNS1_24adjacent_difference_implIS3_Lb1ELb0EPdS7_N6thrust23THRUST_200600_302600_NS5minusIdEEEE10hipError_tPvRmT2_T3_mT4_P12ihipStream_tbEUlT_E_NS1_11comp_targetILNS1_3genE2ELNS1_11target_archE906ELNS1_3gpuE6ELNS1_3repE0EEENS1_30default_config_static_selectorELNS0_4arch9wavefront6targetE1EEEvT1_
; %bb.0:
	s_load_dwordx8 s[8:15], s[4:5], 0x0
	s_load_dwordx4 s[16:19], s[4:5], 0x28
	s_mul_i32 s4, s6, 0x580
	s_mov_b32 s7, 0
	s_mov_b64 s[22:23], -1
	s_waitcnt lgkmcnt(0)
	s_lshl_b64 s[10:11], s[10:11], 3
	s_add_u32 s26, s8, s10
	s_addc_u32 s27, s9, s11
	s_mul_i32 s3, s15, 0xba2e8ba3
	s_mul_hi_u32 s5, s14, 0xba2e8ba3
	s_mul_hi_u32 s2, s15, 0xba2e8ba3
	s_add_u32 s3, s3, s5
	s_mul_i32 s1, s14, 0x2e8ba2e8
	s_addc_u32 s2, s2, 0
	s_mul_hi_u32 s0, s14, 0x2e8ba2e8
	s_add_u32 s1, s1, s3
	s_addc_u32 s0, s0, 0
	s_add_u32 s0, s2, s0
	s_addc_u32 s1, 0, 0
	s_mul_i32 s3, s15, 0x2e8ba2e8
	s_mul_hi_u32 s2, s15, 0x2e8ba2e8
	s_add_u32 s0, s3, s0
	s_addc_u32 s1, s2, s1
	s_lshr_b64 s[2:3], s[0:1], 8
	s_lshr_b32 s0, s1, 8
	s_mulk_i32 s0, 0x580
	s_mul_hi_u32 s1, s2, 0x580
	s_add_i32 s1, s1, s0
	s_mul_i32 s0, s2, 0x580
	s_sub_u32 s0, s14, s0
	s_subb_u32 s1, s15, s1
	s_cmp_lg_u64 s[0:1], 0
	s_cselect_b64 s[0:1], -1, 0
	v_cndmask_b32_e64 v1, 0, 1, s[0:1]
	v_readfirstlane_b32 s0, v1
	s_add_u32 s2, s2, s0
	s_addc_u32 s3, s3, 0
	s_add_u32 s8, s18, s6
	s_addc_u32 s9, s19, 0
	s_add_u32 s20, s2, -1
	s_addc_u32 s21, s3, -1
	v_mov_b32_e32 v1, s20
	v_mov_b32_e32 v2, s21
	v_cmp_ge_u64_e64 s[0:1], s[8:9], v[1:2]
	s_mul_i32 s15, s20, 0xfffffa80
	s_and_b64 vcc, exec, s[0:1]
	s_cbranch_vccz .LBB24_24
; %bb.1:
	s_mov_b32 s5, s7
	s_add_i32 s28, s15, s14
	s_lshl_b64 s[22:23], s[4:5], 3
	s_add_u32 s22, s26, s22
	s_addc_u32 s23, s27, s23
	v_cmp_gt_u32_e32 vcc, s28, v0
                                        ; implicit-def: $vgpr1_vgpr2
	s_and_saveexec_b64 s[24:25], vcc
	s_cbranch_execz .LBB24_3
; %bb.2:
	v_lshlrev_b32_e32 v1, 3, v0
	global_load_dwordx2 v[1:2], v1, s[22:23]
.LBB24_3:
	s_or_b64 exec, exec, s[24:25]
	v_or_b32_e32 v3, 0x80, v0
	v_cmp_gt_u32_e32 vcc, s28, v3
                                        ; implicit-def: $vgpr3_vgpr4
	s_and_saveexec_b64 s[24:25], vcc
	s_cbranch_execz .LBB24_5
; %bb.4:
	v_lshlrev_b32_e32 v3, 3, v0
	global_load_dwordx2 v[3:4], v3, s[22:23] offset:1024
.LBB24_5:
	s_or_b64 exec, exec, s[24:25]
	v_or_b32_e32 v5, 0x100, v0
	v_cmp_gt_u32_e32 vcc, s28, v5
                                        ; implicit-def: $vgpr5_vgpr6
	s_and_saveexec_b64 s[24:25], vcc
	s_cbranch_execz .LBB24_7
; %bb.6:
	v_lshlrev_b32_e32 v5, 3, v0
	global_load_dwordx2 v[5:6], v5, s[22:23] offset:2048
.LBB24_7:
	s_or_b64 exec, exec, s[24:25]
	v_or_b32_e32 v7, 0x180, v0
	v_cmp_gt_u32_e32 vcc, s28, v7
                                        ; implicit-def: $vgpr7_vgpr8
	s_and_saveexec_b64 s[24:25], vcc
	s_cbranch_execz .LBB24_9
; %bb.8:
	v_lshlrev_b32_e32 v7, 3, v0
	global_load_dwordx2 v[7:8], v7, s[22:23] offset:3072
.LBB24_9:
	s_or_b64 exec, exec, s[24:25]
	v_or_b32_e32 v11, 0x200, v0
	v_cmp_gt_u32_e32 vcc, s28, v11
                                        ; implicit-def: $vgpr9_vgpr10
	s_and_saveexec_b64 s[24:25], vcc
	s_cbranch_execz .LBB24_11
; %bb.10:
	v_lshlrev_b32_e32 v9, 3, v11
	global_load_dwordx2 v[9:10], v9, s[22:23]
.LBB24_11:
	s_or_b64 exec, exec, s[24:25]
	v_or_b32_e32 v13, 0x280, v0
	v_cmp_gt_u32_e32 vcc, s28, v13
                                        ; implicit-def: $vgpr11_vgpr12
	s_and_saveexec_b64 s[24:25], vcc
	s_cbranch_execz .LBB24_13
; %bb.12:
	v_lshlrev_b32_e32 v11, 3, v13
	global_load_dwordx2 v[11:12], v11, s[22:23]
.LBB24_13:
	s_or_b64 exec, exec, s[24:25]
	v_or_b32_e32 v15, 0x300, v0
	v_cmp_gt_u32_e32 vcc, s28, v15
                                        ; implicit-def: $vgpr13_vgpr14
	s_and_saveexec_b64 s[24:25], vcc
	s_cbranch_execz .LBB24_15
; %bb.14:
	v_lshlrev_b32_e32 v13, 3, v15
	global_load_dwordx2 v[13:14], v13, s[22:23]
.LBB24_15:
	s_or_b64 exec, exec, s[24:25]
	v_or_b32_e32 v17, 0x380, v0
	v_cmp_gt_u32_e32 vcc, s28, v17
                                        ; implicit-def: $vgpr15_vgpr16
	s_and_saveexec_b64 s[24:25], vcc
	s_cbranch_execz .LBB24_17
; %bb.16:
	v_lshlrev_b32_e32 v15, 3, v17
	global_load_dwordx2 v[15:16], v15, s[22:23]
.LBB24_17:
	s_or_b64 exec, exec, s[24:25]
	v_or_b32_e32 v19, 0x400, v0
	v_cmp_gt_u32_e32 vcc, s28, v19
                                        ; implicit-def: $vgpr17_vgpr18
	s_and_saveexec_b64 s[24:25], vcc
	s_cbranch_execz .LBB24_19
; %bb.18:
	v_lshlrev_b32_e32 v17, 3, v19
	global_load_dwordx2 v[17:18], v17, s[22:23]
.LBB24_19:
	s_or_b64 exec, exec, s[24:25]
	v_or_b32_e32 v21, 0x480, v0
	v_cmp_gt_u32_e32 vcc, s28, v21
                                        ; implicit-def: $vgpr19_vgpr20
	s_and_saveexec_b64 s[24:25], vcc
	s_cbranch_execz .LBB24_21
; %bb.20:
	v_lshlrev_b32_e32 v19, 3, v21
	global_load_dwordx2 v[19:20], v19, s[22:23]
.LBB24_21:
	s_or_b64 exec, exec, s[24:25]
	v_or_b32_e32 v23, 0x500, v0
	v_cmp_gt_u32_e32 vcc, s28, v23
                                        ; implicit-def: $vgpr21_vgpr22
	s_and_saveexec_b64 s[24:25], vcc
	s_cbranch_execz .LBB24_23
; %bb.22:
	v_lshlrev_b32_e32 v21, 3, v23
	global_load_dwordx2 v[21:22], v21, s[22:23]
.LBB24_23:
	s_or_b64 exec, exec, s[24:25]
	v_lshlrev_b32_e32 v23, 3, v0
	s_mov_b64 s[22:23], 0
	s_waitcnt vmcnt(0)
	ds_write2st64_b64 v23, v[1:2], v[3:4] offset1:2
	ds_write2st64_b64 v23, v[5:6], v[7:8] offset0:4 offset1:6
	ds_write2st64_b64 v23, v[9:10], v[11:12] offset0:8 offset1:10
	;; [unrolled: 1-line block ×4, first 2 shown]
	ds_write_b64 v23, v[21:22] offset:10240
	s_waitcnt lgkmcnt(0)
	s_barrier
.LBB24_24:
	s_and_b64 vcc, exec, s[22:23]
	v_lshlrev_b32_e32 v45, 3, v0
	s_cbranch_vccz .LBB24_26
; %bb.25:
	s_mov_b32 s5, 0
	s_lshl_b64 s[22:23], s[4:5], 3
	s_add_u32 s22, s26, s22
	s_addc_u32 s23, s27, s23
	v_mov_b32_e32 v1, s23
	v_add_co_u32_e32 v19, vcc, s22, v45
	v_addc_co_u32_e32 v20, vcc, 0, v1, vcc
	v_add_co_u32_e32 v9, vcc, 0x1000, v19
	v_addc_co_u32_e32 v10, vcc, 0, v20, vcc
	global_load_dwordx2 v[1:2], v45, s[22:23]
	global_load_dwordx2 v[3:4], v45, s[22:23] offset:1024
	global_load_dwordx2 v[5:6], v45, s[22:23] offset:2048
	;; [unrolled: 1-line block ×3, first 2 shown]
	global_load_dwordx2 v[11:12], v[9:10], off
	global_load_dwordx2 v[13:14], v[9:10], off offset:1024
	global_load_dwordx2 v[15:16], v[9:10], off offset:2048
	;; [unrolled: 1-line block ×3, first 2 shown]
	v_add_co_u32_e32 v9, vcc, 0x2000, v19
	v_addc_co_u32_e32 v10, vcc, 0, v20, vcc
	global_load_dwordx2 v[19:20], v[9:10], off
	global_load_dwordx2 v[21:22], v[9:10], off offset:1024
	global_load_dwordx2 v[23:24], v[9:10], off offset:2048
	s_waitcnt vmcnt(9)
	ds_write2st64_b64 v45, v[1:2], v[3:4] offset1:2
	s_waitcnt vmcnt(7)
	ds_write2st64_b64 v45, v[5:6], v[7:8] offset0:4 offset1:6
	s_waitcnt vmcnt(5)
	ds_write2st64_b64 v45, v[11:12], v[13:14] offset0:8 offset1:10
	;; [unrolled: 2-line block ×4, first 2 shown]
	s_waitcnt vmcnt(0)
	ds_write_b64 v45, v[23:24] offset:10240
	s_waitcnt lgkmcnt(0)
	s_barrier
.LBB24_26:
	v_mul_u32_u24_e32 v13, 0x58, v0
	ds_read_b64 v[43:44], v13 offset:80
	ds_read2_b64 v[9:12], v13 offset0:8 offset1:9
	ds_read2_b64 v[1:4], v13 offset1:1
	ds_read2_b64 v[5:8], v13 offset0:2 offset1:3
	ds_read2_b64 v[17:20], v13 offset0:6 offset1:7
	;; [unrolled: 1-line block ×3, first 2 shown]
	s_cmp_eq_u64 s[8:9], 0
	s_waitcnt lgkmcnt(0)
	s_barrier
	s_cbranch_scc1 .LBB24_31
; %bb.27:
	s_lshl_b64 s[18:19], s[18:19], 3
	s_add_u32 s5, s16, s18
	s_addc_u32 s16, s17, s19
	s_lshl_b64 s[6:7], s[6:7], 3
	s_add_u32 s5, s5, s6
	s_addc_u32 s7, s16, s7
	s_add_u32 s6, s5, -8
	s_addc_u32 s7, s7, -1
	s_load_dwordx2 s[6:7], s[6:7], 0x0
	s_cmp_eq_u64 s[8:9], s[20:21]
	s_cbranch_scc1 .LBB24_32
; %bb.28:
	s_waitcnt lgkmcnt(0)
	v_mov_b32_e32 v42, s7
	v_cmp_ne_u32_e32 vcc, 0, v0
	v_mov_b32_e32 v41, s6
	ds_write_b64 v45, v[43:44]
	s_waitcnt lgkmcnt(0)
	s_barrier
	s_and_saveexec_b64 s[16:17], vcc
; %bb.29:
	v_add_u32_e32 v21, -8, v45
	ds_read_b64 v[41:42], v21
; %bb.30:
	s_or_b64 exec, exec, s[16:17]
	v_add_f64 v[21:22], v[43:44], -v[11:12]
	v_add_f64 v[23:24], v[11:12], -v[9:10]
	;; [unrolled: 1-line block ×10, first 2 shown]
	s_waitcnt lgkmcnt(0)
	v_add_f64 v[41:42], v[1:2], -v[41:42]
	s_branch .LBB24_36
.LBB24_31:
                                        ; implicit-def: $vgpr41_vgpr42
                                        ; implicit-def: $vgpr35_vgpr36
                                        ; implicit-def: $vgpr31_vgpr32
                                        ; implicit-def: $vgpr29_vgpr30
                                        ; implicit-def: $vgpr25_vgpr26
                                        ; implicit-def: $vgpr21_vgpr22
                                        ; implicit-def: $vgpr23_vgpr24
                                        ; implicit-def: $vgpr27_vgpr28
                                        ; implicit-def: $vgpr33_vgpr34
                                        ; implicit-def: $vgpr37_vgpr38
                                        ; implicit-def: $vgpr39_vgpr40
	s_branch .LBB24_37
.LBB24_32:
                                        ; implicit-def: $vgpr41_vgpr42
                                        ; implicit-def: $vgpr35_vgpr36
                                        ; implicit-def: $vgpr31_vgpr32
                                        ; implicit-def: $vgpr29_vgpr30
                                        ; implicit-def: $vgpr25_vgpr26
                                        ; implicit-def: $vgpr21_vgpr22
                                        ; implicit-def: $vgpr23_vgpr24
                                        ; implicit-def: $vgpr27_vgpr28
                                        ; implicit-def: $vgpr33_vgpr34
                                        ; implicit-def: $vgpr37_vgpr38
                                        ; implicit-def: $vgpr39_vgpr40
	s_cbranch_execz .LBB24_36
; %bb.33:
	s_waitcnt lgkmcnt(0)
	v_mov_b32_e32 v36, s7
	v_mul_u32_u24_e32 v41, 11, v0
	v_cmp_ne_u32_e32 vcc, 0, v0
	v_mov_b32_e32 v35, s6
	ds_write_b64 v45, v[43:44]
	s_waitcnt lgkmcnt(0)
	s_barrier
	s_and_saveexec_b64 s[6:7], vcc
; %bb.34:
	v_add_u32_e32 v21, -8, v45
	ds_read_b64 v[35:36], v21
; %bb.35:
	s_or_b64 exec, exec, s[6:7]
	v_add_f64 v[21:22], v[43:44], -v[11:12]
	v_add_f64 v[23:24], v[11:12], -v[9:10]
	;; [unrolled: 1-line block ×3, first 2 shown]
	s_mul_i32 s5, s8, 0xfffffa80
	v_add_u32_e32 v27, 10, v41
	s_add_i32 s5, s5, s14
	v_cmp_gt_u32_e32 vcc, s5, v27
	v_add_u32_e32 v27, 9, v41
	v_cndmask_b32_e32 v22, v44, v22, vcc
	v_cndmask_b32_e32 v21, v43, v21, vcc
	v_cmp_gt_u32_e32 vcc, s5, v27
	v_add_f64 v[27:28], v[19:20], -v[17:18]
	v_add_u32_e32 v29, 8, v41
	v_cndmask_b32_e32 v24, v12, v24, vcc
	v_cndmask_b32_e32 v23, v11, v23, vcc
	v_cmp_gt_u32_e32 vcc, s5, v29
	v_add_f64 v[29:30], v[17:18], -v[15:16]
	;; [unrolled: 5-line block ×3, first 2 shown]
	v_add_f64 v[37:38], v[13:14], -v[7:8]
	v_add_f64 v[39:40], v[7:8], -v[5:6]
	v_add_u32_e32 v33, 6, v41
	v_cndmask_b32_e32 v28, v20, v28, vcc
	v_cndmask_b32_e32 v27, v19, v27, vcc
	v_cmp_gt_u32_e32 vcc, s5, v33
	v_add_u32_e32 v33, 5, v41
	v_cndmask_b32_e32 v30, v18, v30, vcc
	v_cndmask_b32_e32 v29, v17, v29, vcc
	v_cmp_gt_u32_e32 vcc, s5, v33
	v_cndmask_b32_e32 v33, v15, v31, vcc
	v_add_u32_e32 v31, 4, v41
	v_cndmask_b32_e32 v34, v16, v32, vcc
	v_cmp_gt_u32_e32 vcc, s5, v31
	v_cndmask_b32_e32 v31, v13, v37, vcc
	v_add_u32_e32 v37, 3, v41
	v_cndmask_b32_e32 v32, v14, v38, vcc
	v_add_f64 v[46:47], v[5:6], -v[3:4]
	v_cmp_gt_u32_e32 vcc, s5, v37
	v_cndmask_b32_e32 v38, v8, v40, vcc
	v_cndmask_b32_e32 v37, v7, v39, vcc
	v_add_f64 v[39:40], v[3:4], -v[1:2]
	s_waitcnt lgkmcnt(0)
	v_add_f64 v[48:49], v[1:2], -v[35:36]
	v_add_u32_e32 v42, 2, v41
	v_cmp_gt_u32_e32 vcc, s5, v42
	v_add_u32_e32 v42, 1, v41
	v_cndmask_b32_e32 v36, v6, v47, vcc
	v_cndmask_b32_e32 v35, v5, v46, vcc
	v_cmp_gt_u32_e32 vcc, s5, v42
	v_cndmask_b32_e32 v40, v4, v40, vcc
	v_cndmask_b32_e32 v39, v3, v39, vcc
	v_cmp_gt_u32_e32 vcc, s5, v41
	v_cndmask_b32_e32 v42, v2, v49, vcc
	v_cndmask_b32_e32 v41, v1, v48, vcc
.LBB24_36:
	s_waitcnt lgkmcnt(0)
	s_cbranch_execnz .LBB24_45
.LBB24_37:
	v_add_f64 v[21:22], v[43:44], -v[11:12]
	v_add_f64 v[23:24], v[11:12], -v[9:10]
	;; [unrolled: 1-line block ×10, first 2 shown]
	s_cmp_eq_u64 s[2:3], 1
	v_cmp_ne_u32_e32 vcc, 0, v0
	s_cbranch_scc1 .LBB24_41
; %bb.38:
	v_mov_b32_e32 v42, v2
	v_mov_b32_e32 v41, v1
	ds_write_b64 v45, v[43:44]
	s_waitcnt lgkmcnt(0)
	s_barrier
	s_and_saveexec_b64 s[2:3], vcc
	s_cbranch_execz .LBB24_40
; %bb.39:
	v_add_u32_e32 v41, -8, v45
	ds_read_b64 v[41:42], v41
	s_waitcnt lgkmcnt(0)
	v_add_f64 v[41:42], v[1:2], -v[41:42]
.LBB24_40:
	s_or_b64 exec, exec, s[2:3]
	s_cbranch_execz .LBB24_42
	s_branch .LBB24_45
.LBB24_41:
                                        ; implicit-def: $vgpr41_vgpr42
.LBB24_42:
	v_mul_u32_u24_e32 v41, 11, v0
	v_add_u32_e32 v42, 10, v41
	v_cmp_gt_u32_e32 vcc, s14, v42
	v_add_u32_e32 v42, 9, v41
	v_cndmask_b32_e32 v22, v44, v22, vcc
	v_cndmask_b32_e32 v21, v43, v21, vcc
	v_cmp_gt_u32_e32 vcc, s14, v42
	v_cndmask_b32_e32 v23, v11, v23, vcc
	v_add_u32_e32 v11, 8, v41
	v_cndmask_b32_e32 v24, v12, v24, vcc
	v_cmp_gt_u32_e32 vcc, s14, v11
	v_cndmask_b32_e32 v25, v9, v25, vcc
	v_add_u32_e32 v9, 7, v41
	v_cndmask_b32_e32 v26, v10, v26, vcc
	v_cmp_gt_u32_e32 vcc, s14, v9
	v_add_u32_e32 v9, 6, v41
	v_cndmask_b32_e32 v28, v20, v28, vcc
	v_cndmask_b32_e32 v27, v19, v27, vcc
	v_cmp_gt_u32_e32 vcc, s14, v9
	v_add_u32_e32 v9, 5, v41
	v_cndmask_b32_e32 v30, v18, v30, vcc
	;; [unrolled: 4-line block ×4, first 2 shown]
	v_cndmask_b32_e32 v31, v13, v31, vcc
	v_cmp_gt_u32_e32 vcc, s14, v9
	v_cndmask_b32_e32 v37, v7, v37, vcc
	v_add_u32_e32 v7, 2, v41
	v_cndmask_b32_e32 v38, v8, v38, vcc
	v_cmp_gt_u32_e32 vcc, s14, v7
	v_cndmask_b32_e32 v35, v5, v35, vcc
	v_add_u32_e32 v5, 1, v41
	v_cndmask_b32_e32 v36, v6, v36, vcc
	v_cmp_gt_u32_e32 vcc, s14, v5
	v_cndmask_b32_e32 v40, v4, v40, vcc
	v_cndmask_b32_e32 v39, v3, v39, vcc
	v_cmp_ne_u32_e32 vcc, 0, v0
	v_cmp_gt_u32_e64 s[2:3], s14, v41
	s_and_b64 s[6:7], vcc, s[2:3]
	ds_write_b64 v45, v[43:44]
	s_waitcnt lgkmcnt(0)
	s_barrier
	s_and_saveexec_b64 s[2:3], s[6:7]
	s_cbranch_execz .LBB24_44
; %bb.43:
	v_add_u32_e32 v3, -8, v45
	ds_read_b64 v[3:4], v3
	s_waitcnt lgkmcnt(0)
	v_add_f64 v[1:2], v[1:2], -v[3:4]
.LBB24_44:
	s_or_b64 exec, exec, s[2:3]
	v_mov_b32_e32 v42, v2
	v_mov_b32_e32 v41, v1
.LBB24_45:
	s_add_u32 s6, s12, s10
	s_addc_u32 s7, s13, s11
	s_and_b64 vcc, exec, s[0:1]
	s_barrier
	s_cbranch_vccz .LBB24_67
; %bb.46:
	s_movk_i32 s2, 0x58
	v_mul_i32_i24_e32 v47, 0xffffffb0, v0
	v_mul_u32_u24_e32 v46, 0x58, v0
	v_mad_u32_u24 v1, v0, s2, v47
	ds_write2_b64 v46, v[41:42], v[39:40] offset1:1
	ds_write2_b64 v46, v[35:36], v[37:38] offset0:2 offset1:3
	ds_write2_b64 v46, v[31:32], v[33:34] offset0:4 offset1:5
	;; [unrolled: 1-line block ×4, first 2 shown]
	ds_write_b64 v46, v[21:22] offset:80
	s_waitcnt lgkmcnt(0)
	s_barrier
	ds_read2st64_b64 v[17:20], v1 offset0:2 offset1:4
	ds_read2st64_b64 v[13:16], v1 offset0:6 offset1:8
	;; [unrolled: 1-line block ×5, first 2 shown]
	s_mov_b32 s5, 0
	s_add_i32 s15, s15, s14
	s_lshl_b64 s[0:1], s[4:5], 3
	s_add_u32 s0, s6, s0
	s_addc_u32 s1, s7, s1
	v_mov_b32_e32 v44, s1
	v_add_co_u32_e32 v43, vcc, s0, v45
	v_addc_co_u32_e32 v44, vcc, 0, v44, vcc
	v_cmp_gt_u32_e32 vcc, s15, v0
	s_and_saveexec_b64 s[0:1], vcc
	s_cbranch_execz .LBB24_48
; %bb.47:
	v_add_u32_e32 v46, v46, v47
	ds_read_b64 v[46:47], v46
	s_waitcnt lgkmcnt(0)
	global_store_dwordx2 v[43:44], v[46:47], off
.LBB24_48:
	s_or_b64 exec, exec, s[0:1]
	v_or_b32_e32 v46, 0x80, v0
	v_cmp_gt_u32_e32 vcc, s15, v46
	s_and_saveexec_b64 s[0:1], vcc
	s_cbranch_execz .LBB24_50
; %bb.49:
	s_waitcnt lgkmcnt(4)
	global_store_dwordx2 v[43:44], v[17:18], off offset:1024
.LBB24_50:
	s_or_b64 exec, exec, s[0:1]
	s_waitcnt lgkmcnt(4)
	v_or_b32_e32 v17, 0x100, v0
	v_cmp_gt_u32_e32 vcc, s15, v17
	s_and_saveexec_b64 s[0:1], vcc
	s_cbranch_execz .LBB24_52
; %bb.51:
	global_store_dwordx2 v[43:44], v[19:20], off offset:2048
.LBB24_52:
	s_or_b64 exec, exec, s[0:1]
	v_or_b32_e32 v17, 0x180, v0
	v_cmp_gt_u32_e32 vcc, s15, v17
	s_and_saveexec_b64 s[0:1], vcc
	s_cbranch_execz .LBB24_54
; %bb.53:
	s_waitcnt lgkmcnt(3)
	global_store_dwordx2 v[43:44], v[13:14], off offset:3072
.LBB24_54:
	s_or_b64 exec, exec, s[0:1]
	s_waitcnt lgkmcnt(3)
	v_or_b32_e32 v13, 0x200, v0
	v_cmp_gt_u32_e32 vcc, s15, v13
	s_and_saveexec_b64 s[0:1], vcc
	s_cbranch_execz .LBB24_56
; %bb.55:
	v_add_co_u32_e32 v13, vcc, 0x1000, v43
	v_addc_co_u32_e32 v14, vcc, 0, v44, vcc
	global_store_dwordx2 v[13:14], v[15:16], off
.LBB24_56:
	s_or_b64 exec, exec, s[0:1]
	v_or_b32_e32 v13, 0x280, v0
	v_cmp_gt_u32_e32 vcc, s15, v13
	s_and_saveexec_b64 s[0:1], vcc
	s_cbranch_execz .LBB24_58
; %bb.57:
	v_add_co_u32_e32 v13, vcc, 0x1000, v43
	v_addc_co_u32_e32 v14, vcc, 0, v44, vcc
	s_waitcnt lgkmcnt(2)
	global_store_dwordx2 v[13:14], v[9:10], off offset:1024
.LBB24_58:
	s_or_b64 exec, exec, s[0:1]
	s_waitcnt lgkmcnt(2)
	v_or_b32_e32 v9, 0x300, v0
	v_cmp_gt_u32_e32 vcc, s15, v9
	s_and_saveexec_b64 s[0:1], vcc
	s_cbranch_execz .LBB24_60
; %bb.59:
	v_add_co_u32_e32 v9, vcc, 0x1000, v43
	v_addc_co_u32_e32 v10, vcc, 0, v44, vcc
	global_store_dwordx2 v[9:10], v[11:12], off offset:2048
.LBB24_60:
	s_or_b64 exec, exec, s[0:1]
	v_or_b32_e32 v9, 0x380, v0
	v_cmp_gt_u32_e32 vcc, s15, v9
	s_and_saveexec_b64 s[0:1], vcc
	s_cbranch_execz .LBB24_62
; %bb.61:
	v_add_co_u32_e32 v9, vcc, 0x1000, v43
	v_addc_co_u32_e32 v10, vcc, 0, v44, vcc
	s_waitcnt lgkmcnt(1)
	global_store_dwordx2 v[9:10], v[5:6], off offset:3072
.LBB24_62:
	s_or_b64 exec, exec, s[0:1]
	s_waitcnt lgkmcnt(1)
	v_or_b32_e32 v5, 0x400, v0
	v_cmp_gt_u32_e32 vcc, s15, v5
	s_and_saveexec_b64 s[0:1], vcc
	s_cbranch_execz .LBB24_64
; %bb.63:
	v_add_co_u32_e32 v5, vcc, 0x2000, v43
	v_addc_co_u32_e32 v6, vcc, 0, v44, vcc
	global_store_dwordx2 v[5:6], v[7:8], off
.LBB24_64:
	s_or_b64 exec, exec, s[0:1]
	v_or_b32_e32 v5, 0x480, v0
	v_cmp_gt_u32_e32 vcc, s15, v5
	s_and_saveexec_b64 s[0:1], vcc
	s_cbranch_execz .LBB24_66
; %bb.65:
	v_add_co_u32_e32 v5, vcc, 0x2000, v43
	v_addc_co_u32_e32 v6, vcc, 0, v44, vcc
	s_waitcnt lgkmcnt(0)
	global_store_dwordx2 v[5:6], v[1:2], off offset:1024
.LBB24_66:
	s_or_b64 exec, exec, s[0:1]
	s_waitcnt lgkmcnt(0)
	v_or_b32_e32 v1, 0x500, v0
	v_cmp_gt_u32_e64 s[0:1], s15, v1
	s_branch .LBB24_69
.LBB24_67:
	s_mov_b64 s[0:1], 0
                                        ; implicit-def: $vgpr3_vgpr4
                                        ; implicit-def: $vgpr43_vgpr44
	s_cbranch_execz .LBB24_69
; %bb.68:
	s_mov_b32 s5, 0
	s_lshl_b64 s[2:3], s[4:5], 3
	v_mul_u32_u24_e32 v1, 0x58, v0
	s_add_u32 s2, s6, s2
	s_movk_i32 s4, 0x58
	ds_write2_b64 v1, v[41:42], v[39:40] offset1:1
	ds_write2_b64 v1, v[35:36], v[37:38] offset0:2 offset1:3
	ds_write2_b64 v1, v[31:32], v[33:34] offset0:4 offset1:5
	ds_write2_b64 v1, v[29:30], v[27:28] offset0:6 offset1:7
	ds_write2_b64 v1, v[25:26], v[23:24] offset0:8 offset1:9
	ds_write_b64 v1, v[21:22] offset:80
	v_mul_i32_i24_e32 v1, 0xffffffb0, v0
	s_addc_u32 s3, s7, s3
	v_mad_u32_u24 v0, v0, s4, v1
	s_waitcnt vmcnt(0) lgkmcnt(0)
	s_barrier
	ds_read2st64_b64 v[5:8], v0 offset1:2
	ds_read2st64_b64 v[9:12], v0 offset0:4 offset1:6
	ds_read2st64_b64 v[13:16], v0 offset0:8 offset1:10
	ds_read2st64_b64 v[17:20], v0 offset0:12 offset1:14
	ds_read2st64_b64 v[21:24], v0 offset0:16 offset1:18
	ds_read_b64 v[3:4], v0 offset:10240
	v_mov_b32_e32 v0, s3
	v_add_co_u32_e32 v43, vcc, s2, v45
	v_addc_co_u32_e32 v44, vcc, 0, v0, vcc
	s_waitcnt lgkmcnt(5)
	global_store_dwordx2 v45, v[5:6], s[2:3]
	global_store_dwordx2 v45, v[7:8], s[2:3] offset:1024
	s_waitcnt lgkmcnt(4)
	global_store_dwordx2 v45, v[9:10], s[2:3] offset:2048
	global_store_dwordx2 v45, v[11:12], s[2:3] offset:3072
	s_movk_i32 s2, 0x1000
	v_add_co_u32_e32 v0, vcc, s2, v43
	v_addc_co_u32_e32 v1, vcc, 0, v44, vcc
	s_waitcnt lgkmcnt(3)
	global_store_dwordx2 v[0:1], v[13:14], off
	global_store_dwordx2 v[0:1], v[15:16], off offset:1024
	s_waitcnt lgkmcnt(2)
	global_store_dwordx2 v[0:1], v[17:18], off offset:2048
	global_store_dwordx2 v[0:1], v[19:20], off offset:3072
	v_add_co_u32_e32 v0, vcc, 0x2000, v43
	v_addc_co_u32_e32 v1, vcc, 0, v44, vcc
	s_or_b64 s[0:1], s[0:1], exec
	s_waitcnt lgkmcnt(1)
	global_store_dwordx2 v[0:1], v[21:22], off
	global_store_dwordx2 v[0:1], v[23:24], off offset:1024
.LBB24_69:
	s_and_saveexec_b64 s[2:3], s[0:1]
	s_cbranch_execnz .LBB24_71
; %bb.70:
	s_endpgm
.LBB24_71:
	v_add_co_u32_e32 v0, vcc, 0x2000, v43
	v_addc_co_u32_e32 v1, vcc, 0, v44, vcc
	s_waitcnt lgkmcnt(0)
	global_store_dwordx2 v[0:1], v[3:4], off offset:2048
	s_endpgm
	.section	.rodata,"a",@progbits
	.p2align	6, 0x0
	.amdhsa_kernel _ZN7rocprim17ROCPRIM_400000_NS6detail17trampoline_kernelINS0_14default_configENS1_35adjacent_difference_config_selectorILb1EdEEZNS1_24adjacent_difference_implIS3_Lb1ELb0EPdS7_N6thrust23THRUST_200600_302600_NS5minusIdEEEE10hipError_tPvRmT2_T3_mT4_P12ihipStream_tbEUlT_E_NS1_11comp_targetILNS1_3genE2ELNS1_11target_archE906ELNS1_3gpuE6ELNS1_3repE0EEENS1_30default_config_static_selectorELNS0_4arch9wavefront6targetE1EEEvT1_
		.amdhsa_group_segment_fixed_size 11264
		.amdhsa_private_segment_fixed_size 0
		.amdhsa_kernarg_size 56
		.amdhsa_user_sgpr_count 6
		.amdhsa_user_sgpr_private_segment_buffer 1
		.amdhsa_user_sgpr_dispatch_ptr 0
		.amdhsa_user_sgpr_queue_ptr 0
		.amdhsa_user_sgpr_kernarg_segment_ptr 1
		.amdhsa_user_sgpr_dispatch_id 0
		.amdhsa_user_sgpr_flat_scratch_init 0
		.amdhsa_user_sgpr_private_segment_size 0
		.amdhsa_uses_dynamic_stack 0
		.amdhsa_system_sgpr_private_segment_wavefront_offset 0
		.amdhsa_system_sgpr_workgroup_id_x 1
		.amdhsa_system_sgpr_workgroup_id_y 0
		.amdhsa_system_sgpr_workgroup_id_z 0
		.amdhsa_system_sgpr_workgroup_info 0
		.amdhsa_system_vgpr_workitem_id 0
		.amdhsa_next_free_vgpr 65
		.amdhsa_next_free_sgpr 98
		.amdhsa_reserve_vcc 1
		.amdhsa_reserve_flat_scratch 0
		.amdhsa_float_round_mode_32 0
		.amdhsa_float_round_mode_16_64 0
		.amdhsa_float_denorm_mode_32 3
		.amdhsa_float_denorm_mode_16_64 3
		.amdhsa_dx10_clamp 1
		.amdhsa_ieee_mode 1
		.amdhsa_fp16_overflow 0
		.amdhsa_exception_fp_ieee_invalid_op 0
		.amdhsa_exception_fp_denorm_src 0
		.amdhsa_exception_fp_ieee_div_zero 0
		.amdhsa_exception_fp_ieee_overflow 0
		.amdhsa_exception_fp_ieee_underflow 0
		.amdhsa_exception_fp_ieee_inexact 0
		.amdhsa_exception_int_div_zero 0
	.end_amdhsa_kernel
	.section	.text._ZN7rocprim17ROCPRIM_400000_NS6detail17trampoline_kernelINS0_14default_configENS1_35adjacent_difference_config_selectorILb1EdEEZNS1_24adjacent_difference_implIS3_Lb1ELb0EPdS7_N6thrust23THRUST_200600_302600_NS5minusIdEEEE10hipError_tPvRmT2_T3_mT4_P12ihipStream_tbEUlT_E_NS1_11comp_targetILNS1_3genE2ELNS1_11target_archE906ELNS1_3gpuE6ELNS1_3repE0EEENS1_30default_config_static_selectorELNS0_4arch9wavefront6targetE1EEEvT1_,"axG",@progbits,_ZN7rocprim17ROCPRIM_400000_NS6detail17trampoline_kernelINS0_14default_configENS1_35adjacent_difference_config_selectorILb1EdEEZNS1_24adjacent_difference_implIS3_Lb1ELb0EPdS7_N6thrust23THRUST_200600_302600_NS5minusIdEEEE10hipError_tPvRmT2_T3_mT4_P12ihipStream_tbEUlT_E_NS1_11comp_targetILNS1_3genE2ELNS1_11target_archE906ELNS1_3gpuE6ELNS1_3repE0EEENS1_30default_config_static_selectorELNS0_4arch9wavefront6targetE1EEEvT1_,comdat
.Lfunc_end24:
	.size	_ZN7rocprim17ROCPRIM_400000_NS6detail17trampoline_kernelINS0_14default_configENS1_35adjacent_difference_config_selectorILb1EdEEZNS1_24adjacent_difference_implIS3_Lb1ELb0EPdS7_N6thrust23THRUST_200600_302600_NS5minusIdEEEE10hipError_tPvRmT2_T3_mT4_P12ihipStream_tbEUlT_E_NS1_11comp_targetILNS1_3genE2ELNS1_11target_archE906ELNS1_3gpuE6ELNS1_3repE0EEENS1_30default_config_static_selectorELNS0_4arch9wavefront6targetE1EEEvT1_, .Lfunc_end24-_ZN7rocprim17ROCPRIM_400000_NS6detail17trampoline_kernelINS0_14default_configENS1_35adjacent_difference_config_selectorILb1EdEEZNS1_24adjacent_difference_implIS3_Lb1ELb0EPdS7_N6thrust23THRUST_200600_302600_NS5minusIdEEEE10hipError_tPvRmT2_T3_mT4_P12ihipStream_tbEUlT_E_NS1_11comp_targetILNS1_3genE2ELNS1_11target_archE906ELNS1_3gpuE6ELNS1_3repE0EEENS1_30default_config_static_selectorELNS0_4arch9wavefront6targetE1EEEvT1_
                                        ; -- End function
	.set _ZN7rocprim17ROCPRIM_400000_NS6detail17trampoline_kernelINS0_14default_configENS1_35adjacent_difference_config_selectorILb1EdEEZNS1_24adjacent_difference_implIS3_Lb1ELb0EPdS7_N6thrust23THRUST_200600_302600_NS5minusIdEEEE10hipError_tPvRmT2_T3_mT4_P12ihipStream_tbEUlT_E_NS1_11comp_targetILNS1_3genE2ELNS1_11target_archE906ELNS1_3gpuE6ELNS1_3repE0EEENS1_30default_config_static_selectorELNS0_4arch9wavefront6targetE1EEEvT1_.num_vgpr, 50
	.set _ZN7rocprim17ROCPRIM_400000_NS6detail17trampoline_kernelINS0_14default_configENS1_35adjacent_difference_config_selectorILb1EdEEZNS1_24adjacent_difference_implIS3_Lb1ELb0EPdS7_N6thrust23THRUST_200600_302600_NS5minusIdEEEE10hipError_tPvRmT2_T3_mT4_P12ihipStream_tbEUlT_E_NS1_11comp_targetILNS1_3genE2ELNS1_11target_archE906ELNS1_3gpuE6ELNS1_3repE0EEENS1_30default_config_static_selectorELNS0_4arch9wavefront6targetE1EEEvT1_.num_agpr, 0
	.set _ZN7rocprim17ROCPRIM_400000_NS6detail17trampoline_kernelINS0_14default_configENS1_35adjacent_difference_config_selectorILb1EdEEZNS1_24adjacent_difference_implIS3_Lb1ELb0EPdS7_N6thrust23THRUST_200600_302600_NS5minusIdEEEE10hipError_tPvRmT2_T3_mT4_P12ihipStream_tbEUlT_E_NS1_11comp_targetILNS1_3genE2ELNS1_11target_archE906ELNS1_3gpuE6ELNS1_3repE0EEENS1_30default_config_static_selectorELNS0_4arch9wavefront6targetE1EEEvT1_.numbered_sgpr, 29
	.set _ZN7rocprim17ROCPRIM_400000_NS6detail17trampoline_kernelINS0_14default_configENS1_35adjacent_difference_config_selectorILb1EdEEZNS1_24adjacent_difference_implIS3_Lb1ELb0EPdS7_N6thrust23THRUST_200600_302600_NS5minusIdEEEE10hipError_tPvRmT2_T3_mT4_P12ihipStream_tbEUlT_E_NS1_11comp_targetILNS1_3genE2ELNS1_11target_archE906ELNS1_3gpuE6ELNS1_3repE0EEENS1_30default_config_static_selectorELNS0_4arch9wavefront6targetE1EEEvT1_.num_named_barrier, 0
	.set _ZN7rocprim17ROCPRIM_400000_NS6detail17trampoline_kernelINS0_14default_configENS1_35adjacent_difference_config_selectorILb1EdEEZNS1_24adjacent_difference_implIS3_Lb1ELb0EPdS7_N6thrust23THRUST_200600_302600_NS5minusIdEEEE10hipError_tPvRmT2_T3_mT4_P12ihipStream_tbEUlT_E_NS1_11comp_targetILNS1_3genE2ELNS1_11target_archE906ELNS1_3gpuE6ELNS1_3repE0EEENS1_30default_config_static_selectorELNS0_4arch9wavefront6targetE1EEEvT1_.private_seg_size, 0
	.set _ZN7rocprim17ROCPRIM_400000_NS6detail17trampoline_kernelINS0_14default_configENS1_35adjacent_difference_config_selectorILb1EdEEZNS1_24adjacent_difference_implIS3_Lb1ELb0EPdS7_N6thrust23THRUST_200600_302600_NS5minusIdEEEE10hipError_tPvRmT2_T3_mT4_P12ihipStream_tbEUlT_E_NS1_11comp_targetILNS1_3genE2ELNS1_11target_archE906ELNS1_3gpuE6ELNS1_3repE0EEENS1_30default_config_static_selectorELNS0_4arch9wavefront6targetE1EEEvT1_.uses_vcc, 1
	.set _ZN7rocprim17ROCPRIM_400000_NS6detail17trampoline_kernelINS0_14default_configENS1_35adjacent_difference_config_selectorILb1EdEEZNS1_24adjacent_difference_implIS3_Lb1ELb0EPdS7_N6thrust23THRUST_200600_302600_NS5minusIdEEEE10hipError_tPvRmT2_T3_mT4_P12ihipStream_tbEUlT_E_NS1_11comp_targetILNS1_3genE2ELNS1_11target_archE906ELNS1_3gpuE6ELNS1_3repE0EEENS1_30default_config_static_selectorELNS0_4arch9wavefront6targetE1EEEvT1_.uses_flat_scratch, 0
	.set _ZN7rocprim17ROCPRIM_400000_NS6detail17trampoline_kernelINS0_14default_configENS1_35adjacent_difference_config_selectorILb1EdEEZNS1_24adjacent_difference_implIS3_Lb1ELb0EPdS7_N6thrust23THRUST_200600_302600_NS5minusIdEEEE10hipError_tPvRmT2_T3_mT4_P12ihipStream_tbEUlT_E_NS1_11comp_targetILNS1_3genE2ELNS1_11target_archE906ELNS1_3gpuE6ELNS1_3repE0EEENS1_30default_config_static_selectorELNS0_4arch9wavefront6targetE1EEEvT1_.has_dyn_sized_stack, 0
	.set _ZN7rocprim17ROCPRIM_400000_NS6detail17trampoline_kernelINS0_14default_configENS1_35adjacent_difference_config_selectorILb1EdEEZNS1_24adjacent_difference_implIS3_Lb1ELb0EPdS7_N6thrust23THRUST_200600_302600_NS5minusIdEEEE10hipError_tPvRmT2_T3_mT4_P12ihipStream_tbEUlT_E_NS1_11comp_targetILNS1_3genE2ELNS1_11target_archE906ELNS1_3gpuE6ELNS1_3repE0EEENS1_30default_config_static_selectorELNS0_4arch9wavefront6targetE1EEEvT1_.has_recursion, 0
	.set _ZN7rocprim17ROCPRIM_400000_NS6detail17trampoline_kernelINS0_14default_configENS1_35adjacent_difference_config_selectorILb1EdEEZNS1_24adjacent_difference_implIS3_Lb1ELb0EPdS7_N6thrust23THRUST_200600_302600_NS5minusIdEEEE10hipError_tPvRmT2_T3_mT4_P12ihipStream_tbEUlT_E_NS1_11comp_targetILNS1_3genE2ELNS1_11target_archE906ELNS1_3gpuE6ELNS1_3repE0EEENS1_30default_config_static_selectorELNS0_4arch9wavefront6targetE1EEEvT1_.has_indirect_call, 0
	.section	.AMDGPU.csdata,"",@progbits
; Kernel info:
; codeLenInByte = 2948
; TotalNumSgprs: 33
; NumVgprs: 50
; ScratchSize: 0
; MemoryBound: 0
; FloatMode: 240
; IeeeMode: 1
; LDSByteSize: 11264 bytes/workgroup (compile time only)
; SGPRBlocks: 12
; VGPRBlocks: 16
; NumSGPRsForWavesPerEU: 102
; NumVGPRsForWavesPerEU: 65
; Occupancy: 3
; WaveLimiterHint : 1
; COMPUTE_PGM_RSRC2:SCRATCH_EN: 0
; COMPUTE_PGM_RSRC2:USER_SGPR: 6
; COMPUTE_PGM_RSRC2:TRAP_HANDLER: 0
; COMPUTE_PGM_RSRC2:TGID_X_EN: 1
; COMPUTE_PGM_RSRC2:TGID_Y_EN: 0
; COMPUTE_PGM_RSRC2:TGID_Z_EN: 0
; COMPUTE_PGM_RSRC2:TIDIG_COMP_CNT: 0
	.section	.text._ZN7rocprim17ROCPRIM_400000_NS6detail17trampoline_kernelINS0_14default_configENS1_35adjacent_difference_config_selectorILb1EdEEZNS1_24adjacent_difference_implIS3_Lb1ELb0EPdS7_N6thrust23THRUST_200600_302600_NS5minusIdEEEE10hipError_tPvRmT2_T3_mT4_P12ihipStream_tbEUlT_E_NS1_11comp_targetILNS1_3genE9ELNS1_11target_archE1100ELNS1_3gpuE3ELNS1_3repE0EEENS1_30default_config_static_selectorELNS0_4arch9wavefront6targetE1EEEvT1_,"axG",@progbits,_ZN7rocprim17ROCPRIM_400000_NS6detail17trampoline_kernelINS0_14default_configENS1_35adjacent_difference_config_selectorILb1EdEEZNS1_24adjacent_difference_implIS3_Lb1ELb0EPdS7_N6thrust23THRUST_200600_302600_NS5minusIdEEEE10hipError_tPvRmT2_T3_mT4_P12ihipStream_tbEUlT_E_NS1_11comp_targetILNS1_3genE9ELNS1_11target_archE1100ELNS1_3gpuE3ELNS1_3repE0EEENS1_30default_config_static_selectorELNS0_4arch9wavefront6targetE1EEEvT1_,comdat
	.protected	_ZN7rocprim17ROCPRIM_400000_NS6detail17trampoline_kernelINS0_14default_configENS1_35adjacent_difference_config_selectorILb1EdEEZNS1_24adjacent_difference_implIS3_Lb1ELb0EPdS7_N6thrust23THRUST_200600_302600_NS5minusIdEEEE10hipError_tPvRmT2_T3_mT4_P12ihipStream_tbEUlT_E_NS1_11comp_targetILNS1_3genE9ELNS1_11target_archE1100ELNS1_3gpuE3ELNS1_3repE0EEENS1_30default_config_static_selectorELNS0_4arch9wavefront6targetE1EEEvT1_ ; -- Begin function _ZN7rocprim17ROCPRIM_400000_NS6detail17trampoline_kernelINS0_14default_configENS1_35adjacent_difference_config_selectorILb1EdEEZNS1_24adjacent_difference_implIS3_Lb1ELb0EPdS7_N6thrust23THRUST_200600_302600_NS5minusIdEEEE10hipError_tPvRmT2_T3_mT4_P12ihipStream_tbEUlT_E_NS1_11comp_targetILNS1_3genE9ELNS1_11target_archE1100ELNS1_3gpuE3ELNS1_3repE0EEENS1_30default_config_static_selectorELNS0_4arch9wavefront6targetE1EEEvT1_
	.globl	_ZN7rocprim17ROCPRIM_400000_NS6detail17trampoline_kernelINS0_14default_configENS1_35adjacent_difference_config_selectorILb1EdEEZNS1_24adjacent_difference_implIS3_Lb1ELb0EPdS7_N6thrust23THRUST_200600_302600_NS5minusIdEEEE10hipError_tPvRmT2_T3_mT4_P12ihipStream_tbEUlT_E_NS1_11comp_targetILNS1_3genE9ELNS1_11target_archE1100ELNS1_3gpuE3ELNS1_3repE0EEENS1_30default_config_static_selectorELNS0_4arch9wavefront6targetE1EEEvT1_
	.p2align	8
	.type	_ZN7rocprim17ROCPRIM_400000_NS6detail17trampoline_kernelINS0_14default_configENS1_35adjacent_difference_config_selectorILb1EdEEZNS1_24adjacent_difference_implIS3_Lb1ELb0EPdS7_N6thrust23THRUST_200600_302600_NS5minusIdEEEE10hipError_tPvRmT2_T3_mT4_P12ihipStream_tbEUlT_E_NS1_11comp_targetILNS1_3genE9ELNS1_11target_archE1100ELNS1_3gpuE3ELNS1_3repE0EEENS1_30default_config_static_selectorELNS0_4arch9wavefront6targetE1EEEvT1_,@function
_ZN7rocprim17ROCPRIM_400000_NS6detail17trampoline_kernelINS0_14default_configENS1_35adjacent_difference_config_selectorILb1EdEEZNS1_24adjacent_difference_implIS3_Lb1ELb0EPdS7_N6thrust23THRUST_200600_302600_NS5minusIdEEEE10hipError_tPvRmT2_T3_mT4_P12ihipStream_tbEUlT_E_NS1_11comp_targetILNS1_3genE9ELNS1_11target_archE1100ELNS1_3gpuE3ELNS1_3repE0EEENS1_30default_config_static_selectorELNS0_4arch9wavefront6targetE1EEEvT1_: ; @_ZN7rocprim17ROCPRIM_400000_NS6detail17trampoline_kernelINS0_14default_configENS1_35adjacent_difference_config_selectorILb1EdEEZNS1_24adjacent_difference_implIS3_Lb1ELb0EPdS7_N6thrust23THRUST_200600_302600_NS5minusIdEEEE10hipError_tPvRmT2_T3_mT4_P12ihipStream_tbEUlT_E_NS1_11comp_targetILNS1_3genE9ELNS1_11target_archE1100ELNS1_3gpuE3ELNS1_3repE0EEENS1_30default_config_static_selectorELNS0_4arch9wavefront6targetE1EEEvT1_
; %bb.0:
	.section	.rodata,"a",@progbits
	.p2align	6, 0x0
	.amdhsa_kernel _ZN7rocprim17ROCPRIM_400000_NS6detail17trampoline_kernelINS0_14default_configENS1_35adjacent_difference_config_selectorILb1EdEEZNS1_24adjacent_difference_implIS3_Lb1ELb0EPdS7_N6thrust23THRUST_200600_302600_NS5minusIdEEEE10hipError_tPvRmT2_T3_mT4_P12ihipStream_tbEUlT_E_NS1_11comp_targetILNS1_3genE9ELNS1_11target_archE1100ELNS1_3gpuE3ELNS1_3repE0EEENS1_30default_config_static_selectorELNS0_4arch9wavefront6targetE1EEEvT1_
		.amdhsa_group_segment_fixed_size 0
		.amdhsa_private_segment_fixed_size 0
		.amdhsa_kernarg_size 56
		.amdhsa_user_sgpr_count 6
		.amdhsa_user_sgpr_private_segment_buffer 1
		.amdhsa_user_sgpr_dispatch_ptr 0
		.amdhsa_user_sgpr_queue_ptr 0
		.amdhsa_user_sgpr_kernarg_segment_ptr 1
		.amdhsa_user_sgpr_dispatch_id 0
		.amdhsa_user_sgpr_flat_scratch_init 0
		.amdhsa_user_sgpr_private_segment_size 0
		.amdhsa_uses_dynamic_stack 0
		.amdhsa_system_sgpr_private_segment_wavefront_offset 0
		.amdhsa_system_sgpr_workgroup_id_x 1
		.amdhsa_system_sgpr_workgroup_id_y 0
		.amdhsa_system_sgpr_workgroup_id_z 0
		.amdhsa_system_sgpr_workgroup_info 0
		.amdhsa_system_vgpr_workitem_id 0
		.amdhsa_next_free_vgpr 1
		.amdhsa_next_free_sgpr 0
		.amdhsa_reserve_vcc 0
		.amdhsa_reserve_flat_scratch 0
		.amdhsa_float_round_mode_32 0
		.amdhsa_float_round_mode_16_64 0
		.amdhsa_float_denorm_mode_32 3
		.amdhsa_float_denorm_mode_16_64 3
		.amdhsa_dx10_clamp 1
		.amdhsa_ieee_mode 1
		.amdhsa_fp16_overflow 0
		.amdhsa_exception_fp_ieee_invalid_op 0
		.amdhsa_exception_fp_denorm_src 0
		.amdhsa_exception_fp_ieee_div_zero 0
		.amdhsa_exception_fp_ieee_overflow 0
		.amdhsa_exception_fp_ieee_underflow 0
		.amdhsa_exception_fp_ieee_inexact 0
		.amdhsa_exception_int_div_zero 0
	.end_amdhsa_kernel
	.section	.text._ZN7rocprim17ROCPRIM_400000_NS6detail17trampoline_kernelINS0_14default_configENS1_35adjacent_difference_config_selectorILb1EdEEZNS1_24adjacent_difference_implIS3_Lb1ELb0EPdS7_N6thrust23THRUST_200600_302600_NS5minusIdEEEE10hipError_tPvRmT2_T3_mT4_P12ihipStream_tbEUlT_E_NS1_11comp_targetILNS1_3genE9ELNS1_11target_archE1100ELNS1_3gpuE3ELNS1_3repE0EEENS1_30default_config_static_selectorELNS0_4arch9wavefront6targetE1EEEvT1_,"axG",@progbits,_ZN7rocprim17ROCPRIM_400000_NS6detail17trampoline_kernelINS0_14default_configENS1_35adjacent_difference_config_selectorILb1EdEEZNS1_24adjacent_difference_implIS3_Lb1ELb0EPdS7_N6thrust23THRUST_200600_302600_NS5minusIdEEEE10hipError_tPvRmT2_T3_mT4_P12ihipStream_tbEUlT_E_NS1_11comp_targetILNS1_3genE9ELNS1_11target_archE1100ELNS1_3gpuE3ELNS1_3repE0EEENS1_30default_config_static_selectorELNS0_4arch9wavefront6targetE1EEEvT1_,comdat
.Lfunc_end25:
	.size	_ZN7rocprim17ROCPRIM_400000_NS6detail17trampoline_kernelINS0_14default_configENS1_35adjacent_difference_config_selectorILb1EdEEZNS1_24adjacent_difference_implIS3_Lb1ELb0EPdS7_N6thrust23THRUST_200600_302600_NS5minusIdEEEE10hipError_tPvRmT2_T3_mT4_P12ihipStream_tbEUlT_E_NS1_11comp_targetILNS1_3genE9ELNS1_11target_archE1100ELNS1_3gpuE3ELNS1_3repE0EEENS1_30default_config_static_selectorELNS0_4arch9wavefront6targetE1EEEvT1_, .Lfunc_end25-_ZN7rocprim17ROCPRIM_400000_NS6detail17trampoline_kernelINS0_14default_configENS1_35adjacent_difference_config_selectorILb1EdEEZNS1_24adjacent_difference_implIS3_Lb1ELb0EPdS7_N6thrust23THRUST_200600_302600_NS5minusIdEEEE10hipError_tPvRmT2_T3_mT4_P12ihipStream_tbEUlT_E_NS1_11comp_targetILNS1_3genE9ELNS1_11target_archE1100ELNS1_3gpuE3ELNS1_3repE0EEENS1_30default_config_static_selectorELNS0_4arch9wavefront6targetE1EEEvT1_
                                        ; -- End function
	.set _ZN7rocprim17ROCPRIM_400000_NS6detail17trampoline_kernelINS0_14default_configENS1_35adjacent_difference_config_selectorILb1EdEEZNS1_24adjacent_difference_implIS3_Lb1ELb0EPdS7_N6thrust23THRUST_200600_302600_NS5minusIdEEEE10hipError_tPvRmT2_T3_mT4_P12ihipStream_tbEUlT_E_NS1_11comp_targetILNS1_3genE9ELNS1_11target_archE1100ELNS1_3gpuE3ELNS1_3repE0EEENS1_30default_config_static_selectorELNS0_4arch9wavefront6targetE1EEEvT1_.num_vgpr, 0
	.set _ZN7rocprim17ROCPRIM_400000_NS6detail17trampoline_kernelINS0_14default_configENS1_35adjacent_difference_config_selectorILb1EdEEZNS1_24adjacent_difference_implIS3_Lb1ELb0EPdS7_N6thrust23THRUST_200600_302600_NS5minusIdEEEE10hipError_tPvRmT2_T3_mT4_P12ihipStream_tbEUlT_E_NS1_11comp_targetILNS1_3genE9ELNS1_11target_archE1100ELNS1_3gpuE3ELNS1_3repE0EEENS1_30default_config_static_selectorELNS0_4arch9wavefront6targetE1EEEvT1_.num_agpr, 0
	.set _ZN7rocprim17ROCPRIM_400000_NS6detail17trampoline_kernelINS0_14default_configENS1_35adjacent_difference_config_selectorILb1EdEEZNS1_24adjacent_difference_implIS3_Lb1ELb0EPdS7_N6thrust23THRUST_200600_302600_NS5minusIdEEEE10hipError_tPvRmT2_T3_mT4_P12ihipStream_tbEUlT_E_NS1_11comp_targetILNS1_3genE9ELNS1_11target_archE1100ELNS1_3gpuE3ELNS1_3repE0EEENS1_30default_config_static_selectorELNS0_4arch9wavefront6targetE1EEEvT1_.numbered_sgpr, 0
	.set _ZN7rocprim17ROCPRIM_400000_NS6detail17trampoline_kernelINS0_14default_configENS1_35adjacent_difference_config_selectorILb1EdEEZNS1_24adjacent_difference_implIS3_Lb1ELb0EPdS7_N6thrust23THRUST_200600_302600_NS5minusIdEEEE10hipError_tPvRmT2_T3_mT4_P12ihipStream_tbEUlT_E_NS1_11comp_targetILNS1_3genE9ELNS1_11target_archE1100ELNS1_3gpuE3ELNS1_3repE0EEENS1_30default_config_static_selectorELNS0_4arch9wavefront6targetE1EEEvT1_.num_named_barrier, 0
	.set _ZN7rocprim17ROCPRIM_400000_NS6detail17trampoline_kernelINS0_14default_configENS1_35adjacent_difference_config_selectorILb1EdEEZNS1_24adjacent_difference_implIS3_Lb1ELb0EPdS7_N6thrust23THRUST_200600_302600_NS5minusIdEEEE10hipError_tPvRmT2_T3_mT4_P12ihipStream_tbEUlT_E_NS1_11comp_targetILNS1_3genE9ELNS1_11target_archE1100ELNS1_3gpuE3ELNS1_3repE0EEENS1_30default_config_static_selectorELNS0_4arch9wavefront6targetE1EEEvT1_.private_seg_size, 0
	.set _ZN7rocprim17ROCPRIM_400000_NS6detail17trampoline_kernelINS0_14default_configENS1_35adjacent_difference_config_selectorILb1EdEEZNS1_24adjacent_difference_implIS3_Lb1ELb0EPdS7_N6thrust23THRUST_200600_302600_NS5minusIdEEEE10hipError_tPvRmT2_T3_mT4_P12ihipStream_tbEUlT_E_NS1_11comp_targetILNS1_3genE9ELNS1_11target_archE1100ELNS1_3gpuE3ELNS1_3repE0EEENS1_30default_config_static_selectorELNS0_4arch9wavefront6targetE1EEEvT1_.uses_vcc, 0
	.set _ZN7rocprim17ROCPRIM_400000_NS6detail17trampoline_kernelINS0_14default_configENS1_35adjacent_difference_config_selectorILb1EdEEZNS1_24adjacent_difference_implIS3_Lb1ELb0EPdS7_N6thrust23THRUST_200600_302600_NS5minusIdEEEE10hipError_tPvRmT2_T3_mT4_P12ihipStream_tbEUlT_E_NS1_11comp_targetILNS1_3genE9ELNS1_11target_archE1100ELNS1_3gpuE3ELNS1_3repE0EEENS1_30default_config_static_selectorELNS0_4arch9wavefront6targetE1EEEvT1_.uses_flat_scratch, 0
	.set _ZN7rocprim17ROCPRIM_400000_NS6detail17trampoline_kernelINS0_14default_configENS1_35adjacent_difference_config_selectorILb1EdEEZNS1_24adjacent_difference_implIS3_Lb1ELb0EPdS7_N6thrust23THRUST_200600_302600_NS5minusIdEEEE10hipError_tPvRmT2_T3_mT4_P12ihipStream_tbEUlT_E_NS1_11comp_targetILNS1_3genE9ELNS1_11target_archE1100ELNS1_3gpuE3ELNS1_3repE0EEENS1_30default_config_static_selectorELNS0_4arch9wavefront6targetE1EEEvT1_.has_dyn_sized_stack, 0
	.set _ZN7rocprim17ROCPRIM_400000_NS6detail17trampoline_kernelINS0_14default_configENS1_35adjacent_difference_config_selectorILb1EdEEZNS1_24adjacent_difference_implIS3_Lb1ELb0EPdS7_N6thrust23THRUST_200600_302600_NS5minusIdEEEE10hipError_tPvRmT2_T3_mT4_P12ihipStream_tbEUlT_E_NS1_11comp_targetILNS1_3genE9ELNS1_11target_archE1100ELNS1_3gpuE3ELNS1_3repE0EEENS1_30default_config_static_selectorELNS0_4arch9wavefront6targetE1EEEvT1_.has_recursion, 0
	.set _ZN7rocprim17ROCPRIM_400000_NS6detail17trampoline_kernelINS0_14default_configENS1_35adjacent_difference_config_selectorILb1EdEEZNS1_24adjacent_difference_implIS3_Lb1ELb0EPdS7_N6thrust23THRUST_200600_302600_NS5minusIdEEEE10hipError_tPvRmT2_T3_mT4_P12ihipStream_tbEUlT_E_NS1_11comp_targetILNS1_3genE9ELNS1_11target_archE1100ELNS1_3gpuE3ELNS1_3repE0EEENS1_30default_config_static_selectorELNS0_4arch9wavefront6targetE1EEEvT1_.has_indirect_call, 0
	.section	.AMDGPU.csdata,"",@progbits
; Kernel info:
; codeLenInByte = 0
; TotalNumSgprs: 4
; NumVgprs: 0
; ScratchSize: 0
; MemoryBound: 0
; FloatMode: 240
; IeeeMode: 1
; LDSByteSize: 0 bytes/workgroup (compile time only)
; SGPRBlocks: 0
; VGPRBlocks: 0
; NumSGPRsForWavesPerEU: 4
; NumVGPRsForWavesPerEU: 1
; Occupancy: 10
; WaveLimiterHint : 0
; COMPUTE_PGM_RSRC2:SCRATCH_EN: 0
; COMPUTE_PGM_RSRC2:USER_SGPR: 6
; COMPUTE_PGM_RSRC2:TRAP_HANDLER: 0
; COMPUTE_PGM_RSRC2:TGID_X_EN: 1
; COMPUTE_PGM_RSRC2:TGID_Y_EN: 0
; COMPUTE_PGM_RSRC2:TGID_Z_EN: 0
; COMPUTE_PGM_RSRC2:TIDIG_COMP_CNT: 0
	.section	.text._ZN7rocprim17ROCPRIM_400000_NS6detail17trampoline_kernelINS0_14default_configENS1_35adjacent_difference_config_selectorILb1EdEEZNS1_24adjacent_difference_implIS3_Lb1ELb0EPdS7_N6thrust23THRUST_200600_302600_NS5minusIdEEEE10hipError_tPvRmT2_T3_mT4_P12ihipStream_tbEUlT_E_NS1_11comp_targetILNS1_3genE8ELNS1_11target_archE1030ELNS1_3gpuE2ELNS1_3repE0EEENS1_30default_config_static_selectorELNS0_4arch9wavefront6targetE1EEEvT1_,"axG",@progbits,_ZN7rocprim17ROCPRIM_400000_NS6detail17trampoline_kernelINS0_14default_configENS1_35adjacent_difference_config_selectorILb1EdEEZNS1_24adjacent_difference_implIS3_Lb1ELb0EPdS7_N6thrust23THRUST_200600_302600_NS5minusIdEEEE10hipError_tPvRmT2_T3_mT4_P12ihipStream_tbEUlT_E_NS1_11comp_targetILNS1_3genE8ELNS1_11target_archE1030ELNS1_3gpuE2ELNS1_3repE0EEENS1_30default_config_static_selectorELNS0_4arch9wavefront6targetE1EEEvT1_,comdat
	.protected	_ZN7rocprim17ROCPRIM_400000_NS6detail17trampoline_kernelINS0_14default_configENS1_35adjacent_difference_config_selectorILb1EdEEZNS1_24adjacent_difference_implIS3_Lb1ELb0EPdS7_N6thrust23THRUST_200600_302600_NS5minusIdEEEE10hipError_tPvRmT2_T3_mT4_P12ihipStream_tbEUlT_E_NS1_11comp_targetILNS1_3genE8ELNS1_11target_archE1030ELNS1_3gpuE2ELNS1_3repE0EEENS1_30default_config_static_selectorELNS0_4arch9wavefront6targetE1EEEvT1_ ; -- Begin function _ZN7rocprim17ROCPRIM_400000_NS6detail17trampoline_kernelINS0_14default_configENS1_35adjacent_difference_config_selectorILb1EdEEZNS1_24adjacent_difference_implIS3_Lb1ELb0EPdS7_N6thrust23THRUST_200600_302600_NS5minusIdEEEE10hipError_tPvRmT2_T3_mT4_P12ihipStream_tbEUlT_E_NS1_11comp_targetILNS1_3genE8ELNS1_11target_archE1030ELNS1_3gpuE2ELNS1_3repE0EEENS1_30default_config_static_selectorELNS0_4arch9wavefront6targetE1EEEvT1_
	.globl	_ZN7rocprim17ROCPRIM_400000_NS6detail17trampoline_kernelINS0_14default_configENS1_35adjacent_difference_config_selectorILb1EdEEZNS1_24adjacent_difference_implIS3_Lb1ELb0EPdS7_N6thrust23THRUST_200600_302600_NS5minusIdEEEE10hipError_tPvRmT2_T3_mT4_P12ihipStream_tbEUlT_E_NS1_11comp_targetILNS1_3genE8ELNS1_11target_archE1030ELNS1_3gpuE2ELNS1_3repE0EEENS1_30default_config_static_selectorELNS0_4arch9wavefront6targetE1EEEvT1_
	.p2align	8
	.type	_ZN7rocprim17ROCPRIM_400000_NS6detail17trampoline_kernelINS0_14default_configENS1_35adjacent_difference_config_selectorILb1EdEEZNS1_24adjacent_difference_implIS3_Lb1ELb0EPdS7_N6thrust23THRUST_200600_302600_NS5minusIdEEEE10hipError_tPvRmT2_T3_mT4_P12ihipStream_tbEUlT_E_NS1_11comp_targetILNS1_3genE8ELNS1_11target_archE1030ELNS1_3gpuE2ELNS1_3repE0EEENS1_30default_config_static_selectorELNS0_4arch9wavefront6targetE1EEEvT1_,@function
_ZN7rocprim17ROCPRIM_400000_NS6detail17trampoline_kernelINS0_14default_configENS1_35adjacent_difference_config_selectorILb1EdEEZNS1_24adjacent_difference_implIS3_Lb1ELb0EPdS7_N6thrust23THRUST_200600_302600_NS5minusIdEEEE10hipError_tPvRmT2_T3_mT4_P12ihipStream_tbEUlT_E_NS1_11comp_targetILNS1_3genE8ELNS1_11target_archE1030ELNS1_3gpuE2ELNS1_3repE0EEENS1_30default_config_static_selectorELNS0_4arch9wavefront6targetE1EEEvT1_: ; @_ZN7rocprim17ROCPRIM_400000_NS6detail17trampoline_kernelINS0_14default_configENS1_35adjacent_difference_config_selectorILb1EdEEZNS1_24adjacent_difference_implIS3_Lb1ELb0EPdS7_N6thrust23THRUST_200600_302600_NS5minusIdEEEE10hipError_tPvRmT2_T3_mT4_P12ihipStream_tbEUlT_E_NS1_11comp_targetILNS1_3genE8ELNS1_11target_archE1030ELNS1_3gpuE2ELNS1_3repE0EEENS1_30default_config_static_selectorELNS0_4arch9wavefront6targetE1EEEvT1_
; %bb.0:
	.section	.rodata,"a",@progbits
	.p2align	6, 0x0
	.amdhsa_kernel _ZN7rocprim17ROCPRIM_400000_NS6detail17trampoline_kernelINS0_14default_configENS1_35adjacent_difference_config_selectorILb1EdEEZNS1_24adjacent_difference_implIS3_Lb1ELb0EPdS7_N6thrust23THRUST_200600_302600_NS5minusIdEEEE10hipError_tPvRmT2_T3_mT4_P12ihipStream_tbEUlT_E_NS1_11comp_targetILNS1_3genE8ELNS1_11target_archE1030ELNS1_3gpuE2ELNS1_3repE0EEENS1_30default_config_static_selectorELNS0_4arch9wavefront6targetE1EEEvT1_
		.amdhsa_group_segment_fixed_size 0
		.amdhsa_private_segment_fixed_size 0
		.amdhsa_kernarg_size 56
		.amdhsa_user_sgpr_count 6
		.amdhsa_user_sgpr_private_segment_buffer 1
		.amdhsa_user_sgpr_dispatch_ptr 0
		.amdhsa_user_sgpr_queue_ptr 0
		.amdhsa_user_sgpr_kernarg_segment_ptr 1
		.amdhsa_user_sgpr_dispatch_id 0
		.amdhsa_user_sgpr_flat_scratch_init 0
		.amdhsa_user_sgpr_private_segment_size 0
		.amdhsa_uses_dynamic_stack 0
		.amdhsa_system_sgpr_private_segment_wavefront_offset 0
		.amdhsa_system_sgpr_workgroup_id_x 1
		.amdhsa_system_sgpr_workgroup_id_y 0
		.amdhsa_system_sgpr_workgroup_id_z 0
		.amdhsa_system_sgpr_workgroup_info 0
		.amdhsa_system_vgpr_workitem_id 0
		.amdhsa_next_free_vgpr 1
		.amdhsa_next_free_sgpr 0
		.amdhsa_reserve_vcc 0
		.amdhsa_reserve_flat_scratch 0
		.amdhsa_float_round_mode_32 0
		.amdhsa_float_round_mode_16_64 0
		.amdhsa_float_denorm_mode_32 3
		.amdhsa_float_denorm_mode_16_64 3
		.amdhsa_dx10_clamp 1
		.amdhsa_ieee_mode 1
		.amdhsa_fp16_overflow 0
		.amdhsa_exception_fp_ieee_invalid_op 0
		.amdhsa_exception_fp_denorm_src 0
		.amdhsa_exception_fp_ieee_div_zero 0
		.amdhsa_exception_fp_ieee_overflow 0
		.amdhsa_exception_fp_ieee_underflow 0
		.amdhsa_exception_fp_ieee_inexact 0
		.amdhsa_exception_int_div_zero 0
	.end_amdhsa_kernel
	.section	.text._ZN7rocprim17ROCPRIM_400000_NS6detail17trampoline_kernelINS0_14default_configENS1_35adjacent_difference_config_selectorILb1EdEEZNS1_24adjacent_difference_implIS3_Lb1ELb0EPdS7_N6thrust23THRUST_200600_302600_NS5minusIdEEEE10hipError_tPvRmT2_T3_mT4_P12ihipStream_tbEUlT_E_NS1_11comp_targetILNS1_3genE8ELNS1_11target_archE1030ELNS1_3gpuE2ELNS1_3repE0EEENS1_30default_config_static_selectorELNS0_4arch9wavefront6targetE1EEEvT1_,"axG",@progbits,_ZN7rocprim17ROCPRIM_400000_NS6detail17trampoline_kernelINS0_14default_configENS1_35adjacent_difference_config_selectorILb1EdEEZNS1_24adjacent_difference_implIS3_Lb1ELb0EPdS7_N6thrust23THRUST_200600_302600_NS5minusIdEEEE10hipError_tPvRmT2_T3_mT4_P12ihipStream_tbEUlT_E_NS1_11comp_targetILNS1_3genE8ELNS1_11target_archE1030ELNS1_3gpuE2ELNS1_3repE0EEENS1_30default_config_static_selectorELNS0_4arch9wavefront6targetE1EEEvT1_,comdat
.Lfunc_end26:
	.size	_ZN7rocprim17ROCPRIM_400000_NS6detail17trampoline_kernelINS0_14default_configENS1_35adjacent_difference_config_selectorILb1EdEEZNS1_24adjacent_difference_implIS3_Lb1ELb0EPdS7_N6thrust23THRUST_200600_302600_NS5minusIdEEEE10hipError_tPvRmT2_T3_mT4_P12ihipStream_tbEUlT_E_NS1_11comp_targetILNS1_3genE8ELNS1_11target_archE1030ELNS1_3gpuE2ELNS1_3repE0EEENS1_30default_config_static_selectorELNS0_4arch9wavefront6targetE1EEEvT1_, .Lfunc_end26-_ZN7rocprim17ROCPRIM_400000_NS6detail17trampoline_kernelINS0_14default_configENS1_35adjacent_difference_config_selectorILb1EdEEZNS1_24adjacent_difference_implIS3_Lb1ELb0EPdS7_N6thrust23THRUST_200600_302600_NS5minusIdEEEE10hipError_tPvRmT2_T3_mT4_P12ihipStream_tbEUlT_E_NS1_11comp_targetILNS1_3genE8ELNS1_11target_archE1030ELNS1_3gpuE2ELNS1_3repE0EEENS1_30default_config_static_selectorELNS0_4arch9wavefront6targetE1EEEvT1_
                                        ; -- End function
	.set _ZN7rocprim17ROCPRIM_400000_NS6detail17trampoline_kernelINS0_14default_configENS1_35adjacent_difference_config_selectorILb1EdEEZNS1_24adjacent_difference_implIS3_Lb1ELb0EPdS7_N6thrust23THRUST_200600_302600_NS5minusIdEEEE10hipError_tPvRmT2_T3_mT4_P12ihipStream_tbEUlT_E_NS1_11comp_targetILNS1_3genE8ELNS1_11target_archE1030ELNS1_3gpuE2ELNS1_3repE0EEENS1_30default_config_static_selectorELNS0_4arch9wavefront6targetE1EEEvT1_.num_vgpr, 0
	.set _ZN7rocprim17ROCPRIM_400000_NS6detail17trampoline_kernelINS0_14default_configENS1_35adjacent_difference_config_selectorILb1EdEEZNS1_24adjacent_difference_implIS3_Lb1ELb0EPdS7_N6thrust23THRUST_200600_302600_NS5minusIdEEEE10hipError_tPvRmT2_T3_mT4_P12ihipStream_tbEUlT_E_NS1_11comp_targetILNS1_3genE8ELNS1_11target_archE1030ELNS1_3gpuE2ELNS1_3repE0EEENS1_30default_config_static_selectorELNS0_4arch9wavefront6targetE1EEEvT1_.num_agpr, 0
	.set _ZN7rocprim17ROCPRIM_400000_NS6detail17trampoline_kernelINS0_14default_configENS1_35adjacent_difference_config_selectorILb1EdEEZNS1_24adjacent_difference_implIS3_Lb1ELb0EPdS7_N6thrust23THRUST_200600_302600_NS5minusIdEEEE10hipError_tPvRmT2_T3_mT4_P12ihipStream_tbEUlT_E_NS1_11comp_targetILNS1_3genE8ELNS1_11target_archE1030ELNS1_3gpuE2ELNS1_3repE0EEENS1_30default_config_static_selectorELNS0_4arch9wavefront6targetE1EEEvT1_.numbered_sgpr, 0
	.set _ZN7rocprim17ROCPRIM_400000_NS6detail17trampoline_kernelINS0_14default_configENS1_35adjacent_difference_config_selectorILb1EdEEZNS1_24adjacent_difference_implIS3_Lb1ELb0EPdS7_N6thrust23THRUST_200600_302600_NS5minusIdEEEE10hipError_tPvRmT2_T3_mT4_P12ihipStream_tbEUlT_E_NS1_11comp_targetILNS1_3genE8ELNS1_11target_archE1030ELNS1_3gpuE2ELNS1_3repE0EEENS1_30default_config_static_selectorELNS0_4arch9wavefront6targetE1EEEvT1_.num_named_barrier, 0
	.set _ZN7rocprim17ROCPRIM_400000_NS6detail17trampoline_kernelINS0_14default_configENS1_35adjacent_difference_config_selectorILb1EdEEZNS1_24adjacent_difference_implIS3_Lb1ELb0EPdS7_N6thrust23THRUST_200600_302600_NS5minusIdEEEE10hipError_tPvRmT2_T3_mT4_P12ihipStream_tbEUlT_E_NS1_11comp_targetILNS1_3genE8ELNS1_11target_archE1030ELNS1_3gpuE2ELNS1_3repE0EEENS1_30default_config_static_selectorELNS0_4arch9wavefront6targetE1EEEvT1_.private_seg_size, 0
	.set _ZN7rocprim17ROCPRIM_400000_NS6detail17trampoline_kernelINS0_14default_configENS1_35adjacent_difference_config_selectorILb1EdEEZNS1_24adjacent_difference_implIS3_Lb1ELb0EPdS7_N6thrust23THRUST_200600_302600_NS5minusIdEEEE10hipError_tPvRmT2_T3_mT4_P12ihipStream_tbEUlT_E_NS1_11comp_targetILNS1_3genE8ELNS1_11target_archE1030ELNS1_3gpuE2ELNS1_3repE0EEENS1_30default_config_static_selectorELNS0_4arch9wavefront6targetE1EEEvT1_.uses_vcc, 0
	.set _ZN7rocprim17ROCPRIM_400000_NS6detail17trampoline_kernelINS0_14default_configENS1_35adjacent_difference_config_selectorILb1EdEEZNS1_24adjacent_difference_implIS3_Lb1ELb0EPdS7_N6thrust23THRUST_200600_302600_NS5minusIdEEEE10hipError_tPvRmT2_T3_mT4_P12ihipStream_tbEUlT_E_NS1_11comp_targetILNS1_3genE8ELNS1_11target_archE1030ELNS1_3gpuE2ELNS1_3repE0EEENS1_30default_config_static_selectorELNS0_4arch9wavefront6targetE1EEEvT1_.uses_flat_scratch, 0
	.set _ZN7rocprim17ROCPRIM_400000_NS6detail17trampoline_kernelINS0_14default_configENS1_35adjacent_difference_config_selectorILb1EdEEZNS1_24adjacent_difference_implIS3_Lb1ELb0EPdS7_N6thrust23THRUST_200600_302600_NS5minusIdEEEE10hipError_tPvRmT2_T3_mT4_P12ihipStream_tbEUlT_E_NS1_11comp_targetILNS1_3genE8ELNS1_11target_archE1030ELNS1_3gpuE2ELNS1_3repE0EEENS1_30default_config_static_selectorELNS0_4arch9wavefront6targetE1EEEvT1_.has_dyn_sized_stack, 0
	.set _ZN7rocprim17ROCPRIM_400000_NS6detail17trampoline_kernelINS0_14default_configENS1_35adjacent_difference_config_selectorILb1EdEEZNS1_24adjacent_difference_implIS3_Lb1ELb0EPdS7_N6thrust23THRUST_200600_302600_NS5minusIdEEEE10hipError_tPvRmT2_T3_mT4_P12ihipStream_tbEUlT_E_NS1_11comp_targetILNS1_3genE8ELNS1_11target_archE1030ELNS1_3gpuE2ELNS1_3repE0EEENS1_30default_config_static_selectorELNS0_4arch9wavefront6targetE1EEEvT1_.has_recursion, 0
	.set _ZN7rocprim17ROCPRIM_400000_NS6detail17trampoline_kernelINS0_14default_configENS1_35adjacent_difference_config_selectorILb1EdEEZNS1_24adjacent_difference_implIS3_Lb1ELb0EPdS7_N6thrust23THRUST_200600_302600_NS5minusIdEEEE10hipError_tPvRmT2_T3_mT4_P12ihipStream_tbEUlT_E_NS1_11comp_targetILNS1_3genE8ELNS1_11target_archE1030ELNS1_3gpuE2ELNS1_3repE0EEENS1_30default_config_static_selectorELNS0_4arch9wavefront6targetE1EEEvT1_.has_indirect_call, 0
	.section	.AMDGPU.csdata,"",@progbits
; Kernel info:
; codeLenInByte = 0
; TotalNumSgprs: 4
; NumVgprs: 0
; ScratchSize: 0
; MemoryBound: 0
; FloatMode: 240
; IeeeMode: 1
; LDSByteSize: 0 bytes/workgroup (compile time only)
; SGPRBlocks: 0
; VGPRBlocks: 0
; NumSGPRsForWavesPerEU: 4
; NumVGPRsForWavesPerEU: 1
; Occupancy: 10
; WaveLimiterHint : 0
; COMPUTE_PGM_RSRC2:SCRATCH_EN: 0
; COMPUTE_PGM_RSRC2:USER_SGPR: 6
; COMPUTE_PGM_RSRC2:TRAP_HANDLER: 0
; COMPUTE_PGM_RSRC2:TGID_X_EN: 1
; COMPUTE_PGM_RSRC2:TGID_Y_EN: 0
; COMPUTE_PGM_RSRC2:TGID_Z_EN: 0
; COMPUTE_PGM_RSRC2:TIDIG_COMP_CNT: 0
	.section	.text._ZN7rocprim17ROCPRIM_400000_NS6detail17trampoline_kernelINS0_14default_configENS1_35adjacent_difference_config_selectorILb0EdEEZNS1_24adjacent_difference_implIS3_Lb0ELb0EPdS7_N6thrust23THRUST_200600_302600_NS4plusIdEEEE10hipError_tPvRmT2_T3_mT4_P12ihipStream_tbEUlT_E_NS1_11comp_targetILNS1_3genE0ELNS1_11target_archE4294967295ELNS1_3gpuE0ELNS1_3repE0EEENS1_30default_config_static_selectorELNS0_4arch9wavefront6targetE1EEEvT1_,"axG",@progbits,_ZN7rocprim17ROCPRIM_400000_NS6detail17trampoline_kernelINS0_14default_configENS1_35adjacent_difference_config_selectorILb0EdEEZNS1_24adjacent_difference_implIS3_Lb0ELb0EPdS7_N6thrust23THRUST_200600_302600_NS4plusIdEEEE10hipError_tPvRmT2_T3_mT4_P12ihipStream_tbEUlT_E_NS1_11comp_targetILNS1_3genE0ELNS1_11target_archE4294967295ELNS1_3gpuE0ELNS1_3repE0EEENS1_30default_config_static_selectorELNS0_4arch9wavefront6targetE1EEEvT1_,comdat
	.protected	_ZN7rocprim17ROCPRIM_400000_NS6detail17trampoline_kernelINS0_14default_configENS1_35adjacent_difference_config_selectorILb0EdEEZNS1_24adjacent_difference_implIS3_Lb0ELb0EPdS7_N6thrust23THRUST_200600_302600_NS4plusIdEEEE10hipError_tPvRmT2_T3_mT4_P12ihipStream_tbEUlT_E_NS1_11comp_targetILNS1_3genE0ELNS1_11target_archE4294967295ELNS1_3gpuE0ELNS1_3repE0EEENS1_30default_config_static_selectorELNS0_4arch9wavefront6targetE1EEEvT1_ ; -- Begin function _ZN7rocprim17ROCPRIM_400000_NS6detail17trampoline_kernelINS0_14default_configENS1_35adjacent_difference_config_selectorILb0EdEEZNS1_24adjacent_difference_implIS3_Lb0ELb0EPdS7_N6thrust23THRUST_200600_302600_NS4plusIdEEEE10hipError_tPvRmT2_T3_mT4_P12ihipStream_tbEUlT_E_NS1_11comp_targetILNS1_3genE0ELNS1_11target_archE4294967295ELNS1_3gpuE0ELNS1_3repE0EEENS1_30default_config_static_selectorELNS0_4arch9wavefront6targetE1EEEvT1_
	.globl	_ZN7rocprim17ROCPRIM_400000_NS6detail17trampoline_kernelINS0_14default_configENS1_35adjacent_difference_config_selectorILb0EdEEZNS1_24adjacent_difference_implIS3_Lb0ELb0EPdS7_N6thrust23THRUST_200600_302600_NS4plusIdEEEE10hipError_tPvRmT2_T3_mT4_P12ihipStream_tbEUlT_E_NS1_11comp_targetILNS1_3genE0ELNS1_11target_archE4294967295ELNS1_3gpuE0ELNS1_3repE0EEENS1_30default_config_static_selectorELNS0_4arch9wavefront6targetE1EEEvT1_
	.p2align	8
	.type	_ZN7rocprim17ROCPRIM_400000_NS6detail17trampoline_kernelINS0_14default_configENS1_35adjacent_difference_config_selectorILb0EdEEZNS1_24adjacent_difference_implIS3_Lb0ELb0EPdS7_N6thrust23THRUST_200600_302600_NS4plusIdEEEE10hipError_tPvRmT2_T3_mT4_P12ihipStream_tbEUlT_E_NS1_11comp_targetILNS1_3genE0ELNS1_11target_archE4294967295ELNS1_3gpuE0ELNS1_3repE0EEENS1_30default_config_static_selectorELNS0_4arch9wavefront6targetE1EEEvT1_,@function
_ZN7rocprim17ROCPRIM_400000_NS6detail17trampoline_kernelINS0_14default_configENS1_35adjacent_difference_config_selectorILb0EdEEZNS1_24adjacent_difference_implIS3_Lb0ELb0EPdS7_N6thrust23THRUST_200600_302600_NS4plusIdEEEE10hipError_tPvRmT2_T3_mT4_P12ihipStream_tbEUlT_E_NS1_11comp_targetILNS1_3genE0ELNS1_11target_archE4294967295ELNS1_3gpuE0ELNS1_3repE0EEENS1_30default_config_static_selectorELNS0_4arch9wavefront6targetE1EEEvT1_: ; @_ZN7rocprim17ROCPRIM_400000_NS6detail17trampoline_kernelINS0_14default_configENS1_35adjacent_difference_config_selectorILb0EdEEZNS1_24adjacent_difference_implIS3_Lb0ELb0EPdS7_N6thrust23THRUST_200600_302600_NS4plusIdEEEE10hipError_tPvRmT2_T3_mT4_P12ihipStream_tbEUlT_E_NS1_11comp_targetILNS1_3genE0ELNS1_11target_archE4294967295ELNS1_3gpuE0ELNS1_3repE0EEENS1_30default_config_static_selectorELNS0_4arch9wavefront6targetE1EEEvT1_
; %bb.0:
	.section	.rodata,"a",@progbits
	.p2align	6, 0x0
	.amdhsa_kernel _ZN7rocprim17ROCPRIM_400000_NS6detail17trampoline_kernelINS0_14default_configENS1_35adjacent_difference_config_selectorILb0EdEEZNS1_24adjacent_difference_implIS3_Lb0ELb0EPdS7_N6thrust23THRUST_200600_302600_NS4plusIdEEEE10hipError_tPvRmT2_T3_mT4_P12ihipStream_tbEUlT_E_NS1_11comp_targetILNS1_3genE0ELNS1_11target_archE4294967295ELNS1_3gpuE0ELNS1_3repE0EEENS1_30default_config_static_selectorELNS0_4arch9wavefront6targetE1EEEvT1_
		.amdhsa_group_segment_fixed_size 0
		.amdhsa_private_segment_fixed_size 0
		.amdhsa_kernarg_size 56
		.amdhsa_user_sgpr_count 6
		.amdhsa_user_sgpr_private_segment_buffer 1
		.amdhsa_user_sgpr_dispatch_ptr 0
		.amdhsa_user_sgpr_queue_ptr 0
		.amdhsa_user_sgpr_kernarg_segment_ptr 1
		.amdhsa_user_sgpr_dispatch_id 0
		.amdhsa_user_sgpr_flat_scratch_init 0
		.amdhsa_user_sgpr_private_segment_size 0
		.amdhsa_uses_dynamic_stack 0
		.amdhsa_system_sgpr_private_segment_wavefront_offset 0
		.amdhsa_system_sgpr_workgroup_id_x 1
		.amdhsa_system_sgpr_workgroup_id_y 0
		.amdhsa_system_sgpr_workgroup_id_z 0
		.amdhsa_system_sgpr_workgroup_info 0
		.amdhsa_system_vgpr_workitem_id 0
		.amdhsa_next_free_vgpr 1
		.amdhsa_next_free_sgpr 0
		.amdhsa_reserve_vcc 0
		.amdhsa_reserve_flat_scratch 0
		.amdhsa_float_round_mode_32 0
		.amdhsa_float_round_mode_16_64 0
		.amdhsa_float_denorm_mode_32 3
		.amdhsa_float_denorm_mode_16_64 3
		.amdhsa_dx10_clamp 1
		.amdhsa_ieee_mode 1
		.amdhsa_fp16_overflow 0
		.amdhsa_exception_fp_ieee_invalid_op 0
		.amdhsa_exception_fp_denorm_src 0
		.amdhsa_exception_fp_ieee_div_zero 0
		.amdhsa_exception_fp_ieee_overflow 0
		.amdhsa_exception_fp_ieee_underflow 0
		.amdhsa_exception_fp_ieee_inexact 0
		.amdhsa_exception_int_div_zero 0
	.end_amdhsa_kernel
	.section	.text._ZN7rocprim17ROCPRIM_400000_NS6detail17trampoline_kernelINS0_14default_configENS1_35adjacent_difference_config_selectorILb0EdEEZNS1_24adjacent_difference_implIS3_Lb0ELb0EPdS7_N6thrust23THRUST_200600_302600_NS4plusIdEEEE10hipError_tPvRmT2_T3_mT4_P12ihipStream_tbEUlT_E_NS1_11comp_targetILNS1_3genE0ELNS1_11target_archE4294967295ELNS1_3gpuE0ELNS1_3repE0EEENS1_30default_config_static_selectorELNS0_4arch9wavefront6targetE1EEEvT1_,"axG",@progbits,_ZN7rocprim17ROCPRIM_400000_NS6detail17trampoline_kernelINS0_14default_configENS1_35adjacent_difference_config_selectorILb0EdEEZNS1_24adjacent_difference_implIS3_Lb0ELb0EPdS7_N6thrust23THRUST_200600_302600_NS4plusIdEEEE10hipError_tPvRmT2_T3_mT4_P12ihipStream_tbEUlT_E_NS1_11comp_targetILNS1_3genE0ELNS1_11target_archE4294967295ELNS1_3gpuE0ELNS1_3repE0EEENS1_30default_config_static_selectorELNS0_4arch9wavefront6targetE1EEEvT1_,comdat
.Lfunc_end27:
	.size	_ZN7rocprim17ROCPRIM_400000_NS6detail17trampoline_kernelINS0_14default_configENS1_35adjacent_difference_config_selectorILb0EdEEZNS1_24adjacent_difference_implIS3_Lb0ELb0EPdS7_N6thrust23THRUST_200600_302600_NS4plusIdEEEE10hipError_tPvRmT2_T3_mT4_P12ihipStream_tbEUlT_E_NS1_11comp_targetILNS1_3genE0ELNS1_11target_archE4294967295ELNS1_3gpuE0ELNS1_3repE0EEENS1_30default_config_static_selectorELNS0_4arch9wavefront6targetE1EEEvT1_, .Lfunc_end27-_ZN7rocprim17ROCPRIM_400000_NS6detail17trampoline_kernelINS0_14default_configENS1_35adjacent_difference_config_selectorILb0EdEEZNS1_24adjacent_difference_implIS3_Lb0ELb0EPdS7_N6thrust23THRUST_200600_302600_NS4plusIdEEEE10hipError_tPvRmT2_T3_mT4_P12ihipStream_tbEUlT_E_NS1_11comp_targetILNS1_3genE0ELNS1_11target_archE4294967295ELNS1_3gpuE0ELNS1_3repE0EEENS1_30default_config_static_selectorELNS0_4arch9wavefront6targetE1EEEvT1_
                                        ; -- End function
	.set _ZN7rocprim17ROCPRIM_400000_NS6detail17trampoline_kernelINS0_14default_configENS1_35adjacent_difference_config_selectorILb0EdEEZNS1_24adjacent_difference_implIS3_Lb0ELb0EPdS7_N6thrust23THRUST_200600_302600_NS4plusIdEEEE10hipError_tPvRmT2_T3_mT4_P12ihipStream_tbEUlT_E_NS1_11comp_targetILNS1_3genE0ELNS1_11target_archE4294967295ELNS1_3gpuE0ELNS1_3repE0EEENS1_30default_config_static_selectorELNS0_4arch9wavefront6targetE1EEEvT1_.num_vgpr, 0
	.set _ZN7rocprim17ROCPRIM_400000_NS6detail17trampoline_kernelINS0_14default_configENS1_35adjacent_difference_config_selectorILb0EdEEZNS1_24adjacent_difference_implIS3_Lb0ELb0EPdS7_N6thrust23THRUST_200600_302600_NS4plusIdEEEE10hipError_tPvRmT2_T3_mT4_P12ihipStream_tbEUlT_E_NS1_11comp_targetILNS1_3genE0ELNS1_11target_archE4294967295ELNS1_3gpuE0ELNS1_3repE0EEENS1_30default_config_static_selectorELNS0_4arch9wavefront6targetE1EEEvT1_.num_agpr, 0
	.set _ZN7rocprim17ROCPRIM_400000_NS6detail17trampoline_kernelINS0_14default_configENS1_35adjacent_difference_config_selectorILb0EdEEZNS1_24adjacent_difference_implIS3_Lb0ELb0EPdS7_N6thrust23THRUST_200600_302600_NS4plusIdEEEE10hipError_tPvRmT2_T3_mT4_P12ihipStream_tbEUlT_E_NS1_11comp_targetILNS1_3genE0ELNS1_11target_archE4294967295ELNS1_3gpuE0ELNS1_3repE0EEENS1_30default_config_static_selectorELNS0_4arch9wavefront6targetE1EEEvT1_.numbered_sgpr, 0
	.set _ZN7rocprim17ROCPRIM_400000_NS6detail17trampoline_kernelINS0_14default_configENS1_35adjacent_difference_config_selectorILb0EdEEZNS1_24adjacent_difference_implIS3_Lb0ELb0EPdS7_N6thrust23THRUST_200600_302600_NS4plusIdEEEE10hipError_tPvRmT2_T3_mT4_P12ihipStream_tbEUlT_E_NS1_11comp_targetILNS1_3genE0ELNS1_11target_archE4294967295ELNS1_3gpuE0ELNS1_3repE0EEENS1_30default_config_static_selectorELNS0_4arch9wavefront6targetE1EEEvT1_.num_named_barrier, 0
	.set _ZN7rocprim17ROCPRIM_400000_NS6detail17trampoline_kernelINS0_14default_configENS1_35adjacent_difference_config_selectorILb0EdEEZNS1_24adjacent_difference_implIS3_Lb0ELb0EPdS7_N6thrust23THRUST_200600_302600_NS4plusIdEEEE10hipError_tPvRmT2_T3_mT4_P12ihipStream_tbEUlT_E_NS1_11comp_targetILNS1_3genE0ELNS1_11target_archE4294967295ELNS1_3gpuE0ELNS1_3repE0EEENS1_30default_config_static_selectorELNS0_4arch9wavefront6targetE1EEEvT1_.private_seg_size, 0
	.set _ZN7rocprim17ROCPRIM_400000_NS6detail17trampoline_kernelINS0_14default_configENS1_35adjacent_difference_config_selectorILb0EdEEZNS1_24adjacent_difference_implIS3_Lb0ELb0EPdS7_N6thrust23THRUST_200600_302600_NS4plusIdEEEE10hipError_tPvRmT2_T3_mT4_P12ihipStream_tbEUlT_E_NS1_11comp_targetILNS1_3genE0ELNS1_11target_archE4294967295ELNS1_3gpuE0ELNS1_3repE0EEENS1_30default_config_static_selectorELNS0_4arch9wavefront6targetE1EEEvT1_.uses_vcc, 0
	.set _ZN7rocprim17ROCPRIM_400000_NS6detail17trampoline_kernelINS0_14default_configENS1_35adjacent_difference_config_selectorILb0EdEEZNS1_24adjacent_difference_implIS3_Lb0ELb0EPdS7_N6thrust23THRUST_200600_302600_NS4plusIdEEEE10hipError_tPvRmT2_T3_mT4_P12ihipStream_tbEUlT_E_NS1_11comp_targetILNS1_3genE0ELNS1_11target_archE4294967295ELNS1_3gpuE0ELNS1_3repE0EEENS1_30default_config_static_selectorELNS0_4arch9wavefront6targetE1EEEvT1_.uses_flat_scratch, 0
	.set _ZN7rocprim17ROCPRIM_400000_NS6detail17trampoline_kernelINS0_14default_configENS1_35adjacent_difference_config_selectorILb0EdEEZNS1_24adjacent_difference_implIS3_Lb0ELb0EPdS7_N6thrust23THRUST_200600_302600_NS4plusIdEEEE10hipError_tPvRmT2_T3_mT4_P12ihipStream_tbEUlT_E_NS1_11comp_targetILNS1_3genE0ELNS1_11target_archE4294967295ELNS1_3gpuE0ELNS1_3repE0EEENS1_30default_config_static_selectorELNS0_4arch9wavefront6targetE1EEEvT1_.has_dyn_sized_stack, 0
	.set _ZN7rocprim17ROCPRIM_400000_NS6detail17trampoline_kernelINS0_14default_configENS1_35adjacent_difference_config_selectorILb0EdEEZNS1_24adjacent_difference_implIS3_Lb0ELb0EPdS7_N6thrust23THRUST_200600_302600_NS4plusIdEEEE10hipError_tPvRmT2_T3_mT4_P12ihipStream_tbEUlT_E_NS1_11comp_targetILNS1_3genE0ELNS1_11target_archE4294967295ELNS1_3gpuE0ELNS1_3repE0EEENS1_30default_config_static_selectorELNS0_4arch9wavefront6targetE1EEEvT1_.has_recursion, 0
	.set _ZN7rocprim17ROCPRIM_400000_NS6detail17trampoline_kernelINS0_14default_configENS1_35adjacent_difference_config_selectorILb0EdEEZNS1_24adjacent_difference_implIS3_Lb0ELb0EPdS7_N6thrust23THRUST_200600_302600_NS4plusIdEEEE10hipError_tPvRmT2_T3_mT4_P12ihipStream_tbEUlT_E_NS1_11comp_targetILNS1_3genE0ELNS1_11target_archE4294967295ELNS1_3gpuE0ELNS1_3repE0EEENS1_30default_config_static_selectorELNS0_4arch9wavefront6targetE1EEEvT1_.has_indirect_call, 0
	.section	.AMDGPU.csdata,"",@progbits
; Kernel info:
; codeLenInByte = 0
; TotalNumSgprs: 4
; NumVgprs: 0
; ScratchSize: 0
; MemoryBound: 0
; FloatMode: 240
; IeeeMode: 1
; LDSByteSize: 0 bytes/workgroup (compile time only)
; SGPRBlocks: 0
; VGPRBlocks: 0
; NumSGPRsForWavesPerEU: 4
; NumVGPRsForWavesPerEU: 1
; Occupancy: 10
; WaveLimiterHint : 0
; COMPUTE_PGM_RSRC2:SCRATCH_EN: 0
; COMPUTE_PGM_RSRC2:USER_SGPR: 6
; COMPUTE_PGM_RSRC2:TRAP_HANDLER: 0
; COMPUTE_PGM_RSRC2:TGID_X_EN: 1
; COMPUTE_PGM_RSRC2:TGID_Y_EN: 0
; COMPUTE_PGM_RSRC2:TGID_Z_EN: 0
; COMPUTE_PGM_RSRC2:TIDIG_COMP_CNT: 0
	.section	.text._ZN7rocprim17ROCPRIM_400000_NS6detail17trampoline_kernelINS0_14default_configENS1_35adjacent_difference_config_selectorILb0EdEEZNS1_24adjacent_difference_implIS3_Lb0ELb0EPdS7_N6thrust23THRUST_200600_302600_NS4plusIdEEEE10hipError_tPvRmT2_T3_mT4_P12ihipStream_tbEUlT_E_NS1_11comp_targetILNS1_3genE10ELNS1_11target_archE1201ELNS1_3gpuE5ELNS1_3repE0EEENS1_30default_config_static_selectorELNS0_4arch9wavefront6targetE1EEEvT1_,"axG",@progbits,_ZN7rocprim17ROCPRIM_400000_NS6detail17trampoline_kernelINS0_14default_configENS1_35adjacent_difference_config_selectorILb0EdEEZNS1_24adjacent_difference_implIS3_Lb0ELb0EPdS7_N6thrust23THRUST_200600_302600_NS4plusIdEEEE10hipError_tPvRmT2_T3_mT4_P12ihipStream_tbEUlT_E_NS1_11comp_targetILNS1_3genE10ELNS1_11target_archE1201ELNS1_3gpuE5ELNS1_3repE0EEENS1_30default_config_static_selectorELNS0_4arch9wavefront6targetE1EEEvT1_,comdat
	.protected	_ZN7rocprim17ROCPRIM_400000_NS6detail17trampoline_kernelINS0_14default_configENS1_35adjacent_difference_config_selectorILb0EdEEZNS1_24adjacent_difference_implIS3_Lb0ELb0EPdS7_N6thrust23THRUST_200600_302600_NS4plusIdEEEE10hipError_tPvRmT2_T3_mT4_P12ihipStream_tbEUlT_E_NS1_11comp_targetILNS1_3genE10ELNS1_11target_archE1201ELNS1_3gpuE5ELNS1_3repE0EEENS1_30default_config_static_selectorELNS0_4arch9wavefront6targetE1EEEvT1_ ; -- Begin function _ZN7rocprim17ROCPRIM_400000_NS6detail17trampoline_kernelINS0_14default_configENS1_35adjacent_difference_config_selectorILb0EdEEZNS1_24adjacent_difference_implIS3_Lb0ELb0EPdS7_N6thrust23THRUST_200600_302600_NS4plusIdEEEE10hipError_tPvRmT2_T3_mT4_P12ihipStream_tbEUlT_E_NS1_11comp_targetILNS1_3genE10ELNS1_11target_archE1201ELNS1_3gpuE5ELNS1_3repE0EEENS1_30default_config_static_selectorELNS0_4arch9wavefront6targetE1EEEvT1_
	.globl	_ZN7rocprim17ROCPRIM_400000_NS6detail17trampoline_kernelINS0_14default_configENS1_35adjacent_difference_config_selectorILb0EdEEZNS1_24adjacent_difference_implIS3_Lb0ELb0EPdS7_N6thrust23THRUST_200600_302600_NS4plusIdEEEE10hipError_tPvRmT2_T3_mT4_P12ihipStream_tbEUlT_E_NS1_11comp_targetILNS1_3genE10ELNS1_11target_archE1201ELNS1_3gpuE5ELNS1_3repE0EEENS1_30default_config_static_selectorELNS0_4arch9wavefront6targetE1EEEvT1_
	.p2align	8
	.type	_ZN7rocprim17ROCPRIM_400000_NS6detail17trampoline_kernelINS0_14default_configENS1_35adjacent_difference_config_selectorILb0EdEEZNS1_24adjacent_difference_implIS3_Lb0ELb0EPdS7_N6thrust23THRUST_200600_302600_NS4plusIdEEEE10hipError_tPvRmT2_T3_mT4_P12ihipStream_tbEUlT_E_NS1_11comp_targetILNS1_3genE10ELNS1_11target_archE1201ELNS1_3gpuE5ELNS1_3repE0EEENS1_30default_config_static_selectorELNS0_4arch9wavefront6targetE1EEEvT1_,@function
_ZN7rocprim17ROCPRIM_400000_NS6detail17trampoline_kernelINS0_14default_configENS1_35adjacent_difference_config_selectorILb0EdEEZNS1_24adjacent_difference_implIS3_Lb0ELb0EPdS7_N6thrust23THRUST_200600_302600_NS4plusIdEEEE10hipError_tPvRmT2_T3_mT4_P12ihipStream_tbEUlT_E_NS1_11comp_targetILNS1_3genE10ELNS1_11target_archE1201ELNS1_3gpuE5ELNS1_3repE0EEENS1_30default_config_static_selectorELNS0_4arch9wavefront6targetE1EEEvT1_: ; @_ZN7rocprim17ROCPRIM_400000_NS6detail17trampoline_kernelINS0_14default_configENS1_35adjacent_difference_config_selectorILb0EdEEZNS1_24adjacent_difference_implIS3_Lb0ELb0EPdS7_N6thrust23THRUST_200600_302600_NS4plusIdEEEE10hipError_tPvRmT2_T3_mT4_P12ihipStream_tbEUlT_E_NS1_11comp_targetILNS1_3genE10ELNS1_11target_archE1201ELNS1_3gpuE5ELNS1_3repE0EEENS1_30default_config_static_selectorELNS0_4arch9wavefront6targetE1EEEvT1_
; %bb.0:
	.section	.rodata,"a",@progbits
	.p2align	6, 0x0
	.amdhsa_kernel _ZN7rocprim17ROCPRIM_400000_NS6detail17trampoline_kernelINS0_14default_configENS1_35adjacent_difference_config_selectorILb0EdEEZNS1_24adjacent_difference_implIS3_Lb0ELb0EPdS7_N6thrust23THRUST_200600_302600_NS4plusIdEEEE10hipError_tPvRmT2_T3_mT4_P12ihipStream_tbEUlT_E_NS1_11comp_targetILNS1_3genE10ELNS1_11target_archE1201ELNS1_3gpuE5ELNS1_3repE0EEENS1_30default_config_static_selectorELNS0_4arch9wavefront6targetE1EEEvT1_
		.amdhsa_group_segment_fixed_size 0
		.amdhsa_private_segment_fixed_size 0
		.amdhsa_kernarg_size 56
		.amdhsa_user_sgpr_count 6
		.amdhsa_user_sgpr_private_segment_buffer 1
		.amdhsa_user_sgpr_dispatch_ptr 0
		.amdhsa_user_sgpr_queue_ptr 0
		.amdhsa_user_sgpr_kernarg_segment_ptr 1
		.amdhsa_user_sgpr_dispatch_id 0
		.amdhsa_user_sgpr_flat_scratch_init 0
		.amdhsa_user_sgpr_private_segment_size 0
		.amdhsa_uses_dynamic_stack 0
		.amdhsa_system_sgpr_private_segment_wavefront_offset 0
		.amdhsa_system_sgpr_workgroup_id_x 1
		.amdhsa_system_sgpr_workgroup_id_y 0
		.amdhsa_system_sgpr_workgroup_id_z 0
		.amdhsa_system_sgpr_workgroup_info 0
		.amdhsa_system_vgpr_workitem_id 0
		.amdhsa_next_free_vgpr 1
		.amdhsa_next_free_sgpr 0
		.amdhsa_reserve_vcc 0
		.amdhsa_reserve_flat_scratch 0
		.amdhsa_float_round_mode_32 0
		.amdhsa_float_round_mode_16_64 0
		.amdhsa_float_denorm_mode_32 3
		.amdhsa_float_denorm_mode_16_64 3
		.amdhsa_dx10_clamp 1
		.amdhsa_ieee_mode 1
		.amdhsa_fp16_overflow 0
		.amdhsa_exception_fp_ieee_invalid_op 0
		.amdhsa_exception_fp_denorm_src 0
		.amdhsa_exception_fp_ieee_div_zero 0
		.amdhsa_exception_fp_ieee_overflow 0
		.amdhsa_exception_fp_ieee_underflow 0
		.amdhsa_exception_fp_ieee_inexact 0
		.amdhsa_exception_int_div_zero 0
	.end_amdhsa_kernel
	.section	.text._ZN7rocprim17ROCPRIM_400000_NS6detail17trampoline_kernelINS0_14default_configENS1_35adjacent_difference_config_selectorILb0EdEEZNS1_24adjacent_difference_implIS3_Lb0ELb0EPdS7_N6thrust23THRUST_200600_302600_NS4plusIdEEEE10hipError_tPvRmT2_T3_mT4_P12ihipStream_tbEUlT_E_NS1_11comp_targetILNS1_3genE10ELNS1_11target_archE1201ELNS1_3gpuE5ELNS1_3repE0EEENS1_30default_config_static_selectorELNS0_4arch9wavefront6targetE1EEEvT1_,"axG",@progbits,_ZN7rocprim17ROCPRIM_400000_NS6detail17trampoline_kernelINS0_14default_configENS1_35adjacent_difference_config_selectorILb0EdEEZNS1_24adjacent_difference_implIS3_Lb0ELb0EPdS7_N6thrust23THRUST_200600_302600_NS4plusIdEEEE10hipError_tPvRmT2_T3_mT4_P12ihipStream_tbEUlT_E_NS1_11comp_targetILNS1_3genE10ELNS1_11target_archE1201ELNS1_3gpuE5ELNS1_3repE0EEENS1_30default_config_static_selectorELNS0_4arch9wavefront6targetE1EEEvT1_,comdat
.Lfunc_end28:
	.size	_ZN7rocprim17ROCPRIM_400000_NS6detail17trampoline_kernelINS0_14default_configENS1_35adjacent_difference_config_selectorILb0EdEEZNS1_24adjacent_difference_implIS3_Lb0ELb0EPdS7_N6thrust23THRUST_200600_302600_NS4plusIdEEEE10hipError_tPvRmT2_T3_mT4_P12ihipStream_tbEUlT_E_NS1_11comp_targetILNS1_3genE10ELNS1_11target_archE1201ELNS1_3gpuE5ELNS1_3repE0EEENS1_30default_config_static_selectorELNS0_4arch9wavefront6targetE1EEEvT1_, .Lfunc_end28-_ZN7rocprim17ROCPRIM_400000_NS6detail17trampoline_kernelINS0_14default_configENS1_35adjacent_difference_config_selectorILb0EdEEZNS1_24adjacent_difference_implIS3_Lb0ELb0EPdS7_N6thrust23THRUST_200600_302600_NS4plusIdEEEE10hipError_tPvRmT2_T3_mT4_P12ihipStream_tbEUlT_E_NS1_11comp_targetILNS1_3genE10ELNS1_11target_archE1201ELNS1_3gpuE5ELNS1_3repE0EEENS1_30default_config_static_selectorELNS0_4arch9wavefront6targetE1EEEvT1_
                                        ; -- End function
	.set _ZN7rocprim17ROCPRIM_400000_NS6detail17trampoline_kernelINS0_14default_configENS1_35adjacent_difference_config_selectorILb0EdEEZNS1_24adjacent_difference_implIS3_Lb0ELb0EPdS7_N6thrust23THRUST_200600_302600_NS4plusIdEEEE10hipError_tPvRmT2_T3_mT4_P12ihipStream_tbEUlT_E_NS1_11comp_targetILNS1_3genE10ELNS1_11target_archE1201ELNS1_3gpuE5ELNS1_3repE0EEENS1_30default_config_static_selectorELNS0_4arch9wavefront6targetE1EEEvT1_.num_vgpr, 0
	.set _ZN7rocprim17ROCPRIM_400000_NS6detail17trampoline_kernelINS0_14default_configENS1_35adjacent_difference_config_selectorILb0EdEEZNS1_24adjacent_difference_implIS3_Lb0ELb0EPdS7_N6thrust23THRUST_200600_302600_NS4plusIdEEEE10hipError_tPvRmT2_T3_mT4_P12ihipStream_tbEUlT_E_NS1_11comp_targetILNS1_3genE10ELNS1_11target_archE1201ELNS1_3gpuE5ELNS1_3repE0EEENS1_30default_config_static_selectorELNS0_4arch9wavefront6targetE1EEEvT1_.num_agpr, 0
	.set _ZN7rocprim17ROCPRIM_400000_NS6detail17trampoline_kernelINS0_14default_configENS1_35adjacent_difference_config_selectorILb0EdEEZNS1_24adjacent_difference_implIS3_Lb0ELb0EPdS7_N6thrust23THRUST_200600_302600_NS4plusIdEEEE10hipError_tPvRmT2_T3_mT4_P12ihipStream_tbEUlT_E_NS1_11comp_targetILNS1_3genE10ELNS1_11target_archE1201ELNS1_3gpuE5ELNS1_3repE0EEENS1_30default_config_static_selectorELNS0_4arch9wavefront6targetE1EEEvT1_.numbered_sgpr, 0
	.set _ZN7rocprim17ROCPRIM_400000_NS6detail17trampoline_kernelINS0_14default_configENS1_35adjacent_difference_config_selectorILb0EdEEZNS1_24adjacent_difference_implIS3_Lb0ELb0EPdS7_N6thrust23THRUST_200600_302600_NS4plusIdEEEE10hipError_tPvRmT2_T3_mT4_P12ihipStream_tbEUlT_E_NS1_11comp_targetILNS1_3genE10ELNS1_11target_archE1201ELNS1_3gpuE5ELNS1_3repE0EEENS1_30default_config_static_selectorELNS0_4arch9wavefront6targetE1EEEvT1_.num_named_barrier, 0
	.set _ZN7rocprim17ROCPRIM_400000_NS6detail17trampoline_kernelINS0_14default_configENS1_35adjacent_difference_config_selectorILb0EdEEZNS1_24adjacent_difference_implIS3_Lb0ELb0EPdS7_N6thrust23THRUST_200600_302600_NS4plusIdEEEE10hipError_tPvRmT2_T3_mT4_P12ihipStream_tbEUlT_E_NS1_11comp_targetILNS1_3genE10ELNS1_11target_archE1201ELNS1_3gpuE5ELNS1_3repE0EEENS1_30default_config_static_selectorELNS0_4arch9wavefront6targetE1EEEvT1_.private_seg_size, 0
	.set _ZN7rocprim17ROCPRIM_400000_NS6detail17trampoline_kernelINS0_14default_configENS1_35adjacent_difference_config_selectorILb0EdEEZNS1_24adjacent_difference_implIS3_Lb0ELb0EPdS7_N6thrust23THRUST_200600_302600_NS4plusIdEEEE10hipError_tPvRmT2_T3_mT4_P12ihipStream_tbEUlT_E_NS1_11comp_targetILNS1_3genE10ELNS1_11target_archE1201ELNS1_3gpuE5ELNS1_3repE0EEENS1_30default_config_static_selectorELNS0_4arch9wavefront6targetE1EEEvT1_.uses_vcc, 0
	.set _ZN7rocprim17ROCPRIM_400000_NS6detail17trampoline_kernelINS0_14default_configENS1_35adjacent_difference_config_selectorILb0EdEEZNS1_24adjacent_difference_implIS3_Lb0ELb0EPdS7_N6thrust23THRUST_200600_302600_NS4plusIdEEEE10hipError_tPvRmT2_T3_mT4_P12ihipStream_tbEUlT_E_NS1_11comp_targetILNS1_3genE10ELNS1_11target_archE1201ELNS1_3gpuE5ELNS1_3repE0EEENS1_30default_config_static_selectorELNS0_4arch9wavefront6targetE1EEEvT1_.uses_flat_scratch, 0
	.set _ZN7rocprim17ROCPRIM_400000_NS6detail17trampoline_kernelINS0_14default_configENS1_35adjacent_difference_config_selectorILb0EdEEZNS1_24adjacent_difference_implIS3_Lb0ELb0EPdS7_N6thrust23THRUST_200600_302600_NS4plusIdEEEE10hipError_tPvRmT2_T3_mT4_P12ihipStream_tbEUlT_E_NS1_11comp_targetILNS1_3genE10ELNS1_11target_archE1201ELNS1_3gpuE5ELNS1_3repE0EEENS1_30default_config_static_selectorELNS0_4arch9wavefront6targetE1EEEvT1_.has_dyn_sized_stack, 0
	.set _ZN7rocprim17ROCPRIM_400000_NS6detail17trampoline_kernelINS0_14default_configENS1_35adjacent_difference_config_selectorILb0EdEEZNS1_24adjacent_difference_implIS3_Lb0ELb0EPdS7_N6thrust23THRUST_200600_302600_NS4plusIdEEEE10hipError_tPvRmT2_T3_mT4_P12ihipStream_tbEUlT_E_NS1_11comp_targetILNS1_3genE10ELNS1_11target_archE1201ELNS1_3gpuE5ELNS1_3repE0EEENS1_30default_config_static_selectorELNS0_4arch9wavefront6targetE1EEEvT1_.has_recursion, 0
	.set _ZN7rocprim17ROCPRIM_400000_NS6detail17trampoline_kernelINS0_14default_configENS1_35adjacent_difference_config_selectorILb0EdEEZNS1_24adjacent_difference_implIS3_Lb0ELb0EPdS7_N6thrust23THRUST_200600_302600_NS4plusIdEEEE10hipError_tPvRmT2_T3_mT4_P12ihipStream_tbEUlT_E_NS1_11comp_targetILNS1_3genE10ELNS1_11target_archE1201ELNS1_3gpuE5ELNS1_3repE0EEENS1_30default_config_static_selectorELNS0_4arch9wavefront6targetE1EEEvT1_.has_indirect_call, 0
	.section	.AMDGPU.csdata,"",@progbits
; Kernel info:
; codeLenInByte = 0
; TotalNumSgprs: 4
; NumVgprs: 0
; ScratchSize: 0
; MemoryBound: 0
; FloatMode: 240
; IeeeMode: 1
; LDSByteSize: 0 bytes/workgroup (compile time only)
; SGPRBlocks: 0
; VGPRBlocks: 0
; NumSGPRsForWavesPerEU: 4
; NumVGPRsForWavesPerEU: 1
; Occupancy: 10
; WaveLimiterHint : 0
; COMPUTE_PGM_RSRC2:SCRATCH_EN: 0
; COMPUTE_PGM_RSRC2:USER_SGPR: 6
; COMPUTE_PGM_RSRC2:TRAP_HANDLER: 0
; COMPUTE_PGM_RSRC2:TGID_X_EN: 1
; COMPUTE_PGM_RSRC2:TGID_Y_EN: 0
; COMPUTE_PGM_RSRC2:TGID_Z_EN: 0
; COMPUTE_PGM_RSRC2:TIDIG_COMP_CNT: 0
	.section	.text._ZN7rocprim17ROCPRIM_400000_NS6detail17trampoline_kernelINS0_14default_configENS1_35adjacent_difference_config_selectorILb0EdEEZNS1_24adjacent_difference_implIS3_Lb0ELb0EPdS7_N6thrust23THRUST_200600_302600_NS4plusIdEEEE10hipError_tPvRmT2_T3_mT4_P12ihipStream_tbEUlT_E_NS1_11comp_targetILNS1_3genE5ELNS1_11target_archE942ELNS1_3gpuE9ELNS1_3repE0EEENS1_30default_config_static_selectorELNS0_4arch9wavefront6targetE1EEEvT1_,"axG",@progbits,_ZN7rocprim17ROCPRIM_400000_NS6detail17trampoline_kernelINS0_14default_configENS1_35adjacent_difference_config_selectorILb0EdEEZNS1_24adjacent_difference_implIS3_Lb0ELb0EPdS7_N6thrust23THRUST_200600_302600_NS4plusIdEEEE10hipError_tPvRmT2_T3_mT4_P12ihipStream_tbEUlT_E_NS1_11comp_targetILNS1_3genE5ELNS1_11target_archE942ELNS1_3gpuE9ELNS1_3repE0EEENS1_30default_config_static_selectorELNS0_4arch9wavefront6targetE1EEEvT1_,comdat
	.protected	_ZN7rocprim17ROCPRIM_400000_NS6detail17trampoline_kernelINS0_14default_configENS1_35adjacent_difference_config_selectorILb0EdEEZNS1_24adjacent_difference_implIS3_Lb0ELb0EPdS7_N6thrust23THRUST_200600_302600_NS4plusIdEEEE10hipError_tPvRmT2_T3_mT4_P12ihipStream_tbEUlT_E_NS1_11comp_targetILNS1_3genE5ELNS1_11target_archE942ELNS1_3gpuE9ELNS1_3repE0EEENS1_30default_config_static_selectorELNS0_4arch9wavefront6targetE1EEEvT1_ ; -- Begin function _ZN7rocprim17ROCPRIM_400000_NS6detail17trampoline_kernelINS0_14default_configENS1_35adjacent_difference_config_selectorILb0EdEEZNS1_24adjacent_difference_implIS3_Lb0ELb0EPdS7_N6thrust23THRUST_200600_302600_NS4plusIdEEEE10hipError_tPvRmT2_T3_mT4_P12ihipStream_tbEUlT_E_NS1_11comp_targetILNS1_3genE5ELNS1_11target_archE942ELNS1_3gpuE9ELNS1_3repE0EEENS1_30default_config_static_selectorELNS0_4arch9wavefront6targetE1EEEvT1_
	.globl	_ZN7rocprim17ROCPRIM_400000_NS6detail17trampoline_kernelINS0_14default_configENS1_35adjacent_difference_config_selectorILb0EdEEZNS1_24adjacent_difference_implIS3_Lb0ELb0EPdS7_N6thrust23THRUST_200600_302600_NS4plusIdEEEE10hipError_tPvRmT2_T3_mT4_P12ihipStream_tbEUlT_E_NS1_11comp_targetILNS1_3genE5ELNS1_11target_archE942ELNS1_3gpuE9ELNS1_3repE0EEENS1_30default_config_static_selectorELNS0_4arch9wavefront6targetE1EEEvT1_
	.p2align	8
	.type	_ZN7rocprim17ROCPRIM_400000_NS6detail17trampoline_kernelINS0_14default_configENS1_35adjacent_difference_config_selectorILb0EdEEZNS1_24adjacent_difference_implIS3_Lb0ELb0EPdS7_N6thrust23THRUST_200600_302600_NS4plusIdEEEE10hipError_tPvRmT2_T3_mT4_P12ihipStream_tbEUlT_E_NS1_11comp_targetILNS1_3genE5ELNS1_11target_archE942ELNS1_3gpuE9ELNS1_3repE0EEENS1_30default_config_static_selectorELNS0_4arch9wavefront6targetE1EEEvT1_,@function
_ZN7rocprim17ROCPRIM_400000_NS6detail17trampoline_kernelINS0_14default_configENS1_35adjacent_difference_config_selectorILb0EdEEZNS1_24adjacent_difference_implIS3_Lb0ELb0EPdS7_N6thrust23THRUST_200600_302600_NS4plusIdEEEE10hipError_tPvRmT2_T3_mT4_P12ihipStream_tbEUlT_E_NS1_11comp_targetILNS1_3genE5ELNS1_11target_archE942ELNS1_3gpuE9ELNS1_3repE0EEENS1_30default_config_static_selectorELNS0_4arch9wavefront6targetE1EEEvT1_: ; @_ZN7rocprim17ROCPRIM_400000_NS6detail17trampoline_kernelINS0_14default_configENS1_35adjacent_difference_config_selectorILb0EdEEZNS1_24adjacent_difference_implIS3_Lb0ELb0EPdS7_N6thrust23THRUST_200600_302600_NS4plusIdEEEE10hipError_tPvRmT2_T3_mT4_P12ihipStream_tbEUlT_E_NS1_11comp_targetILNS1_3genE5ELNS1_11target_archE942ELNS1_3gpuE9ELNS1_3repE0EEENS1_30default_config_static_selectorELNS0_4arch9wavefront6targetE1EEEvT1_
; %bb.0:
	.section	.rodata,"a",@progbits
	.p2align	6, 0x0
	.amdhsa_kernel _ZN7rocprim17ROCPRIM_400000_NS6detail17trampoline_kernelINS0_14default_configENS1_35adjacent_difference_config_selectorILb0EdEEZNS1_24adjacent_difference_implIS3_Lb0ELb0EPdS7_N6thrust23THRUST_200600_302600_NS4plusIdEEEE10hipError_tPvRmT2_T3_mT4_P12ihipStream_tbEUlT_E_NS1_11comp_targetILNS1_3genE5ELNS1_11target_archE942ELNS1_3gpuE9ELNS1_3repE0EEENS1_30default_config_static_selectorELNS0_4arch9wavefront6targetE1EEEvT1_
		.amdhsa_group_segment_fixed_size 0
		.amdhsa_private_segment_fixed_size 0
		.amdhsa_kernarg_size 56
		.amdhsa_user_sgpr_count 6
		.amdhsa_user_sgpr_private_segment_buffer 1
		.amdhsa_user_sgpr_dispatch_ptr 0
		.amdhsa_user_sgpr_queue_ptr 0
		.amdhsa_user_sgpr_kernarg_segment_ptr 1
		.amdhsa_user_sgpr_dispatch_id 0
		.amdhsa_user_sgpr_flat_scratch_init 0
		.amdhsa_user_sgpr_private_segment_size 0
		.amdhsa_uses_dynamic_stack 0
		.amdhsa_system_sgpr_private_segment_wavefront_offset 0
		.amdhsa_system_sgpr_workgroup_id_x 1
		.amdhsa_system_sgpr_workgroup_id_y 0
		.amdhsa_system_sgpr_workgroup_id_z 0
		.amdhsa_system_sgpr_workgroup_info 0
		.amdhsa_system_vgpr_workitem_id 0
		.amdhsa_next_free_vgpr 1
		.amdhsa_next_free_sgpr 0
		.amdhsa_reserve_vcc 0
		.amdhsa_reserve_flat_scratch 0
		.amdhsa_float_round_mode_32 0
		.amdhsa_float_round_mode_16_64 0
		.amdhsa_float_denorm_mode_32 3
		.amdhsa_float_denorm_mode_16_64 3
		.amdhsa_dx10_clamp 1
		.amdhsa_ieee_mode 1
		.amdhsa_fp16_overflow 0
		.amdhsa_exception_fp_ieee_invalid_op 0
		.amdhsa_exception_fp_denorm_src 0
		.amdhsa_exception_fp_ieee_div_zero 0
		.amdhsa_exception_fp_ieee_overflow 0
		.amdhsa_exception_fp_ieee_underflow 0
		.amdhsa_exception_fp_ieee_inexact 0
		.amdhsa_exception_int_div_zero 0
	.end_amdhsa_kernel
	.section	.text._ZN7rocprim17ROCPRIM_400000_NS6detail17trampoline_kernelINS0_14default_configENS1_35adjacent_difference_config_selectorILb0EdEEZNS1_24adjacent_difference_implIS3_Lb0ELb0EPdS7_N6thrust23THRUST_200600_302600_NS4plusIdEEEE10hipError_tPvRmT2_T3_mT4_P12ihipStream_tbEUlT_E_NS1_11comp_targetILNS1_3genE5ELNS1_11target_archE942ELNS1_3gpuE9ELNS1_3repE0EEENS1_30default_config_static_selectorELNS0_4arch9wavefront6targetE1EEEvT1_,"axG",@progbits,_ZN7rocprim17ROCPRIM_400000_NS6detail17trampoline_kernelINS0_14default_configENS1_35adjacent_difference_config_selectorILb0EdEEZNS1_24adjacent_difference_implIS3_Lb0ELb0EPdS7_N6thrust23THRUST_200600_302600_NS4plusIdEEEE10hipError_tPvRmT2_T3_mT4_P12ihipStream_tbEUlT_E_NS1_11comp_targetILNS1_3genE5ELNS1_11target_archE942ELNS1_3gpuE9ELNS1_3repE0EEENS1_30default_config_static_selectorELNS0_4arch9wavefront6targetE1EEEvT1_,comdat
.Lfunc_end29:
	.size	_ZN7rocprim17ROCPRIM_400000_NS6detail17trampoline_kernelINS0_14default_configENS1_35adjacent_difference_config_selectorILb0EdEEZNS1_24adjacent_difference_implIS3_Lb0ELb0EPdS7_N6thrust23THRUST_200600_302600_NS4plusIdEEEE10hipError_tPvRmT2_T3_mT4_P12ihipStream_tbEUlT_E_NS1_11comp_targetILNS1_3genE5ELNS1_11target_archE942ELNS1_3gpuE9ELNS1_3repE0EEENS1_30default_config_static_selectorELNS0_4arch9wavefront6targetE1EEEvT1_, .Lfunc_end29-_ZN7rocprim17ROCPRIM_400000_NS6detail17trampoline_kernelINS0_14default_configENS1_35adjacent_difference_config_selectorILb0EdEEZNS1_24adjacent_difference_implIS3_Lb0ELb0EPdS7_N6thrust23THRUST_200600_302600_NS4plusIdEEEE10hipError_tPvRmT2_T3_mT4_P12ihipStream_tbEUlT_E_NS1_11comp_targetILNS1_3genE5ELNS1_11target_archE942ELNS1_3gpuE9ELNS1_3repE0EEENS1_30default_config_static_selectorELNS0_4arch9wavefront6targetE1EEEvT1_
                                        ; -- End function
	.set _ZN7rocprim17ROCPRIM_400000_NS6detail17trampoline_kernelINS0_14default_configENS1_35adjacent_difference_config_selectorILb0EdEEZNS1_24adjacent_difference_implIS3_Lb0ELb0EPdS7_N6thrust23THRUST_200600_302600_NS4plusIdEEEE10hipError_tPvRmT2_T3_mT4_P12ihipStream_tbEUlT_E_NS1_11comp_targetILNS1_3genE5ELNS1_11target_archE942ELNS1_3gpuE9ELNS1_3repE0EEENS1_30default_config_static_selectorELNS0_4arch9wavefront6targetE1EEEvT1_.num_vgpr, 0
	.set _ZN7rocprim17ROCPRIM_400000_NS6detail17trampoline_kernelINS0_14default_configENS1_35adjacent_difference_config_selectorILb0EdEEZNS1_24adjacent_difference_implIS3_Lb0ELb0EPdS7_N6thrust23THRUST_200600_302600_NS4plusIdEEEE10hipError_tPvRmT2_T3_mT4_P12ihipStream_tbEUlT_E_NS1_11comp_targetILNS1_3genE5ELNS1_11target_archE942ELNS1_3gpuE9ELNS1_3repE0EEENS1_30default_config_static_selectorELNS0_4arch9wavefront6targetE1EEEvT1_.num_agpr, 0
	.set _ZN7rocprim17ROCPRIM_400000_NS6detail17trampoline_kernelINS0_14default_configENS1_35adjacent_difference_config_selectorILb0EdEEZNS1_24adjacent_difference_implIS3_Lb0ELb0EPdS7_N6thrust23THRUST_200600_302600_NS4plusIdEEEE10hipError_tPvRmT2_T3_mT4_P12ihipStream_tbEUlT_E_NS1_11comp_targetILNS1_3genE5ELNS1_11target_archE942ELNS1_3gpuE9ELNS1_3repE0EEENS1_30default_config_static_selectorELNS0_4arch9wavefront6targetE1EEEvT1_.numbered_sgpr, 0
	.set _ZN7rocprim17ROCPRIM_400000_NS6detail17trampoline_kernelINS0_14default_configENS1_35adjacent_difference_config_selectorILb0EdEEZNS1_24adjacent_difference_implIS3_Lb0ELb0EPdS7_N6thrust23THRUST_200600_302600_NS4plusIdEEEE10hipError_tPvRmT2_T3_mT4_P12ihipStream_tbEUlT_E_NS1_11comp_targetILNS1_3genE5ELNS1_11target_archE942ELNS1_3gpuE9ELNS1_3repE0EEENS1_30default_config_static_selectorELNS0_4arch9wavefront6targetE1EEEvT1_.num_named_barrier, 0
	.set _ZN7rocprim17ROCPRIM_400000_NS6detail17trampoline_kernelINS0_14default_configENS1_35adjacent_difference_config_selectorILb0EdEEZNS1_24adjacent_difference_implIS3_Lb0ELb0EPdS7_N6thrust23THRUST_200600_302600_NS4plusIdEEEE10hipError_tPvRmT2_T3_mT4_P12ihipStream_tbEUlT_E_NS1_11comp_targetILNS1_3genE5ELNS1_11target_archE942ELNS1_3gpuE9ELNS1_3repE0EEENS1_30default_config_static_selectorELNS0_4arch9wavefront6targetE1EEEvT1_.private_seg_size, 0
	.set _ZN7rocprim17ROCPRIM_400000_NS6detail17trampoline_kernelINS0_14default_configENS1_35adjacent_difference_config_selectorILb0EdEEZNS1_24adjacent_difference_implIS3_Lb0ELb0EPdS7_N6thrust23THRUST_200600_302600_NS4plusIdEEEE10hipError_tPvRmT2_T3_mT4_P12ihipStream_tbEUlT_E_NS1_11comp_targetILNS1_3genE5ELNS1_11target_archE942ELNS1_3gpuE9ELNS1_3repE0EEENS1_30default_config_static_selectorELNS0_4arch9wavefront6targetE1EEEvT1_.uses_vcc, 0
	.set _ZN7rocprim17ROCPRIM_400000_NS6detail17trampoline_kernelINS0_14default_configENS1_35adjacent_difference_config_selectorILb0EdEEZNS1_24adjacent_difference_implIS3_Lb0ELb0EPdS7_N6thrust23THRUST_200600_302600_NS4plusIdEEEE10hipError_tPvRmT2_T3_mT4_P12ihipStream_tbEUlT_E_NS1_11comp_targetILNS1_3genE5ELNS1_11target_archE942ELNS1_3gpuE9ELNS1_3repE0EEENS1_30default_config_static_selectorELNS0_4arch9wavefront6targetE1EEEvT1_.uses_flat_scratch, 0
	.set _ZN7rocprim17ROCPRIM_400000_NS6detail17trampoline_kernelINS0_14default_configENS1_35adjacent_difference_config_selectorILb0EdEEZNS1_24adjacent_difference_implIS3_Lb0ELb0EPdS7_N6thrust23THRUST_200600_302600_NS4plusIdEEEE10hipError_tPvRmT2_T3_mT4_P12ihipStream_tbEUlT_E_NS1_11comp_targetILNS1_3genE5ELNS1_11target_archE942ELNS1_3gpuE9ELNS1_3repE0EEENS1_30default_config_static_selectorELNS0_4arch9wavefront6targetE1EEEvT1_.has_dyn_sized_stack, 0
	.set _ZN7rocprim17ROCPRIM_400000_NS6detail17trampoline_kernelINS0_14default_configENS1_35adjacent_difference_config_selectorILb0EdEEZNS1_24adjacent_difference_implIS3_Lb0ELb0EPdS7_N6thrust23THRUST_200600_302600_NS4plusIdEEEE10hipError_tPvRmT2_T3_mT4_P12ihipStream_tbEUlT_E_NS1_11comp_targetILNS1_3genE5ELNS1_11target_archE942ELNS1_3gpuE9ELNS1_3repE0EEENS1_30default_config_static_selectorELNS0_4arch9wavefront6targetE1EEEvT1_.has_recursion, 0
	.set _ZN7rocprim17ROCPRIM_400000_NS6detail17trampoline_kernelINS0_14default_configENS1_35adjacent_difference_config_selectorILb0EdEEZNS1_24adjacent_difference_implIS3_Lb0ELb0EPdS7_N6thrust23THRUST_200600_302600_NS4plusIdEEEE10hipError_tPvRmT2_T3_mT4_P12ihipStream_tbEUlT_E_NS1_11comp_targetILNS1_3genE5ELNS1_11target_archE942ELNS1_3gpuE9ELNS1_3repE0EEENS1_30default_config_static_selectorELNS0_4arch9wavefront6targetE1EEEvT1_.has_indirect_call, 0
	.section	.AMDGPU.csdata,"",@progbits
; Kernel info:
; codeLenInByte = 0
; TotalNumSgprs: 4
; NumVgprs: 0
; ScratchSize: 0
; MemoryBound: 0
; FloatMode: 240
; IeeeMode: 1
; LDSByteSize: 0 bytes/workgroup (compile time only)
; SGPRBlocks: 0
; VGPRBlocks: 0
; NumSGPRsForWavesPerEU: 4
; NumVGPRsForWavesPerEU: 1
; Occupancy: 10
; WaveLimiterHint : 0
; COMPUTE_PGM_RSRC2:SCRATCH_EN: 0
; COMPUTE_PGM_RSRC2:USER_SGPR: 6
; COMPUTE_PGM_RSRC2:TRAP_HANDLER: 0
; COMPUTE_PGM_RSRC2:TGID_X_EN: 1
; COMPUTE_PGM_RSRC2:TGID_Y_EN: 0
; COMPUTE_PGM_RSRC2:TGID_Z_EN: 0
; COMPUTE_PGM_RSRC2:TIDIG_COMP_CNT: 0
	.section	.text._ZN7rocprim17ROCPRIM_400000_NS6detail17trampoline_kernelINS0_14default_configENS1_35adjacent_difference_config_selectorILb0EdEEZNS1_24adjacent_difference_implIS3_Lb0ELb0EPdS7_N6thrust23THRUST_200600_302600_NS4plusIdEEEE10hipError_tPvRmT2_T3_mT4_P12ihipStream_tbEUlT_E_NS1_11comp_targetILNS1_3genE4ELNS1_11target_archE910ELNS1_3gpuE8ELNS1_3repE0EEENS1_30default_config_static_selectorELNS0_4arch9wavefront6targetE1EEEvT1_,"axG",@progbits,_ZN7rocprim17ROCPRIM_400000_NS6detail17trampoline_kernelINS0_14default_configENS1_35adjacent_difference_config_selectorILb0EdEEZNS1_24adjacent_difference_implIS3_Lb0ELb0EPdS7_N6thrust23THRUST_200600_302600_NS4plusIdEEEE10hipError_tPvRmT2_T3_mT4_P12ihipStream_tbEUlT_E_NS1_11comp_targetILNS1_3genE4ELNS1_11target_archE910ELNS1_3gpuE8ELNS1_3repE0EEENS1_30default_config_static_selectorELNS0_4arch9wavefront6targetE1EEEvT1_,comdat
	.protected	_ZN7rocprim17ROCPRIM_400000_NS6detail17trampoline_kernelINS0_14default_configENS1_35adjacent_difference_config_selectorILb0EdEEZNS1_24adjacent_difference_implIS3_Lb0ELb0EPdS7_N6thrust23THRUST_200600_302600_NS4plusIdEEEE10hipError_tPvRmT2_T3_mT4_P12ihipStream_tbEUlT_E_NS1_11comp_targetILNS1_3genE4ELNS1_11target_archE910ELNS1_3gpuE8ELNS1_3repE0EEENS1_30default_config_static_selectorELNS0_4arch9wavefront6targetE1EEEvT1_ ; -- Begin function _ZN7rocprim17ROCPRIM_400000_NS6detail17trampoline_kernelINS0_14default_configENS1_35adjacent_difference_config_selectorILb0EdEEZNS1_24adjacent_difference_implIS3_Lb0ELb0EPdS7_N6thrust23THRUST_200600_302600_NS4plusIdEEEE10hipError_tPvRmT2_T3_mT4_P12ihipStream_tbEUlT_E_NS1_11comp_targetILNS1_3genE4ELNS1_11target_archE910ELNS1_3gpuE8ELNS1_3repE0EEENS1_30default_config_static_selectorELNS0_4arch9wavefront6targetE1EEEvT1_
	.globl	_ZN7rocprim17ROCPRIM_400000_NS6detail17trampoline_kernelINS0_14default_configENS1_35adjacent_difference_config_selectorILb0EdEEZNS1_24adjacent_difference_implIS3_Lb0ELb0EPdS7_N6thrust23THRUST_200600_302600_NS4plusIdEEEE10hipError_tPvRmT2_T3_mT4_P12ihipStream_tbEUlT_E_NS1_11comp_targetILNS1_3genE4ELNS1_11target_archE910ELNS1_3gpuE8ELNS1_3repE0EEENS1_30default_config_static_selectorELNS0_4arch9wavefront6targetE1EEEvT1_
	.p2align	8
	.type	_ZN7rocprim17ROCPRIM_400000_NS6detail17trampoline_kernelINS0_14default_configENS1_35adjacent_difference_config_selectorILb0EdEEZNS1_24adjacent_difference_implIS3_Lb0ELb0EPdS7_N6thrust23THRUST_200600_302600_NS4plusIdEEEE10hipError_tPvRmT2_T3_mT4_P12ihipStream_tbEUlT_E_NS1_11comp_targetILNS1_3genE4ELNS1_11target_archE910ELNS1_3gpuE8ELNS1_3repE0EEENS1_30default_config_static_selectorELNS0_4arch9wavefront6targetE1EEEvT1_,@function
_ZN7rocprim17ROCPRIM_400000_NS6detail17trampoline_kernelINS0_14default_configENS1_35adjacent_difference_config_selectorILb0EdEEZNS1_24adjacent_difference_implIS3_Lb0ELb0EPdS7_N6thrust23THRUST_200600_302600_NS4plusIdEEEE10hipError_tPvRmT2_T3_mT4_P12ihipStream_tbEUlT_E_NS1_11comp_targetILNS1_3genE4ELNS1_11target_archE910ELNS1_3gpuE8ELNS1_3repE0EEENS1_30default_config_static_selectorELNS0_4arch9wavefront6targetE1EEEvT1_: ; @_ZN7rocprim17ROCPRIM_400000_NS6detail17trampoline_kernelINS0_14default_configENS1_35adjacent_difference_config_selectorILb0EdEEZNS1_24adjacent_difference_implIS3_Lb0ELb0EPdS7_N6thrust23THRUST_200600_302600_NS4plusIdEEEE10hipError_tPvRmT2_T3_mT4_P12ihipStream_tbEUlT_E_NS1_11comp_targetILNS1_3genE4ELNS1_11target_archE910ELNS1_3gpuE8ELNS1_3repE0EEENS1_30default_config_static_selectorELNS0_4arch9wavefront6targetE1EEEvT1_
; %bb.0:
	.section	.rodata,"a",@progbits
	.p2align	6, 0x0
	.amdhsa_kernel _ZN7rocprim17ROCPRIM_400000_NS6detail17trampoline_kernelINS0_14default_configENS1_35adjacent_difference_config_selectorILb0EdEEZNS1_24adjacent_difference_implIS3_Lb0ELb0EPdS7_N6thrust23THRUST_200600_302600_NS4plusIdEEEE10hipError_tPvRmT2_T3_mT4_P12ihipStream_tbEUlT_E_NS1_11comp_targetILNS1_3genE4ELNS1_11target_archE910ELNS1_3gpuE8ELNS1_3repE0EEENS1_30default_config_static_selectorELNS0_4arch9wavefront6targetE1EEEvT1_
		.amdhsa_group_segment_fixed_size 0
		.amdhsa_private_segment_fixed_size 0
		.amdhsa_kernarg_size 56
		.amdhsa_user_sgpr_count 6
		.amdhsa_user_sgpr_private_segment_buffer 1
		.amdhsa_user_sgpr_dispatch_ptr 0
		.amdhsa_user_sgpr_queue_ptr 0
		.amdhsa_user_sgpr_kernarg_segment_ptr 1
		.amdhsa_user_sgpr_dispatch_id 0
		.amdhsa_user_sgpr_flat_scratch_init 0
		.amdhsa_user_sgpr_private_segment_size 0
		.amdhsa_uses_dynamic_stack 0
		.amdhsa_system_sgpr_private_segment_wavefront_offset 0
		.amdhsa_system_sgpr_workgroup_id_x 1
		.amdhsa_system_sgpr_workgroup_id_y 0
		.amdhsa_system_sgpr_workgroup_id_z 0
		.amdhsa_system_sgpr_workgroup_info 0
		.amdhsa_system_vgpr_workitem_id 0
		.amdhsa_next_free_vgpr 1
		.amdhsa_next_free_sgpr 0
		.amdhsa_reserve_vcc 0
		.amdhsa_reserve_flat_scratch 0
		.amdhsa_float_round_mode_32 0
		.amdhsa_float_round_mode_16_64 0
		.amdhsa_float_denorm_mode_32 3
		.amdhsa_float_denorm_mode_16_64 3
		.amdhsa_dx10_clamp 1
		.amdhsa_ieee_mode 1
		.amdhsa_fp16_overflow 0
		.amdhsa_exception_fp_ieee_invalid_op 0
		.amdhsa_exception_fp_denorm_src 0
		.amdhsa_exception_fp_ieee_div_zero 0
		.amdhsa_exception_fp_ieee_overflow 0
		.amdhsa_exception_fp_ieee_underflow 0
		.amdhsa_exception_fp_ieee_inexact 0
		.amdhsa_exception_int_div_zero 0
	.end_amdhsa_kernel
	.section	.text._ZN7rocprim17ROCPRIM_400000_NS6detail17trampoline_kernelINS0_14default_configENS1_35adjacent_difference_config_selectorILb0EdEEZNS1_24adjacent_difference_implIS3_Lb0ELb0EPdS7_N6thrust23THRUST_200600_302600_NS4plusIdEEEE10hipError_tPvRmT2_T3_mT4_P12ihipStream_tbEUlT_E_NS1_11comp_targetILNS1_3genE4ELNS1_11target_archE910ELNS1_3gpuE8ELNS1_3repE0EEENS1_30default_config_static_selectorELNS0_4arch9wavefront6targetE1EEEvT1_,"axG",@progbits,_ZN7rocprim17ROCPRIM_400000_NS6detail17trampoline_kernelINS0_14default_configENS1_35adjacent_difference_config_selectorILb0EdEEZNS1_24adjacent_difference_implIS3_Lb0ELb0EPdS7_N6thrust23THRUST_200600_302600_NS4plusIdEEEE10hipError_tPvRmT2_T3_mT4_P12ihipStream_tbEUlT_E_NS1_11comp_targetILNS1_3genE4ELNS1_11target_archE910ELNS1_3gpuE8ELNS1_3repE0EEENS1_30default_config_static_selectorELNS0_4arch9wavefront6targetE1EEEvT1_,comdat
.Lfunc_end30:
	.size	_ZN7rocprim17ROCPRIM_400000_NS6detail17trampoline_kernelINS0_14default_configENS1_35adjacent_difference_config_selectorILb0EdEEZNS1_24adjacent_difference_implIS3_Lb0ELb0EPdS7_N6thrust23THRUST_200600_302600_NS4plusIdEEEE10hipError_tPvRmT2_T3_mT4_P12ihipStream_tbEUlT_E_NS1_11comp_targetILNS1_3genE4ELNS1_11target_archE910ELNS1_3gpuE8ELNS1_3repE0EEENS1_30default_config_static_selectorELNS0_4arch9wavefront6targetE1EEEvT1_, .Lfunc_end30-_ZN7rocprim17ROCPRIM_400000_NS6detail17trampoline_kernelINS0_14default_configENS1_35adjacent_difference_config_selectorILb0EdEEZNS1_24adjacent_difference_implIS3_Lb0ELb0EPdS7_N6thrust23THRUST_200600_302600_NS4plusIdEEEE10hipError_tPvRmT2_T3_mT4_P12ihipStream_tbEUlT_E_NS1_11comp_targetILNS1_3genE4ELNS1_11target_archE910ELNS1_3gpuE8ELNS1_3repE0EEENS1_30default_config_static_selectorELNS0_4arch9wavefront6targetE1EEEvT1_
                                        ; -- End function
	.set _ZN7rocprim17ROCPRIM_400000_NS6detail17trampoline_kernelINS0_14default_configENS1_35adjacent_difference_config_selectorILb0EdEEZNS1_24adjacent_difference_implIS3_Lb0ELb0EPdS7_N6thrust23THRUST_200600_302600_NS4plusIdEEEE10hipError_tPvRmT2_T3_mT4_P12ihipStream_tbEUlT_E_NS1_11comp_targetILNS1_3genE4ELNS1_11target_archE910ELNS1_3gpuE8ELNS1_3repE0EEENS1_30default_config_static_selectorELNS0_4arch9wavefront6targetE1EEEvT1_.num_vgpr, 0
	.set _ZN7rocprim17ROCPRIM_400000_NS6detail17trampoline_kernelINS0_14default_configENS1_35adjacent_difference_config_selectorILb0EdEEZNS1_24adjacent_difference_implIS3_Lb0ELb0EPdS7_N6thrust23THRUST_200600_302600_NS4plusIdEEEE10hipError_tPvRmT2_T3_mT4_P12ihipStream_tbEUlT_E_NS1_11comp_targetILNS1_3genE4ELNS1_11target_archE910ELNS1_3gpuE8ELNS1_3repE0EEENS1_30default_config_static_selectorELNS0_4arch9wavefront6targetE1EEEvT1_.num_agpr, 0
	.set _ZN7rocprim17ROCPRIM_400000_NS6detail17trampoline_kernelINS0_14default_configENS1_35adjacent_difference_config_selectorILb0EdEEZNS1_24adjacent_difference_implIS3_Lb0ELb0EPdS7_N6thrust23THRUST_200600_302600_NS4plusIdEEEE10hipError_tPvRmT2_T3_mT4_P12ihipStream_tbEUlT_E_NS1_11comp_targetILNS1_3genE4ELNS1_11target_archE910ELNS1_3gpuE8ELNS1_3repE0EEENS1_30default_config_static_selectorELNS0_4arch9wavefront6targetE1EEEvT1_.numbered_sgpr, 0
	.set _ZN7rocprim17ROCPRIM_400000_NS6detail17trampoline_kernelINS0_14default_configENS1_35adjacent_difference_config_selectorILb0EdEEZNS1_24adjacent_difference_implIS3_Lb0ELb0EPdS7_N6thrust23THRUST_200600_302600_NS4plusIdEEEE10hipError_tPvRmT2_T3_mT4_P12ihipStream_tbEUlT_E_NS1_11comp_targetILNS1_3genE4ELNS1_11target_archE910ELNS1_3gpuE8ELNS1_3repE0EEENS1_30default_config_static_selectorELNS0_4arch9wavefront6targetE1EEEvT1_.num_named_barrier, 0
	.set _ZN7rocprim17ROCPRIM_400000_NS6detail17trampoline_kernelINS0_14default_configENS1_35adjacent_difference_config_selectorILb0EdEEZNS1_24adjacent_difference_implIS3_Lb0ELb0EPdS7_N6thrust23THRUST_200600_302600_NS4plusIdEEEE10hipError_tPvRmT2_T3_mT4_P12ihipStream_tbEUlT_E_NS1_11comp_targetILNS1_3genE4ELNS1_11target_archE910ELNS1_3gpuE8ELNS1_3repE0EEENS1_30default_config_static_selectorELNS0_4arch9wavefront6targetE1EEEvT1_.private_seg_size, 0
	.set _ZN7rocprim17ROCPRIM_400000_NS6detail17trampoline_kernelINS0_14default_configENS1_35adjacent_difference_config_selectorILb0EdEEZNS1_24adjacent_difference_implIS3_Lb0ELb0EPdS7_N6thrust23THRUST_200600_302600_NS4plusIdEEEE10hipError_tPvRmT2_T3_mT4_P12ihipStream_tbEUlT_E_NS1_11comp_targetILNS1_3genE4ELNS1_11target_archE910ELNS1_3gpuE8ELNS1_3repE0EEENS1_30default_config_static_selectorELNS0_4arch9wavefront6targetE1EEEvT1_.uses_vcc, 0
	.set _ZN7rocprim17ROCPRIM_400000_NS6detail17trampoline_kernelINS0_14default_configENS1_35adjacent_difference_config_selectorILb0EdEEZNS1_24adjacent_difference_implIS3_Lb0ELb0EPdS7_N6thrust23THRUST_200600_302600_NS4plusIdEEEE10hipError_tPvRmT2_T3_mT4_P12ihipStream_tbEUlT_E_NS1_11comp_targetILNS1_3genE4ELNS1_11target_archE910ELNS1_3gpuE8ELNS1_3repE0EEENS1_30default_config_static_selectorELNS0_4arch9wavefront6targetE1EEEvT1_.uses_flat_scratch, 0
	.set _ZN7rocprim17ROCPRIM_400000_NS6detail17trampoline_kernelINS0_14default_configENS1_35adjacent_difference_config_selectorILb0EdEEZNS1_24adjacent_difference_implIS3_Lb0ELb0EPdS7_N6thrust23THRUST_200600_302600_NS4plusIdEEEE10hipError_tPvRmT2_T3_mT4_P12ihipStream_tbEUlT_E_NS1_11comp_targetILNS1_3genE4ELNS1_11target_archE910ELNS1_3gpuE8ELNS1_3repE0EEENS1_30default_config_static_selectorELNS0_4arch9wavefront6targetE1EEEvT1_.has_dyn_sized_stack, 0
	.set _ZN7rocprim17ROCPRIM_400000_NS6detail17trampoline_kernelINS0_14default_configENS1_35adjacent_difference_config_selectorILb0EdEEZNS1_24adjacent_difference_implIS3_Lb0ELb0EPdS7_N6thrust23THRUST_200600_302600_NS4plusIdEEEE10hipError_tPvRmT2_T3_mT4_P12ihipStream_tbEUlT_E_NS1_11comp_targetILNS1_3genE4ELNS1_11target_archE910ELNS1_3gpuE8ELNS1_3repE0EEENS1_30default_config_static_selectorELNS0_4arch9wavefront6targetE1EEEvT1_.has_recursion, 0
	.set _ZN7rocprim17ROCPRIM_400000_NS6detail17trampoline_kernelINS0_14default_configENS1_35adjacent_difference_config_selectorILb0EdEEZNS1_24adjacent_difference_implIS3_Lb0ELb0EPdS7_N6thrust23THRUST_200600_302600_NS4plusIdEEEE10hipError_tPvRmT2_T3_mT4_P12ihipStream_tbEUlT_E_NS1_11comp_targetILNS1_3genE4ELNS1_11target_archE910ELNS1_3gpuE8ELNS1_3repE0EEENS1_30default_config_static_selectorELNS0_4arch9wavefront6targetE1EEEvT1_.has_indirect_call, 0
	.section	.AMDGPU.csdata,"",@progbits
; Kernel info:
; codeLenInByte = 0
; TotalNumSgprs: 4
; NumVgprs: 0
; ScratchSize: 0
; MemoryBound: 0
; FloatMode: 240
; IeeeMode: 1
; LDSByteSize: 0 bytes/workgroup (compile time only)
; SGPRBlocks: 0
; VGPRBlocks: 0
; NumSGPRsForWavesPerEU: 4
; NumVGPRsForWavesPerEU: 1
; Occupancy: 10
; WaveLimiterHint : 0
; COMPUTE_PGM_RSRC2:SCRATCH_EN: 0
; COMPUTE_PGM_RSRC2:USER_SGPR: 6
; COMPUTE_PGM_RSRC2:TRAP_HANDLER: 0
; COMPUTE_PGM_RSRC2:TGID_X_EN: 1
; COMPUTE_PGM_RSRC2:TGID_Y_EN: 0
; COMPUTE_PGM_RSRC2:TGID_Z_EN: 0
; COMPUTE_PGM_RSRC2:TIDIG_COMP_CNT: 0
	.section	.text._ZN7rocprim17ROCPRIM_400000_NS6detail17trampoline_kernelINS0_14default_configENS1_35adjacent_difference_config_selectorILb0EdEEZNS1_24adjacent_difference_implIS3_Lb0ELb0EPdS7_N6thrust23THRUST_200600_302600_NS4plusIdEEEE10hipError_tPvRmT2_T3_mT4_P12ihipStream_tbEUlT_E_NS1_11comp_targetILNS1_3genE3ELNS1_11target_archE908ELNS1_3gpuE7ELNS1_3repE0EEENS1_30default_config_static_selectorELNS0_4arch9wavefront6targetE1EEEvT1_,"axG",@progbits,_ZN7rocprim17ROCPRIM_400000_NS6detail17trampoline_kernelINS0_14default_configENS1_35adjacent_difference_config_selectorILb0EdEEZNS1_24adjacent_difference_implIS3_Lb0ELb0EPdS7_N6thrust23THRUST_200600_302600_NS4plusIdEEEE10hipError_tPvRmT2_T3_mT4_P12ihipStream_tbEUlT_E_NS1_11comp_targetILNS1_3genE3ELNS1_11target_archE908ELNS1_3gpuE7ELNS1_3repE0EEENS1_30default_config_static_selectorELNS0_4arch9wavefront6targetE1EEEvT1_,comdat
	.protected	_ZN7rocprim17ROCPRIM_400000_NS6detail17trampoline_kernelINS0_14default_configENS1_35adjacent_difference_config_selectorILb0EdEEZNS1_24adjacent_difference_implIS3_Lb0ELb0EPdS7_N6thrust23THRUST_200600_302600_NS4plusIdEEEE10hipError_tPvRmT2_T3_mT4_P12ihipStream_tbEUlT_E_NS1_11comp_targetILNS1_3genE3ELNS1_11target_archE908ELNS1_3gpuE7ELNS1_3repE0EEENS1_30default_config_static_selectorELNS0_4arch9wavefront6targetE1EEEvT1_ ; -- Begin function _ZN7rocprim17ROCPRIM_400000_NS6detail17trampoline_kernelINS0_14default_configENS1_35adjacent_difference_config_selectorILb0EdEEZNS1_24adjacent_difference_implIS3_Lb0ELb0EPdS7_N6thrust23THRUST_200600_302600_NS4plusIdEEEE10hipError_tPvRmT2_T3_mT4_P12ihipStream_tbEUlT_E_NS1_11comp_targetILNS1_3genE3ELNS1_11target_archE908ELNS1_3gpuE7ELNS1_3repE0EEENS1_30default_config_static_selectorELNS0_4arch9wavefront6targetE1EEEvT1_
	.globl	_ZN7rocprim17ROCPRIM_400000_NS6detail17trampoline_kernelINS0_14default_configENS1_35adjacent_difference_config_selectorILb0EdEEZNS1_24adjacent_difference_implIS3_Lb0ELb0EPdS7_N6thrust23THRUST_200600_302600_NS4plusIdEEEE10hipError_tPvRmT2_T3_mT4_P12ihipStream_tbEUlT_E_NS1_11comp_targetILNS1_3genE3ELNS1_11target_archE908ELNS1_3gpuE7ELNS1_3repE0EEENS1_30default_config_static_selectorELNS0_4arch9wavefront6targetE1EEEvT1_
	.p2align	8
	.type	_ZN7rocprim17ROCPRIM_400000_NS6detail17trampoline_kernelINS0_14default_configENS1_35adjacent_difference_config_selectorILb0EdEEZNS1_24adjacent_difference_implIS3_Lb0ELb0EPdS7_N6thrust23THRUST_200600_302600_NS4plusIdEEEE10hipError_tPvRmT2_T3_mT4_P12ihipStream_tbEUlT_E_NS1_11comp_targetILNS1_3genE3ELNS1_11target_archE908ELNS1_3gpuE7ELNS1_3repE0EEENS1_30default_config_static_selectorELNS0_4arch9wavefront6targetE1EEEvT1_,@function
_ZN7rocprim17ROCPRIM_400000_NS6detail17trampoline_kernelINS0_14default_configENS1_35adjacent_difference_config_selectorILb0EdEEZNS1_24adjacent_difference_implIS3_Lb0ELb0EPdS7_N6thrust23THRUST_200600_302600_NS4plusIdEEEE10hipError_tPvRmT2_T3_mT4_P12ihipStream_tbEUlT_E_NS1_11comp_targetILNS1_3genE3ELNS1_11target_archE908ELNS1_3gpuE7ELNS1_3repE0EEENS1_30default_config_static_selectorELNS0_4arch9wavefront6targetE1EEEvT1_: ; @_ZN7rocprim17ROCPRIM_400000_NS6detail17trampoline_kernelINS0_14default_configENS1_35adjacent_difference_config_selectorILb0EdEEZNS1_24adjacent_difference_implIS3_Lb0ELb0EPdS7_N6thrust23THRUST_200600_302600_NS4plusIdEEEE10hipError_tPvRmT2_T3_mT4_P12ihipStream_tbEUlT_E_NS1_11comp_targetILNS1_3genE3ELNS1_11target_archE908ELNS1_3gpuE7ELNS1_3repE0EEENS1_30default_config_static_selectorELNS0_4arch9wavefront6targetE1EEEvT1_
; %bb.0:
	.section	.rodata,"a",@progbits
	.p2align	6, 0x0
	.amdhsa_kernel _ZN7rocprim17ROCPRIM_400000_NS6detail17trampoline_kernelINS0_14default_configENS1_35adjacent_difference_config_selectorILb0EdEEZNS1_24adjacent_difference_implIS3_Lb0ELb0EPdS7_N6thrust23THRUST_200600_302600_NS4plusIdEEEE10hipError_tPvRmT2_T3_mT4_P12ihipStream_tbEUlT_E_NS1_11comp_targetILNS1_3genE3ELNS1_11target_archE908ELNS1_3gpuE7ELNS1_3repE0EEENS1_30default_config_static_selectorELNS0_4arch9wavefront6targetE1EEEvT1_
		.amdhsa_group_segment_fixed_size 0
		.amdhsa_private_segment_fixed_size 0
		.amdhsa_kernarg_size 56
		.amdhsa_user_sgpr_count 6
		.amdhsa_user_sgpr_private_segment_buffer 1
		.amdhsa_user_sgpr_dispatch_ptr 0
		.amdhsa_user_sgpr_queue_ptr 0
		.amdhsa_user_sgpr_kernarg_segment_ptr 1
		.amdhsa_user_sgpr_dispatch_id 0
		.amdhsa_user_sgpr_flat_scratch_init 0
		.amdhsa_user_sgpr_private_segment_size 0
		.amdhsa_uses_dynamic_stack 0
		.amdhsa_system_sgpr_private_segment_wavefront_offset 0
		.amdhsa_system_sgpr_workgroup_id_x 1
		.amdhsa_system_sgpr_workgroup_id_y 0
		.amdhsa_system_sgpr_workgroup_id_z 0
		.amdhsa_system_sgpr_workgroup_info 0
		.amdhsa_system_vgpr_workitem_id 0
		.amdhsa_next_free_vgpr 1
		.amdhsa_next_free_sgpr 0
		.amdhsa_reserve_vcc 0
		.amdhsa_reserve_flat_scratch 0
		.amdhsa_float_round_mode_32 0
		.amdhsa_float_round_mode_16_64 0
		.amdhsa_float_denorm_mode_32 3
		.amdhsa_float_denorm_mode_16_64 3
		.amdhsa_dx10_clamp 1
		.amdhsa_ieee_mode 1
		.amdhsa_fp16_overflow 0
		.amdhsa_exception_fp_ieee_invalid_op 0
		.amdhsa_exception_fp_denorm_src 0
		.amdhsa_exception_fp_ieee_div_zero 0
		.amdhsa_exception_fp_ieee_overflow 0
		.amdhsa_exception_fp_ieee_underflow 0
		.amdhsa_exception_fp_ieee_inexact 0
		.amdhsa_exception_int_div_zero 0
	.end_amdhsa_kernel
	.section	.text._ZN7rocprim17ROCPRIM_400000_NS6detail17trampoline_kernelINS0_14default_configENS1_35adjacent_difference_config_selectorILb0EdEEZNS1_24adjacent_difference_implIS3_Lb0ELb0EPdS7_N6thrust23THRUST_200600_302600_NS4plusIdEEEE10hipError_tPvRmT2_T3_mT4_P12ihipStream_tbEUlT_E_NS1_11comp_targetILNS1_3genE3ELNS1_11target_archE908ELNS1_3gpuE7ELNS1_3repE0EEENS1_30default_config_static_selectorELNS0_4arch9wavefront6targetE1EEEvT1_,"axG",@progbits,_ZN7rocprim17ROCPRIM_400000_NS6detail17trampoline_kernelINS0_14default_configENS1_35adjacent_difference_config_selectorILb0EdEEZNS1_24adjacent_difference_implIS3_Lb0ELb0EPdS7_N6thrust23THRUST_200600_302600_NS4plusIdEEEE10hipError_tPvRmT2_T3_mT4_P12ihipStream_tbEUlT_E_NS1_11comp_targetILNS1_3genE3ELNS1_11target_archE908ELNS1_3gpuE7ELNS1_3repE0EEENS1_30default_config_static_selectorELNS0_4arch9wavefront6targetE1EEEvT1_,comdat
.Lfunc_end31:
	.size	_ZN7rocprim17ROCPRIM_400000_NS6detail17trampoline_kernelINS0_14default_configENS1_35adjacent_difference_config_selectorILb0EdEEZNS1_24adjacent_difference_implIS3_Lb0ELb0EPdS7_N6thrust23THRUST_200600_302600_NS4plusIdEEEE10hipError_tPvRmT2_T3_mT4_P12ihipStream_tbEUlT_E_NS1_11comp_targetILNS1_3genE3ELNS1_11target_archE908ELNS1_3gpuE7ELNS1_3repE0EEENS1_30default_config_static_selectorELNS0_4arch9wavefront6targetE1EEEvT1_, .Lfunc_end31-_ZN7rocprim17ROCPRIM_400000_NS6detail17trampoline_kernelINS0_14default_configENS1_35adjacent_difference_config_selectorILb0EdEEZNS1_24adjacent_difference_implIS3_Lb0ELb0EPdS7_N6thrust23THRUST_200600_302600_NS4plusIdEEEE10hipError_tPvRmT2_T3_mT4_P12ihipStream_tbEUlT_E_NS1_11comp_targetILNS1_3genE3ELNS1_11target_archE908ELNS1_3gpuE7ELNS1_3repE0EEENS1_30default_config_static_selectorELNS0_4arch9wavefront6targetE1EEEvT1_
                                        ; -- End function
	.set _ZN7rocprim17ROCPRIM_400000_NS6detail17trampoline_kernelINS0_14default_configENS1_35adjacent_difference_config_selectorILb0EdEEZNS1_24adjacent_difference_implIS3_Lb0ELb0EPdS7_N6thrust23THRUST_200600_302600_NS4plusIdEEEE10hipError_tPvRmT2_T3_mT4_P12ihipStream_tbEUlT_E_NS1_11comp_targetILNS1_3genE3ELNS1_11target_archE908ELNS1_3gpuE7ELNS1_3repE0EEENS1_30default_config_static_selectorELNS0_4arch9wavefront6targetE1EEEvT1_.num_vgpr, 0
	.set _ZN7rocprim17ROCPRIM_400000_NS6detail17trampoline_kernelINS0_14default_configENS1_35adjacent_difference_config_selectorILb0EdEEZNS1_24adjacent_difference_implIS3_Lb0ELb0EPdS7_N6thrust23THRUST_200600_302600_NS4plusIdEEEE10hipError_tPvRmT2_T3_mT4_P12ihipStream_tbEUlT_E_NS1_11comp_targetILNS1_3genE3ELNS1_11target_archE908ELNS1_3gpuE7ELNS1_3repE0EEENS1_30default_config_static_selectorELNS0_4arch9wavefront6targetE1EEEvT1_.num_agpr, 0
	.set _ZN7rocprim17ROCPRIM_400000_NS6detail17trampoline_kernelINS0_14default_configENS1_35adjacent_difference_config_selectorILb0EdEEZNS1_24adjacent_difference_implIS3_Lb0ELb0EPdS7_N6thrust23THRUST_200600_302600_NS4plusIdEEEE10hipError_tPvRmT2_T3_mT4_P12ihipStream_tbEUlT_E_NS1_11comp_targetILNS1_3genE3ELNS1_11target_archE908ELNS1_3gpuE7ELNS1_3repE0EEENS1_30default_config_static_selectorELNS0_4arch9wavefront6targetE1EEEvT1_.numbered_sgpr, 0
	.set _ZN7rocprim17ROCPRIM_400000_NS6detail17trampoline_kernelINS0_14default_configENS1_35adjacent_difference_config_selectorILb0EdEEZNS1_24adjacent_difference_implIS3_Lb0ELb0EPdS7_N6thrust23THRUST_200600_302600_NS4plusIdEEEE10hipError_tPvRmT2_T3_mT4_P12ihipStream_tbEUlT_E_NS1_11comp_targetILNS1_3genE3ELNS1_11target_archE908ELNS1_3gpuE7ELNS1_3repE0EEENS1_30default_config_static_selectorELNS0_4arch9wavefront6targetE1EEEvT1_.num_named_barrier, 0
	.set _ZN7rocprim17ROCPRIM_400000_NS6detail17trampoline_kernelINS0_14default_configENS1_35adjacent_difference_config_selectorILb0EdEEZNS1_24adjacent_difference_implIS3_Lb0ELb0EPdS7_N6thrust23THRUST_200600_302600_NS4plusIdEEEE10hipError_tPvRmT2_T3_mT4_P12ihipStream_tbEUlT_E_NS1_11comp_targetILNS1_3genE3ELNS1_11target_archE908ELNS1_3gpuE7ELNS1_3repE0EEENS1_30default_config_static_selectorELNS0_4arch9wavefront6targetE1EEEvT1_.private_seg_size, 0
	.set _ZN7rocprim17ROCPRIM_400000_NS6detail17trampoline_kernelINS0_14default_configENS1_35adjacent_difference_config_selectorILb0EdEEZNS1_24adjacent_difference_implIS3_Lb0ELb0EPdS7_N6thrust23THRUST_200600_302600_NS4plusIdEEEE10hipError_tPvRmT2_T3_mT4_P12ihipStream_tbEUlT_E_NS1_11comp_targetILNS1_3genE3ELNS1_11target_archE908ELNS1_3gpuE7ELNS1_3repE0EEENS1_30default_config_static_selectorELNS0_4arch9wavefront6targetE1EEEvT1_.uses_vcc, 0
	.set _ZN7rocprim17ROCPRIM_400000_NS6detail17trampoline_kernelINS0_14default_configENS1_35adjacent_difference_config_selectorILb0EdEEZNS1_24adjacent_difference_implIS3_Lb0ELb0EPdS7_N6thrust23THRUST_200600_302600_NS4plusIdEEEE10hipError_tPvRmT2_T3_mT4_P12ihipStream_tbEUlT_E_NS1_11comp_targetILNS1_3genE3ELNS1_11target_archE908ELNS1_3gpuE7ELNS1_3repE0EEENS1_30default_config_static_selectorELNS0_4arch9wavefront6targetE1EEEvT1_.uses_flat_scratch, 0
	.set _ZN7rocprim17ROCPRIM_400000_NS6detail17trampoline_kernelINS0_14default_configENS1_35adjacent_difference_config_selectorILb0EdEEZNS1_24adjacent_difference_implIS3_Lb0ELb0EPdS7_N6thrust23THRUST_200600_302600_NS4plusIdEEEE10hipError_tPvRmT2_T3_mT4_P12ihipStream_tbEUlT_E_NS1_11comp_targetILNS1_3genE3ELNS1_11target_archE908ELNS1_3gpuE7ELNS1_3repE0EEENS1_30default_config_static_selectorELNS0_4arch9wavefront6targetE1EEEvT1_.has_dyn_sized_stack, 0
	.set _ZN7rocprim17ROCPRIM_400000_NS6detail17trampoline_kernelINS0_14default_configENS1_35adjacent_difference_config_selectorILb0EdEEZNS1_24adjacent_difference_implIS3_Lb0ELb0EPdS7_N6thrust23THRUST_200600_302600_NS4plusIdEEEE10hipError_tPvRmT2_T3_mT4_P12ihipStream_tbEUlT_E_NS1_11comp_targetILNS1_3genE3ELNS1_11target_archE908ELNS1_3gpuE7ELNS1_3repE0EEENS1_30default_config_static_selectorELNS0_4arch9wavefront6targetE1EEEvT1_.has_recursion, 0
	.set _ZN7rocprim17ROCPRIM_400000_NS6detail17trampoline_kernelINS0_14default_configENS1_35adjacent_difference_config_selectorILb0EdEEZNS1_24adjacent_difference_implIS3_Lb0ELb0EPdS7_N6thrust23THRUST_200600_302600_NS4plusIdEEEE10hipError_tPvRmT2_T3_mT4_P12ihipStream_tbEUlT_E_NS1_11comp_targetILNS1_3genE3ELNS1_11target_archE908ELNS1_3gpuE7ELNS1_3repE0EEENS1_30default_config_static_selectorELNS0_4arch9wavefront6targetE1EEEvT1_.has_indirect_call, 0
	.section	.AMDGPU.csdata,"",@progbits
; Kernel info:
; codeLenInByte = 0
; TotalNumSgprs: 4
; NumVgprs: 0
; ScratchSize: 0
; MemoryBound: 0
; FloatMode: 240
; IeeeMode: 1
; LDSByteSize: 0 bytes/workgroup (compile time only)
; SGPRBlocks: 0
; VGPRBlocks: 0
; NumSGPRsForWavesPerEU: 4
; NumVGPRsForWavesPerEU: 1
; Occupancy: 10
; WaveLimiterHint : 0
; COMPUTE_PGM_RSRC2:SCRATCH_EN: 0
; COMPUTE_PGM_RSRC2:USER_SGPR: 6
; COMPUTE_PGM_RSRC2:TRAP_HANDLER: 0
; COMPUTE_PGM_RSRC2:TGID_X_EN: 1
; COMPUTE_PGM_RSRC2:TGID_Y_EN: 0
; COMPUTE_PGM_RSRC2:TGID_Z_EN: 0
; COMPUTE_PGM_RSRC2:TIDIG_COMP_CNT: 0
	.section	.text._ZN7rocprim17ROCPRIM_400000_NS6detail17trampoline_kernelINS0_14default_configENS1_35adjacent_difference_config_selectorILb0EdEEZNS1_24adjacent_difference_implIS3_Lb0ELb0EPdS7_N6thrust23THRUST_200600_302600_NS4plusIdEEEE10hipError_tPvRmT2_T3_mT4_P12ihipStream_tbEUlT_E_NS1_11comp_targetILNS1_3genE2ELNS1_11target_archE906ELNS1_3gpuE6ELNS1_3repE0EEENS1_30default_config_static_selectorELNS0_4arch9wavefront6targetE1EEEvT1_,"axG",@progbits,_ZN7rocprim17ROCPRIM_400000_NS6detail17trampoline_kernelINS0_14default_configENS1_35adjacent_difference_config_selectorILb0EdEEZNS1_24adjacent_difference_implIS3_Lb0ELb0EPdS7_N6thrust23THRUST_200600_302600_NS4plusIdEEEE10hipError_tPvRmT2_T3_mT4_P12ihipStream_tbEUlT_E_NS1_11comp_targetILNS1_3genE2ELNS1_11target_archE906ELNS1_3gpuE6ELNS1_3repE0EEENS1_30default_config_static_selectorELNS0_4arch9wavefront6targetE1EEEvT1_,comdat
	.protected	_ZN7rocprim17ROCPRIM_400000_NS6detail17trampoline_kernelINS0_14default_configENS1_35adjacent_difference_config_selectorILb0EdEEZNS1_24adjacent_difference_implIS3_Lb0ELb0EPdS7_N6thrust23THRUST_200600_302600_NS4plusIdEEEE10hipError_tPvRmT2_T3_mT4_P12ihipStream_tbEUlT_E_NS1_11comp_targetILNS1_3genE2ELNS1_11target_archE906ELNS1_3gpuE6ELNS1_3repE0EEENS1_30default_config_static_selectorELNS0_4arch9wavefront6targetE1EEEvT1_ ; -- Begin function _ZN7rocprim17ROCPRIM_400000_NS6detail17trampoline_kernelINS0_14default_configENS1_35adjacent_difference_config_selectorILb0EdEEZNS1_24adjacent_difference_implIS3_Lb0ELb0EPdS7_N6thrust23THRUST_200600_302600_NS4plusIdEEEE10hipError_tPvRmT2_T3_mT4_P12ihipStream_tbEUlT_E_NS1_11comp_targetILNS1_3genE2ELNS1_11target_archE906ELNS1_3gpuE6ELNS1_3repE0EEENS1_30default_config_static_selectorELNS0_4arch9wavefront6targetE1EEEvT1_
	.globl	_ZN7rocprim17ROCPRIM_400000_NS6detail17trampoline_kernelINS0_14default_configENS1_35adjacent_difference_config_selectorILb0EdEEZNS1_24adjacent_difference_implIS3_Lb0ELb0EPdS7_N6thrust23THRUST_200600_302600_NS4plusIdEEEE10hipError_tPvRmT2_T3_mT4_P12ihipStream_tbEUlT_E_NS1_11comp_targetILNS1_3genE2ELNS1_11target_archE906ELNS1_3gpuE6ELNS1_3repE0EEENS1_30default_config_static_selectorELNS0_4arch9wavefront6targetE1EEEvT1_
	.p2align	8
	.type	_ZN7rocprim17ROCPRIM_400000_NS6detail17trampoline_kernelINS0_14default_configENS1_35adjacent_difference_config_selectorILb0EdEEZNS1_24adjacent_difference_implIS3_Lb0ELb0EPdS7_N6thrust23THRUST_200600_302600_NS4plusIdEEEE10hipError_tPvRmT2_T3_mT4_P12ihipStream_tbEUlT_E_NS1_11comp_targetILNS1_3genE2ELNS1_11target_archE906ELNS1_3gpuE6ELNS1_3repE0EEENS1_30default_config_static_selectorELNS0_4arch9wavefront6targetE1EEEvT1_,@function
_ZN7rocprim17ROCPRIM_400000_NS6detail17trampoline_kernelINS0_14default_configENS1_35adjacent_difference_config_selectorILb0EdEEZNS1_24adjacent_difference_implIS3_Lb0ELb0EPdS7_N6thrust23THRUST_200600_302600_NS4plusIdEEEE10hipError_tPvRmT2_T3_mT4_P12ihipStream_tbEUlT_E_NS1_11comp_targetILNS1_3genE2ELNS1_11target_archE906ELNS1_3gpuE6ELNS1_3repE0EEENS1_30default_config_static_selectorELNS0_4arch9wavefront6targetE1EEEvT1_: ; @_ZN7rocprim17ROCPRIM_400000_NS6detail17trampoline_kernelINS0_14default_configENS1_35adjacent_difference_config_selectorILb0EdEEZNS1_24adjacent_difference_implIS3_Lb0ELb0EPdS7_N6thrust23THRUST_200600_302600_NS4plusIdEEEE10hipError_tPvRmT2_T3_mT4_P12ihipStream_tbEUlT_E_NS1_11comp_targetILNS1_3genE2ELNS1_11target_archE906ELNS1_3gpuE6ELNS1_3repE0EEENS1_30default_config_static_selectorELNS0_4arch9wavefront6targetE1EEEvT1_
; %bb.0:
	s_load_dwordx8 s[8:15], s[4:5], 0x0
	s_load_dwordx2 s[0:1], s[4:5], 0x30
	s_mov_b32 s5, 0
	s_mov_b64 s[16:17], -1
	s_waitcnt lgkmcnt(0)
	s_lshl_b64 s[10:11], s[10:11], 3
	s_add_u32 s20, s8, s10
	s_addc_u32 s21, s9, s11
	s_lshl_b32 s4, s6, 11
	s_lshr_b64 s[2:3], s[14:15], 11
	s_and_b32 s8, s14, 0x7ff
	s_mov_b32 s9, s5
	s_cmp_lg_u64 s[8:9], 0
	s_cselect_b64 s[8:9], -1, 0
	v_cndmask_b32_e64 v1, 0, 1, s[8:9]
	v_readfirstlane_b32 s7, v1
	s_add_u32 s2, s2, s7
	s_addc_u32 s3, s3, 0
	s_add_u32 s8, s0, s6
	s_addc_u32 s9, s1, 0
	s_add_u32 s6, s2, -1
	s_addc_u32 s7, s3, -1
	v_mov_b32_e32 v1, s6
	v_mov_b32_e32 v2, s7
	v_cmp_ge_u64_e64 s[0:1], s[8:9], v[1:2]
	s_and_b64 vcc, exec, s[0:1]
	s_cbranch_vccz .LBB32_6
; %bb.1:
	s_lshl_b32 s15, s6, 11
	s_sub_i32 s15, s14, s15
	s_lshl_b64 s[16:17], s[4:5], 3
	s_add_u32 s16, s20, s16
	v_mov_b32_e32 v1, 0
	s_addc_u32 s17, s21, s17
	v_cmp_gt_u32_e32 vcc, s15, v0
	v_mov_b32_e32 v2, v1
	v_mov_b32_e32 v3, v1
	;; [unrolled: 1-line block ×3, first 2 shown]
	s_and_saveexec_b64 s[18:19], vcc
	s_cbranch_execz .LBB32_3
; %bb.2:
	v_lshlrev_b32_e32 v2, 3, v0
	global_load_dwordx2 v[2:3], v2, s[16:17]
	v_mov_b32_e32 v4, v1
	v_mov_b32_e32 v5, v1
	s_waitcnt vmcnt(0)
	v_mov_b32_e32 v1, v2
	v_mov_b32_e32 v2, v3
	;; [unrolled: 1-line block ×4, first 2 shown]
.LBB32_3:
	s_or_b64 exec, exec, s[18:19]
	v_or_b32_e32 v5, 0x400, v0
	v_cmp_gt_u32_e32 vcc, s15, v5
	s_and_saveexec_b64 s[18:19], vcc
	s_cbranch_execz .LBB32_5
; %bb.4:
	v_lshlrev_b32_e32 v3, 3, v5
	global_load_dwordx2 v[3:4], v3, s[16:17]
.LBB32_5:
	s_or_b64 exec, exec, s[18:19]
	v_lshrrev_b32_e32 v6, 2, v0
	v_and_b32_e32 v6, 0xf8, v6
	v_lshlrev_b32_e32 v7, 3, v0
	v_add_u32_e32 v6, v6, v7
	ds_write_b64 v6, v[1:2]
	v_lshrrev_b32_e32 v1, 2, v5
	v_and_b32_e32 v1, 0x1f8, v1
	v_add_u32_e32 v1, v1, v7
	s_mov_b64 s[16:17], 0
	s_waitcnt vmcnt(0)
	ds_write_b64 v1, v[3:4] offset:8192
	s_waitcnt lgkmcnt(0)
	s_barrier
.LBB32_6:
	s_and_b64 vcc, exec, s[16:17]
	v_lshlrev_b32_e32 v9, 3, v0
	v_lshrrev_b32_e32 v10, 2, v0
	s_cbranch_vccz .LBB32_8
; %bb.7:
	s_lshl_b64 s[16:17], s[4:5], 3
	s_add_u32 s16, s20, s16
	s_addc_u32 s17, s21, s17
	v_mov_b32_e32 v1, s17
	v_add_co_u32_e32 v2, vcc, s16, v9
	v_addc_co_u32_e32 v3, vcc, 0, v1, vcc
	v_add_co_u32_e32 v1, vcc, 0x2000, v2
	v_addc_co_u32_e32 v2, vcc, 0, v3, vcc
	global_load_dwordx2 v[3:4], v9, s[16:17]
	global_load_dwordx2 v[5:6], v[1:2], off
	v_or_b32_e32 v2, 0x400, v0
	v_and_b32_e32 v1, 0xf8, v10
	v_lshrrev_b32_e32 v2, 2, v2
	v_add_u32_e32 v1, v1, v9
	v_and_b32_e32 v2, 0x1f8, v2
	v_add_u32_e32 v2, v2, v9
	s_waitcnt vmcnt(1)
	ds_write_b64 v1, v[3:4]
	s_waitcnt vmcnt(0)
	ds_write_b64 v2, v[5:6] offset:8192
	s_waitcnt lgkmcnt(0)
	s_barrier
.LBB32_8:
	v_lshrrev_b32_e32 v11, 1, v0
	v_and_b32_e32 v1, 0x1f8, v11
	v_lshl_add_u32 v1, v0, 4, v1
	ds_read2_b64 v[1:4], v1 offset1:1
	s_cmp_eq_u64 s[8:9], 0
	s_waitcnt lgkmcnt(0)
	s_barrier
	s_cbranch_scc1 .LBB32_13
; %bb.9:
	s_lshl_b64 s[16:17], s[4:5], 3
	s_add_u32 s5, s20, s16
	s_addc_u32 s15, s21, s17
	s_add_u32 s16, s5, -8
	s_addc_u32 s17, s15, -1
	s_load_dwordx2 s[16:17], s[16:17], 0x0
	s_cmp_eq_u64 s[8:9], s[6:7]
	s_cbranch_scc1 .LBB32_14
; %bb.10:
	s_waitcnt lgkmcnt(0)
	v_mov_b32_e32 v7, s16
	v_cmp_ne_u32_e32 vcc, 0, v0
	v_mov_b32_e32 v8, s17
	ds_write_b64 v9, v[3:4]
	s_waitcnt lgkmcnt(0)
	s_barrier
	s_and_saveexec_b64 s[18:19], vcc
; %bb.11:
	v_add_u32_e32 v5, -8, v9
	ds_read_b64 v[7:8], v5
; %bb.12:
	s_or_b64 exec, exec, s[18:19]
	v_add_f64 v[5:6], v[1:2], v[3:4]
	s_waitcnt lgkmcnt(0)
	v_add_f64 v[7:8], v[1:2], v[7:8]
	s_branch .LBB32_18
.LBB32_13:
                                        ; implicit-def: $vgpr5_vgpr6
                                        ; implicit-def: $vgpr7_vgpr8
	s_branch .LBB32_19
.LBB32_14:
                                        ; implicit-def: $vgpr5_vgpr6
                                        ; implicit-def: $vgpr7_vgpr8
	s_cbranch_execz .LBB32_18
; %bb.15:
	v_add_f64 v[5:6], v[1:2], v[3:4]
	s_lshl_b32 s5, s8, 11
	v_lshlrev_b32_e32 v12, 1, v0
	s_sub_i32 s5, s14, s5
	v_or_b32_e32 v7, 1, v12
	v_cmp_gt_u32_e32 vcc, s5, v7
	s_waitcnt lgkmcnt(0)
	v_mov_b32_e32 v7, s16
	v_mov_b32_e32 v8, s17
	v_cndmask_b32_e32 v6, v4, v6, vcc
	v_cndmask_b32_e32 v5, v3, v5, vcc
	v_cmp_ne_u32_e32 vcc, 0, v0
	ds_write_b64 v9, v[3:4]
	s_waitcnt lgkmcnt(0)
	s_barrier
	s_and_saveexec_b64 s[8:9], vcc
; %bb.16:
	v_add_u32_e32 v7, -8, v9
	ds_read_b64 v[7:8], v7
; %bb.17:
	s_or_b64 exec, exec, s[8:9]
	s_waitcnt lgkmcnt(0)
	v_add_f64 v[7:8], v[1:2], v[7:8]
	v_cmp_gt_u32_e32 vcc, s5, v12
	v_cndmask_b32_e32 v8, v2, v8, vcc
	v_cndmask_b32_e32 v7, v1, v7, vcc
.LBB32_18:
	s_cbranch_execnz .LBB32_27
.LBB32_19:
	v_add_f64 v[5:6], v[1:2], v[3:4]
	s_cmp_eq_u64 s[2:3], 1
	v_cmp_ne_u32_e32 vcc, 0, v0
	s_cbranch_scc1 .LBB32_23
; %bb.20:
	v_mov_b32_e32 v8, v2
	v_mov_b32_e32 v7, v1
	ds_write_b64 v9, v[3:4]
	s_waitcnt lgkmcnt(0)
	s_barrier
	s_and_saveexec_b64 s[2:3], vcc
	s_cbranch_execz .LBB32_22
; %bb.21:
	v_add_u32_e32 v7, -8, v9
	ds_read_b64 v[7:8], v7
	s_waitcnt lgkmcnt(0)
	v_add_f64 v[7:8], v[1:2], v[7:8]
.LBB32_22:
	s_or_b64 exec, exec, s[2:3]
	s_cbranch_execz .LBB32_24
	s_branch .LBB32_27
.LBB32_23:
                                        ; implicit-def: $vgpr7_vgpr8
.LBB32_24:
	v_lshlrev_b32_e32 v7, 1, v0
	v_or_b32_e32 v8, 1, v7
	v_cmp_gt_u32_e32 vcc, s14, v8
	v_cndmask_b32_e32 v6, v4, v6, vcc
	v_cndmask_b32_e32 v5, v3, v5, vcc
	v_cmp_ne_u32_e32 vcc, 0, v0
	v_cmp_gt_u32_e64 s[2:3], s14, v7
	s_and_b64 s[8:9], vcc, s[2:3]
	ds_write_b64 v9, v[3:4]
	s_waitcnt lgkmcnt(0)
	s_barrier
	s_and_saveexec_b64 s[2:3], s[8:9]
	s_cbranch_execz .LBB32_26
; %bb.25:
	v_add_u32_e32 v3, -8, v9
	ds_read_b64 v[3:4], v3
	s_waitcnt lgkmcnt(0)
	v_add_f64 v[1:2], v[1:2], v[3:4]
.LBB32_26:
	s_or_b64 exec, exec, s[2:3]
	v_mov_b32_e32 v8, v2
	v_mov_b32_e32 v7, v1
.LBB32_27:
	s_add_u32 s7, s12, s10
	s_addc_u32 s8, s13, s11
	s_and_b64 vcc, exec, s[0:1]
	s_waitcnt lgkmcnt(0)
	s_barrier
	s_cbranch_vccz .LBB32_31
; %bb.28:
	v_and_b32_e32 v1, 0x1f8, v11
	v_lshl_add_u32 v1, v0, 4, v1
	v_or_b32_e32 v12, 0x400, v0
	ds_write2_b64 v1, v[7:8], v[5:6] offset1:1
	v_lshrrev_b32_e32 v1, 2, v12
	s_lshl_b32 s0, s6, 11
	s_mov_b32 s5, 0
	v_and_b32_e32 v1, 0x1f8, v1
	s_sub_i32 s2, s14, s0
	s_lshl_b64 s[0:1], s[4:5], 3
	v_add_u32_e32 v1, v1, v9
	s_add_u32 s0, s7, s0
	s_waitcnt lgkmcnt(0)
	s_barrier
	ds_read_b64 v[1:2], v1 offset:8192
	s_addc_u32 s1, s8, s1
	v_mov_b32_e32 v4, s1
	v_add_co_u32_e32 v3, vcc, s0, v9
	v_addc_co_u32_e32 v4, vcc, 0, v4, vcc
	v_cmp_gt_u32_e32 vcc, s2, v0
	s_and_saveexec_b64 s[0:1], vcc
	s_cbranch_execz .LBB32_30
; %bb.29:
	v_and_b32_e32 v13, 0xf8, v10
	v_lshl_add_u32 v13, v0, 3, v13
	ds_read_b64 v[13:14], v13
	s_waitcnt lgkmcnt(0)
	global_store_dwordx2 v[3:4], v[13:14], off
.LBB32_30:
	s_or_b64 exec, exec, s[0:1]
	v_cmp_gt_u32_e64 s[0:1], s2, v12
	s_branch .LBB32_33
.LBB32_31:
	s_mov_b64 s[0:1], 0
                                        ; implicit-def: $vgpr1_vgpr2
                                        ; implicit-def: $vgpr3_vgpr4
	s_cbranch_execz .LBB32_33
; %bb.32:
	s_waitcnt lgkmcnt(0)
	v_and_b32_e32 v1, 0x1f8, v11
	v_lshl_add_u32 v1, v0, 4, v1
	v_or_b32_e32 v0, 0x400, v0
	s_mov_b32 s5, 0
	ds_write2_b64 v1, v[7:8], v[5:6] offset1:1
	v_and_b32_e32 v1, 0xf8, v10
	v_lshrrev_b32_e32 v0, 2, v0
	s_lshl_b64 s[2:3], s[4:5], 3
	v_add_u32_e32 v1, v1, v9
	v_and_b32_e32 v0, 0x1f8, v0
	s_add_u32 s2, s7, s2
	s_waitcnt vmcnt(0) lgkmcnt(0)
	s_barrier
	v_add_u32_e32 v0, v0, v9
	ds_read_b64 v[5:6], v1
	ds_read_b64 v[1:2], v0 offset:8192
	s_addc_u32 s3, s8, s3
	v_mov_b32_e32 v0, s3
	v_add_co_u32_e32 v3, vcc, s2, v9
	v_addc_co_u32_e32 v4, vcc, 0, v0, vcc
	s_or_b64 s[0:1], s[0:1], exec
	s_waitcnt lgkmcnt(1)
	global_store_dwordx2 v9, v[5:6], s[2:3]
.LBB32_33:
	s_and_saveexec_b64 s[2:3], s[0:1]
	s_cbranch_execnz .LBB32_35
; %bb.34:
	s_endpgm
.LBB32_35:
	v_add_co_u32_e32 v3, vcc, 0x2000, v3
	v_addc_co_u32_e32 v4, vcc, 0, v4, vcc
	s_waitcnt lgkmcnt(0)
	global_store_dwordx2 v[3:4], v[1:2], off
	s_endpgm
	.section	.rodata,"a",@progbits
	.p2align	6, 0x0
	.amdhsa_kernel _ZN7rocprim17ROCPRIM_400000_NS6detail17trampoline_kernelINS0_14default_configENS1_35adjacent_difference_config_selectorILb0EdEEZNS1_24adjacent_difference_implIS3_Lb0ELb0EPdS7_N6thrust23THRUST_200600_302600_NS4plusIdEEEE10hipError_tPvRmT2_T3_mT4_P12ihipStream_tbEUlT_E_NS1_11comp_targetILNS1_3genE2ELNS1_11target_archE906ELNS1_3gpuE6ELNS1_3repE0EEENS1_30default_config_static_selectorELNS0_4arch9wavefront6targetE1EEEvT1_
		.amdhsa_group_segment_fixed_size 16896
		.amdhsa_private_segment_fixed_size 0
		.amdhsa_kernarg_size 56
		.amdhsa_user_sgpr_count 6
		.amdhsa_user_sgpr_private_segment_buffer 1
		.amdhsa_user_sgpr_dispatch_ptr 0
		.amdhsa_user_sgpr_queue_ptr 0
		.amdhsa_user_sgpr_kernarg_segment_ptr 1
		.amdhsa_user_sgpr_dispatch_id 0
		.amdhsa_user_sgpr_flat_scratch_init 0
		.amdhsa_user_sgpr_private_segment_size 0
		.amdhsa_uses_dynamic_stack 0
		.amdhsa_system_sgpr_private_segment_wavefront_offset 0
		.amdhsa_system_sgpr_workgroup_id_x 1
		.amdhsa_system_sgpr_workgroup_id_y 0
		.amdhsa_system_sgpr_workgroup_id_z 0
		.amdhsa_system_sgpr_workgroup_info 0
		.amdhsa_system_vgpr_workitem_id 0
		.amdhsa_next_free_vgpr 29
		.amdhsa_next_free_sgpr 61
		.amdhsa_reserve_vcc 1
		.amdhsa_reserve_flat_scratch 0
		.amdhsa_float_round_mode_32 0
		.amdhsa_float_round_mode_16_64 0
		.amdhsa_float_denorm_mode_32 3
		.amdhsa_float_denorm_mode_16_64 3
		.amdhsa_dx10_clamp 1
		.amdhsa_ieee_mode 1
		.amdhsa_fp16_overflow 0
		.amdhsa_exception_fp_ieee_invalid_op 0
		.amdhsa_exception_fp_denorm_src 0
		.amdhsa_exception_fp_ieee_div_zero 0
		.amdhsa_exception_fp_ieee_overflow 0
		.amdhsa_exception_fp_ieee_underflow 0
		.amdhsa_exception_fp_ieee_inexact 0
		.amdhsa_exception_int_div_zero 0
	.end_amdhsa_kernel
	.section	.text._ZN7rocprim17ROCPRIM_400000_NS6detail17trampoline_kernelINS0_14default_configENS1_35adjacent_difference_config_selectorILb0EdEEZNS1_24adjacent_difference_implIS3_Lb0ELb0EPdS7_N6thrust23THRUST_200600_302600_NS4plusIdEEEE10hipError_tPvRmT2_T3_mT4_P12ihipStream_tbEUlT_E_NS1_11comp_targetILNS1_3genE2ELNS1_11target_archE906ELNS1_3gpuE6ELNS1_3repE0EEENS1_30default_config_static_selectorELNS0_4arch9wavefront6targetE1EEEvT1_,"axG",@progbits,_ZN7rocprim17ROCPRIM_400000_NS6detail17trampoline_kernelINS0_14default_configENS1_35adjacent_difference_config_selectorILb0EdEEZNS1_24adjacent_difference_implIS3_Lb0ELb0EPdS7_N6thrust23THRUST_200600_302600_NS4plusIdEEEE10hipError_tPvRmT2_T3_mT4_P12ihipStream_tbEUlT_E_NS1_11comp_targetILNS1_3genE2ELNS1_11target_archE906ELNS1_3gpuE6ELNS1_3repE0EEENS1_30default_config_static_selectorELNS0_4arch9wavefront6targetE1EEEvT1_,comdat
.Lfunc_end32:
	.size	_ZN7rocprim17ROCPRIM_400000_NS6detail17trampoline_kernelINS0_14default_configENS1_35adjacent_difference_config_selectorILb0EdEEZNS1_24adjacent_difference_implIS3_Lb0ELb0EPdS7_N6thrust23THRUST_200600_302600_NS4plusIdEEEE10hipError_tPvRmT2_T3_mT4_P12ihipStream_tbEUlT_E_NS1_11comp_targetILNS1_3genE2ELNS1_11target_archE906ELNS1_3gpuE6ELNS1_3repE0EEENS1_30default_config_static_selectorELNS0_4arch9wavefront6targetE1EEEvT1_, .Lfunc_end32-_ZN7rocprim17ROCPRIM_400000_NS6detail17trampoline_kernelINS0_14default_configENS1_35adjacent_difference_config_selectorILb0EdEEZNS1_24adjacent_difference_implIS3_Lb0ELb0EPdS7_N6thrust23THRUST_200600_302600_NS4plusIdEEEE10hipError_tPvRmT2_T3_mT4_P12ihipStream_tbEUlT_E_NS1_11comp_targetILNS1_3genE2ELNS1_11target_archE906ELNS1_3gpuE6ELNS1_3repE0EEENS1_30default_config_static_selectorELNS0_4arch9wavefront6targetE1EEEvT1_
                                        ; -- End function
	.set _ZN7rocprim17ROCPRIM_400000_NS6detail17trampoline_kernelINS0_14default_configENS1_35adjacent_difference_config_selectorILb0EdEEZNS1_24adjacent_difference_implIS3_Lb0ELb0EPdS7_N6thrust23THRUST_200600_302600_NS4plusIdEEEE10hipError_tPvRmT2_T3_mT4_P12ihipStream_tbEUlT_E_NS1_11comp_targetILNS1_3genE2ELNS1_11target_archE906ELNS1_3gpuE6ELNS1_3repE0EEENS1_30default_config_static_selectorELNS0_4arch9wavefront6targetE1EEEvT1_.num_vgpr, 15
	.set _ZN7rocprim17ROCPRIM_400000_NS6detail17trampoline_kernelINS0_14default_configENS1_35adjacent_difference_config_selectorILb0EdEEZNS1_24adjacent_difference_implIS3_Lb0ELb0EPdS7_N6thrust23THRUST_200600_302600_NS4plusIdEEEE10hipError_tPvRmT2_T3_mT4_P12ihipStream_tbEUlT_E_NS1_11comp_targetILNS1_3genE2ELNS1_11target_archE906ELNS1_3gpuE6ELNS1_3repE0EEENS1_30default_config_static_selectorELNS0_4arch9wavefront6targetE1EEEvT1_.num_agpr, 0
	.set _ZN7rocprim17ROCPRIM_400000_NS6detail17trampoline_kernelINS0_14default_configENS1_35adjacent_difference_config_selectorILb0EdEEZNS1_24adjacent_difference_implIS3_Lb0ELb0EPdS7_N6thrust23THRUST_200600_302600_NS4plusIdEEEE10hipError_tPvRmT2_T3_mT4_P12ihipStream_tbEUlT_E_NS1_11comp_targetILNS1_3genE2ELNS1_11target_archE906ELNS1_3gpuE6ELNS1_3repE0EEENS1_30default_config_static_selectorELNS0_4arch9wavefront6targetE1EEEvT1_.numbered_sgpr, 22
	.set _ZN7rocprim17ROCPRIM_400000_NS6detail17trampoline_kernelINS0_14default_configENS1_35adjacent_difference_config_selectorILb0EdEEZNS1_24adjacent_difference_implIS3_Lb0ELb0EPdS7_N6thrust23THRUST_200600_302600_NS4plusIdEEEE10hipError_tPvRmT2_T3_mT4_P12ihipStream_tbEUlT_E_NS1_11comp_targetILNS1_3genE2ELNS1_11target_archE906ELNS1_3gpuE6ELNS1_3repE0EEENS1_30default_config_static_selectorELNS0_4arch9wavefront6targetE1EEEvT1_.num_named_barrier, 0
	.set _ZN7rocprim17ROCPRIM_400000_NS6detail17trampoline_kernelINS0_14default_configENS1_35adjacent_difference_config_selectorILb0EdEEZNS1_24adjacent_difference_implIS3_Lb0ELb0EPdS7_N6thrust23THRUST_200600_302600_NS4plusIdEEEE10hipError_tPvRmT2_T3_mT4_P12ihipStream_tbEUlT_E_NS1_11comp_targetILNS1_3genE2ELNS1_11target_archE906ELNS1_3gpuE6ELNS1_3repE0EEENS1_30default_config_static_selectorELNS0_4arch9wavefront6targetE1EEEvT1_.private_seg_size, 0
	.set _ZN7rocprim17ROCPRIM_400000_NS6detail17trampoline_kernelINS0_14default_configENS1_35adjacent_difference_config_selectorILb0EdEEZNS1_24adjacent_difference_implIS3_Lb0ELb0EPdS7_N6thrust23THRUST_200600_302600_NS4plusIdEEEE10hipError_tPvRmT2_T3_mT4_P12ihipStream_tbEUlT_E_NS1_11comp_targetILNS1_3genE2ELNS1_11target_archE906ELNS1_3gpuE6ELNS1_3repE0EEENS1_30default_config_static_selectorELNS0_4arch9wavefront6targetE1EEEvT1_.uses_vcc, 1
	.set _ZN7rocprim17ROCPRIM_400000_NS6detail17trampoline_kernelINS0_14default_configENS1_35adjacent_difference_config_selectorILb0EdEEZNS1_24adjacent_difference_implIS3_Lb0ELb0EPdS7_N6thrust23THRUST_200600_302600_NS4plusIdEEEE10hipError_tPvRmT2_T3_mT4_P12ihipStream_tbEUlT_E_NS1_11comp_targetILNS1_3genE2ELNS1_11target_archE906ELNS1_3gpuE6ELNS1_3repE0EEENS1_30default_config_static_selectorELNS0_4arch9wavefront6targetE1EEEvT1_.uses_flat_scratch, 0
	.set _ZN7rocprim17ROCPRIM_400000_NS6detail17trampoline_kernelINS0_14default_configENS1_35adjacent_difference_config_selectorILb0EdEEZNS1_24adjacent_difference_implIS3_Lb0ELb0EPdS7_N6thrust23THRUST_200600_302600_NS4plusIdEEEE10hipError_tPvRmT2_T3_mT4_P12ihipStream_tbEUlT_E_NS1_11comp_targetILNS1_3genE2ELNS1_11target_archE906ELNS1_3gpuE6ELNS1_3repE0EEENS1_30default_config_static_selectorELNS0_4arch9wavefront6targetE1EEEvT1_.has_dyn_sized_stack, 0
	.set _ZN7rocprim17ROCPRIM_400000_NS6detail17trampoline_kernelINS0_14default_configENS1_35adjacent_difference_config_selectorILb0EdEEZNS1_24adjacent_difference_implIS3_Lb0ELb0EPdS7_N6thrust23THRUST_200600_302600_NS4plusIdEEEE10hipError_tPvRmT2_T3_mT4_P12ihipStream_tbEUlT_E_NS1_11comp_targetILNS1_3genE2ELNS1_11target_archE906ELNS1_3gpuE6ELNS1_3repE0EEENS1_30default_config_static_selectorELNS0_4arch9wavefront6targetE1EEEvT1_.has_recursion, 0
	.set _ZN7rocprim17ROCPRIM_400000_NS6detail17trampoline_kernelINS0_14default_configENS1_35adjacent_difference_config_selectorILb0EdEEZNS1_24adjacent_difference_implIS3_Lb0ELb0EPdS7_N6thrust23THRUST_200600_302600_NS4plusIdEEEE10hipError_tPvRmT2_T3_mT4_P12ihipStream_tbEUlT_E_NS1_11comp_targetILNS1_3genE2ELNS1_11target_archE906ELNS1_3gpuE6ELNS1_3repE0EEENS1_30default_config_static_selectorELNS0_4arch9wavefront6targetE1EEEvT1_.has_indirect_call, 0
	.section	.AMDGPU.csdata,"",@progbits
; Kernel info:
; codeLenInByte = 1292
; TotalNumSgprs: 26
; NumVgprs: 15
; ScratchSize: 0
; MemoryBound: 0
; FloatMode: 240
; IeeeMode: 1
; LDSByteSize: 16896 bytes/workgroup (compile time only)
; SGPRBlocks: 8
; VGPRBlocks: 7
; NumSGPRsForWavesPerEU: 65
; NumVGPRsForWavesPerEU: 29
; Occupancy: 8
; WaveLimiterHint : 1
; COMPUTE_PGM_RSRC2:SCRATCH_EN: 0
; COMPUTE_PGM_RSRC2:USER_SGPR: 6
; COMPUTE_PGM_RSRC2:TRAP_HANDLER: 0
; COMPUTE_PGM_RSRC2:TGID_X_EN: 1
; COMPUTE_PGM_RSRC2:TGID_Y_EN: 0
; COMPUTE_PGM_RSRC2:TGID_Z_EN: 0
; COMPUTE_PGM_RSRC2:TIDIG_COMP_CNT: 0
	.section	.text._ZN7rocprim17ROCPRIM_400000_NS6detail17trampoline_kernelINS0_14default_configENS1_35adjacent_difference_config_selectorILb0EdEEZNS1_24adjacent_difference_implIS3_Lb0ELb0EPdS7_N6thrust23THRUST_200600_302600_NS4plusIdEEEE10hipError_tPvRmT2_T3_mT4_P12ihipStream_tbEUlT_E_NS1_11comp_targetILNS1_3genE9ELNS1_11target_archE1100ELNS1_3gpuE3ELNS1_3repE0EEENS1_30default_config_static_selectorELNS0_4arch9wavefront6targetE1EEEvT1_,"axG",@progbits,_ZN7rocprim17ROCPRIM_400000_NS6detail17trampoline_kernelINS0_14default_configENS1_35adjacent_difference_config_selectorILb0EdEEZNS1_24adjacent_difference_implIS3_Lb0ELb0EPdS7_N6thrust23THRUST_200600_302600_NS4plusIdEEEE10hipError_tPvRmT2_T3_mT4_P12ihipStream_tbEUlT_E_NS1_11comp_targetILNS1_3genE9ELNS1_11target_archE1100ELNS1_3gpuE3ELNS1_3repE0EEENS1_30default_config_static_selectorELNS0_4arch9wavefront6targetE1EEEvT1_,comdat
	.protected	_ZN7rocprim17ROCPRIM_400000_NS6detail17trampoline_kernelINS0_14default_configENS1_35adjacent_difference_config_selectorILb0EdEEZNS1_24adjacent_difference_implIS3_Lb0ELb0EPdS7_N6thrust23THRUST_200600_302600_NS4plusIdEEEE10hipError_tPvRmT2_T3_mT4_P12ihipStream_tbEUlT_E_NS1_11comp_targetILNS1_3genE9ELNS1_11target_archE1100ELNS1_3gpuE3ELNS1_3repE0EEENS1_30default_config_static_selectorELNS0_4arch9wavefront6targetE1EEEvT1_ ; -- Begin function _ZN7rocprim17ROCPRIM_400000_NS6detail17trampoline_kernelINS0_14default_configENS1_35adjacent_difference_config_selectorILb0EdEEZNS1_24adjacent_difference_implIS3_Lb0ELb0EPdS7_N6thrust23THRUST_200600_302600_NS4plusIdEEEE10hipError_tPvRmT2_T3_mT4_P12ihipStream_tbEUlT_E_NS1_11comp_targetILNS1_3genE9ELNS1_11target_archE1100ELNS1_3gpuE3ELNS1_3repE0EEENS1_30default_config_static_selectorELNS0_4arch9wavefront6targetE1EEEvT1_
	.globl	_ZN7rocprim17ROCPRIM_400000_NS6detail17trampoline_kernelINS0_14default_configENS1_35adjacent_difference_config_selectorILb0EdEEZNS1_24adjacent_difference_implIS3_Lb0ELb0EPdS7_N6thrust23THRUST_200600_302600_NS4plusIdEEEE10hipError_tPvRmT2_T3_mT4_P12ihipStream_tbEUlT_E_NS1_11comp_targetILNS1_3genE9ELNS1_11target_archE1100ELNS1_3gpuE3ELNS1_3repE0EEENS1_30default_config_static_selectorELNS0_4arch9wavefront6targetE1EEEvT1_
	.p2align	8
	.type	_ZN7rocprim17ROCPRIM_400000_NS6detail17trampoline_kernelINS0_14default_configENS1_35adjacent_difference_config_selectorILb0EdEEZNS1_24adjacent_difference_implIS3_Lb0ELb0EPdS7_N6thrust23THRUST_200600_302600_NS4plusIdEEEE10hipError_tPvRmT2_T3_mT4_P12ihipStream_tbEUlT_E_NS1_11comp_targetILNS1_3genE9ELNS1_11target_archE1100ELNS1_3gpuE3ELNS1_3repE0EEENS1_30default_config_static_selectorELNS0_4arch9wavefront6targetE1EEEvT1_,@function
_ZN7rocprim17ROCPRIM_400000_NS6detail17trampoline_kernelINS0_14default_configENS1_35adjacent_difference_config_selectorILb0EdEEZNS1_24adjacent_difference_implIS3_Lb0ELb0EPdS7_N6thrust23THRUST_200600_302600_NS4plusIdEEEE10hipError_tPvRmT2_T3_mT4_P12ihipStream_tbEUlT_E_NS1_11comp_targetILNS1_3genE9ELNS1_11target_archE1100ELNS1_3gpuE3ELNS1_3repE0EEENS1_30default_config_static_selectorELNS0_4arch9wavefront6targetE1EEEvT1_: ; @_ZN7rocprim17ROCPRIM_400000_NS6detail17trampoline_kernelINS0_14default_configENS1_35adjacent_difference_config_selectorILb0EdEEZNS1_24adjacent_difference_implIS3_Lb0ELb0EPdS7_N6thrust23THRUST_200600_302600_NS4plusIdEEEE10hipError_tPvRmT2_T3_mT4_P12ihipStream_tbEUlT_E_NS1_11comp_targetILNS1_3genE9ELNS1_11target_archE1100ELNS1_3gpuE3ELNS1_3repE0EEENS1_30default_config_static_selectorELNS0_4arch9wavefront6targetE1EEEvT1_
; %bb.0:
	.section	.rodata,"a",@progbits
	.p2align	6, 0x0
	.amdhsa_kernel _ZN7rocprim17ROCPRIM_400000_NS6detail17trampoline_kernelINS0_14default_configENS1_35adjacent_difference_config_selectorILb0EdEEZNS1_24adjacent_difference_implIS3_Lb0ELb0EPdS7_N6thrust23THRUST_200600_302600_NS4plusIdEEEE10hipError_tPvRmT2_T3_mT4_P12ihipStream_tbEUlT_E_NS1_11comp_targetILNS1_3genE9ELNS1_11target_archE1100ELNS1_3gpuE3ELNS1_3repE0EEENS1_30default_config_static_selectorELNS0_4arch9wavefront6targetE1EEEvT1_
		.amdhsa_group_segment_fixed_size 0
		.amdhsa_private_segment_fixed_size 0
		.amdhsa_kernarg_size 56
		.amdhsa_user_sgpr_count 6
		.amdhsa_user_sgpr_private_segment_buffer 1
		.amdhsa_user_sgpr_dispatch_ptr 0
		.amdhsa_user_sgpr_queue_ptr 0
		.amdhsa_user_sgpr_kernarg_segment_ptr 1
		.amdhsa_user_sgpr_dispatch_id 0
		.amdhsa_user_sgpr_flat_scratch_init 0
		.amdhsa_user_sgpr_private_segment_size 0
		.amdhsa_uses_dynamic_stack 0
		.amdhsa_system_sgpr_private_segment_wavefront_offset 0
		.amdhsa_system_sgpr_workgroup_id_x 1
		.amdhsa_system_sgpr_workgroup_id_y 0
		.amdhsa_system_sgpr_workgroup_id_z 0
		.amdhsa_system_sgpr_workgroup_info 0
		.amdhsa_system_vgpr_workitem_id 0
		.amdhsa_next_free_vgpr 1
		.amdhsa_next_free_sgpr 0
		.amdhsa_reserve_vcc 0
		.amdhsa_reserve_flat_scratch 0
		.amdhsa_float_round_mode_32 0
		.amdhsa_float_round_mode_16_64 0
		.amdhsa_float_denorm_mode_32 3
		.amdhsa_float_denorm_mode_16_64 3
		.amdhsa_dx10_clamp 1
		.amdhsa_ieee_mode 1
		.amdhsa_fp16_overflow 0
		.amdhsa_exception_fp_ieee_invalid_op 0
		.amdhsa_exception_fp_denorm_src 0
		.amdhsa_exception_fp_ieee_div_zero 0
		.amdhsa_exception_fp_ieee_overflow 0
		.amdhsa_exception_fp_ieee_underflow 0
		.amdhsa_exception_fp_ieee_inexact 0
		.amdhsa_exception_int_div_zero 0
	.end_amdhsa_kernel
	.section	.text._ZN7rocprim17ROCPRIM_400000_NS6detail17trampoline_kernelINS0_14default_configENS1_35adjacent_difference_config_selectorILb0EdEEZNS1_24adjacent_difference_implIS3_Lb0ELb0EPdS7_N6thrust23THRUST_200600_302600_NS4plusIdEEEE10hipError_tPvRmT2_T3_mT4_P12ihipStream_tbEUlT_E_NS1_11comp_targetILNS1_3genE9ELNS1_11target_archE1100ELNS1_3gpuE3ELNS1_3repE0EEENS1_30default_config_static_selectorELNS0_4arch9wavefront6targetE1EEEvT1_,"axG",@progbits,_ZN7rocprim17ROCPRIM_400000_NS6detail17trampoline_kernelINS0_14default_configENS1_35adjacent_difference_config_selectorILb0EdEEZNS1_24adjacent_difference_implIS3_Lb0ELb0EPdS7_N6thrust23THRUST_200600_302600_NS4plusIdEEEE10hipError_tPvRmT2_T3_mT4_P12ihipStream_tbEUlT_E_NS1_11comp_targetILNS1_3genE9ELNS1_11target_archE1100ELNS1_3gpuE3ELNS1_3repE0EEENS1_30default_config_static_selectorELNS0_4arch9wavefront6targetE1EEEvT1_,comdat
.Lfunc_end33:
	.size	_ZN7rocprim17ROCPRIM_400000_NS6detail17trampoline_kernelINS0_14default_configENS1_35adjacent_difference_config_selectorILb0EdEEZNS1_24adjacent_difference_implIS3_Lb0ELb0EPdS7_N6thrust23THRUST_200600_302600_NS4plusIdEEEE10hipError_tPvRmT2_T3_mT4_P12ihipStream_tbEUlT_E_NS1_11comp_targetILNS1_3genE9ELNS1_11target_archE1100ELNS1_3gpuE3ELNS1_3repE0EEENS1_30default_config_static_selectorELNS0_4arch9wavefront6targetE1EEEvT1_, .Lfunc_end33-_ZN7rocprim17ROCPRIM_400000_NS6detail17trampoline_kernelINS0_14default_configENS1_35adjacent_difference_config_selectorILb0EdEEZNS1_24adjacent_difference_implIS3_Lb0ELb0EPdS7_N6thrust23THRUST_200600_302600_NS4plusIdEEEE10hipError_tPvRmT2_T3_mT4_P12ihipStream_tbEUlT_E_NS1_11comp_targetILNS1_3genE9ELNS1_11target_archE1100ELNS1_3gpuE3ELNS1_3repE0EEENS1_30default_config_static_selectorELNS0_4arch9wavefront6targetE1EEEvT1_
                                        ; -- End function
	.set _ZN7rocprim17ROCPRIM_400000_NS6detail17trampoline_kernelINS0_14default_configENS1_35adjacent_difference_config_selectorILb0EdEEZNS1_24adjacent_difference_implIS3_Lb0ELb0EPdS7_N6thrust23THRUST_200600_302600_NS4plusIdEEEE10hipError_tPvRmT2_T3_mT4_P12ihipStream_tbEUlT_E_NS1_11comp_targetILNS1_3genE9ELNS1_11target_archE1100ELNS1_3gpuE3ELNS1_3repE0EEENS1_30default_config_static_selectorELNS0_4arch9wavefront6targetE1EEEvT1_.num_vgpr, 0
	.set _ZN7rocprim17ROCPRIM_400000_NS6detail17trampoline_kernelINS0_14default_configENS1_35adjacent_difference_config_selectorILb0EdEEZNS1_24adjacent_difference_implIS3_Lb0ELb0EPdS7_N6thrust23THRUST_200600_302600_NS4plusIdEEEE10hipError_tPvRmT2_T3_mT4_P12ihipStream_tbEUlT_E_NS1_11comp_targetILNS1_3genE9ELNS1_11target_archE1100ELNS1_3gpuE3ELNS1_3repE0EEENS1_30default_config_static_selectorELNS0_4arch9wavefront6targetE1EEEvT1_.num_agpr, 0
	.set _ZN7rocprim17ROCPRIM_400000_NS6detail17trampoline_kernelINS0_14default_configENS1_35adjacent_difference_config_selectorILb0EdEEZNS1_24adjacent_difference_implIS3_Lb0ELb0EPdS7_N6thrust23THRUST_200600_302600_NS4plusIdEEEE10hipError_tPvRmT2_T3_mT4_P12ihipStream_tbEUlT_E_NS1_11comp_targetILNS1_3genE9ELNS1_11target_archE1100ELNS1_3gpuE3ELNS1_3repE0EEENS1_30default_config_static_selectorELNS0_4arch9wavefront6targetE1EEEvT1_.numbered_sgpr, 0
	.set _ZN7rocprim17ROCPRIM_400000_NS6detail17trampoline_kernelINS0_14default_configENS1_35adjacent_difference_config_selectorILb0EdEEZNS1_24adjacent_difference_implIS3_Lb0ELb0EPdS7_N6thrust23THRUST_200600_302600_NS4plusIdEEEE10hipError_tPvRmT2_T3_mT4_P12ihipStream_tbEUlT_E_NS1_11comp_targetILNS1_3genE9ELNS1_11target_archE1100ELNS1_3gpuE3ELNS1_3repE0EEENS1_30default_config_static_selectorELNS0_4arch9wavefront6targetE1EEEvT1_.num_named_barrier, 0
	.set _ZN7rocprim17ROCPRIM_400000_NS6detail17trampoline_kernelINS0_14default_configENS1_35adjacent_difference_config_selectorILb0EdEEZNS1_24adjacent_difference_implIS3_Lb0ELb0EPdS7_N6thrust23THRUST_200600_302600_NS4plusIdEEEE10hipError_tPvRmT2_T3_mT4_P12ihipStream_tbEUlT_E_NS1_11comp_targetILNS1_3genE9ELNS1_11target_archE1100ELNS1_3gpuE3ELNS1_3repE0EEENS1_30default_config_static_selectorELNS0_4arch9wavefront6targetE1EEEvT1_.private_seg_size, 0
	.set _ZN7rocprim17ROCPRIM_400000_NS6detail17trampoline_kernelINS0_14default_configENS1_35adjacent_difference_config_selectorILb0EdEEZNS1_24adjacent_difference_implIS3_Lb0ELb0EPdS7_N6thrust23THRUST_200600_302600_NS4plusIdEEEE10hipError_tPvRmT2_T3_mT4_P12ihipStream_tbEUlT_E_NS1_11comp_targetILNS1_3genE9ELNS1_11target_archE1100ELNS1_3gpuE3ELNS1_3repE0EEENS1_30default_config_static_selectorELNS0_4arch9wavefront6targetE1EEEvT1_.uses_vcc, 0
	.set _ZN7rocprim17ROCPRIM_400000_NS6detail17trampoline_kernelINS0_14default_configENS1_35adjacent_difference_config_selectorILb0EdEEZNS1_24adjacent_difference_implIS3_Lb0ELb0EPdS7_N6thrust23THRUST_200600_302600_NS4plusIdEEEE10hipError_tPvRmT2_T3_mT4_P12ihipStream_tbEUlT_E_NS1_11comp_targetILNS1_3genE9ELNS1_11target_archE1100ELNS1_3gpuE3ELNS1_3repE0EEENS1_30default_config_static_selectorELNS0_4arch9wavefront6targetE1EEEvT1_.uses_flat_scratch, 0
	.set _ZN7rocprim17ROCPRIM_400000_NS6detail17trampoline_kernelINS0_14default_configENS1_35adjacent_difference_config_selectorILb0EdEEZNS1_24adjacent_difference_implIS3_Lb0ELb0EPdS7_N6thrust23THRUST_200600_302600_NS4plusIdEEEE10hipError_tPvRmT2_T3_mT4_P12ihipStream_tbEUlT_E_NS1_11comp_targetILNS1_3genE9ELNS1_11target_archE1100ELNS1_3gpuE3ELNS1_3repE0EEENS1_30default_config_static_selectorELNS0_4arch9wavefront6targetE1EEEvT1_.has_dyn_sized_stack, 0
	.set _ZN7rocprim17ROCPRIM_400000_NS6detail17trampoline_kernelINS0_14default_configENS1_35adjacent_difference_config_selectorILb0EdEEZNS1_24adjacent_difference_implIS3_Lb0ELb0EPdS7_N6thrust23THRUST_200600_302600_NS4plusIdEEEE10hipError_tPvRmT2_T3_mT4_P12ihipStream_tbEUlT_E_NS1_11comp_targetILNS1_3genE9ELNS1_11target_archE1100ELNS1_3gpuE3ELNS1_3repE0EEENS1_30default_config_static_selectorELNS0_4arch9wavefront6targetE1EEEvT1_.has_recursion, 0
	.set _ZN7rocprim17ROCPRIM_400000_NS6detail17trampoline_kernelINS0_14default_configENS1_35adjacent_difference_config_selectorILb0EdEEZNS1_24adjacent_difference_implIS3_Lb0ELb0EPdS7_N6thrust23THRUST_200600_302600_NS4plusIdEEEE10hipError_tPvRmT2_T3_mT4_P12ihipStream_tbEUlT_E_NS1_11comp_targetILNS1_3genE9ELNS1_11target_archE1100ELNS1_3gpuE3ELNS1_3repE0EEENS1_30default_config_static_selectorELNS0_4arch9wavefront6targetE1EEEvT1_.has_indirect_call, 0
	.section	.AMDGPU.csdata,"",@progbits
; Kernel info:
; codeLenInByte = 0
; TotalNumSgprs: 4
; NumVgprs: 0
; ScratchSize: 0
; MemoryBound: 0
; FloatMode: 240
; IeeeMode: 1
; LDSByteSize: 0 bytes/workgroup (compile time only)
; SGPRBlocks: 0
; VGPRBlocks: 0
; NumSGPRsForWavesPerEU: 4
; NumVGPRsForWavesPerEU: 1
; Occupancy: 10
; WaveLimiterHint : 0
; COMPUTE_PGM_RSRC2:SCRATCH_EN: 0
; COMPUTE_PGM_RSRC2:USER_SGPR: 6
; COMPUTE_PGM_RSRC2:TRAP_HANDLER: 0
; COMPUTE_PGM_RSRC2:TGID_X_EN: 1
; COMPUTE_PGM_RSRC2:TGID_Y_EN: 0
; COMPUTE_PGM_RSRC2:TGID_Z_EN: 0
; COMPUTE_PGM_RSRC2:TIDIG_COMP_CNT: 0
	.section	.text._ZN7rocprim17ROCPRIM_400000_NS6detail17trampoline_kernelINS0_14default_configENS1_35adjacent_difference_config_selectorILb0EdEEZNS1_24adjacent_difference_implIS3_Lb0ELb0EPdS7_N6thrust23THRUST_200600_302600_NS4plusIdEEEE10hipError_tPvRmT2_T3_mT4_P12ihipStream_tbEUlT_E_NS1_11comp_targetILNS1_3genE8ELNS1_11target_archE1030ELNS1_3gpuE2ELNS1_3repE0EEENS1_30default_config_static_selectorELNS0_4arch9wavefront6targetE1EEEvT1_,"axG",@progbits,_ZN7rocprim17ROCPRIM_400000_NS6detail17trampoline_kernelINS0_14default_configENS1_35adjacent_difference_config_selectorILb0EdEEZNS1_24adjacent_difference_implIS3_Lb0ELb0EPdS7_N6thrust23THRUST_200600_302600_NS4plusIdEEEE10hipError_tPvRmT2_T3_mT4_P12ihipStream_tbEUlT_E_NS1_11comp_targetILNS1_3genE8ELNS1_11target_archE1030ELNS1_3gpuE2ELNS1_3repE0EEENS1_30default_config_static_selectorELNS0_4arch9wavefront6targetE1EEEvT1_,comdat
	.protected	_ZN7rocprim17ROCPRIM_400000_NS6detail17trampoline_kernelINS0_14default_configENS1_35adjacent_difference_config_selectorILb0EdEEZNS1_24adjacent_difference_implIS3_Lb0ELb0EPdS7_N6thrust23THRUST_200600_302600_NS4plusIdEEEE10hipError_tPvRmT2_T3_mT4_P12ihipStream_tbEUlT_E_NS1_11comp_targetILNS1_3genE8ELNS1_11target_archE1030ELNS1_3gpuE2ELNS1_3repE0EEENS1_30default_config_static_selectorELNS0_4arch9wavefront6targetE1EEEvT1_ ; -- Begin function _ZN7rocprim17ROCPRIM_400000_NS6detail17trampoline_kernelINS0_14default_configENS1_35adjacent_difference_config_selectorILb0EdEEZNS1_24adjacent_difference_implIS3_Lb0ELb0EPdS7_N6thrust23THRUST_200600_302600_NS4plusIdEEEE10hipError_tPvRmT2_T3_mT4_P12ihipStream_tbEUlT_E_NS1_11comp_targetILNS1_3genE8ELNS1_11target_archE1030ELNS1_3gpuE2ELNS1_3repE0EEENS1_30default_config_static_selectorELNS0_4arch9wavefront6targetE1EEEvT1_
	.globl	_ZN7rocprim17ROCPRIM_400000_NS6detail17trampoline_kernelINS0_14default_configENS1_35adjacent_difference_config_selectorILb0EdEEZNS1_24adjacent_difference_implIS3_Lb0ELb0EPdS7_N6thrust23THRUST_200600_302600_NS4plusIdEEEE10hipError_tPvRmT2_T3_mT4_P12ihipStream_tbEUlT_E_NS1_11comp_targetILNS1_3genE8ELNS1_11target_archE1030ELNS1_3gpuE2ELNS1_3repE0EEENS1_30default_config_static_selectorELNS0_4arch9wavefront6targetE1EEEvT1_
	.p2align	8
	.type	_ZN7rocprim17ROCPRIM_400000_NS6detail17trampoline_kernelINS0_14default_configENS1_35adjacent_difference_config_selectorILb0EdEEZNS1_24adjacent_difference_implIS3_Lb0ELb0EPdS7_N6thrust23THRUST_200600_302600_NS4plusIdEEEE10hipError_tPvRmT2_T3_mT4_P12ihipStream_tbEUlT_E_NS1_11comp_targetILNS1_3genE8ELNS1_11target_archE1030ELNS1_3gpuE2ELNS1_3repE0EEENS1_30default_config_static_selectorELNS0_4arch9wavefront6targetE1EEEvT1_,@function
_ZN7rocprim17ROCPRIM_400000_NS6detail17trampoline_kernelINS0_14default_configENS1_35adjacent_difference_config_selectorILb0EdEEZNS1_24adjacent_difference_implIS3_Lb0ELb0EPdS7_N6thrust23THRUST_200600_302600_NS4plusIdEEEE10hipError_tPvRmT2_T3_mT4_P12ihipStream_tbEUlT_E_NS1_11comp_targetILNS1_3genE8ELNS1_11target_archE1030ELNS1_3gpuE2ELNS1_3repE0EEENS1_30default_config_static_selectorELNS0_4arch9wavefront6targetE1EEEvT1_: ; @_ZN7rocprim17ROCPRIM_400000_NS6detail17trampoline_kernelINS0_14default_configENS1_35adjacent_difference_config_selectorILb0EdEEZNS1_24adjacent_difference_implIS3_Lb0ELb0EPdS7_N6thrust23THRUST_200600_302600_NS4plusIdEEEE10hipError_tPvRmT2_T3_mT4_P12ihipStream_tbEUlT_E_NS1_11comp_targetILNS1_3genE8ELNS1_11target_archE1030ELNS1_3gpuE2ELNS1_3repE0EEENS1_30default_config_static_selectorELNS0_4arch9wavefront6targetE1EEEvT1_
; %bb.0:
	.section	.rodata,"a",@progbits
	.p2align	6, 0x0
	.amdhsa_kernel _ZN7rocprim17ROCPRIM_400000_NS6detail17trampoline_kernelINS0_14default_configENS1_35adjacent_difference_config_selectorILb0EdEEZNS1_24adjacent_difference_implIS3_Lb0ELb0EPdS7_N6thrust23THRUST_200600_302600_NS4plusIdEEEE10hipError_tPvRmT2_T3_mT4_P12ihipStream_tbEUlT_E_NS1_11comp_targetILNS1_3genE8ELNS1_11target_archE1030ELNS1_3gpuE2ELNS1_3repE0EEENS1_30default_config_static_selectorELNS0_4arch9wavefront6targetE1EEEvT1_
		.amdhsa_group_segment_fixed_size 0
		.amdhsa_private_segment_fixed_size 0
		.amdhsa_kernarg_size 56
		.amdhsa_user_sgpr_count 6
		.amdhsa_user_sgpr_private_segment_buffer 1
		.amdhsa_user_sgpr_dispatch_ptr 0
		.amdhsa_user_sgpr_queue_ptr 0
		.amdhsa_user_sgpr_kernarg_segment_ptr 1
		.amdhsa_user_sgpr_dispatch_id 0
		.amdhsa_user_sgpr_flat_scratch_init 0
		.amdhsa_user_sgpr_private_segment_size 0
		.amdhsa_uses_dynamic_stack 0
		.amdhsa_system_sgpr_private_segment_wavefront_offset 0
		.amdhsa_system_sgpr_workgroup_id_x 1
		.amdhsa_system_sgpr_workgroup_id_y 0
		.amdhsa_system_sgpr_workgroup_id_z 0
		.amdhsa_system_sgpr_workgroup_info 0
		.amdhsa_system_vgpr_workitem_id 0
		.amdhsa_next_free_vgpr 1
		.amdhsa_next_free_sgpr 0
		.amdhsa_reserve_vcc 0
		.amdhsa_reserve_flat_scratch 0
		.amdhsa_float_round_mode_32 0
		.amdhsa_float_round_mode_16_64 0
		.amdhsa_float_denorm_mode_32 3
		.amdhsa_float_denorm_mode_16_64 3
		.amdhsa_dx10_clamp 1
		.amdhsa_ieee_mode 1
		.amdhsa_fp16_overflow 0
		.amdhsa_exception_fp_ieee_invalid_op 0
		.amdhsa_exception_fp_denorm_src 0
		.amdhsa_exception_fp_ieee_div_zero 0
		.amdhsa_exception_fp_ieee_overflow 0
		.amdhsa_exception_fp_ieee_underflow 0
		.amdhsa_exception_fp_ieee_inexact 0
		.amdhsa_exception_int_div_zero 0
	.end_amdhsa_kernel
	.section	.text._ZN7rocprim17ROCPRIM_400000_NS6detail17trampoline_kernelINS0_14default_configENS1_35adjacent_difference_config_selectorILb0EdEEZNS1_24adjacent_difference_implIS3_Lb0ELb0EPdS7_N6thrust23THRUST_200600_302600_NS4plusIdEEEE10hipError_tPvRmT2_T3_mT4_P12ihipStream_tbEUlT_E_NS1_11comp_targetILNS1_3genE8ELNS1_11target_archE1030ELNS1_3gpuE2ELNS1_3repE0EEENS1_30default_config_static_selectorELNS0_4arch9wavefront6targetE1EEEvT1_,"axG",@progbits,_ZN7rocprim17ROCPRIM_400000_NS6detail17trampoline_kernelINS0_14default_configENS1_35adjacent_difference_config_selectorILb0EdEEZNS1_24adjacent_difference_implIS3_Lb0ELb0EPdS7_N6thrust23THRUST_200600_302600_NS4plusIdEEEE10hipError_tPvRmT2_T3_mT4_P12ihipStream_tbEUlT_E_NS1_11comp_targetILNS1_3genE8ELNS1_11target_archE1030ELNS1_3gpuE2ELNS1_3repE0EEENS1_30default_config_static_selectorELNS0_4arch9wavefront6targetE1EEEvT1_,comdat
.Lfunc_end34:
	.size	_ZN7rocprim17ROCPRIM_400000_NS6detail17trampoline_kernelINS0_14default_configENS1_35adjacent_difference_config_selectorILb0EdEEZNS1_24adjacent_difference_implIS3_Lb0ELb0EPdS7_N6thrust23THRUST_200600_302600_NS4plusIdEEEE10hipError_tPvRmT2_T3_mT4_P12ihipStream_tbEUlT_E_NS1_11comp_targetILNS1_3genE8ELNS1_11target_archE1030ELNS1_3gpuE2ELNS1_3repE0EEENS1_30default_config_static_selectorELNS0_4arch9wavefront6targetE1EEEvT1_, .Lfunc_end34-_ZN7rocprim17ROCPRIM_400000_NS6detail17trampoline_kernelINS0_14default_configENS1_35adjacent_difference_config_selectorILb0EdEEZNS1_24adjacent_difference_implIS3_Lb0ELb0EPdS7_N6thrust23THRUST_200600_302600_NS4plusIdEEEE10hipError_tPvRmT2_T3_mT4_P12ihipStream_tbEUlT_E_NS1_11comp_targetILNS1_3genE8ELNS1_11target_archE1030ELNS1_3gpuE2ELNS1_3repE0EEENS1_30default_config_static_selectorELNS0_4arch9wavefront6targetE1EEEvT1_
                                        ; -- End function
	.set _ZN7rocprim17ROCPRIM_400000_NS6detail17trampoline_kernelINS0_14default_configENS1_35adjacent_difference_config_selectorILb0EdEEZNS1_24adjacent_difference_implIS3_Lb0ELb0EPdS7_N6thrust23THRUST_200600_302600_NS4plusIdEEEE10hipError_tPvRmT2_T3_mT4_P12ihipStream_tbEUlT_E_NS1_11comp_targetILNS1_3genE8ELNS1_11target_archE1030ELNS1_3gpuE2ELNS1_3repE0EEENS1_30default_config_static_selectorELNS0_4arch9wavefront6targetE1EEEvT1_.num_vgpr, 0
	.set _ZN7rocprim17ROCPRIM_400000_NS6detail17trampoline_kernelINS0_14default_configENS1_35adjacent_difference_config_selectorILb0EdEEZNS1_24adjacent_difference_implIS3_Lb0ELb0EPdS7_N6thrust23THRUST_200600_302600_NS4plusIdEEEE10hipError_tPvRmT2_T3_mT4_P12ihipStream_tbEUlT_E_NS1_11comp_targetILNS1_3genE8ELNS1_11target_archE1030ELNS1_3gpuE2ELNS1_3repE0EEENS1_30default_config_static_selectorELNS0_4arch9wavefront6targetE1EEEvT1_.num_agpr, 0
	.set _ZN7rocprim17ROCPRIM_400000_NS6detail17trampoline_kernelINS0_14default_configENS1_35adjacent_difference_config_selectorILb0EdEEZNS1_24adjacent_difference_implIS3_Lb0ELb0EPdS7_N6thrust23THRUST_200600_302600_NS4plusIdEEEE10hipError_tPvRmT2_T3_mT4_P12ihipStream_tbEUlT_E_NS1_11comp_targetILNS1_3genE8ELNS1_11target_archE1030ELNS1_3gpuE2ELNS1_3repE0EEENS1_30default_config_static_selectorELNS0_4arch9wavefront6targetE1EEEvT1_.numbered_sgpr, 0
	.set _ZN7rocprim17ROCPRIM_400000_NS6detail17trampoline_kernelINS0_14default_configENS1_35adjacent_difference_config_selectorILb0EdEEZNS1_24adjacent_difference_implIS3_Lb0ELb0EPdS7_N6thrust23THRUST_200600_302600_NS4plusIdEEEE10hipError_tPvRmT2_T3_mT4_P12ihipStream_tbEUlT_E_NS1_11comp_targetILNS1_3genE8ELNS1_11target_archE1030ELNS1_3gpuE2ELNS1_3repE0EEENS1_30default_config_static_selectorELNS0_4arch9wavefront6targetE1EEEvT1_.num_named_barrier, 0
	.set _ZN7rocprim17ROCPRIM_400000_NS6detail17trampoline_kernelINS0_14default_configENS1_35adjacent_difference_config_selectorILb0EdEEZNS1_24adjacent_difference_implIS3_Lb0ELb0EPdS7_N6thrust23THRUST_200600_302600_NS4plusIdEEEE10hipError_tPvRmT2_T3_mT4_P12ihipStream_tbEUlT_E_NS1_11comp_targetILNS1_3genE8ELNS1_11target_archE1030ELNS1_3gpuE2ELNS1_3repE0EEENS1_30default_config_static_selectorELNS0_4arch9wavefront6targetE1EEEvT1_.private_seg_size, 0
	.set _ZN7rocprim17ROCPRIM_400000_NS6detail17trampoline_kernelINS0_14default_configENS1_35adjacent_difference_config_selectorILb0EdEEZNS1_24adjacent_difference_implIS3_Lb0ELb0EPdS7_N6thrust23THRUST_200600_302600_NS4plusIdEEEE10hipError_tPvRmT2_T3_mT4_P12ihipStream_tbEUlT_E_NS1_11comp_targetILNS1_3genE8ELNS1_11target_archE1030ELNS1_3gpuE2ELNS1_3repE0EEENS1_30default_config_static_selectorELNS0_4arch9wavefront6targetE1EEEvT1_.uses_vcc, 0
	.set _ZN7rocprim17ROCPRIM_400000_NS6detail17trampoline_kernelINS0_14default_configENS1_35adjacent_difference_config_selectorILb0EdEEZNS1_24adjacent_difference_implIS3_Lb0ELb0EPdS7_N6thrust23THRUST_200600_302600_NS4plusIdEEEE10hipError_tPvRmT2_T3_mT4_P12ihipStream_tbEUlT_E_NS1_11comp_targetILNS1_3genE8ELNS1_11target_archE1030ELNS1_3gpuE2ELNS1_3repE0EEENS1_30default_config_static_selectorELNS0_4arch9wavefront6targetE1EEEvT1_.uses_flat_scratch, 0
	.set _ZN7rocprim17ROCPRIM_400000_NS6detail17trampoline_kernelINS0_14default_configENS1_35adjacent_difference_config_selectorILb0EdEEZNS1_24adjacent_difference_implIS3_Lb0ELb0EPdS7_N6thrust23THRUST_200600_302600_NS4plusIdEEEE10hipError_tPvRmT2_T3_mT4_P12ihipStream_tbEUlT_E_NS1_11comp_targetILNS1_3genE8ELNS1_11target_archE1030ELNS1_3gpuE2ELNS1_3repE0EEENS1_30default_config_static_selectorELNS0_4arch9wavefront6targetE1EEEvT1_.has_dyn_sized_stack, 0
	.set _ZN7rocprim17ROCPRIM_400000_NS6detail17trampoline_kernelINS0_14default_configENS1_35adjacent_difference_config_selectorILb0EdEEZNS1_24adjacent_difference_implIS3_Lb0ELb0EPdS7_N6thrust23THRUST_200600_302600_NS4plusIdEEEE10hipError_tPvRmT2_T3_mT4_P12ihipStream_tbEUlT_E_NS1_11comp_targetILNS1_3genE8ELNS1_11target_archE1030ELNS1_3gpuE2ELNS1_3repE0EEENS1_30default_config_static_selectorELNS0_4arch9wavefront6targetE1EEEvT1_.has_recursion, 0
	.set _ZN7rocprim17ROCPRIM_400000_NS6detail17trampoline_kernelINS0_14default_configENS1_35adjacent_difference_config_selectorILb0EdEEZNS1_24adjacent_difference_implIS3_Lb0ELb0EPdS7_N6thrust23THRUST_200600_302600_NS4plusIdEEEE10hipError_tPvRmT2_T3_mT4_P12ihipStream_tbEUlT_E_NS1_11comp_targetILNS1_3genE8ELNS1_11target_archE1030ELNS1_3gpuE2ELNS1_3repE0EEENS1_30default_config_static_selectorELNS0_4arch9wavefront6targetE1EEEvT1_.has_indirect_call, 0
	.section	.AMDGPU.csdata,"",@progbits
; Kernel info:
; codeLenInByte = 0
; TotalNumSgprs: 4
; NumVgprs: 0
; ScratchSize: 0
; MemoryBound: 0
; FloatMode: 240
; IeeeMode: 1
; LDSByteSize: 0 bytes/workgroup (compile time only)
; SGPRBlocks: 0
; VGPRBlocks: 0
; NumSGPRsForWavesPerEU: 4
; NumVGPRsForWavesPerEU: 1
; Occupancy: 10
; WaveLimiterHint : 0
; COMPUTE_PGM_RSRC2:SCRATCH_EN: 0
; COMPUTE_PGM_RSRC2:USER_SGPR: 6
; COMPUTE_PGM_RSRC2:TRAP_HANDLER: 0
; COMPUTE_PGM_RSRC2:TGID_X_EN: 1
; COMPUTE_PGM_RSRC2:TGID_Y_EN: 0
; COMPUTE_PGM_RSRC2:TGID_Z_EN: 0
; COMPUTE_PGM_RSRC2:TIDIG_COMP_CNT: 0
	.section	.text._ZN7rocprim17ROCPRIM_400000_NS6detail17trampoline_kernelINS0_14default_configENS1_25transform_config_selectorIdLb0EEEZNS1_14transform_implILb0ES3_S5_NS0_18transform_iteratorINS0_17counting_iteratorImlEEZNS1_24adjacent_difference_implIS3_Lb1ELb0EPdSB_N6thrust23THRUST_200600_302600_NS4plusIdEEEE10hipError_tPvRmT2_T3_mT4_P12ihipStream_tbEUlmE_dEESB_NS0_8identityIvEEEESG_SJ_SK_mSL_SN_bEUlT_E_NS1_11comp_targetILNS1_3genE0ELNS1_11target_archE4294967295ELNS1_3gpuE0ELNS1_3repE0EEENS1_30default_config_static_selectorELNS0_4arch9wavefront6targetE1EEEvT1_,"axG",@progbits,_ZN7rocprim17ROCPRIM_400000_NS6detail17trampoline_kernelINS0_14default_configENS1_25transform_config_selectorIdLb0EEEZNS1_14transform_implILb0ES3_S5_NS0_18transform_iteratorINS0_17counting_iteratorImlEEZNS1_24adjacent_difference_implIS3_Lb1ELb0EPdSB_N6thrust23THRUST_200600_302600_NS4plusIdEEEE10hipError_tPvRmT2_T3_mT4_P12ihipStream_tbEUlmE_dEESB_NS0_8identityIvEEEESG_SJ_SK_mSL_SN_bEUlT_E_NS1_11comp_targetILNS1_3genE0ELNS1_11target_archE4294967295ELNS1_3gpuE0ELNS1_3repE0EEENS1_30default_config_static_selectorELNS0_4arch9wavefront6targetE1EEEvT1_,comdat
	.protected	_ZN7rocprim17ROCPRIM_400000_NS6detail17trampoline_kernelINS0_14default_configENS1_25transform_config_selectorIdLb0EEEZNS1_14transform_implILb0ES3_S5_NS0_18transform_iteratorINS0_17counting_iteratorImlEEZNS1_24adjacent_difference_implIS3_Lb1ELb0EPdSB_N6thrust23THRUST_200600_302600_NS4plusIdEEEE10hipError_tPvRmT2_T3_mT4_P12ihipStream_tbEUlmE_dEESB_NS0_8identityIvEEEESG_SJ_SK_mSL_SN_bEUlT_E_NS1_11comp_targetILNS1_3genE0ELNS1_11target_archE4294967295ELNS1_3gpuE0ELNS1_3repE0EEENS1_30default_config_static_selectorELNS0_4arch9wavefront6targetE1EEEvT1_ ; -- Begin function _ZN7rocprim17ROCPRIM_400000_NS6detail17trampoline_kernelINS0_14default_configENS1_25transform_config_selectorIdLb0EEEZNS1_14transform_implILb0ES3_S5_NS0_18transform_iteratorINS0_17counting_iteratorImlEEZNS1_24adjacent_difference_implIS3_Lb1ELb0EPdSB_N6thrust23THRUST_200600_302600_NS4plusIdEEEE10hipError_tPvRmT2_T3_mT4_P12ihipStream_tbEUlmE_dEESB_NS0_8identityIvEEEESG_SJ_SK_mSL_SN_bEUlT_E_NS1_11comp_targetILNS1_3genE0ELNS1_11target_archE4294967295ELNS1_3gpuE0ELNS1_3repE0EEENS1_30default_config_static_selectorELNS0_4arch9wavefront6targetE1EEEvT1_
	.globl	_ZN7rocprim17ROCPRIM_400000_NS6detail17trampoline_kernelINS0_14default_configENS1_25transform_config_selectorIdLb0EEEZNS1_14transform_implILb0ES3_S5_NS0_18transform_iteratorINS0_17counting_iteratorImlEEZNS1_24adjacent_difference_implIS3_Lb1ELb0EPdSB_N6thrust23THRUST_200600_302600_NS4plusIdEEEE10hipError_tPvRmT2_T3_mT4_P12ihipStream_tbEUlmE_dEESB_NS0_8identityIvEEEESG_SJ_SK_mSL_SN_bEUlT_E_NS1_11comp_targetILNS1_3genE0ELNS1_11target_archE4294967295ELNS1_3gpuE0ELNS1_3repE0EEENS1_30default_config_static_selectorELNS0_4arch9wavefront6targetE1EEEvT1_
	.p2align	8
	.type	_ZN7rocprim17ROCPRIM_400000_NS6detail17trampoline_kernelINS0_14default_configENS1_25transform_config_selectorIdLb0EEEZNS1_14transform_implILb0ES3_S5_NS0_18transform_iteratorINS0_17counting_iteratorImlEEZNS1_24adjacent_difference_implIS3_Lb1ELb0EPdSB_N6thrust23THRUST_200600_302600_NS4plusIdEEEE10hipError_tPvRmT2_T3_mT4_P12ihipStream_tbEUlmE_dEESB_NS0_8identityIvEEEESG_SJ_SK_mSL_SN_bEUlT_E_NS1_11comp_targetILNS1_3genE0ELNS1_11target_archE4294967295ELNS1_3gpuE0ELNS1_3repE0EEENS1_30default_config_static_selectorELNS0_4arch9wavefront6targetE1EEEvT1_,@function
_ZN7rocprim17ROCPRIM_400000_NS6detail17trampoline_kernelINS0_14default_configENS1_25transform_config_selectorIdLb0EEEZNS1_14transform_implILb0ES3_S5_NS0_18transform_iteratorINS0_17counting_iteratorImlEEZNS1_24adjacent_difference_implIS3_Lb1ELb0EPdSB_N6thrust23THRUST_200600_302600_NS4plusIdEEEE10hipError_tPvRmT2_T3_mT4_P12ihipStream_tbEUlmE_dEESB_NS0_8identityIvEEEESG_SJ_SK_mSL_SN_bEUlT_E_NS1_11comp_targetILNS1_3genE0ELNS1_11target_archE4294967295ELNS1_3gpuE0ELNS1_3repE0EEENS1_30default_config_static_selectorELNS0_4arch9wavefront6targetE1EEEvT1_: ; @_ZN7rocprim17ROCPRIM_400000_NS6detail17trampoline_kernelINS0_14default_configENS1_25transform_config_selectorIdLb0EEEZNS1_14transform_implILb0ES3_S5_NS0_18transform_iteratorINS0_17counting_iteratorImlEEZNS1_24adjacent_difference_implIS3_Lb1ELb0EPdSB_N6thrust23THRUST_200600_302600_NS4plusIdEEEE10hipError_tPvRmT2_T3_mT4_P12ihipStream_tbEUlmE_dEESB_NS0_8identityIvEEEESG_SJ_SK_mSL_SN_bEUlT_E_NS1_11comp_targetILNS1_3genE0ELNS1_11target_archE4294967295ELNS1_3gpuE0ELNS1_3repE0EEENS1_30default_config_static_selectorELNS0_4arch9wavefront6targetE1EEEvT1_
; %bb.0:
	.section	.rodata,"a",@progbits
	.p2align	6, 0x0
	.amdhsa_kernel _ZN7rocprim17ROCPRIM_400000_NS6detail17trampoline_kernelINS0_14default_configENS1_25transform_config_selectorIdLb0EEEZNS1_14transform_implILb0ES3_S5_NS0_18transform_iteratorINS0_17counting_iteratorImlEEZNS1_24adjacent_difference_implIS3_Lb1ELb0EPdSB_N6thrust23THRUST_200600_302600_NS4plusIdEEEE10hipError_tPvRmT2_T3_mT4_P12ihipStream_tbEUlmE_dEESB_NS0_8identityIvEEEESG_SJ_SK_mSL_SN_bEUlT_E_NS1_11comp_targetILNS1_3genE0ELNS1_11target_archE4294967295ELNS1_3gpuE0ELNS1_3repE0EEENS1_30default_config_static_selectorELNS0_4arch9wavefront6targetE1EEEvT1_
		.amdhsa_group_segment_fixed_size 0
		.amdhsa_private_segment_fixed_size 0
		.amdhsa_kernarg_size 56
		.amdhsa_user_sgpr_count 6
		.amdhsa_user_sgpr_private_segment_buffer 1
		.amdhsa_user_sgpr_dispatch_ptr 0
		.amdhsa_user_sgpr_queue_ptr 0
		.amdhsa_user_sgpr_kernarg_segment_ptr 1
		.amdhsa_user_sgpr_dispatch_id 0
		.amdhsa_user_sgpr_flat_scratch_init 0
		.amdhsa_user_sgpr_private_segment_size 0
		.amdhsa_uses_dynamic_stack 0
		.amdhsa_system_sgpr_private_segment_wavefront_offset 0
		.amdhsa_system_sgpr_workgroup_id_x 1
		.amdhsa_system_sgpr_workgroup_id_y 0
		.amdhsa_system_sgpr_workgroup_id_z 0
		.amdhsa_system_sgpr_workgroup_info 0
		.amdhsa_system_vgpr_workitem_id 0
		.amdhsa_next_free_vgpr 1
		.amdhsa_next_free_sgpr 0
		.amdhsa_reserve_vcc 0
		.amdhsa_reserve_flat_scratch 0
		.amdhsa_float_round_mode_32 0
		.amdhsa_float_round_mode_16_64 0
		.amdhsa_float_denorm_mode_32 3
		.amdhsa_float_denorm_mode_16_64 3
		.amdhsa_dx10_clamp 1
		.amdhsa_ieee_mode 1
		.amdhsa_fp16_overflow 0
		.amdhsa_exception_fp_ieee_invalid_op 0
		.amdhsa_exception_fp_denorm_src 0
		.amdhsa_exception_fp_ieee_div_zero 0
		.amdhsa_exception_fp_ieee_overflow 0
		.amdhsa_exception_fp_ieee_underflow 0
		.amdhsa_exception_fp_ieee_inexact 0
		.amdhsa_exception_int_div_zero 0
	.end_amdhsa_kernel
	.section	.text._ZN7rocprim17ROCPRIM_400000_NS6detail17trampoline_kernelINS0_14default_configENS1_25transform_config_selectorIdLb0EEEZNS1_14transform_implILb0ES3_S5_NS0_18transform_iteratorINS0_17counting_iteratorImlEEZNS1_24adjacent_difference_implIS3_Lb1ELb0EPdSB_N6thrust23THRUST_200600_302600_NS4plusIdEEEE10hipError_tPvRmT2_T3_mT4_P12ihipStream_tbEUlmE_dEESB_NS0_8identityIvEEEESG_SJ_SK_mSL_SN_bEUlT_E_NS1_11comp_targetILNS1_3genE0ELNS1_11target_archE4294967295ELNS1_3gpuE0ELNS1_3repE0EEENS1_30default_config_static_selectorELNS0_4arch9wavefront6targetE1EEEvT1_,"axG",@progbits,_ZN7rocprim17ROCPRIM_400000_NS6detail17trampoline_kernelINS0_14default_configENS1_25transform_config_selectorIdLb0EEEZNS1_14transform_implILb0ES3_S5_NS0_18transform_iteratorINS0_17counting_iteratorImlEEZNS1_24adjacent_difference_implIS3_Lb1ELb0EPdSB_N6thrust23THRUST_200600_302600_NS4plusIdEEEE10hipError_tPvRmT2_T3_mT4_P12ihipStream_tbEUlmE_dEESB_NS0_8identityIvEEEESG_SJ_SK_mSL_SN_bEUlT_E_NS1_11comp_targetILNS1_3genE0ELNS1_11target_archE4294967295ELNS1_3gpuE0ELNS1_3repE0EEENS1_30default_config_static_selectorELNS0_4arch9wavefront6targetE1EEEvT1_,comdat
.Lfunc_end35:
	.size	_ZN7rocprim17ROCPRIM_400000_NS6detail17trampoline_kernelINS0_14default_configENS1_25transform_config_selectorIdLb0EEEZNS1_14transform_implILb0ES3_S5_NS0_18transform_iteratorINS0_17counting_iteratorImlEEZNS1_24adjacent_difference_implIS3_Lb1ELb0EPdSB_N6thrust23THRUST_200600_302600_NS4plusIdEEEE10hipError_tPvRmT2_T3_mT4_P12ihipStream_tbEUlmE_dEESB_NS0_8identityIvEEEESG_SJ_SK_mSL_SN_bEUlT_E_NS1_11comp_targetILNS1_3genE0ELNS1_11target_archE4294967295ELNS1_3gpuE0ELNS1_3repE0EEENS1_30default_config_static_selectorELNS0_4arch9wavefront6targetE1EEEvT1_, .Lfunc_end35-_ZN7rocprim17ROCPRIM_400000_NS6detail17trampoline_kernelINS0_14default_configENS1_25transform_config_selectorIdLb0EEEZNS1_14transform_implILb0ES3_S5_NS0_18transform_iteratorINS0_17counting_iteratorImlEEZNS1_24adjacent_difference_implIS3_Lb1ELb0EPdSB_N6thrust23THRUST_200600_302600_NS4plusIdEEEE10hipError_tPvRmT2_T3_mT4_P12ihipStream_tbEUlmE_dEESB_NS0_8identityIvEEEESG_SJ_SK_mSL_SN_bEUlT_E_NS1_11comp_targetILNS1_3genE0ELNS1_11target_archE4294967295ELNS1_3gpuE0ELNS1_3repE0EEENS1_30default_config_static_selectorELNS0_4arch9wavefront6targetE1EEEvT1_
                                        ; -- End function
	.set _ZN7rocprim17ROCPRIM_400000_NS6detail17trampoline_kernelINS0_14default_configENS1_25transform_config_selectorIdLb0EEEZNS1_14transform_implILb0ES3_S5_NS0_18transform_iteratorINS0_17counting_iteratorImlEEZNS1_24adjacent_difference_implIS3_Lb1ELb0EPdSB_N6thrust23THRUST_200600_302600_NS4plusIdEEEE10hipError_tPvRmT2_T3_mT4_P12ihipStream_tbEUlmE_dEESB_NS0_8identityIvEEEESG_SJ_SK_mSL_SN_bEUlT_E_NS1_11comp_targetILNS1_3genE0ELNS1_11target_archE4294967295ELNS1_3gpuE0ELNS1_3repE0EEENS1_30default_config_static_selectorELNS0_4arch9wavefront6targetE1EEEvT1_.num_vgpr, 0
	.set _ZN7rocprim17ROCPRIM_400000_NS6detail17trampoline_kernelINS0_14default_configENS1_25transform_config_selectorIdLb0EEEZNS1_14transform_implILb0ES3_S5_NS0_18transform_iteratorINS0_17counting_iteratorImlEEZNS1_24adjacent_difference_implIS3_Lb1ELb0EPdSB_N6thrust23THRUST_200600_302600_NS4plusIdEEEE10hipError_tPvRmT2_T3_mT4_P12ihipStream_tbEUlmE_dEESB_NS0_8identityIvEEEESG_SJ_SK_mSL_SN_bEUlT_E_NS1_11comp_targetILNS1_3genE0ELNS1_11target_archE4294967295ELNS1_3gpuE0ELNS1_3repE0EEENS1_30default_config_static_selectorELNS0_4arch9wavefront6targetE1EEEvT1_.num_agpr, 0
	.set _ZN7rocprim17ROCPRIM_400000_NS6detail17trampoline_kernelINS0_14default_configENS1_25transform_config_selectorIdLb0EEEZNS1_14transform_implILb0ES3_S5_NS0_18transform_iteratorINS0_17counting_iteratorImlEEZNS1_24adjacent_difference_implIS3_Lb1ELb0EPdSB_N6thrust23THRUST_200600_302600_NS4plusIdEEEE10hipError_tPvRmT2_T3_mT4_P12ihipStream_tbEUlmE_dEESB_NS0_8identityIvEEEESG_SJ_SK_mSL_SN_bEUlT_E_NS1_11comp_targetILNS1_3genE0ELNS1_11target_archE4294967295ELNS1_3gpuE0ELNS1_3repE0EEENS1_30default_config_static_selectorELNS0_4arch9wavefront6targetE1EEEvT1_.numbered_sgpr, 0
	.set _ZN7rocprim17ROCPRIM_400000_NS6detail17trampoline_kernelINS0_14default_configENS1_25transform_config_selectorIdLb0EEEZNS1_14transform_implILb0ES3_S5_NS0_18transform_iteratorINS0_17counting_iteratorImlEEZNS1_24adjacent_difference_implIS3_Lb1ELb0EPdSB_N6thrust23THRUST_200600_302600_NS4plusIdEEEE10hipError_tPvRmT2_T3_mT4_P12ihipStream_tbEUlmE_dEESB_NS0_8identityIvEEEESG_SJ_SK_mSL_SN_bEUlT_E_NS1_11comp_targetILNS1_3genE0ELNS1_11target_archE4294967295ELNS1_3gpuE0ELNS1_3repE0EEENS1_30default_config_static_selectorELNS0_4arch9wavefront6targetE1EEEvT1_.num_named_barrier, 0
	.set _ZN7rocprim17ROCPRIM_400000_NS6detail17trampoline_kernelINS0_14default_configENS1_25transform_config_selectorIdLb0EEEZNS1_14transform_implILb0ES3_S5_NS0_18transform_iteratorINS0_17counting_iteratorImlEEZNS1_24adjacent_difference_implIS3_Lb1ELb0EPdSB_N6thrust23THRUST_200600_302600_NS4plusIdEEEE10hipError_tPvRmT2_T3_mT4_P12ihipStream_tbEUlmE_dEESB_NS0_8identityIvEEEESG_SJ_SK_mSL_SN_bEUlT_E_NS1_11comp_targetILNS1_3genE0ELNS1_11target_archE4294967295ELNS1_3gpuE0ELNS1_3repE0EEENS1_30default_config_static_selectorELNS0_4arch9wavefront6targetE1EEEvT1_.private_seg_size, 0
	.set _ZN7rocprim17ROCPRIM_400000_NS6detail17trampoline_kernelINS0_14default_configENS1_25transform_config_selectorIdLb0EEEZNS1_14transform_implILb0ES3_S5_NS0_18transform_iteratorINS0_17counting_iteratorImlEEZNS1_24adjacent_difference_implIS3_Lb1ELb0EPdSB_N6thrust23THRUST_200600_302600_NS4plusIdEEEE10hipError_tPvRmT2_T3_mT4_P12ihipStream_tbEUlmE_dEESB_NS0_8identityIvEEEESG_SJ_SK_mSL_SN_bEUlT_E_NS1_11comp_targetILNS1_3genE0ELNS1_11target_archE4294967295ELNS1_3gpuE0ELNS1_3repE0EEENS1_30default_config_static_selectorELNS0_4arch9wavefront6targetE1EEEvT1_.uses_vcc, 0
	.set _ZN7rocprim17ROCPRIM_400000_NS6detail17trampoline_kernelINS0_14default_configENS1_25transform_config_selectorIdLb0EEEZNS1_14transform_implILb0ES3_S5_NS0_18transform_iteratorINS0_17counting_iteratorImlEEZNS1_24adjacent_difference_implIS3_Lb1ELb0EPdSB_N6thrust23THRUST_200600_302600_NS4plusIdEEEE10hipError_tPvRmT2_T3_mT4_P12ihipStream_tbEUlmE_dEESB_NS0_8identityIvEEEESG_SJ_SK_mSL_SN_bEUlT_E_NS1_11comp_targetILNS1_3genE0ELNS1_11target_archE4294967295ELNS1_3gpuE0ELNS1_3repE0EEENS1_30default_config_static_selectorELNS0_4arch9wavefront6targetE1EEEvT1_.uses_flat_scratch, 0
	.set _ZN7rocprim17ROCPRIM_400000_NS6detail17trampoline_kernelINS0_14default_configENS1_25transform_config_selectorIdLb0EEEZNS1_14transform_implILb0ES3_S5_NS0_18transform_iteratorINS0_17counting_iteratorImlEEZNS1_24adjacent_difference_implIS3_Lb1ELb0EPdSB_N6thrust23THRUST_200600_302600_NS4plusIdEEEE10hipError_tPvRmT2_T3_mT4_P12ihipStream_tbEUlmE_dEESB_NS0_8identityIvEEEESG_SJ_SK_mSL_SN_bEUlT_E_NS1_11comp_targetILNS1_3genE0ELNS1_11target_archE4294967295ELNS1_3gpuE0ELNS1_3repE0EEENS1_30default_config_static_selectorELNS0_4arch9wavefront6targetE1EEEvT1_.has_dyn_sized_stack, 0
	.set _ZN7rocprim17ROCPRIM_400000_NS6detail17trampoline_kernelINS0_14default_configENS1_25transform_config_selectorIdLb0EEEZNS1_14transform_implILb0ES3_S5_NS0_18transform_iteratorINS0_17counting_iteratorImlEEZNS1_24adjacent_difference_implIS3_Lb1ELb0EPdSB_N6thrust23THRUST_200600_302600_NS4plusIdEEEE10hipError_tPvRmT2_T3_mT4_P12ihipStream_tbEUlmE_dEESB_NS0_8identityIvEEEESG_SJ_SK_mSL_SN_bEUlT_E_NS1_11comp_targetILNS1_3genE0ELNS1_11target_archE4294967295ELNS1_3gpuE0ELNS1_3repE0EEENS1_30default_config_static_selectorELNS0_4arch9wavefront6targetE1EEEvT1_.has_recursion, 0
	.set _ZN7rocprim17ROCPRIM_400000_NS6detail17trampoline_kernelINS0_14default_configENS1_25transform_config_selectorIdLb0EEEZNS1_14transform_implILb0ES3_S5_NS0_18transform_iteratorINS0_17counting_iteratorImlEEZNS1_24adjacent_difference_implIS3_Lb1ELb0EPdSB_N6thrust23THRUST_200600_302600_NS4plusIdEEEE10hipError_tPvRmT2_T3_mT4_P12ihipStream_tbEUlmE_dEESB_NS0_8identityIvEEEESG_SJ_SK_mSL_SN_bEUlT_E_NS1_11comp_targetILNS1_3genE0ELNS1_11target_archE4294967295ELNS1_3gpuE0ELNS1_3repE0EEENS1_30default_config_static_selectorELNS0_4arch9wavefront6targetE1EEEvT1_.has_indirect_call, 0
	.section	.AMDGPU.csdata,"",@progbits
; Kernel info:
; codeLenInByte = 0
; TotalNumSgprs: 4
; NumVgprs: 0
; ScratchSize: 0
; MemoryBound: 0
; FloatMode: 240
; IeeeMode: 1
; LDSByteSize: 0 bytes/workgroup (compile time only)
; SGPRBlocks: 0
; VGPRBlocks: 0
; NumSGPRsForWavesPerEU: 4
; NumVGPRsForWavesPerEU: 1
; Occupancy: 10
; WaveLimiterHint : 0
; COMPUTE_PGM_RSRC2:SCRATCH_EN: 0
; COMPUTE_PGM_RSRC2:USER_SGPR: 6
; COMPUTE_PGM_RSRC2:TRAP_HANDLER: 0
; COMPUTE_PGM_RSRC2:TGID_X_EN: 1
; COMPUTE_PGM_RSRC2:TGID_Y_EN: 0
; COMPUTE_PGM_RSRC2:TGID_Z_EN: 0
; COMPUTE_PGM_RSRC2:TIDIG_COMP_CNT: 0
	.section	.text._ZN7rocprim17ROCPRIM_400000_NS6detail17trampoline_kernelINS0_14default_configENS1_25transform_config_selectorIdLb0EEEZNS1_14transform_implILb0ES3_S5_NS0_18transform_iteratorINS0_17counting_iteratorImlEEZNS1_24adjacent_difference_implIS3_Lb1ELb0EPdSB_N6thrust23THRUST_200600_302600_NS4plusIdEEEE10hipError_tPvRmT2_T3_mT4_P12ihipStream_tbEUlmE_dEESB_NS0_8identityIvEEEESG_SJ_SK_mSL_SN_bEUlT_E_NS1_11comp_targetILNS1_3genE5ELNS1_11target_archE942ELNS1_3gpuE9ELNS1_3repE0EEENS1_30default_config_static_selectorELNS0_4arch9wavefront6targetE1EEEvT1_,"axG",@progbits,_ZN7rocprim17ROCPRIM_400000_NS6detail17trampoline_kernelINS0_14default_configENS1_25transform_config_selectorIdLb0EEEZNS1_14transform_implILb0ES3_S5_NS0_18transform_iteratorINS0_17counting_iteratorImlEEZNS1_24adjacent_difference_implIS3_Lb1ELb0EPdSB_N6thrust23THRUST_200600_302600_NS4plusIdEEEE10hipError_tPvRmT2_T3_mT4_P12ihipStream_tbEUlmE_dEESB_NS0_8identityIvEEEESG_SJ_SK_mSL_SN_bEUlT_E_NS1_11comp_targetILNS1_3genE5ELNS1_11target_archE942ELNS1_3gpuE9ELNS1_3repE0EEENS1_30default_config_static_selectorELNS0_4arch9wavefront6targetE1EEEvT1_,comdat
	.protected	_ZN7rocprim17ROCPRIM_400000_NS6detail17trampoline_kernelINS0_14default_configENS1_25transform_config_selectorIdLb0EEEZNS1_14transform_implILb0ES3_S5_NS0_18transform_iteratorINS0_17counting_iteratorImlEEZNS1_24adjacent_difference_implIS3_Lb1ELb0EPdSB_N6thrust23THRUST_200600_302600_NS4plusIdEEEE10hipError_tPvRmT2_T3_mT4_P12ihipStream_tbEUlmE_dEESB_NS0_8identityIvEEEESG_SJ_SK_mSL_SN_bEUlT_E_NS1_11comp_targetILNS1_3genE5ELNS1_11target_archE942ELNS1_3gpuE9ELNS1_3repE0EEENS1_30default_config_static_selectorELNS0_4arch9wavefront6targetE1EEEvT1_ ; -- Begin function _ZN7rocprim17ROCPRIM_400000_NS6detail17trampoline_kernelINS0_14default_configENS1_25transform_config_selectorIdLb0EEEZNS1_14transform_implILb0ES3_S5_NS0_18transform_iteratorINS0_17counting_iteratorImlEEZNS1_24adjacent_difference_implIS3_Lb1ELb0EPdSB_N6thrust23THRUST_200600_302600_NS4plusIdEEEE10hipError_tPvRmT2_T3_mT4_P12ihipStream_tbEUlmE_dEESB_NS0_8identityIvEEEESG_SJ_SK_mSL_SN_bEUlT_E_NS1_11comp_targetILNS1_3genE5ELNS1_11target_archE942ELNS1_3gpuE9ELNS1_3repE0EEENS1_30default_config_static_selectorELNS0_4arch9wavefront6targetE1EEEvT1_
	.globl	_ZN7rocprim17ROCPRIM_400000_NS6detail17trampoline_kernelINS0_14default_configENS1_25transform_config_selectorIdLb0EEEZNS1_14transform_implILb0ES3_S5_NS0_18transform_iteratorINS0_17counting_iteratorImlEEZNS1_24adjacent_difference_implIS3_Lb1ELb0EPdSB_N6thrust23THRUST_200600_302600_NS4plusIdEEEE10hipError_tPvRmT2_T3_mT4_P12ihipStream_tbEUlmE_dEESB_NS0_8identityIvEEEESG_SJ_SK_mSL_SN_bEUlT_E_NS1_11comp_targetILNS1_3genE5ELNS1_11target_archE942ELNS1_3gpuE9ELNS1_3repE0EEENS1_30default_config_static_selectorELNS0_4arch9wavefront6targetE1EEEvT1_
	.p2align	8
	.type	_ZN7rocprim17ROCPRIM_400000_NS6detail17trampoline_kernelINS0_14default_configENS1_25transform_config_selectorIdLb0EEEZNS1_14transform_implILb0ES3_S5_NS0_18transform_iteratorINS0_17counting_iteratorImlEEZNS1_24adjacent_difference_implIS3_Lb1ELb0EPdSB_N6thrust23THRUST_200600_302600_NS4plusIdEEEE10hipError_tPvRmT2_T3_mT4_P12ihipStream_tbEUlmE_dEESB_NS0_8identityIvEEEESG_SJ_SK_mSL_SN_bEUlT_E_NS1_11comp_targetILNS1_3genE5ELNS1_11target_archE942ELNS1_3gpuE9ELNS1_3repE0EEENS1_30default_config_static_selectorELNS0_4arch9wavefront6targetE1EEEvT1_,@function
_ZN7rocprim17ROCPRIM_400000_NS6detail17trampoline_kernelINS0_14default_configENS1_25transform_config_selectorIdLb0EEEZNS1_14transform_implILb0ES3_S5_NS0_18transform_iteratorINS0_17counting_iteratorImlEEZNS1_24adjacent_difference_implIS3_Lb1ELb0EPdSB_N6thrust23THRUST_200600_302600_NS4plusIdEEEE10hipError_tPvRmT2_T3_mT4_P12ihipStream_tbEUlmE_dEESB_NS0_8identityIvEEEESG_SJ_SK_mSL_SN_bEUlT_E_NS1_11comp_targetILNS1_3genE5ELNS1_11target_archE942ELNS1_3gpuE9ELNS1_3repE0EEENS1_30default_config_static_selectorELNS0_4arch9wavefront6targetE1EEEvT1_: ; @_ZN7rocprim17ROCPRIM_400000_NS6detail17trampoline_kernelINS0_14default_configENS1_25transform_config_selectorIdLb0EEEZNS1_14transform_implILb0ES3_S5_NS0_18transform_iteratorINS0_17counting_iteratorImlEEZNS1_24adjacent_difference_implIS3_Lb1ELb0EPdSB_N6thrust23THRUST_200600_302600_NS4plusIdEEEE10hipError_tPvRmT2_T3_mT4_P12ihipStream_tbEUlmE_dEESB_NS0_8identityIvEEEESG_SJ_SK_mSL_SN_bEUlT_E_NS1_11comp_targetILNS1_3genE5ELNS1_11target_archE942ELNS1_3gpuE9ELNS1_3repE0EEENS1_30default_config_static_selectorELNS0_4arch9wavefront6targetE1EEEvT1_
; %bb.0:
	.section	.rodata,"a",@progbits
	.p2align	6, 0x0
	.amdhsa_kernel _ZN7rocprim17ROCPRIM_400000_NS6detail17trampoline_kernelINS0_14default_configENS1_25transform_config_selectorIdLb0EEEZNS1_14transform_implILb0ES3_S5_NS0_18transform_iteratorINS0_17counting_iteratorImlEEZNS1_24adjacent_difference_implIS3_Lb1ELb0EPdSB_N6thrust23THRUST_200600_302600_NS4plusIdEEEE10hipError_tPvRmT2_T3_mT4_P12ihipStream_tbEUlmE_dEESB_NS0_8identityIvEEEESG_SJ_SK_mSL_SN_bEUlT_E_NS1_11comp_targetILNS1_3genE5ELNS1_11target_archE942ELNS1_3gpuE9ELNS1_3repE0EEENS1_30default_config_static_selectorELNS0_4arch9wavefront6targetE1EEEvT1_
		.amdhsa_group_segment_fixed_size 0
		.amdhsa_private_segment_fixed_size 0
		.amdhsa_kernarg_size 56
		.amdhsa_user_sgpr_count 6
		.amdhsa_user_sgpr_private_segment_buffer 1
		.amdhsa_user_sgpr_dispatch_ptr 0
		.amdhsa_user_sgpr_queue_ptr 0
		.amdhsa_user_sgpr_kernarg_segment_ptr 1
		.amdhsa_user_sgpr_dispatch_id 0
		.amdhsa_user_sgpr_flat_scratch_init 0
		.amdhsa_user_sgpr_private_segment_size 0
		.amdhsa_uses_dynamic_stack 0
		.amdhsa_system_sgpr_private_segment_wavefront_offset 0
		.amdhsa_system_sgpr_workgroup_id_x 1
		.amdhsa_system_sgpr_workgroup_id_y 0
		.amdhsa_system_sgpr_workgroup_id_z 0
		.amdhsa_system_sgpr_workgroup_info 0
		.amdhsa_system_vgpr_workitem_id 0
		.amdhsa_next_free_vgpr 1
		.amdhsa_next_free_sgpr 0
		.amdhsa_reserve_vcc 0
		.amdhsa_reserve_flat_scratch 0
		.amdhsa_float_round_mode_32 0
		.amdhsa_float_round_mode_16_64 0
		.amdhsa_float_denorm_mode_32 3
		.amdhsa_float_denorm_mode_16_64 3
		.amdhsa_dx10_clamp 1
		.amdhsa_ieee_mode 1
		.amdhsa_fp16_overflow 0
		.amdhsa_exception_fp_ieee_invalid_op 0
		.amdhsa_exception_fp_denorm_src 0
		.amdhsa_exception_fp_ieee_div_zero 0
		.amdhsa_exception_fp_ieee_overflow 0
		.amdhsa_exception_fp_ieee_underflow 0
		.amdhsa_exception_fp_ieee_inexact 0
		.amdhsa_exception_int_div_zero 0
	.end_amdhsa_kernel
	.section	.text._ZN7rocprim17ROCPRIM_400000_NS6detail17trampoline_kernelINS0_14default_configENS1_25transform_config_selectorIdLb0EEEZNS1_14transform_implILb0ES3_S5_NS0_18transform_iteratorINS0_17counting_iteratorImlEEZNS1_24adjacent_difference_implIS3_Lb1ELb0EPdSB_N6thrust23THRUST_200600_302600_NS4plusIdEEEE10hipError_tPvRmT2_T3_mT4_P12ihipStream_tbEUlmE_dEESB_NS0_8identityIvEEEESG_SJ_SK_mSL_SN_bEUlT_E_NS1_11comp_targetILNS1_3genE5ELNS1_11target_archE942ELNS1_3gpuE9ELNS1_3repE0EEENS1_30default_config_static_selectorELNS0_4arch9wavefront6targetE1EEEvT1_,"axG",@progbits,_ZN7rocprim17ROCPRIM_400000_NS6detail17trampoline_kernelINS0_14default_configENS1_25transform_config_selectorIdLb0EEEZNS1_14transform_implILb0ES3_S5_NS0_18transform_iteratorINS0_17counting_iteratorImlEEZNS1_24adjacent_difference_implIS3_Lb1ELb0EPdSB_N6thrust23THRUST_200600_302600_NS4plusIdEEEE10hipError_tPvRmT2_T3_mT4_P12ihipStream_tbEUlmE_dEESB_NS0_8identityIvEEEESG_SJ_SK_mSL_SN_bEUlT_E_NS1_11comp_targetILNS1_3genE5ELNS1_11target_archE942ELNS1_3gpuE9ELNS1_3repE0EEENS1_30default_config_static_selectorELNS0_4arch9wavefront6targetE1EEEvT1_,comdat
.Lfunc_end36:
	.size	_ZN7rocprim17ROCPRIM_400000_NS6detail17trampoline_kernelINS0_14default_configENS1_25transform_config_selectorIdLb0EEEZNS1_14transform_implILb0ES3_S5_NS0_18transform_iteratorINS0_17counting_iteratorImlEEZNS1_24adjacent_difference_implIS3_Lb1ELb0EPdSB_N6thrust23THRUST_200600_302600_NS4plusIdEEEE10hipError_tPvRmT2_T3_mT4_P12ihipStream_tbEUlmE_dEESB_NS0_8identityIvEEEESG_SJ_SK_mSL_SN_bEUlT_E_NS1_11comp_targetILNS1_3genE5ELNS1_11target_archE942ELNS1_3gpuE9ELNS1_3repE0EEENS1_30default_config_static_selectorELNS0_4arch9wavefront6targetE1EEEvT1_, .Lfunc_end36-_ZN7rocprim17ROCPRIM_400000_NS6detail17trampoline_kernelINS0_14default_configENS1_25transform_config_selectorIdLb0EEEZNS1_14transform_implILb0ES3_S5_NS0_18transform_iteratorINS0_17counting_iteratorImlEEZNS1_24adjacent_difference_implIS3_Lb1ELb0EPdSB_N6thrust23THRUST_200600_302600_NS4plusIdEEEE10hipError_tPvRmT2_T3_mT4_P12ihipStream_tbEUlmE_dEESB_NS0_8identityIvEEEESG_SJ_SK_mSL_SN_bEUlT_E_NS1_11comp_targetILNS1_3genE5ELNS1_11target_archE942ELNS1_3gpuE9ELNS1_3repE0EEENS1_30default_config_static_selectorELNS0_4arch9wavefront6targetE1EEEvT1_
                                        ; -- End function
	.set _ZN7rocprim17ROCPRIM_400000_NS6detail17trampoline_kernelINS0_14default_configENS1_25transform_config_selectorIdLb0EEEZNS1_14transform_implILb0ES3_S5_NS0_18transform_iteratorINS0_17counting_iteratorImlEEZNS1_24adjacent_difference_implIS3_Lb1ELb0EPdSB_N6thrust23THRUST_200600_302600_NS4plusIdEEEE10hipError_tPvRmT2_T3_mT4_P12ihipStream_tbEUlmE_dEESB_NS0_8identityIvEEEESG_SJ_SK_mSL_SN_bEUlT_E_NS1_11comp_targetILNS1_3genE5ELNS1_11target_archE942ELNS1_3gpuE9ELNS1_3repE0EEENS1_30default_config_static_selectorELNS0_4arch9wavefront6targetE1EEEvT1_.num_vgpr, 0
	.set _ZN7rocprim17ROCPRIM_400000_NS6detail17trampoline_kernelINS0_14default_configENS1_25transform_config_selectorIdLb0EEEZNS1_14transform_implILb0ES3_S5_NS0_18transform_iteratorINS0_17counting_iteratorImlEEZNS1_24adjacent_difference_implIS3_Lb1ELb0EPdSB_N6thrust23THRUST_200600_302600_NS4plusIdEEEE10hipError_tPvRmT2_T3_mT4_P12ihipStream_tbEUlmE_dEESB_NS0_8identityIvEEEESG_SJ_SK_mSL_SN_bEUlT_E_NS1_11comp_targetILNS1_3genE5ELNS1_11target_archE942ELNS1_3gpuE9ELNS1_3repE0EEENS1_30default_config_static_selectorELNS0_4arch9wavefront6targetE1EEEvT1_.num_agpr, 0
	.set _ZN7rocprim17ROCPRIM_400000_NS6detail17trampoline_kernelINS0_14default_configENS1_25transform_config_selectorIdLb0EEEZNS1_14transform_implILb0ES3_S5_NS0_18transform_iteratorINS0_17counting_iteratorImlEEZNS1_24adjacent_difference_implIS3_Lb1ELb0EPdSB_N6thrust23THRUST_200600_302600_NS4plusIdEEEE10hipError_tPvRmT2_T3_mT4_P12ihipStream_tbEUlmE_dEESB_NS0_8identityIvEEEESG_SJ_SK_mSL_SN_bEUlT_E_NS1_11comp_targetILNS1_3genE5ELNS1_11target_archE942ELNS1_3gpuE9ELNS1_3repE0EEENS1_30default_config_static_selectorELNS0_4arch9wavefront6targetE1EEEvT1_.numbered_sgpr, 0
	.set _ZN7rocprim17ROCPRIM_400000_NS6detail17trampoline_kernelINS0_14default_configENS1_25transform_config_selectorIdLb0EEEZNS1_14transform_implILb0ES3_S5_NS0_18transform_iteratorINS0_17counting_iteratorImlEEZNS1_24adjacent_difference_implIS3_Lb1ELb0EPdSB_N6thrust23THRUST_200600_302600_NS4plusIdEEEE10hipError_tPvRmT2_T3_mT4_P12ihipStream_tbEUlmE_dEESB_NS0_8identityIvEEEESG_SJ_SK_mSL_SN_bEUlT_E_NS1_11comp_targetILNS1_3genE5ELNS1_11target_archE942ELNS1_3gpuE9ELNS1_3repE0EEENS1_30default_config_static_selectorELNS0_4arch9wavefront6targetE1EEEvT1_.num_named_barrier, 0
	.set _ZN7rocprim17ROCPRIM_400000_NS6detail17trampoline_kernelINS0_14default_configENS1_25transform_config_selectorIdLb0EEEZNS1_14transform_implILb0ES3_S5_NS0_18transform_iteratorINS0_17counting_iteratorImlEEZNS1_24adjacent_difference_implIS3_Lb1ELb0EPdSB_N6thrust23THRUST_200600_302600_NS4plusIdEEEE10hipError_tPvRmT2_T3_mT4_P12ihipStream_tbEUlmE_dEESB_NS0_8identityIvEEEESG_SJ_SK_mSL_SN_bEUlT_E_NS1_11comp_targetILNS1_3genE5ELNS1_11target_archE942ELNS1_3gpuE9ELNS1_3repE0EEENS1_30default_config_static_selectorELNS0_4arch9wavefront6targetE1EEEvT1_.private_seg_size, 0
	.set _ZN7rocprim17ROCPRIM_400000_NS6detail17trampoline_kernelINS0_14default_configENS1_25transform_config_selectorIdLb0EEEZNS1_14transform_implILb0ES3_S5_NS0_18transform_iteratorINS0_17counting_iteratorImlEEZNS1_24adjacent_difference_implIS3_Lb1ELb0EPdSB_N6thrust23THRUST_200600_302600_NS4plusIdEEEE10hipError_tPvRmT2_T3_mT4_P12ihipStream_tbEUlmE_dEESB_NS0_8identityIvEEEESG_SJ_SK_mSL_SN_bEUlT_E_NS1_11comp_targetILNS1_3genE5ELNS1_11target_archE942ELNS1_3gpuE9ELNS1_3repE0EEENS1_30default_config_static_selectorELNS0_4arch9wavefront6targetE1EEEvT1_.uses_vcc, 0
	.set _ZN7rocprim17ROCPRIM_400000_NS6detail17trampoline_kernelINS0_14default_configENS1_25transform_config_selectorIdLb0EEEZNS1_14transform_implILb0ES3_S5_NS0_18transform_iteratorINS0_17counting_iteratorImlEEZNS1_24adjacent_difference_implIS3_Lb1ELb0EPdSB_N6thrust23THRUST_200600_302600_NS4plusIdEEEE10hipError_tPvRmT2_T3_mT4_P12ihipStream_tbEUlmE_dEESB_NS0_8identityIvEEEESG_SJ_SK_mSL_SN_bEUlT_E_NS1_11comp_targetILNS1_3genE5ELNS1_11target_archE942ELNS1_3gpuE9ELNS1_3repE0EEENS1_30default_config_static_selectorELNS0_4arch9wavefront6targetE1EEEvT1_.uses_flat_scratch, 0
	.set _ZN7rocprim17ROCPRIM_400000_NS6detail17trampoline_kernelINS0_14default_configENS1_25transform_config_selectorIdLb0EEEZNS1_14transform_implILb0ES3_S5_NS0_18transform_iteratorINS0_17counting_iteratorImlEEZNS1_24adjacent_difference_implIS3_Lb1ELb0EPdSB_N6thrust23THRUST_200600_302600_NS4plusIdEEEE10hipError_tPvRmT2_T3_mT4_P12ihipStream_tbEUlmE_dEESB_NS0_8identityIvEEEESG_SJ_SK_mSL_SN_bEUlT_E_NS1_11comp_targetILNS1_3genE5ELNS1_11target_archE942ELNS1_3gpuE9ELNS1_3repE0EEENS1_30default_config_static_selectorELNS0_4arch9wavefront6targetE1EEEvT1_.has_dyn_sized_stack, 0
	.set _ZN7rocprim17ROCPRIM_400000_NS6detail17trampoline_kernelINS0_14default_configENS1_25transform_config_selectorIdLb0EEEZNS1_14transform_implILb0ES3_S5_NS0_18transform_iteratorINS0_17counting_iteratorImlEEZNS1_24adjacent_difference_implIS3_Lb1ELb0EPdSB_N6thrust23THRUST_200600_302600_NS4plusIdEEEE10hipError_tPvRmT2_T3_mT4_P12ihipStream_tbEUlmE_dEESB_NS0_8identityIvEEEESG_SJ_SK_mSL_SN_bEUlT_E_NS1_11comp_targetILNS1_3genE5ELNS1_11target_archE942ELNS1_3gpuE9ELNS1_3repE0EEENS1_30default_config_static_selectorELNS0_4arch9wavefront6targetE1EEEvT1_.has_recursion, 0
	.set _ZN7rocprim17ROCPRIM_400000_NS6detail17trampoline_kernelINS0_14default_configENS1_25transform_config_selectorIdLb0EEEZNS1_14transform_implILb0ES3_S5_NS0_18transform_iteratorINS0_17counting_iteratorImlEEZNS1_24adjacent_difference_implIS3_Lb1ELb0EPdSB_N6thrust23THRUST_200600_302600_NS4plusIdEEEE10hipError_tPvRmT2_T3_mT4_P12ihipStream_tbEUlmE_dEESB_NS0_8identityIvEEEESG_SJ_SK_mSL_SN_bEUlT_E_NS1_11comp_targetILNS1_3genE5ELNS1_11target_archE942ELNS1_3gpuE9ELNS1_3repE0EEENS1_30default_config_static_selectorELNS0_4arch9wavefront6targetE1EEEvT1_.has_indirect_call, 0
	.section	.AMDGPU.csdata,"",@progbits
; Kernel info:
; codeLenInByte = 0
; TotalNumSgprs: 4
; NumVgprs: 0
; ScratchSize: 0
; MemoryBound: 0
; FloatMode: 240
; IeeeMode: 1
; LDSByteSize: 0 bytes/workgroup (compile time only)
; SGPRBlocks: 0
; VGPRBlocks: 0
; NumSGPRsForWavesPerEU: 4
; NumVGPRsForWavesPerEU: 1
; Occupancy: 10
; WaveLimiterHint : 0
; COMPUTE_PGM_RSRC2:SCRATCH_EN: 0
; COMPUTE_PGM_RSRC2:USER_SGPR: 6
; COMPUTE_PGM_RSRC2:TRAP_HANDLER: 0
; COMPUTE_PGM_RSRC2:TGID_X_EN: 1
; COMPUTE_PGM_RSRC2:TGID_Y_EN: 0
; COMPUTE_PGM_RSRC2:TGID_Z_EN: 0
; COMPUTE_PGM_RSRC2:TIDIG_COMP_CNT: 0
	.section	.text._ZN7rocprim17ROCPRIM_400000_NS6detail17trampoline_kernelINS0_14default_configENS1_25transform_config_selectorIdLb0EEEZNS1_14transform_implILb0ES3_S5_NS0_18transform_iteratorINS0_17counting_iteratorImlEEZNS1_24adjacent_difference_implIS3_Lb1ELb0EPdSB_N6thrust23THRUST_200600_302600_NS4plusIdEEEE10hipError_tPvRmT2_T3_mT4_P12ihipStream_tbEUlmE_dEESB_NS0_8identityIvEEEESG_SJ_SK_mSL_SN_bEUlT_E_NS1_11comp_targetILNS1_3genE4ELNS1_11target_archE910ELNS1_3gpuE8ELNS1_3repE0EEENS1_30default_config_static_selectorELNS0_4arch9wavefront6targetE1EEEvT1_,"axG",@progbits,_ZN7rocprim17ROCPRIM_400000_NS6detail17trampoline_kernelINS0_14default_configENS1_25transform_config_selectorIdLb0EEEZNS1_14transform_implILb0ES3_S5_NS0_18transform_iteratorINS0_17counting_iteratorImlEEZNS1_24adjacent_difference_implIS3_Lb1ELb0EPdSB_N6thrust23THRUST_200600_302600_NS4plusIdEEEE10hipError_tPvRmT2_T3_mT4_P12ihipStream_tbEUlmE_dEESB_NS0_8identityIvEEEESG_SJ_SK_mSL_SN_bEUlT_E_NS1_11comp_targetILNS1_3genE4ELNS1_11target_archE910ELNS1_3gpuE8ELNS1_3repE0EEENS1_30default_config_static_selectorELNS0_4arch9wavefront6targetE1EEEvT1_,comdat
	.protected	_ZN7rocprim17ROCPRIM_400000_NS6detail17trampoline_kernelINS0_14default_configENS1_25transform_config_selectorIdLb0EEEZNS1_14transform_implILb0ES3_S5_NS0_18transform_iteratorINS0_17counting_iteratorImlEEZNS1_24adjacent_difference_implIS3_Lb1ELb0EPdSB_N6thrust23THRUST_200600_302600_NS4plusIdEEEE10hipError_tPvRmT2_T3_mT4_P12ihipStream_tbEUlmE_dEESB_NS0_8identityIvEEEESG_SJ_SK_mSL_SN_bEUlT_E_NS1_11comp_targetILNS1_3genE4ELNS1_11target_archE910ELNS1_3gpuE8ELNS1_3repE0EEENS1_30default_config_static_selectorELNS0_4arch9wavefront6targetE1EEEvT1_ ; -- Begin function _ZN7rocprim17ROCPRIM_400000_NS6detail17trampoline_kernelINS0_14default_configENS1_25transform_config_selectorIdLb0EEEZNS1_14transform_implILb0ES3_S5_NS0_18transform_iteratorINS0_17counting_iteratorImlEEZNS1_24adjacent_difference_implIS3_Lb1ELb0EPdSB_N6thrust23THRUST_200600_302600_NS4plusIdEEEE10hipError_tPvRmT2_T3_mT4_P12ihipStream_tbEUlmE_dEESB_NS0_8identityIvEEEESG_SJ_SK_mSL_SN_bEUlT_E_NS1_11comp_targetILNS1_3genE4ELNS1_11target_archE910ELNS1_3gpuE8ELNS1_3repE0EEENS1_30default_config_static_selectorELNS0_4arch9wavefront6targetE1EEEvT1_
	.globl	_ZN7rocprim17ROCPRIM_400000_NS6detail17trampoline_kernelINS0_14default_configENS1_25transform_config_selectorIdLb0EEEZNS1_14transform_implILb0ES3_S5_NS0_18transform_iteratorINS0_17counting_iteratorImlEEZNS1_24adjacent_difference_implIS3_Lb1ELb0EPdSB_N6thrust23THRUST_200600_302600_NS4plusIdEEEE10hipError_tPvRmT2_T3_mT4_P12ihipStream_tbEUlmE_dEESB_NS0_8identityIvEEEESG_SJ_SK_mSL_SN_bEUlT_E_NS1_11comp_targetILNS1_3genE4ELNS1_11target_archE910ELNS1_3gpuE8ELNS1_3repE0EEENS1_30default_config_static_selectorELNS0_4arch9wavefront6targetE1EEEvT1_
	.p2align	8
	.type	_ZN7rocprim17ROCPRIM_400000_NS6detail17trampoline_kernelINS0_14default_configENS1_25transform_config_selectorIdLb0EEEZNS1_14transform_implILb0ES3_S5_NS0_18transform_iteratorINS0_17counting_iteratorImlEEZNS1_24adjacent_difference_implIS3_Lb1ELb0EPdSB_N6thrust23THRUST_200600_302600_NS4plusIdEEEE10hipError_tPvRmT2_T3_mT4_P12ihipStream_tbEUlmE_dEESB_NS0_8identityIvEEEESG_SJ_SK_mSL_SN_bEUlT_E_NS1_11comp_targetILNS1_3genE4ELNS1_11target_archE910ELNS1_3gpuE8ELNS1_3repE0EEENS1_30default_config_static_selectorELNS0_4arch9wavefront6targetE1EEEvT1_,@function
_ZN7rocprim17ROCPRIM_400000_NS6detail17trampoline_kernelINS0_14default_configENS1_25transform_config_selectorIdLb0EEEZNS1_14transform_implILb0ES3_S5_NS0_18transform_iteratorINS0_17counting_iteratorImlEEZNS1_24adjacent_difference_implIS3_Lb1ELb0EPdSB_N6thrust23THRUST_200600_302600_NS4plusIdEEEE10hipError_tPvRmT2_T3_mT4_P12ihipStream_tbEUlmE_dEESB_NS0_8identityIvEEEESG_SJ_SK_mSL_SN_bEUlT_E_NS1_11comp_targetILNS1_3genE4ELNS1_11target_archE910ELNS1_3gpuE8ELNS1_3repE0EEENS1_30default_config_static_selectorELNS0_4arch9wavefront6targetE1EEEvT1_: ; @_ZN7rocprim17ROCPRIM_400000_NS6detail17trampoline_kernelINS0_14default_configENS1_25transform_config_selectorIdLb0EEEZNS1_14transform_implILb0ES3_S5_NS0_18transform_iteratorINS0_17counting_iteratorImlEEZNS1_24adjacent_difference_implIS3_Lb1ELb0EPdSB_N6thrust23THRUST_200600_302600_NS4plusIdEEEE10hipError_tPvRmT2_T3_mT4_P12ihipStream_tbEUlmE_dEESB_NS0_8identityIvEEEESG_SJ_SK_mSL_SN_bEUlT_E_NS1_11comp_targetILNS1_3genE4ELNS1_11target_archE910ELNS1_3gpuE8ELNS1_3repE0EEENS1_30default_config_static_selectorELNS0_4arch9wavefront6targetE1EEEvT1_
; %bb.0:
	.section	.rodata,"a",@progbits
	.p2align	6, 0x0
	.amdhsa_kernel _ZN7rocprim17ROCPRIM_400000_NS6detail17trampoline_kernelINS0_14default_configENS1_25transform_config_selectorIdLb0EEEZNS1_14transform_implILb0ES3_S5_NS0_18transform_iteratorINS0_17counting_iteratorImlEEZNS1_24adjacent_difference_implIS3_Lb1ELb0EPdSB_N6thrust23THRUST_200600_302600_NS4plusIdEEEE10hipError_tPvRmT2_T3_mT4_P12ihipStream_tbEUlmE_dEESB_NS0_8identityIvEEEESG_SJ_SK_mSL_SN_bEUlT_E_NS1_11comp_targetILNS1_3genE4ELNS1_11target_archE910ELNS1_3gpuE8ELNS1_3repE0EEENS1_30default_config_static_selectorELNS0_4arch9wavefront6targetE1EEEvT1_
		.amdhsa_group_segment_fixed_size 0
		.amdhsa_private_segment_fixed_size 0
		.amdhsa_kernarg_size 56
		.amdhsa_user_sgpr_count 6
		.amdhsa_user_sgpr_private_segment_buffer 1
		.amdhsa_user_sgpr_dispatch_ptr 0
		.amdhsa_user_sgpr_queue_ptr 0
		.amdhsa_user_sgpr_kernarg_segment_ptr 1
		.amdhsa_user_sgpr_dispatch_id 0
		.amdhsa_user_sgpr_flat_scratch_init 0
		.amdhsa_user_sgpr_private_segment_size 0
		.amdhsa_uses_dynamic_stack 0
		.amdhsa_system_sgpr_private_segment_wavefront_offset 0
		.amdhsa_system_sgpr_workgroup_id_x 1
		.amdhsa_system_sgpr_workgroup_id_y 0
		.amdhsa_system_sgpr_workgroup_id_z 0
		.amdhsa_system_sgpr_workgroup_info 0
		.amdhsa_system_vgpr_workitem_id 0
		.amdhsa_next_free_vgpr 1
		.amdhsa_next_free_sgpr 0
		.amdhsa_reserve_vcc 0
		.amdhsa_reserve_flat_scratch 0
		.amdhsa_float_round_mode_32 0
		.amdhsa_float_round_mode_16_64 0
		.amdhsa_float_denorm_mode_32 3
		.amdhsa_float_denorm_mode_16_64 3
		.amdhsa_dx10_clamp 1
		.amdhsa_ieee_mode 1
		.amdhsa_fp16_overflow 0
		.amdhsa_exception_fp_ieee_invalid_op 0
		.amdhsa_exception_fp_denorm_src 0
		.amdhsa_exception_fp_ieee_div_zero 0
		.amdhsa_exception_fp_ieee_overflow 0
		.amdhsa_exception_fp_ieee_underflow 0
		.amdhsa_exception_fp_ieee_inexact 0
		.amdhsa_exception_int_div_zero 0
	.end_amdhsa_kernel
	.section	.text._ZN7rocprim17ROCPRIM_400000_NS6detail17trampoline_kernelINS0_14default_configENS1_25transform_config_selectorIdLb0EEEZNS1_14transform_implILb0ES3_S5_NS0_18transform_iteratorINS0_17counting_iteratorImlEEZNS1_24adjacent_difference_implIS3_Lb1ELb0EPdSB_N6thrust23THRUST_200600_302600_NS4plusIdEEEE10hipError_tPvRmT2_T3_mT4_P12ihipStream_tbEUlmE_dEESB_NS0_8identityIvEEEESG_SJ_SK_mSL_SN_bEUlT_E_NS1_11comp_targetILNS1_3genE4ELNS1_11target_archE910ELNS1_3gpuE8ELNS1_3repE0EEENS1_30default_config_static_selectorELNS0_4arch9wavefront6targetE1EEEvT1_,"axG",@progbits,_ZN7rocprim17ROCPRIM_400000_NS6detail17trampoline_kernelINS0_14default_configENS1_25transform_config_selectorIdLb0EEEZNS1_14transform_implILb0ES3_S5_NS0_18transform_iteratorINS0_17counting_iteratorImlEEZNS1_24adjacent_difference_implIS3_Lb1ELb0EPdSB_N6thrust23THRUST_200600_302600_NS4plusIdEEEE10hipError_tPvRmT2_T3_mT4_P12ihipStream_tbEUlmE_dEESB_NS0_8identityIvEEEESG_SJ_SK_mSL_SN_bEUlT_E_NS1_11comp_targetILNS1_3genE4ELNS1_11target_archE910ELNS1_3gpuE8ELNS1_3repE0EEENS1_30default_config_static_selectorELNS0_4arch9wavefront6targetE1EEEvT1_,comdat
.Lfunc_end37:
	.size	_ZN7rocprim17ROCPRIM_400000_NS6detail17trampoline_kernelINS0_14default_configENS1_25transform_config_selectorIdLb0EEEZNS1_14transform_implILb0ES3_S5_NS0_18transform_iteratorINS0_17counting_iteratorImlEEZNS1_24adjacent_difference_implIS3_Lb1ELb0EPdSB_N6thrust23THRUST_200600_302600_NS4plusIdEEEE10hipError_tPvRmT2_T3_mT4_P12ihipStream_tbEUlmE_dEESB_NS0_8identityIvEEEESG_SJ_SK_mSL_SN_bEUlT_E_NS1_11comp_targetILNS1_3genE4ELNS1_11target_archE910ELNS1_3gpuE8ELNS1_3repE0EEENS1_30default_config_static_selectorELNS0_4arch9wavefront6targetE1EEEvT1_, .Lfunc_end37-_ZN7rocprim17ROCPRIM_400000_NS6detail17trampoline_kernelINS0_14default_configENS1_25transform_config_selectorIdLb0EEEZNS1_14transform_implILb0ES3_S5_NS0_18transform_iteratorINS0_17counting_iteratorImlEEZNS1_24adjacent_difference_implIS3_Lb1ELb0EPdSB_N6thrust23THRUST_200600_302600_NS4plusIdEEEE10hipError_tPvRmT2_T3_mT4_P12ihipStream_tbEUlmE_dEESB_NS0_8identityIvEEEESG_SJ_SK_mSL_SN_bEUlT_E_NS1_11comp_targetILNS1_3genE4ELNS1_11target_archE910ELNS1_3gpuE8ELNS1_3repE0EEENS1_30default_config_static_selectorELNS0_4arch9wavefront6targetE1EEEvT1_
                                        ; -- End function
	.set _ZN7rocprim17ROCPRIM_400000_NS6detail17trampoline_kernelINS0_14default_configENS1_25transform_config_selectorIdLb0EEEZNS1_14transform_implILb0ES3_S5_NS0_18transform_iteratorINS0_17counting_iteratorImlEEZNS1_24adjacent_difference_implIS3_Lb1ELb0EPdSB_N6thrust23THRUST_200600_302600_NS4plusIdEEEE10hipError_tPvRmT2_T3_mT4_P12ihipStream_tbEUlmE_dEESB_NS0_8identityIvEEEESG_SJ_SK_mSL_SN_bEUlT_E_NS1_11comp_targetILNS1_3genE4ELNS1_11target_archE910ELNS1_3gpuE8ELNS1_3repE0EEENS1_30default_config_static_selectorELNS0_4arch9wavefront6targetE1EEEvT1_.num_vgpr, 0
	.set _ZN7rocprim17ROCPRIM_400000_NS6detail17trampoline_kernelINS0_14default_configENS1_25transform_config_selectorIdLb0EEEZNS1_14transform_implILb0ES3_S5_NS0_18transform_iteratorINS0_17counting_iteratorImlEEZNS1_24adjacent_difference_implIS3_Lb1ELb0EPdSB_N6thrust23THRUST_200600_302600_NS4plusIdEEEE10hipError_tPvRmT2_T3_mT4_P12ihipStream_tbEUlmE_dEESB_NS0_8identityIvEEEESG_SJ_SK_mSL_SN_bEUlT_E_NS1_11comp_targetILNS1_3genE4ELNS1_11target_archE910ELNS1_3gpuE8ELNS1_3repE0EEENS1_30default_config_static_selectorELNS0_4arch9wavefront6targetE1EEEvT1_.num_agpr, 0
	.set _ZN7rocprim17ROCPRIM_400000_NS6detail17trampoline_kernelINS0_14default_configENS1_25transform_config_selectorIdLb0EEEZNS1_14transform_implILb0ES3_S5_NS0_18transform_iteratorINS0_17counting_iteratorImlEEZNS1_24adjacent_difference_implIS3_Lb1ELb0EPdSB_N6thrust23THRUST_200600_302600_NS4plusIdEEEE10hipError_tPvRmT2_T3_mT4_P12ihipStream_tbEUlmE_dEESB_NS0_8identityIvEEEESG_SJ_SK_mSL_SN_bEUlT_E_NS1_11comp_targetILNS1_3genE4ELNS1_11target_archE910ELNS1_3gpuE8ELNS1_3repE0EEENS1_30default_config_static_selectorELNS0_4arch9wavefront6targetE1EEEvT1_.numbered_sgpr, 0
	.set _ZN7rocprim17ROCPRIM_400000_NS6detail17trampoline_kernelINS0_14default_configENS1_25transform_config_selectorIdLb0EEEZNS1_14transform_implILb0ES3_S5_NS0_18transform_iteratorINS0_17counting_iteratorImlEEZNS1_24adjacent_difference_implIS3_Lb1ELb0EPdSB_N6thrust23THRUST_200600_302600_NS4plusIdEEEE10hipError_tPvRmT2_T3_mT4_P12ihipStream_tbEUlmE_dEESB_NS0_8identityIvEEEESG_SJ_SK_mSL_SN_bEUlT_E_NS1_11comp_targetILNS1_3genE4ELNS1_11target_archE910ELNS1_3gpuE8ELNS1_3repE0EEENS1_30default_config_static_selectorELNS0_4arch9wavefront6targetE1EEEvT1_.num_named_barrier, 0
	.set _ZN7rocprim17ROCPRIM_400000_NS6detail17trampoline_kernelINS0_14default_configENS1_25transform_config_selectorIdLb0EEEZNS1_14transform_implILb0ES3_S5_NS0_18transform_iteratorINS0_17counting_iteratorImlEEZNS1_24adjacent_difference_implIS3_Lb1ELb0EPdSB_N6thrust23THRUST_200600_302600_NS4plusIdEEEE10hipError_tPvRmT2_T3_mT4_P12ihipStream_tbEUlmE_dEESB_NS0_8identityIvEEEESG_SJ_SK_mSL_SN_bEUlT_E_NS1_11comp_targetILNS1_3genE4ELNS1_11target_archE910ELNS1_3gpuE8ELNS1_3repE0EEENS1_30default_config_static_selectorELNS0_4arch9wavefront6targetE1EEEvT1_.private_seg_size, 0
	.set _ZN7rocprim17ROCPRIM_400000_NS6detail17trampoline_kernelINS0_14default_configENS1_25transform_config_selectorIdLb0EEEZNS1_14transform_implILb0ES3_S5_NS0_18transform_iteratorINS0_17counting_iteratorImlEEZNS1_24adjacent_difference_implIS3_Lb1ELb0EPdSB_N6thrust23THRUST_200600_302600_NS4plusIdEEEE10hipError_tPvRmT2_T3_mT4_P12ihipStream_tbEUlmE_dEESB_NS0_8identityIvEEEESG_SJ_SK_mSL_SN_bEUlT_E_NS1_11comp_targetILNS1_3genE4ELNS1_11target_archE910ELNS1_3gpuE8ELNS1_3repE0EEENS1_30default_config_static_selectorELNS0_4arch9wavefront6targetE1EEEvT1_.uses_vcc, 0
	.set _ZN7rocprim17ROCPRIM_400000_NS6detail17trampoline_kernelINS0_14default_configENS1_25transform_config_selectorIdLb0EEEZNS1_14transform_implILb0ES3_S5_NS0_18transform_iteratorINS0_17counting_iteratorImlEEZNS1_24adjacent_difference_implIS3_Lb1ELb0EPdSB_N6thrust23THRUST_200600_302600_NS4plusIdEEEE10hipError_tPvRmT2_T3_mT4_P12ihipStream_tbEUlmE_dEESB_NS0_8identityIvEEEESG_SJ_SK_mSL_SN_bEUlT_E_NS1_11comp_targetILNS1_3genE4ELNS1_11target_archE910ELNS1_3gpuE8ELNS1_3repE0EEENS1_30default_config_static_selectorELNS0_4arch9wavefront6targetE1EEEvT1_.uses_flat_scratch, 0
	.set _ZN7rocprim17ROCPRIM_400000_NS6detail17trampoline_kernelINS0_14default_configENS1_25transform_config_selectorIdLb0EEEZNS1_14transform_implILb0ES3_S5_NS0_18transform_iteratorINS0_17counting_iteratorImlEEZNS1_24adjacent_difference_implIS3_Lb1ELb0EPdSB_N6thrust23THRUST_200600_302600_NS4plusIdEEEE10hipError_tPvRmT2_T3_mT4_P12ihipStream_tbEUlmE_dEESB_NS0_8identityIvEEEESG_SJ_SK_mSL_SN_bEUlT_E_NS1_11comp_targetILNS1_3genE4ELNS1_11target_archE910ELNS1_3gpuE8ELNS1_3repE0EEENS1_30default_config_static_selectorELNS0_4arch9wavefront6targetE1EEEvT1_.has_dyn_sized_stack, 0
	.set _ZN7rocprim17ROCPRIM_400000_NS6detail17trampoline_kernelINS0_14default_configENS1_25transform_config_selectorIdLb0EEEZNS1_14transform_implILb0ES3_S5_NS0_18transform_iteratorINS0_17counting_iteratorImlEEZNS1_24adjacent_difference_implIS3_Lb1ELb0EPdSB_N6thrust23THRUST_200600_302600_NS4plusIdEEEE10hipError_tPvRmT2_T3_mT4_P12ihipStream_tbEUlmE_dEESB_NS0_8identityIvEEEESG_SJ_SK_mSL_SN_bEUlT_E_NS1_11comp_targetILNS1_3genE4ELNS1_11target_archE910ELNS1_3gpuE8ELNS1_3repE0EEENS1_30default_config_static_selectorELNS0_4arch9wavefront6targetE1EEEvT1_.has_recursion, 0
	.set _ZN7rocprim17ROCPRIM_400000_NS6detail17trampoline_kernelINS0_14default_configENS1_25transform_config_selectorIdLb0EEEZNS1_14transform_implILb0ES3_S5_NS0_18transform_iteratorINS0_17counting_iteratorImlEEZNS1_24adjacent_difference_implIS3_Lb1ELb0EPdSB_N6thrust23THRUST_200600_302600_NS4plusIdEEEE10hipError_tPvRmT2_T3_mT4_P12ihipStream_tbEUlmE_dEESB_NS0_8identityIvEEEESG_SJ_SK_mSL_SN_bEUlT_E_NS1_11comp_targetILNS1_3genE4ELNS1_11target_archE910ELNS1_3gpuE8ELNS1_3repE0EEENS1_30default_config_static_selectorELNS0_4arch9wavefront6targetE1EEEvT1_.has_indirect_call, 0
	.section	.AMDGPU.csdata,"",@progbits
; Kernel info:
; codeLenInByte = 0
; TotalNumSgprs: 4
; NumVgprs: 0
; ScratchSize: 0
; MemoryBound: 0
; FloatMode: 240
; IeeeMode: 1
; LDSByteSize: 0 bytes/workgroup (compile time only)
; SGPRBlocks: 0
; VGPRBlocks: 0
; NumSGPRsForWavesPerEU: 4
; NumVGPRsForWavesPerEU: 1
; Occupancy: 10
; WaveLimiterHint : 0
; COMPUTE_PGM_RSRC2:SCRATCH_EN: 0
; COMPUTE_PGM_RSRC2:USER_SGPR: 6
; COMPUTE_PGM_RSRC2:TRAP_HANDLER: 0
; COMPUTE_PGM_RSRC2:TGID_X_EN: 1
; COMPUTE_PGM_RSRC2:TGID_Y_EN: 0
; COMPUTE_PGM_RSRC2:TGID_Z_EN: 0
; COMPUTE_PGM_RSRC2:TIDIG_COMP_CNT: 0
	.section	.text._ZN7rocprim17ROCPRIM_400000_NS6detail17trampoline_kernelINS0_14default_configENS1_25transform_config_selectorIdLb0EEEZNS1_14transform_implILb0ES3_S5_NS0_18transform_iteratorINS0_17counting_iteratorImlEEZNS1_24adjacent_difference_implIS3_Lb1ELb0EPdSB_N6thrust23THRUST_200600_302600_NS4plusIdEEEE10hipError_tPvRmT2_T3_mT4_P12ihipStream_tbEUlmE_dEESB_NS0_8identityIvEEEESG_SJ_SK_mSL_SN_bEUlT_E_NS1_11comp_targetILNS1_3genE3ELNS1_11target_archE908ELNS1_3gpuE7ELNS1_3repE0EEENS1_30default_config_static_selectorELNS0_4arch9wavefront6targetE1EEEvT1_,"axG",@progbits,_ZN7rocprim17ROCPRIM_400000_NS6detail17trampoline_kernelINS0_14default_configENS1_25transform_config_selectorIdLb0EEEZNS1_14transform_implILb0ES3_S5_NS0_18transform_iteratorINS0_17counting_iteratorImlEEZNS1_24adjacent_difference_implIS3_Lb1ELb0EPdSB_N6thrust23THRUST_200600_302600_NS4plusIdEEEE10hipError_tPvRmT2_T3_mT4_P12ihipStream_tbEUlmE_dEESB_NS0_8identityIvEEEESG_SJ_SK_mSL_SN_bEUlT_E_NS1_11comp_targetILNS1_3genE3ELNS1_11target_archE908ELNS1_3gpuE7ELNS1_3repE0EEENS1_30default_config_static_selectorELNS0_4arch9wavefront6targetE1EEEvT1_,comdat
	.protected	_ZN7rocprim17ROCPRIM_400000_NS6detail17trampoline_kernelINS0_14default_configENS1_25transform_config_selectorIdLb0EEEZNS1_14transform_implILb0ES3_S5_NS0_18transform_iteratorINS0_17counting_iteratorImlEEZNS1_24adjacent_difference_implIS3_Lb1ELb0EPdSB_N6thrust23THRUST_200600_302600_NS4plusIdEEEE10hipError_tPvRmT2_T3_mT4_P12ihipStream_tbEUlmE_dEESB_NS0_8identityIvEEEESG_SJ_SK_mSL_SN_bEUlT_E_NS1_11comp_targetILNS1_3genE3ELNS1_11target_archE908ELNS1_3gpuE7ELNS1_3repE0EEENS1_30default_config_static_selectorELNS0_4arch9wavefront6targetE1EEEvT1_ ; -- Begin function _ZN7rocprim17ROCPRIM_400000_NS6detail17trampoline_kernelINS0_14default_configENS1_25transform_config_selectorIdLb0EEEZNS1_14transform_implILb0ES3_S5_NS0_18transform_iteratorINS0_17counting_iteratorImlEEZNS1_24adjacent_difference_implIS3_Lb1ELb0EPdSB_N6thrust23THRUST_200600_302600_NS4plusIdEEEE10hipError_tPvRmT2_T3_mT4_P12ihipStream_tbEUlmE_dEESB_NS0_8identityIvEEEESG_SJ_SK_mSL_SN_bEUlT_E_NS1_11comp_targetILNS1_3genE3ELNS1_11target_archE908ELNS1_3gpuE7ELNS1_3repE0EEENS1_30default_config_static_selectorELNS0_4arch9wavefront6targetE1EEEvT1_
	.globl	_ZN7rocprim17ROCPRIM_400000_NS6detail17trampoline_kernelINS0_14default_configENS1_25transform_config_selectorIdLb0EEEZNS1_14transform_implILb0ES3_S5_NS0_18transform_iteratorINS0_17counting_iteratorImlEEZNS1_24adjacent_difference_implIS3_Lb1ELb0EPdSB_N6thrust23THRUST_200600_302600_NS4plusIdEEEE10hipError_tPvRmT2_T3_mT4_P12ihipStream_tbEUlmE_dEESB_NS0_8identityIvEEEESG_SJ_SK_mSL_SN_bEUlT_E_NS1_11comp_targetILNS1_3genE3ELNS1_11target_archE908ELNS1_3gpuE7ELNS1_3repE0EEENS1_30default_config_static_selectorELNS0_4arch9wavefront6targetE1EEEvT1_
	.p2align	8
	.type	_ZN7rocprim17ROCPRIM_400000_NS6detail17trampoline_kernelINS0_14default_configENS1_25transform_config_selectorIdLb0EEEZNS1_14transform_implILb0ES3_S5_NS0_18transform_iteratorINS0_17counting_iteratorImlEEZNS1_24adjacent_difference_implIS3_Lb1ELb0EPdSB_N6thrust23THRUST_200600_302600_NS4plusIdEEEE10hipError_tPvRmT2_T3_mT4_P12ihipStream_tbEUlmE_dEESB_NS0_8identityIvEEEESG_SJ_SK_mSL_SN_bEUlT_E_NS1_11comp_targetILNS1_3genE3ELNS1_11target_archE908ELNS1_3gpuE7ELNS1_3repE0EEENS1_30default_config_static_selectorELNS0_4arch9wavefront6targetE1EEEvT1_,@function
_ZN7rocprim17ROCPRIM_400000_NS6detail17trampoline_kernelINS0_14default_configENS1_25transform_config_selectorIdLb0EEEZNS1_14transform_implILb0ES3_S5_NS0_18transform_iteratorINS0_17counting_iteratorImlEEZNS1_24adjacent_difference_implIS3_Lb1ELb0EPdSB_N6thrust23THRUST_200600_302600_NS4plusIdEEEE10hipError_tPvRmT2_T3_mT4_P12ihipStream_tbEUlmE_dEESB_NS0_8identityIvEEEESG_SJ_SK_mSL_SN_bEUlT_E_NS1_11comp_targetILNS1_3genE3ELNS1_11target_archE908ELNS1_3gpuE7ELNS1_3repE0EEENS1_30default_config_static_selectorELNS0_4arch9wavefront6targetE1EEEvT1_: ; @_ZN7rocprim17ROCPRIM_400000_NS6detail17trampoline_kernelINS0_14default_configENS1_25transform_config_selectorIdLb0EEEZNS1_14transform_implILb0ES3_S5_NS0_18transform_iteratorINS0_17counting_iteratorImlEEZNS1_24adjacent_difference_implIS3_Lb1ELb0EPdSB_N6thrust23THRUST_200600_302600_NS4plusIdEEEE10hipError_tPvRmT2_T3_mT4_P12ihipStream_tbEUlmE_dEESB_NS0_8identityIvEEEESG_SJ_SK_mSL_SN_bEUlT_E_NS1_11comp_targetILNS1_3genE3ELNS1_11target_archE908ELNS1_3gpuE7ELNS1_3repE0EEENS1_30default_config_static_selectorELNS0_4arch9wavefront6targetE1EEEvT1_
; %bb.0:
	.section	.rodata,"a",@progbits
	.p2align	6, 0x0
	.amdhsa_kernel _ZN7rocprim17ROCPRIM_400000_NS6detail17trampoline_kernelINS0_14default_configENS1_25transform_config_selectorIdLb0EEEZNS1_14transform_implILb0ES3_S5_NS0_18transform_iteratorINS0_17counting_iteratorImlEEZNS1_24adjacent_difference_implIS3_Lb1ELb0EPdSB_N6thrust23THRUST_200600_302600_NS4plusIdEEEE10hipError_tPvRmT2_T3_mT4_P12ihipStream_tbEUlmE_dEESB_NS0_8identityIvEEEESG_SJ_SK_mSL_SN_bEUlT_E_NS1_11comp_targetILNS1_3genE3ELNS1_11target_archE908ELNS1_3gpuE7ELNS1_3repE0EEENS1_30default_config_static_selectorELNS0_4arch9wavefront6targetE1EEEvT1_
		.amdhsa_group_segment_fixed_size 0
		.amdhsa_private_segment_fixed_size 0
		.amdhsa_kernarg_size 56
		.amdhsa_user_sgpr_count 6
		.amdhsa_user_sgpr_private_segment_buffer 1
		.amdhsa_user_sgpr_dispatch_ptr 0
		.amdhsa_user_sgpr_queue_ptr 0
		.amdhsa_user_sgpr_kernarg_segment_ptr 1
		.amdhsa_user_sgpr_dispatch_id 0
		.amdhsa_user_sgpr_flat_scratch_init 0
		.amdhsa_user_sgpr_private_segment_size 0
		.amdhsa_uses_dynamic_stack 0
		.amdhsa_system_sgpr_private_segment_wavefront_offset 0
		.amdhsa_system_sgpr_workgroup_id_x 1
		.amdhsa_system_sgpr_workgroup_id_y 0
		.amdhsa_system_sgpr_workgroup_id_z 0
		.amdhsa_system_sgpr_workgroup_info 0
		.amdhsa_system_vgpr_workitem_id 0
		.amdhsa_next_free_vgpr 1
		.amdhsa_next_free_sgpr 0
		.amdhsa_reserve_vcc 0
		.amdhsa_reserve_flat_scratch 0
		.amdhsa_float_round_mode_32 0
		.amdhsa_float_round_mode_16_64 0
		.amdhsa_float_denorm_mode_32 3
		.amdhsa_float_denorm_mode_16_64 3
		.amdhsa_dx10_clamp 1
		.amdhsa_ieee_mode 1
		.amdhsa_fp16_overflow 0
		.amdhsa_exception_fp_ieee_invalid_op 0
		.amdhsa_exception_fp_denorm_src 0
		.amdhsa_exception_fp_ieee_div_zero 0
		.amdhsa_exception_fp_ieee_overflow 0
		.amdhsa_exception_fp_ieee_underflow 0
		.amdhsa_exception_fp_ieee_inexact 0
		.amdhsa_exception_int_div_zero 0
	.end_amdhsa_kernel
	.section	.text._ZN7rocprim17ROCPRIM_400000_NS6detail17trampoline_kernelINS0_14default_configENS1_25transform_config_selectorIdLb0EEEZNS1_14transform_implILb0ES3_S5_NS0_18transform_iteratorINS0_17counting_iteratorImlEEZNS1_24adjacent_difference_implIS3_Lb1ELb0EPdSB_N6thrust23THRUST_200600_302600_NS4plusIdEEEE10hipError_tPvRmT2_T3_mT4_P12ihipStream_tbEUlmE_dEESB_NS0_8identityIvEEEESG_SJ_SK_mSL_SN_bEUlT_E_NS1_11comp_targetILNS1_3genE3ELNS1_11target_archE908ELNS1_3gpuE7ELNS1_3repE0EEENS1_30default_config_static_selectorELNS0_4arch9wavefront6targetE1EEEvT1_,"axG",@progbits,_ZN7rocprim17ROCPRIM_400000_NS6detail17trampoline_kernelINS0_14default_configENS1_25transform_config_selectorIdLb0EEEZNS1_14transform_implILb0ES3_S5_NS0_18transform_iteratorINS0_17counting_iteratorImlEEZNS1_24adjacent_difference_implIS3_Lb1ELb0EPdSB_N6thrust23THRUST_200600_302600_NS4plusIdEEEE10hipError_tPvRmT2_T3_mT4_P12ihipStream_tbEUlmE_dEESB_NS0_8identityIvEEEESG_SJ_SK_mSL_SN_bEUlT_E_NS1_11comp_targetILNS1_3genE3ELNS1_11target_archE908ELNS1_3gpuE7ELNS1_3repE0EEENS1_30default_config_static_selectorELNS0_4arch9wavefront6targetE1EEEvT1_,comdat
.Lfunc_end38:
	.size	_ZN7rocprim17ROCPRIM_400000_NS6detail17trampoline_kernelINS0_14default_configENS1_25transform_config_selectorIdLb0EEEZNS1_14transform_implILb0ES3_S5_NS0_18transform_iteratorINS0_17counting_iteratorImlEEZNS1_24adjacent_difference_implIS3_Lb1ELb0EPdSB_N6thrust23THRUST_200600_302600_NS4plusIdEEEE10hipError_tPvRmT2_T3_mT4_P12ihipStream_tbEUlmE_dEESB_NS0_8identityIvEEEESG_SJ_SK_mSL_SN_bEUlT_E_NS1_11comp_targetILNS1_3genE3ELNS1_11target_archE908ELNS1_3gpuE7ELNS1_3repE0EEENS1_30default_config_static_selectorELNS0_4arch9wavefront6targetE1EEEvT1_, .Lfunc_end38-_ZN7rocprim17ROCPRIM_400000_NS6detail17trampoline_kernelINS0_14default_configENS1_25transform_config_selectorIdLb0EEEZNS1_14transform_implILb0ES3_S5_NS0_18transform_iteratorINS0_17counting_iteratorImlEEZNS1_24adjacent_difference_implIS3_Lb1ELb0EPdSB_N6thrust23THRUST_200600_302600_NS4plusIdEEEE10hipError_tPvRmT2_T3_mT4_P12ihipStream_tbEUlmE_dEESB_NS0_8identityIvEEEESG_SJ_SK_mSL_SN_bEUlT_E_NS1_11comp_targetILNS1_3genE3ELNS1_11target_archE908ELNS1_3gpuE7ELNS1_3repE0EEENS1_30default_config_static_selectorELNS0_4arch9wavefront6targetE1EEEvT1_
                                        ; -- End function
	.set _ZN7rocprim17ROCPRIM_400000_NS6detail17trampoline_kernelINS0_14default_configENS1_25transform_config_selectorIdLb0EEEZNS1_14transform_implILb0ES3_S5_NS0_18transform_iteratorINS0_17counting_iteratorImlEEZNS1_24adjacent_difference_implIS3_Lb1ELb0EPdSB_N6thrust23THRUST_200600_302600_NS4plusIdEEEE10hipError_tPvRmT2_T3_mT4_P12ihipStream_tbEUlmE_dEESB_NS0_8identityIvEEEESG_SJ_SK_mSL_SN_bEUlT_E_NS1_11comp_targetILNS1_3genE3ELNS1_11target_archE908ELNS1_3gpuE7ELNS1_3repE0EEENS1_30default_config_static_selectorELNS0_4arch9wavefront6targetE1EEEvT1_.num_vgpr, 0
	.set _ZN7rocprim17ROCPRIM_400000_NS6detail17trampoline_kernelINS0_14default_configENS1_25transform_config_selectorIdLb0EEEZNS1_14transform_implILb0ES3_S5_NS0_18transform_iteratorINS0_17counting_iteratorImlEEZNS1_24adjacent_difference_implIS3_Lb1ELb0EPdSB_N6thrust23THRUST_200600_302600_NS4plusIdEEEE10hipError_tPvRmT2_T3_mT4_P12ihipStream_tbEUlmE_dEESB_NS0_8identityIvEEEESG_SJ_SK_mSL_SN_bEUlT_E_NS1_11comp_targetILNS1_3genE3ELNS1_11target_archE908ELNS1_3gpuE7ELNS1_3repE0EEENS1_30default_config_static_selectorELNS0_4arch9wavefront6targetE1EEEvT1_.num_agpr, 0
	.set _ZN7rocprim17ROCPRIM_400000_NS6detail17trampoline_kernelINS0_14default_configENS1_25transform_config_selectorIdLb0EEEZNS1_14transform_implILb0ES3_S5_NS0_18transform_iteratorINS0_17counting_iteratorImlEEZNS1_24adjacent_difference_implIS3_Lb1ELb0EPdSB_N6thrust23THRUST_200600_302600_NS4plusIdEEEE10hipError_tPvRmT2_T3_mT4_P12ihipStream_tbEUlmE_dEESB_NS0_8identityIvEEEESG_SJ_SK_mSL_SN_bEUlT_E_NS1_11comp_targetILNS1_3genE3ELNS1_11target_archE908ELNS1_3gpuE7ELNS1_3repE0EEENS1_30default_config_static_selectorELNS0_4arch9wavefront6targetE1EEEvT1_.numbered_sgpr, 0
	.set _ZN7rocprim17ROCPRIM_400000_NS6detail17trampoline_kernelINS0_14default_configENS1_25transform_config_selectorIdLb0EEEZNS1_14transform_implILb0ES3_S5_NS0_18transform_iteratorINS0_17counting_iteratorImlEEZNS1_24adjacent_difference_implIS3_Lb1ELb0EPdSB_N6thrust23THRUST_200600_302600_NS4plusIdEEEE10hipError_tPvRmT2_T3_mT4_P12ihipStream_tbEUlmE_dEESB_NS0_8identityIvEEEESG_SJ_SK_mSL_SN_bEUlT_E_NS1_11comp_targetILNS1_3genE3ELNS1_11target_archE908ELNS1_3gpuE7ELNS1_3repE0EEENS1_30default_config_static_selectorELNS0_4arch9wavefront6targetE1EEEvT1_.num_named_barrier, 0
	.set _ZN7rocprim17ROCPRIM_400000_NS6detail17trampoline_kernelINS0_14default_configENS1_25transform_config_selectorIdLb0EEEZNS1_14transform_implILb0ES3_S5_NS0_18transform_iteratorINS0_17counting_iteratorImlEEZNS1_24adjacent_difference_implIS3_Lb1ELb0EPdSB_N6thrust23THRUST_200600_302600_NS4plusIdEEEE10hipError_tPvRmT2_T3_mT4_P12ihipStream_tbEUlmE_dEESB_NS0_8identityIvEEEESG_SJ_SK_mSL_SN_bEUlT_E_NS1_11comp_targetILNS1_3genE3ELNS1_11target_archE908ELNS1_3gpuE7ELNS1_3repE0EEENS1_30default_config_static_selectorELNS0_4arch9wavefront6targetE1EEEvT1_.private_seg_size, 0
	.set _ZN7rocprim17ROCPRIM_400000_NS6detail17trampoline_kernelINS0_14default_configENS1_25transform_config_selectorIdLb0EEEZNS1_14transform_implILb0ES3_S5_NS0_18transform_iteratorINS0_17counting_iteratorImlEEZNS1_24adjacent_difference_implIS3_Lb1ELb0EPdSB_N6thrust23THRUST_200600_302600_NS4plusIdEEEE10hipError_tPvRmT2_T3_mT4_P12ihipStream_tbEUlmE_dEESB_NS0_8identityIvEEEESG_SJ_SK_mSL_SN_bEUlT_E_NS1_11comp_targetILNS1_3genE3ELNS1_11target_archE908ELNS1_3gpuE7ELNS1_3repE0EEENS1_30default_config_static_selectorELNS0_4arch9wavefront6targetE1EEEvT1_.uses_vcc, 0
	.set _ZN7rocprim17ROCPRIM_400000_NS6detail17trampoline_kernelINS0_14default_configENS1_25transform_config_selectorIdLb0EEEZNS1_14transform_implILb0ES3_S5_NS0_18transform_iteratorINS0_17counting_iteratorImlEEZNS1_24adjacent_difference_implIS3_Lb1ELb0EPdSB_N6thrust23THRUST_200600_302600_NS4plusIdEEEE10hipError_tPvRmT2_T3_mT4_P12ihipStream_tbEUlmE_dEESB_NS0_8identityIvEEEESG_SJ_SK_mSL_SN_bEUlT_E_NS1_11comp_targetILNS1_3genE3ELNS1_11target_archE908ELNS1_3gpuE7ELNS1_3repE0EEENS1_30default_config_static_selectorELNS0_4arch9wavefront6targetE1EEEvT1_.uses_flat_scratch, 0
	.set _ZN7rocprim17ROCPRIM_400000_NS6detail17trampoline_kernelINS0_14default_configENS1_25transform_config_selectorIdLb0EEEZNS1_14transform_implILb0ES3_S5_NS0_18transform_iteratorINS0_17counting_iteratorImlEEZNS1_24adjacent_difference_implIS3_Lb1ELb0EPdSB_N6thrust23THRUST_200600_302600_NS4plusIdEEEE10hipError_tPvRmT2_T3_mT4_P12ihipStream_tbEUlmE_dEESB_NS0_8identityIvEEEESG_SJ_SK_mSL_SN_bEUlT_E_NS1_11comp_targetILNS1_3genE3ELNS1_11target_archE908ELNS1_3gpuE7ELNS1_3repE0EEENS1_30default_config_static_selectorELNS0_4arch9wavefront6targetE1EEEvT1_.has_dyn_sized_stack, 0
	.set _ZN7rocprim17ROCPRIM_400000_NS6detail17trampoline_kernelINS0_14default_configENS1_25transform_config_selectorIdLb0EEEZNS1_14transform_implILb0ES3_S5_NS0_18transform_iteratorINS0_17counting_iteratorImlEEZNS1_24adjacent_difference_implIS3_Lb1ELb0EPdSB_N6thrust23THRUST_200600_302600_NS4plusIdEEEE10hipError_tPvRmT2_T3_mT4_P12ihipStream_tbEUlmE_dEESB_NS0_8identityIvEEEESG_SJ_SK_mSL_SN_bEUlT_E_NS1_11comp_targetILNS1_3genE3ELNS1_11target_archE908ELNS1_3gpuE7ELNS1_3repE0EEENS1_30default_config_static_selectorELNS0_4arch9wavefront6targetE1EEEvT1_.has_recursion, 0
	.set _ZN7rocprim17ROCPRIM_400000_NS6detail17trampoline_kernelINS0_14default_configENS1_25transform_config_selectorIdLb0EEEZNS1_14transform_implILb0ES3_S5_NS0_18transform_iteratorINS0_17counting_iteratorImlEEZNS1_24adjacent_difference_implIS3_Lb1ELb0EPdSB_N6thrust23THRUST_200600_302600_NS4plusIdEEEE10hipError_tPvRmT2_T3_mT4_P12ihipStream_tbEUlmE_dEESB_NS0_8identityIvEEEESG_SJ_SK_mSL_SN_bEUlT_E_NS1_11comp_targetILNS1_3genE3ELNS1_11target_archE908ELNS1_3gpuE7ELNS1_3repE0EEENS1_30default_config_static_selectorELNS0_4arch9wavefront6targetE1EEEvT1_.has_indirect_call, 0
	.section	.AMDGPU.csdata,"",@progbits
; Kernel info:
; codeLenInByte = 0
; TotalNumSgprs: 4
; NumVgprs: 0
; ScratchSize: 0
; MemoryBound: 0
; FloatMode: 240
; IeeeMode: 1
; LDSByteSize: 0 bytes/workgroup (compile time only)
; SGPRBlocks: 0
; VGPRBlocks: 0
; NumSGPRsForWavesPerEU: 4
; NumVGPRsForWavesPerEU: 1
; Occupancy: 10
; WaveLimiterHint : 0
; COMPUTE_PGM_RSRC2:SCRATCH_EN: 0
; COMPUTE_PGM_RSRC2:USER_SGPR: 6
; COMPUTE_PGM_RSRC2:TRAP_HANDLER: 0
; COMPUTE_PGM_RSRC2:TGID_X_EN: 1
; COMPUTE_PGM_RSRC2:TGID_Y_EN: 0
; COMPUTE_PGM_RSRC2:TGID_Z_EN: 0
; COMPUTE_PGM_RSRC2:TIDIG_COMP_CNT: 0
	.section	.text._ZN7rocprim17ROCPRIM_400000_NS6detail17trampoline_kernelINS0_14default_configENS1_25transform_config_selectorIdLb0EEEZNS1_14transform_implILb0ES3_S5_NS0_18transform_iteratorINS0_17counting_iteratorImlEEZNS1_24adjacent_difference_implIS3_Lb1ELb0EPdSB_N6thrust23THRUST_200600_302600_NS4plusIdEEEE10hipError_tPvRmT2_T3_mT4_P12ihipStream_tbEUlmE_dEESB_NS0_8identityIvEEEESG_SJ_SK_mSL_SN_bEUlT_E_NS1_11comp_targetILNS1_3genE2ELNS1_11target_archE906ELNS1_3gpuE6ELNS1_3repE0EEENS1_30default_config_static_selectorELNS0_4arch9wavefront6targetE1EEEvT1_,"axG",@progbits,_ZN7rocprim17ROCPRIM_400000_NS6detail17trampoline_kernelINS0_14default_configENS1_25transform_config_selectorIdLb0EEEZNS1_14transform_implILb0ES3_S5_NS0_18transform_iteratorINS0_17counting_iteratorImlEEZNS1_24adjacent_difference_implIS3_Lb1ELb0EPdSB_N6thrust23THRUST_200600_302600_NS4plusIdEEEE10hipError_tPvRmT2_T3_mT4_P12ihipStream_tbEUlmE_dEESB_NS0_8identityIvEEEESG_SJ_SK_mSL_SN_bEUlT_E_NS1_11comp_targetILNS1_3genE2ELNS1_11target_archE906ELNS1_3gpuE6ELNS1_3repE0EEENS1_30default_config_static_selectorELNS0_4arch9wavefront6targetE1EEEvT1_,comdat
	.protected	_ZN7rocprim17ROCPRIM_400000_NS6detail17trampoline_kernelINS0_14default_configENS1_25transform_config_selectorIdLb0EEEZNS1_14transform_implILb0ES3_S5_NS0_18transform_iteratorINS0_17counting_iteratorImlEEZNS1_24adjacent_difference_implIS3_Lb1ELb0EPdSB_N6thrust23THRUST_200600_302600_NS4plusIdEEEE10hipError_tPvRmT2_T3_mT4_P12ihipStream_tbEUlmE_dEESB_NS0_8identityIvEEEESG_SJ_SK_mSL_SN_bEUlT_E_NS1_11comp_targetILNS1_3genE2ELNS1_11target_archE906ELNS1_3gpuE6ELNS1_3repE0EEENS1_30default_config_static_selectorELNS0_4arch9wavefront6targetE1EEEvT1_ ; -- Begin function _ZN7rocprim17ROCPRIM_400000_NS6detail17trampoline_kernelINS0_14default_configENS1_25transform_config_selectorIdLb0EEEZNS1_14transform_implILb0ES3_S5_NS0_18transform_iteratorINS0_17counting_iteratorImlEEZNS1_24adjacent_difference_implIS3_Lb1ELb0EPdSB_N6thrust23THRUST_200600_302600_NS4plusIdEEEE10hipError_tPvRmT2_T3_mT4_P12ihipStream_tbEUlmE_dEESB_NS0_8identityIvEEEESG_SJ_SK_mSL_SN_bEUlT_E_NS1_11comp_targetILNS1_3genE2ELNS1_11target_archE906ELNS1_3gpuE6ELNS1_3repE0EEENS1_30default_config_static_selectorELNS0_4arch9wavefront6targetE1EEEvT1_
	.globl	_ZN7rocprim17ROCPRIM_400000_NS6detail17trampoline_kernelINS0_14default_configENS1_25transform_config_selectorIdLb0EEEZNS1_14transform_implILb0ES3_S5_NS0_18transform_iteratorINS0_17counting_iteratorImlEEZNS1_24adjacent_difference_implIS3_Lb1ELb0EPdSB_N6thrust23THRUST_200600_302600_NS4plusIdEEEE10hipError_tPvRmT2_T3_mT4_P12ihipStream_tbEUlmE_dEESB_NS0_8identityIvEEEESG_SJ_SK_mSL_SN_bEUlT_E_NS1_11comp_targetILNS1_3genE2ELNS1_11target_archE906ELNS1_3gpuE6ELNS1_3repE0EEENS1_30default_config_static_selectorELNS0_4arch9wavefront6targetE1EEEvT1_
	.p2align	8
	.type	_ZN7rocprim17ROCPRIM_400000_NS6detail17trampoline_kernelINS0_14default_configENS1_25transform_config_selectorIdLb0EEEZNS1_14transform_implILb0ES3_S5_NS0_18transform_iteratorINS0_17counting_iteratorImlEEZNS1_24adjacent_difference_implIS3_Lb1ELb0EPdSB_N6thrust23THRUST_200600_302600_NS4plusIdEEEE10hipError_tPvRmT2_T3_mT4_P12ihipStream_tbEUlmE_dEESB_NS0_8identityIvEEEESG_SJ_SK_mSL_SN_bEUlT_E_NS1_11comp_targetILNS1_3genE2ELNS1_11target_archE906ELNS1_3gpuE6ELNS1_3repE0EEENS1_30default_config_static_selectorELNS0_4arch9wavefront6targetE1EEEvT1_,@function
_ZN7rocprim17ROCPRIM_400000_NS6detail17trampoline_kernelINS0_14default_configENS1_25transform_config_selectorIdLb0EEEZNS1_14transform_implILb0ES3_S5_NS0_18transform_iteratorINS0_17counting_iteratorImlEEZNS1_24adjacent_difference_implIS3_Lb1ELb0EPdSB_N6thrust23THRUST_200600_302600_NS4plusIdEEEE10hipError_tPvRmT2_T3_mT4_P12ihipStream_tbEUlmE_dEESB_NS0_8identityIvEEEESG_SJ_SK_mSL_SN_bEUlT_E_NS1_11comp_targetILNS1_3genE2ELNS1_11target_archE906ELNS1_3gpuE6ELNS1_3repE0EEENS1_30default_config_static_selectorELNS0_4arch9wavefront6targetE1EEEvT1_: ; @_ZN7rocprim17ROCPRIM_400000_NS6detail17trampoline_kernelINS0_14default_configENS1_25transform_config_selectorIdLb0EEEZNS1_14transform_implILb0ES3_S5_NS0_18transform_iteratorINS0_17counting_iteratorImlEEZNS1_24adjacent_difference_implIS3_Lb1ELb0EPdSB_N6thrust23THRUST_200600_302600_NS4plusIdEEEE10hipError_tPvRmT2_T3_mT4_P12ihipStream_tbEUlmE_dEESB_NS0_8identityIvEEEESG_SJ_SK_mSL_SN_bEUlT_E_NS1_11comp_targetILNS1_3genE2ELNS1_11target_archE906ELNS1_3gpuE6ELNS1_3repE0EEENS1_30default_config_static_selectorELNS0_4arch9wavefront6targetE1EEEvT1_
; %bb.0:
	s_load_dword s1, s[4:5], 0x38
	s_load_dword s7, s[4:5], 0x20
	s_lshl_b32 s0, s6, 10
	s_waitcnt lgkmcnt(0)
	s_add_i32 s1, s1, -1
	s_cmp_lg_u32 s6, s1
	s_cselect_b64 s[2:3], -1, 0
	s_sub_i32 s1, s7, s0
	v_cmp_gt_u32_e32 vcc, s1, v0
	s_or_b64 s[2:3], s[2:3], vcc
	s_and_saveexec_b64 s[6:7], s[2:3]
	s_cbranch_execz .LBB39_2
; %bb.1:
	s_load_dwordx2 s[2:3], s[4:5], 0x18
	s_load_dwordx2 s[6:7], s[4:5], 0x28
	s_load_dwordx4 s[8:11], s[4:5], 0x0
	s_load_dword s1, s[4:5], 0x10
	v_or_b32_e32 v1, s0, v0
	s_waitcnt lgkmcnt(0)
	s_lshl_b64 s[4:5], s[2:3], 3
	s_add_u32 s4, s6, s4
	s_addc_u32 s5, s7, s5
	s_add_u32 s2, s8, s2
	s_addc_u32 s3, s9, s3
	v_mov_b32_e32 v2, s3
	v_add_co_u32_e32 v1, vcc, s2, v1
	v_addc_co_u32_e32 v3, vcc, 0, v2, vcc
	v_mad_u64_u32 v[1:2], s[2:3], v1, s1, 0
	v_mad_u64_u32 v[2:3], s[2:3], v3, s1, v[2:3]
	v_mov_b32_e32 v3, s11
	s_mov_b32 s1, 0
	v_lshlrev_b64 v[1:2], 3, v[1:2]
	s_lshl_b64 s[0:1], s[0:1], 3
	v_add_co_u32_e32 v1, vcc, s10, v1
	v_addc_co_u32_e32 v2, vcc, v3, v2, vcc
	global_load_dwordx2 v[2:3], v[1:2], off
	v_mov_b32_e32 v1, 0
	s_add_u32 s0, s4, s0
	v_lshlrev_b64 v[0:1], 3, v[0:1]
	s_addc_u32 s1, s5, s1
	v_mov_b32_e32 v4, s1
	v_add_co_u32_e32 v0, vcc, s0, v0
	v_addc_co_u32_e32 v1, vcc, v4, v1, vcc
	s_waitcnt vmcnt(0)
	global_store_dwordx2 v[0:1], v[2:3], off
.LBB39_2:
	s_endpgm
	.section	.rodata,"a",@progbits
	.p2align	6, 0x0
	.amdhsa_kernel _ZN7rocprim17ROCPRIM_400000_NS6detail17trampoline_kernelINS0_14default_configENS1_25transform_config_selectorIdLb0EEEZNS1_14transform_implILb0ES3_S5_NS0_18transform_iteratorINS0_17counting_iteratorImlEEZNS1_24adjacent_difference_implIS3_Lb1ELb0EPdSB_N6thrust23THRUST_200600_302600_NS4plusIdEEEE10hipError_tPvRmT2_T3_mT4_P12ihipStream_tbEUlmE_dEESB_NS0_8identityIvEEEESG_SJ_SK_mSL_SN_bEUlT_E_NS1_11comp_targetILNS1_3genE2ELNS1_11target_archE906ELNS1_3gpuE6ELNS1_3repE0EEENS1_30default_config_static_selectorELNS0_4arch9wavefront6targetE1EEEvT1_
		.amdhsa_group_segment_fixed_size 0
		.amdhsa_private_segment_fixed_size 0
		.amdhsa_kernarg_size 312
		.amdhsa_user_sgpr_count 6
		.amdhsa_user_sgpr_private_segment_buffer 1
		.amdhsa_user_sgpr_dispatch_ptr 0
		.amdhsa_user_sgpr_queue_ptr 0
		.amdhsa_user_sgpr_kernarg_segment_ptr 1
		.amdhsa_user_sgpr_dispatch_id 0
		.amdhsa_user_sgpr_flat_scratch_init 0
		.amdhsa_user_sgpr_private_segment_size 0
		.amdhsa_uses_dynamic_stack 0
		.amdhsa_system_sgpr_private_segment_wavefront_offset 0
		.amdhsa_system_sgpr_workgroup_id_x 1
		.amdhsa_system_sgpr_workgroup_id_y 0
		.amdhsa_system_sgpr_workgroup_id_z 0
		.amdhsa_system_sgpr_workgroup_info 0
		.amdhsa_system_vgpr_workitem_id 0
		.amdhsa_next_free_vgpr 5
		.amdhsa_next_free_sgpr 12
		.amdhsa_reserve_vcc 1
		.amdhsa_reserve_flat_scratch 0
		.amdhsa_float_round_mode_32 0
		.amdhsa_float_round_mode_16_64 0
		.amdhsa_float_denorm_mode_32 3
		.amdhsa_float_denorm_mode_16_64 3
		.amdhsa_dx10_clamp 1
		.amdhsa_ieee_mode 1
		.amdhsa_fp16_overflow 0
		.amdhsa_exception_fp_ieee_invalid_op 0
		.amdhsa_exception_fp_denorm_src 0
		.amdhsa_exception_fp_ieee_div_zero 0
		.amdhsa_exception_fp_ieee_overflow 0
		.amdhsa_exception_fp_ieee_underflow 0
		.amdhsa_exception_fp_ieee_inexact 0
		.amdhsa_exception_int_div_zero 0
	.end_amdhsa_kernel
	.section	.text._ZN7rocprim17ROCPRIM_400000_NS6detail17trampoline_kernelINS0_14default_configENS1_25transform_config_selectorIdLb0EEEZNS1_14transform_implILb0ES3_S5_NS0_18transform_iteratorINS0_17counting_iteratorImlEEZNS1_24adjacent_difference_implIS3_Lb1ELb0EPdSB_N6thrust23THRUST_200600_302600_NS4plusIdEEEE10hipError_tPvRmT2_T3_mT4_P12ihipStream_tbEUlmE_dEESB_NS0_8identityIvEEEESG_SJ_SK_mSL_SN_bEUlT_E_NS1_11comp_targetILNS1_3genE2ELNS1_11target_archE906ELNS1_3gpuE6ELNS1_3repE0EEENS1_30default_config_static_selectorELNS0_4arch9wavefront6targetE1EEEvT1_,"axG",@progbits,_ZN7rocprim17ROCPRIM_400000_NS6detail17trampoline_kernelINS0_14default_configENS1_25transform_config_selectorIdLb0EEEZNS1_14transform_implILb0ES3_S5_NS0_18transform_iteratorINS0_17counting_iteratorImlEEZNS1_24adjacent_difference_implIS3_Lb1ELb0EPdSB_N6thrust23THRUST_200600_302600_NS4plusIdEEEE10hipError_tPvRmT2_T3_mT4_P12ihipStream_tbEUlmE_dEESB_NS0_8identityIvEEEESG_SJ_SK_mSL_SN_bEUlT_E_NS1_11comp_targetILNS1_3genE2ELNS1_11target_archE906ELNS1_3gpuE6ELNS1_3repE0EEENS1_30default_config_static_selectorELNS0_4arch9wavefront6targetE1EEEvT1_,comdat
.Lfunc_end39:
	.size	_ZN7rocprim17ROCPRIM_400000_NS6detail17trampoline_kernelINS0_14default_configENS1_25transform_config_selectorIdLb0EEEZNS1_14transform_implILb0ES3_S5_NS0_18transform_iteratorINS0_17counting_iteratorImlEEZNS1_24adjacent_difference_implIS3_Lb1ELb0EPdSB_N6thrust23THRUST_200600_302600_NS4plusIdEEEE10hipError_tPvRmT2_T3_mT4_P12ihipStream_tbEUlmE_dEESB_NS0_8identityIvEEEESG_SJ_SK_mSL_SN_bEUlT_E_NS1_11comp_targetILNS1_3genE2ELNS1_11target_archE906ELNS1_3gpuE6ELNS1_3repE0EEENS1_30default_config_static_selectorELNS0_4arch9wavefront6targetE1EEEvT1_, .Lfunc_end39-_ZN7rocprim17ROCPRIM_400000_NS6detail17trampoline_kernelINS0_14default_configENS1_25transform_config_selectorIdLb0EEEZNS1_14transform_implILb0ES3_S5_NS0_18transform_iteratorINS0_17counting_iteratorImlEEZNS1_24adjacent_difference_implIS3_Lb1ELb0EPdSB_N6thrust23THRUST_200600_302600_NS4plusIdEEEE10hipError_tPvRmT2_T3_mT4_P12ihipStream_tbEUlmE_dEESB_NS0_8identityIvEEEESG_SJ_SK_mSL_SN_bEUlT_E_NS1_11comp_targetILNS1_3genE2ELNS1_11target_archE906ELNS1_3gpuE6ELNS1_3repE0EEENS1_30default_config_static_selectorELNS0_4arch9wavefront6targetE1EEEvT1_
                                        ; -- End function
	.set _ZN7rocprim17ROCPRIM_400000_NS6detail17trampoline_kernelINS0_14default_configENS1_25transform_config_selectorIdLb0EEEZNS1_14transform_implILb0ES3_S5_NS0_18transform_iteratorINS0_17counting_iteratorImlEEZNS1_24adjacent_difference_implIS3_Lb1ELb0EPdSB_N6thrust23THRUST_200600_302600_NS4plusIdEEEE10hipError_tPvRmT2_T3_mT4_P12ihipStream_tbEUlmE_dEESB_NS0_8identityIvEEEESG_SJ_SK_mSL_SN_bEUlT_E_NS1_11comp_targetILNS1_3genE2ELNS1_11target_archE906ELNS1_3gpuE6ELNS1_3repE0EEENS1_30default_config_static_selectorELNS0_4arch9wavefront6targetE1EEEvT1_.num_vgpr, 5
	.set _ZN7rocprim17ROCPRIM_400000_NS6detail17trampoline_kernelINS0_14default_configENS1_25transform_config_selectorIdLb0EEEZNS1_14transform_implILb0ES3_S5_NS0_18transform_iteratorINS0_17counting_iteratorImlEEZNS1_24adjacent_difference_implIS3_Lb1ELb0EPdSB_N6thrust23THRUST_200600_302600_NS4plusIdEEEE10hipError_tPvRmT2_T3_mT4_P12ihipStream_tbEUlmE_dEESB_NS0_8identityIvEEEESG_SJ_SK_mSL_SN_bEUlT_E_NS1_11comp_targetILNS1_3genE2ELNS1_11target_archE906ELNS1_3gpuE6ELNS1_3repE0EEENS1_30default_config_static_selectorELNS0_4arch9wavefront6targetE1EEEvT1_.num_agpr, 0
	.set _ZN7rocprim17ROCPRIM_400000_NS6detail17trampoline_kernelINS0_14default_configENS1_25transform_config_selectorIdLb0EEEZNS1_14transform_implILb0ES3_S5_NS0_18transform_iteratorINS0_17counting_iteratorImlEEZNS1_24adjacent_difference_implIS3_Lb1ELb0EPdSB_N6thrust23THRUST_200600_302600_NS4plusIdEEEE10hipError_tPvRmT2_T3_mT4_P12ihipStream_tbEUlmE_dEESB_NS0_8identityIvEEEESG_SJ_SK_mSL_SN_bEUlT_E_NS1_11comp_targetILNS1_3genE2ELNS1_11target_archE906ELNS1_3gpuE6ELNS1_3repE0EEENS1_30default_config_static_selectorELNS0_4arch9wavefront6targetE1EEEvT1_.numbered_sgpr, 12
	.set _ZN7rocprim17ROCPRIM_400000_NS6detail17trampoline_kernelINS0_14default_configENS1_25transform_config_selectorIdLb0EEEZNS1_14transform_implILb0ES3_S5_NS0_18transform_iteratorINS0_17counting_iteratorImlEEZNS1_24adjacent_difference_implIS3_Lb1ELb0EPdSB_N6thrust23THRUST_200600_302600_NS4plusIdEEEE10hipError_tPvRmT2_T3_mT4_P12ihipStream_tbEUlmE_dEESB_NS0_8identityIvEEEESG_SJ_SK_mSL_SN_bEUlT_E_NS1_11comp_targetILNS1_3genE2ELNS1_11target_archE906ELNS1_3gpuE6ELNS1_3repE0EEENS1_30default_config_static_selectorELNS0_4arch9wavefront6targetE1EEEvT1_.num_named_barrier, 0
	.set _ZN7rocprim17ROCPRIM_400000_NS6detail17trampoline_kernelINS0_14default_configENS1_25transform_config_selectorIdLb0EEEZNS1_14transform_implILb0ES3_S5_NS0_18transform_iteratorINS0_17counting_iteratorImlEEZNS1_24adjacent_difference_implIS3_Lb1ELb0EPdSB_N6thrust23THRUST_200600_302600_NS4plusIdEEEE10hipError_tPvRmT2_T3_mT4_P12ihipStream_tbEUlmE_dEESB_NS0_8identityIvEEEESG_SJ_SK_mSL_SN_bEUlT_E_NS1_11comp_targetILNS1_3genE2ELNS1_11target_archE906ELNS1_3gpuE6ELNS1_3repE0EEENS1_30default_config_static_selectorELNS0_4arch9wavefront6targetE1EEEvT1_.private_seg_size, 0
	.set _ZN7rocprim17ROCPRIM_400000_NS6detail17trampoline_kernelINS0_14default_configENS1_25transform_config_selectorIdLb0EEEZNS1_14transform_implILb0ES3_S5_NS0_18transform_iteratorINS0_17counting_iteratorImlEEZNS1_24adjacent_difference_implIS3_Lb1ELb0EPdSB_N6thrust23THRUST_200600_302600_NS4plusIdEEEE10hipError_tPvRmT2_T3_mT4_P12ihipStream_tbEUlmE_dEESB_NS0_8identityIvEEEESG_SJ_SK_mSL_SN_bEUlT_E_NS1_11comp_targetILNS1_3genE2ELNS1_11target_archE906ELNS1_3gpuE6ELNS1_3repE0EEENS1_30default_config_static_selectorELNS0_4arch9wavefront6targetE1EEEvT1_.uses_vcc, 1
	.set _ZN7rocprim17ROCPRIM_400000_NS6detail17trampoline_kernelINS0_14default_configENS1_25transform_config_selectorIdLb0EEEZNS1_14transform_implILb0ES3_S5_NS0_18transform_iteratorINS0_17counting_iteratorImlEEZNS1_24adjacent_difference_implIS3_Lb1ELb0EPdSB_N6thrust23THRUST_200600_302600_NS4plusIdEEEE10hipError_tPvRmT2_T3_mT4_P12ihipStream_tbEUlmE_dEESB_NS0_8identityIvEEEESG_SJ_SK_mSL_SN_bEUlT_E_NS1_11comp_targetILNS1_3genE2ELNS1_11target_archE906ELNS1_3gpuE6ELNS1_3repE0EEENS1_30default_config_static_selectorELNS0_4arch9wavefront6targetE1EEEvT1_.uses_flat_scratch, 0
	.set _ZN7rocprim17ROCPRIM_400000_NS6detail17trampoline_kernelINS0_14default_configENS1_25transform_config_selectorIdLb0EEEZNS1_14transform_implILb0ES3_S5_NS0_18transform_iteratorINS0_17counting_iteratorImlEEZNS1_24adjacent_difference_implIS3_Lb1ELb0EPdSB_N6thrust23THRUST_200600_302600_NS4plusIdEEEE10hipError_tPvRmT2_T3_mT4_P12ihipStream_tbEUlmE_dEESB_NS0_8identityIvEEEESG_SJ_SK_mSL_SN_bEUlT_E_NS1_11comp_targetILNS1_3genE2ELNS1_11target_archE906ELNS1_3gpuE6ELNS1_3repE0EEENS1_30default_config_static_selectorELNS0_4arch9wavefront6targetE1EEEvT1_.has_dyn_sized_stack, 0
	.set _ZN7rocprim17ROCPRIM_400000_NS6detail17trampoline_kernelINS0_14default_configENS1_25transform_config_selectorIdLb0EEEZNS1_14transform_implILb0ES3_S5_NS0_18transform_iteratorINS0_17counting_iteratorImlEEZNS1_24adjacent_difference_implIS3_Lb1ELb0EPdSB_N6thrust23THRUST_200600_302600_NS4plusIdEEEE10hipError_tPvRmT2_T3_mT4_P12ihipStream_tbEUlmE_dEESB_NS0_8identityIvEEEESG_SJ_SK_mSL_SN_bEUlT_E_NS1_11comp_targetILNS1_3genE2ELNS1_11target_archE906ELNS1_3gpuE6ELNS1_3repE0EEENS1_30default_config_static_selectorELNS0_4arch9wavefront6targetE1EEEvT1_.has_recursion, 0
	.set _ZN7rocprim17ROCPRIM_400000_NS6detail17trampoline_kernelINS0_14default_configENS1_25transform_config_selectorIdLb0EEEZNS1_14transform_implILb0ES3_S5_NS0_18transform_iteratorINS0_17counting_iteratorImlEEZNS1_24adjacent_difference_implIS3_Lb1ELb0EPdSB_N6thrust23THRUST_200600_302600_NS4plusIdEEEE10hipError_tPvRmT2_T3_mT4_P12ihipStream_tbEUlmE_dEESB_NS0_8identityIvEEEESG_SJ_SK_mSL_SN_bEUlT_E_NS1_11comp_targetILNS1_3genE2ELNS1_11target_archE906ELNS1_3gpuE6ELNS1_3repE0EEENS1_30default_config_static_selectorELNS0_4arch9wavefront6targetE1EEEvT1_.has_indirect_call, 0
	.section	.AMDGPU.csdata,"",@progbits
; Kernel info:
; codeLenInByte = 228
; TotalNumSgprs: 16
; NumVgprs: 5
; ScratchSize: 0
; MemoryBound: 0
; FloatMode: 240
; IeeeMode: 1
; LDSByteSize: 0 bytes/workgroup (compile time only)
; SGPRBlocks: 1
; VGPRBlocks: 1
; NumSGPRsForWavesPerEU: 16
; NumVGPRsForWavesPerEU: 5
; Occupancy: 10
; WaveLimiterHint : 0
; COMPUTE_PGM_RSRC2:SCRATCH_EN: 0
; COMPUTE_PGM_RSRC2:USER_SGPR: 6
; COMPUTE_PGM_RSRC2:TRAP_HANDLER: 0
; COMPUTE_PGM_RSRC2:TGID_X_EN: 1
; COMPUTE_PGM_RSRC2:TGID_Y_EN: 0
; COMPUTE_PGM_RSRC2:TGID_Z_EN: 0
; COMPUTE_PGM_RSRC2:TIDIG_COMP_CNT: 0
	.section	.text._ZN7rocprim17ROCPRIM_400000_NS6detail17trampoline_kernelINS0_14default_configENS1_25transform_config_selectorIdLb0EEEZNS1_14transform_implILb0ES3_S5_NS0_18transform_iteratorINS0_17counting_iteratorImlEEZNS1_24adjacent_difference_implIS3_Lb1ELb0EPdSB_N6thrust23THRUST_200600_302600_NS4plusIdEEEE10hipError_tPvRmT2_T3_mT4_P12ihipStream_tbEUlmE_dEESB_NS0_8identityIvEEEESG_SJ_SK_mSL_SN_bEUlT_E_NS1_11comp_targetILNS1_3genE10ELNS1_11target_archE1201ELNS1_3gpuE5ELNS1_3repE0EEENS1_30default_config_static_selectorELNS0_4arch9wavefront6targetE1EEEvT1_,"axG",@progbits,_ZN7rocprim17ROCPRIM_400000_NS6detail17trampoline_kernelINS0_14default_configENS1_25transform_config_selectorIdLb0EEEZNS1_14transform_implILb0ES3_S5_NS0_18transform_iteratorINS0_17counting_iteratorImlEEZNS1_24adjacent_difference_implIS3_Lb1ELb0EPdSB_N6thrust23THRUST_200600_302600_NS4plusIdEEEE10hipError_tPvRmT2_T3_mT4_P12ihipStream_tbEUlmE_dEESB_NS0_8identityIvEEEESG_SJ_SK_mSL_SN_bEUlT_E_NS1_11comp_targetILNS1_3genE10ELNS1_11target_archE1201ELNS1_3gpuE5ELNS1_3repE0EEENS1_30default_config_static_selectorELNS0_4arch9wavefront6targetE1EEEvT1_,comdat
	.protected	_ZN7rocprim17ROCPRIM_400000_NS6detail17trampoline_kernelINS0_14default_configENS1_25transform_config_selectorIdLb0EEEZNS1_14transform_implILb0ES3_S5_NS0_18transform_iteratorINS0_17counting_iteratorImlEEZNS1_24adjacent_difference_implIS3_Lb1ELb0EPdSB_N6thrust23THRUST_200600_302600_NS4plusIdEEEE10hipError_tPvRmT2_T3_mT4_P12ihipStream_tbEUlmE_dEESB_NS0_8identityIvEEEESG_SJ_SK_mSL_SN_bEUlT_E_NS1_11comp_targetILNS1_3genE10ELNS1_11target_archE1201ELNS1_3gpuE5ELNS1_3repE0EEENS1_30default_config_static_selectorELNS0_4arch9wavefront6targetE1EEEvT1_ ; -- Begin function _ZN7rocprim17ROCPRIM_400000_NS6detail17trampoline_kernelINS0_14default_configENS1_25transform_config_selectorIdLb0EEEZNS1_14transform_implILb0ES3_S5_NS0_18transform_iteratorINS0_17counting_iteratorImlEEZNS1_24adjacent_difference_implIS3_Lb1ELb0EPdSB_N6thrust23THRUST_200600_302600_NS4plusIdEEEE10hipError_tPvRmT2_T3_mT4_P12ihipStream_tbEUlmE_dEESB_NS0_8identityIvEEEESG_SJ_SK_mSL_SN_bEUlT_E_NS1_11comp_targetILNS1_3genE10ELNS1_11target_archE1201ELNS1_3gpuE5ELNS1_3repE0EEENS1_30default_config_static_selectorELNS0_4arch9wavefront6targetE1EEEvT1_
	.globl	_ZN7rocprim17ROCPRIM_400000_NS6detail17trampoline_kernelINS0_14default_configENS1_25transform_config_selectorIdLb0EEEZNS1_14transform_implILb0ES3_S5_NS0_18transform_iteratorINS0_17counting_iteratorImlEEZNS1_24adjacent_difference_implIS3_Lb1ELb0EPdSB_N6thrust23THRUST_200600_302600_NS4plusIdEEEE10hipError_tPvRmT2_T3_mT4_P12ihipStream_tbEUlmE_dEESB_NS0_8identityIvEEEESG_SJ_SK_mSL_SN_bEUlT_E_NS1_11comp_targetILNS1_3genE10ELNS1_11target_archE1201ELNS1_3gpuE5ELNS1_3repE0EEENS1_30default_config_static_selectorELNS0_4arch9wavefront6targetE1EEEvT1_
	.p2align	8
	.type	_ZN7rocprim17ROCPRIM_400000_NS6detail17trampoline_kernelINS0_14default_configENS1_25transform_config_selectorIdLb0EEEZNS1_14transform_implILb0ES3_S5_NS0_18transform_iteratorINS0_17counting_iteratorImlEEZNS1_24adjacent_difference_implIS3_Lb1ELb0EPdSB_N6thrust23THRUST_200600_302600_NS4plusIdEEEE10hipError_tPvRmT2_T3_mT4_P12ihipStream_tbEUlmE_dEESB_NS0_8identityIvEEEESG_SJ_SK_mSL_SN_bEUlT_E_NS1_11comp_targetILNS1_3genE10ELNS1_11target_archE1201ELNS1_3gpuE5ELNS1_3repE0EEENS1_30default_config_static_selectorELNS0_4arch9wavefront6targetE1EEEvT1_,@function
_ZN7rocprim17ROCPRIM_400000_NS6detail17trampoline_kernelINS0_14default_configENS1_25transform_config_selectorIdLb0EEEZNS1_14transform_implILb0ES3_S5_NS0_18transform_iteratorINS0_17counting_iteratorImlEEZNS1_24adjacent_difference_implIS3_Lb1ELb0EPdSB_N6thrust23THRUST_200600_302600_NS4plusIdEEEE10hipError_tPvRmT2_T3_mT4_P12ihipStream_tbEUlmE_dEESB_NS0_8identityIvEEEESG_SJ_SK_mSL_SN_bEUlT_E_NS1_11comp_targetILNS1_3genE10ELNS1_11target_archE1201ELNS1_3gpuE5ELNS1_3repE0EEENS1_30default_config_static_selectorELNS0_4arch9wavefront6targetE1EEEvT1_: ; @_ZN7rocprim17ROCPRIM_400000_NS6detail17trampoline_kernelINS0_14default_configENS1_25transform_config_selectorIdLb0EEEZNS1_14transform_implILb0ES3_S5_NS0_18transform_iteratorINS0_17counting_iteratorImlEEZNS1_24adjacent_difference_implIS3_Lb1ELb0EPdSB_N6thrust23THRUST_200600_302600_NS4plusIdEEEE10hipError_tPvRmT2_T3_mT4_P12ihipStream_tbEUlmE_dEESB_NS0_8identityIvEEEESG_SJ_SK_mSL_SN_bEUlT_E_NS1_11comp_targetILNS1_3genE10ELNS1_11target_archE1201ELNS1_3gpuE5ELNS1_3repE0EEENS1_30default_config_static_selectorELNS0_4arch9wavefront6targetE1EEEvT1_
; %bb.0:
	.section	.rodata,"a",@progbits
	.p2align	6, 0x0
	.amdhsa_kernel _ZN7rocprim17ROCPRIM_400000_NS6detail17trampoline_kernelINS0_14default_configENS1_25transform_config_selectorIdLb0EEEZNS1_14transform_implILb0ES3_S5_NS0_18transform_iteratorINS0_17counting_iteratorImlEEZNS1_24adjacent_difference_implIS3_Lb1ELb0EPdSB_N6thrust23THRUST_200600_302600_NS4plusIdEEEE10hipError_tPvRmT2_T3_mT4_P12ihipStream_tbEUlmE_dEESB_NS0_8identityIvEEEESG_SJ_SK_mSL_SN_bEUlT_E_NS1_11comp_targetILNS1_3genE10ELNS1_11target_archE1201ELNS1_3gpuE5ELNS1_3repE0EEENS1_30default_config_static_selectorELNS0_4arch9wavefront6targetE1EEEvT1_
		.amdhsa_group_segment_fixed_size 0
		.amdhsa_private_segment_fixed_size 0
		.amdhsa_kernarg_size 56
		.amdhsa_user_sgpr_count 6
		.amdhsa_user_sgpr_private_segment_buffer 1
		.amdhsa_user_sgpr_dispatch_ptr 0
		.amdhsa_user_sgpr_queue_ptr 0
		.amdhsa_user_sgpr_kernarg_segment_ptr 1
		.amdhsa_user_sgpr_dispatch_id 0
		.amdhsa_user_sgpr_flat_scratch_init 0
		.amdhsa_user_sgpr_private_segment_size 0
		.amdhsa_uses_dynamic_stack 0
		.amdhsa_system_sgpr_private_segment_wavefront_offset 0
		.amdhsa_system_sgpr_workgroup_id_x 1
		.amdhsa_system_sgpr_workgroup_id_y 0
		.amdhsa_system_sgpr_workgroup_id_z 0
		.amdhsa_system_sgpr_workgroup_info 0
		.amdhsa_system_vgpr_workitem_id 0
		.amdhsa_next_free_vgpr 1
		.amdhsa_next_free_sgpr 0
		.amdhsa_reserve_vcc 0
		.amdhsa_reserve_flat_scratch 0
		.amdhsa_float_round_mode_32 0
		.amdhsa_float_round_mode_16_64 0
		.amdhsa_float_denorm_mode_32 3
		.amdhsa_float_denorm_mode_16_64 3
		.amdhsa_dx10_clamp 1
		.amdhsa_ieee_mode 1
		.amdhsa_fp16_overflow 0
		.amdhsa_exception_fp_ieee_invalid_op 0
		.amdhsa_exception_fp_denorm_src 0
		.amdhsa_exception_fp_ieee_div_zero 0
		.amdhsa_exception_fp_ieee_overflow 0
		.amdhsa_exception_fp_ieee_underflow 0
		.amdhsa_exception_fp_ieee_inexact 0
		.amdhsa_exception_int_div_zero 0
	.end_amdhsa_kernel
	.section	.text._ZN7rocprim17ROCPRIM_400000_NS6detail17trampoline_kernelINS0_14default_configENS1_25transform_config_selectorIdLb0EEEZNS1_14transform_implILb0ES3_S5_NS0_18transform_iteratorINS0_17counting_iteratorImlEEZNS1_24adjacent_difference_implIS3_Lb1ELb0EPdSB_N6thrust23THRUST_200600_302600_NS4plusIdEEEE10hipError_tPvRmT2_T3_mT4_P12ihipStream_tbEUlmE_dEESB_NS0_8identityIvEEEESG_SJ_SK_mSL_SN_bEUlT_E_NS1_11comp_targetILNS1_3genE10ELNS1_11target_archE1201ELNS1_3gpuE5ELNS1_3repE0EEENS1_30default_config_static_selectorELNS0_4arch9wavefront6targetE1EEEvT1_,"axG",@progbits,_ZN7rocprim17ROCPRIM_400000_NS6detail17trampoline_kernelINS0_14default_configENS1_25transform_config_selectorIdLb0EEEZNS1_14transform_implILb0ES3_S5_NS0_18transform_iteratorINS0_17counting_iteratorImlEEZNS1_24adjacent_difference_implIS3_Lb1ELb0EPdSB_N6thrust23THRUST_200600_302600_NS4plusIdEEEE10hipError_tPvRmT2_T3_mT4_P12ihipStream_tbEUlmE_dEESB_NS0_8identityIvEEEESG_SJ_SK_mSL_SN_bEUlT_E_NS1_11comp_targetILNS1_3genE10ELNS1_11target_archE1201ELNS1_3gpuE5ELNS1_3repE0EEENS1_30default_config_static_selectorELNS0_4arch9wavefront6targetE1EEEvT1_,comdat
.Lfunc_end40:
	.size	_ZN7rocprim17ROCPRIM_400000_NS6detail17trampoline_kernelINS0_14default_configENS1_25transform_config_selectorIdLb0EEEZNS1_14transform_implILb0ES3_S5_NS0_18transform_iteratorINS0_17counting_iteratorImlEEZNS1_24adjacent_difference_implIS3_Lb1ELb0EPdSB_N6thrust23THRUST_200600_302600_NS4plusIdEEEE10hipError_tPvRmT2_T3_mT4_P12ihipStream_tbEUlmE_dEESB_NS0_8identityIvEEEESG_SJ_SK_mSL_SN_bEUlT_E_NS1_11comp_targetILNS1_3genE10ELNS1_11target_archE1201ELNS1_3gpuE5ELNS1_3repE0EEENS1_30default_config_static_selectorELNS0_4arch9wavefront6targetE1EEEvT1_, .Lfunc_end40-_ZN7rocprim17ROCPRIM_400000_NS6detail17trampoline_kernelINS0_14default_configENS1_25transform_config_selectorIdLb0EEEZNS1_14transform_implILb0ES3_S5_NS0_18transform_iteratorINS0_17counting_iteratorImlEEZNS1_24adjacent_difference_implIS3_Lb1ELb0EPdSB_N6thrust23THRUST_200600_302600_NS4plusIdEEEE10hipError_tPvRmT2_T3_mT4_P12ihipStream_tbEUlmE_dEESB_NS0_8identityIvEEEESG_SJ_SK_mSL_SN_bEUlT_E_NS1_11comp_targetILNS1_3genE10ELNS1_11target_archE1201ELNS1_3gpuE5ELNS1_3repE0EEENS1_30default_config_static_selectorELNS0_4arch9wavefront6targetE1EEEvT1_
                                        ; -- End function
	.set _ZN7rocprim17ROCPRIM_400000_NS6detail17trampoline_kernelINS0_14default_configENS1_25transform_config_selectorIdLb0EEEZNS1_14transform_implILb0ES3_S5_NS0_18transform_iteratorINS0_17counting_iteratorImlEEZNS1_24adjacent_difference_implIS3_Lb1ELb0EPdSB_N6thrust23THRUST_200600_302600_NS4plusIdEEEE10hipError_tPvRmT2_T3_mT4_P12ihipStream_tbEUlmE_dEESB_NS0_8identityIvEEEESG_SJ_SK_mSL_SN_bEUlT_E_NS1_11comp_targetILNS1_3genE10ELNS1_11target_archE1201ELNS1_3gpuE5ELNS1_3repE0EEENS1_30default_config_static_selectorELNS0_4arch9wavefront6targetE1EEEvT1_.num_vgpr, 0
	.set _ZN7rocprim17ROCPRIM_400000_NS6detail17trampoline_kernelINS0_14default_configENS1_25transform_config_selectorIdLb0EEEZNS1_14transform_implILb0ES3_S5_NS0_18transform_iteratorINS0_17counting_iteratorImlEEZNS1_24adjacent_difference_implIS3_Lb1ELb0EPdSB_N6thrust23THRUST_200600_302600_NS4plusIdEEEE10hipError_tPvRmT2_T3_mT4_P12ihipStream_tbEUlmE_dEESB_NS0_8identityIvEEEESG_SJ_SK_mSL_SN_bEUlT_E_NS1_11comp_targetILNS1_3genE10ELNS1_11target_archE1201ELNS1_3gpuE5ELNS1_3repE0EEENS1_30default_config_static_selectorELNS0_4arch9wavefront6targetE1EEEvT1_.num_agpr, 0
	.set _ZN7rocprim17ROCPRIM_400000_NS6detail17trampoline_kernelINS0_14default_configENS1_25transform_config_selectorIdLb0EEEZNS1_14transform_implILb0ES3_S5_NS0_18transform_iteratorINS0_17counting_iteratorImlEEZNS1_24adjacent_difference_implIS3_Lb1ELb0EPdSB_N6thrust23THRUST_200600_302600_NS4plusIdEEEE10hipError_tPvRmT2_T3_mT4_P12ihipStream_tbEUlmE_dEESB_NS0_8identityIvEEEESG_SJ_SK_mSL_SN_bEUlT_E_NS1_11comp_targetILNS1_3genE10ELNS1_11target_archE1201ELNS1_3gpuE5ELNS1_3repE0EEENS1_30default_config_static_selectorELNS0_4arch9wavefront6targetE1EEEvT1_.numbered_sgpr, 0
	.set _ZN7rocprim17ROCPRIM_400000_NS6detail17trampoline_kernelINS0_14default_configENS1_25transform_config_selectorIdLb0EEEZNS1_14transform_implILb0ES3_S5_NS0_18transform_iteratorINS0_17counting_iteratorImlEEZNS1_24adjacent_difference_implIS3_Lb1ELb0EPdSB_N6thrust23THRUST_200600_302600_NS4plusIdEEEE10hipError_tPvRmT2_T3_mT4_P12ihipStream_tbEUlmE_dEESB_NS0_8identityIvEEEESG_SJ_SK_mSL_SN_bEUlT_E_NS1_11comp_targetILNS1_3genE10ELNS1_11target_archE1201ELNS1_3gpuE5ELNS1_3repE0EEENS1_30default_config_static_selectorELNS0_4arch9wavefront6targetE1EEEvT1_.num_named_barrier, 0
	.set _ZN7rocprim17ROCPRIM_400000_NS6detail17trampoline_kernelINS0_14default_configENS1_25transform_config_selectorIdLb0EEEZNS1_14transform_implILb0ES3_S5_NS0_18transform_iteratorINS0_17counting_iteratorImlEEZNS1_24adjacent_difference_implIS3_Lb1ELb0EPdSB_N6thrust23THRUST_200600_302600_NS4plusIdEEEE10hipError_tPvRmT2_T3_mT4_P12ihipStream_tbEUlmE_dEESB_NS0_8identityIvEEEESG_SJ_SK_mSL_SN_bEUlT_E_NS1_11comp_targetILNS1_3genE10ELNS1_11target_archE1201ELNS1_3gpuE5ELNS1_3repE0EEENS1_30default_config_static_selectorELNS0_4arch9wavefront6targetE1EEEvT1_.private_seg_size, 0
	.set _ZN7rocprim17ROCPRIM_400000_NS6detail17trampoline_kernelINS0_14default_configENS1_25transform_config_selectorIdLb0EEEZNS1_14transform_implILb0ES3_S5_NS0_18transform_iteratorINS0_17counting_iteratorImlEEZNS1_24adjacent_difference_implIS3_Lb1ELb0EPdSB_N6thrust23THRUST_200600_302600_NS4plusIdEEEE10hipError_tPvRmT2_T3_mT4_P12ihipStream_tbEUlmE_dEESB_NS0_8identityIvEEEESG_SJ_SK_mSL_SN_bEUlT_E_NS1_11comp_targetILNS1_3genE10ELNS1_11target_archE1201ELNS1_3gpuE5ELNS1_3repE0EEENS1_30default_config_static_selectorELNS0_4arch9wavefront6targetE1EEEvT1_.uses_vcc, 0
	.set _ZN7rocprim17ROCPRIM_400000_NS6detail17trampoline_kernelINS0_14default_configENS1_25transform_config_selectorIdLb0EEEZNS1_14transform_implILb0ES3_S5_NS0_18transform_iteratorINS0_17counting_iteratorImlEEZNS1_24adjacent_difference_implIS3_Lb1ELb0EPdSB_N6thrust23THRUST_200600_302600_NS4plusIdEEEE10hipError_tPvRmT2_T3_mT4_P12ihipStream_tbEUlmE_dEESB_NS0_8identityIvEEEESG_SJ_SK_mSL_SN_bEUlT_E_NS1_11comp_targetILNS1_3genE10ELNS1_11target_archE1201ELNS1_3gpuE5ELNS1_3repE0EEENS1_30default_config_static_selectorELNS0_4arch9wavefront6targetE1EEEvT1_.uses_flat_scratch, 0
	.set _ZN7rocprim17ROCPRIM_400000_NS6detail17trampoline_kernelINS0_14default_configENS1_25transform_config_selectorIdLb0EEEZNS1_14transform_implILb0ES3_S5_NS0_18transform_iteratorINS0_17counting_iteratorImlEEZNS1_24adjacent_difference_implIS3_Lb1ELb0EPdSB_N6thrust23THRUST_200600_302600_NS4plusIdEEEE10hipError_tPvRmT2_T3_mT4_P12ihipStream_tbEUlmE_dEESB_NS0_8identityIvEEEESG_SJ_SK_mSL_SN_bEUlT_E_NS1_11comp_targetILNS1_3genE10ELNS1_11target_archE1201ELNS1_3gpuE5ELNS1_3repE0EEENS1_30default_config_static_selectorELNS0_4arch9wavefront6targetE1EEEvT1_.has_dyn_sized_stack, 0
	.set _ZN7rocprim17ROCPRIM_400000_NS6detail17trampoline_kernelINS0_14default_configENS1_25transform_config_selectorIdLb0EEEZNS1_14transform_implILb0ES3_S5_NS0_18transform_iteratorINS0_17counting_iteratorImlEEZNS1_24adjacent_difference_implIS3_Lb1ELb0EPdSB_N6thrust23THRUST_200600_302600_NS4plusIdEEEE10hipError_tPvRmT2_T3_mT4_P12ihipStream_tbEUlmE_dEESB_NS0_8identityIvEEEESG_SJ_SK_mSL_SN_bEUlT_E_NS1_11comp_targetILNS1_3genE10ELNS1_11target_archE1201ELNS1_3gpuE5ELNS1_3repE0EEENS1_30default_config_static_selectorELNS0_4arch9wavefront6targetE1EEEvT1_.has_recursion, 0
	.set _ZN7rocprim17ROCPRIM_400000_NS6detail17trampoline_kernelINS0_14default_configENS1_25transform_config_selectorIdLb0EEEZNS1_14transform_implILb0ES3_S5_NS0_18transform_iteratorINS0_17counting_iteratorImlEEZNS1_24adjacent_difference_implIS3_Lb1ELb0EPdSB_N6thrust23THRUST_200600_302600_NS4plusIdEEEE10hipError_tPvRmT2_T3_mT4_P12ihipStream_tbEUlmE_dEESB_NS0_8identityIvEEEESG_SJ_SK_mSL_SN_bEUlT_E_NS1_11comp_targetILNS1_3genE10ELNS1_11target_archE1201ELNS1_3gpuE5ELNS1_3repE0EEENS1_30default_config_static_selectorELNS0_4arch9wavefront6targetE1EEEvT1_.has_indirect_call, 0
	.section	.AMDGPU.csdata,"",@progbits
; Kernel info:
; codeLenInByte = 0
; TotalNumSgprs: 4
; NumVgprs: 0
; ScratchSize: 0
; MemoryBound: 0
; FloatMode: 240
; IeeeMode: 1
; LDSByteSize: 0 bytes/workgroup (compile time only)
; SGPRBlocks: 0
; VGPRBlocks: 0
; NumSGPRsForWavesPerEU: 4
; NumVGPRsForWavesPerEU: 1
; Occupancy: 10
; WaveLimiterHint : 0
; COMPUTE_PGM_RSRC2:SCRATCH_EN: 0
; COMPUTE_PGM_RSRC2:USER_SGPR: 6
; COMPUTE_PGM_RSRC2:TRAP_HANDLER: 0
; COMPUTE_PGM_RSRC2:TGID_X_EN: 1
; COMPUTE_PGM_RSRC2:TGID_Y_EN: 0
; COMPUTE_PGM_RSRC2:TGID_Z_EN: 0
; COMPUTE_PGM_RSRC2:TIDIG_COMP_CNT: 0
	.section	.text._ZN7rocprim17ROCPRIM_400000_NS6detail17trampoline_kernelINS0_14default_configENS1_25transform_config_selectorIdLb0EEEZNS1_14transform_implILb0ES3_S5_NS0_18transform_iteratorINS0_17counting_iteratorImlEEZNS1_24adjacent_difference_implIS3_Lb1ELb0EPdSB_N6thrust23THRUST_200600_302600_NS4plusIdEEEE10hipError_tPvRmT2_T3_mT4_P12ihipStream_tbEUlmE_dEESB_NS0_8identityIvEEEESG_SJ_SK_mSL_SN_bEUlT_E_NS1_11comp_targetILNS1_3genE10ELNS1_11target_archE1200ELNS1_3gpuE4ELNS1_3repE0EEENS1_30default_config_static_selectorELNS0_4arch9wavefront6targetE1EEEvT1_,"axG",@progbits,_ZN7rocprim17ROCPRIM_400000_NS6detail17trampoline_kernelINS0_14default_configENS1_25transform_config_selectorIdLb0EEEZNS1_14transform_implILb0ES3_S5_NS0_18transform_iteratorINS0_17counting_iteratorImlEEZNS1_24adjacent_difference_implIS3_Lb1ELb0EPdSB_N6thrust23THRUST_200600_302600_NS4plusIdEEEE10hipError_tPvRmT2_T3_mT4_P12ihipStream_tbEUlmE_dEESB_NS0_8identityIvEEEESG_SJ_SK_mSL_SN_bEUlT_E_NS1_11comp_targetILNS1_3genE10ELNS1_11target_archE1200ELNS1_3gpuE4ELNS1_3repE0EEENS1_30default_config_static_selectorELNS0_4arch9wavefront6targetE1EEEvT1_,comdat
	.protected	_ZN7rocprim17ROCPRIM_400000_NS6detail17trampoline_kernelINS0_14default_configENS1_25transform_config_selectorIdLb0EEEZNS1_14transform_implILb0ES3_S5_NS0_18transform_iteratorINS0_17counting_iteratorImlEEZNS1_24adjacent_difference_implIS3_Lb1ELb0EPdSB_N6thrust23THRUST_200600_302600_NS4plusIdEEEE10hipError_tPvRmT2_T3_mT4_P12ihipStream_tbEUlmE_dEESB_NS0_8identityIvEEEESG_SJ_SK_mSL_SN_bEUlT_E_NS1_11comp_targetILNS1_3genE10ELNS1_11target_archE1200ELNS1_3gpuE4ELNS1_3repE0EEENS1_30default_config_static_selectorELNS0_4arch9wavefront6targetE1EEEvT1_ ; -- Begin function _ZN7rocprim17ROCPRIM_400000_NS6detail17trampoline_kernelINS0_14default_configENS1_25transform_config_selectorIdLb0EEEZNS1_14transform_implILb0ES3_S5_NS0_18transform_iteratorINS0_17counting_iteratorImlEEZNS1_24adjacent_difference_implIS3_Lb1ELb0EPdSB_N6thrust23THRUST_200600_302600_NS4plusIdEEEE10hipError_tPvRmT2_T3_mT4_P12ihipStream_tbEUlmE_dEESB_NS0_8identityIvEEEESG_SJ_SK_mSL_SN_bEUlT_E_NS1_11comp_targetILNS1_3genE10ELNS1_11target_archE1200ELNS1_3gpuE4ELNS1_3repE0EEENS1_30default_config_static_selectorELNS0_4arch9wavefront6targetE1EEEvT1_
	.globl	_ZN7rocprim17ROCPRIM_400000_NS6detail17trampoline_kernelINS0_14default_configENS1_25transform_config_selectorIdLb0EEEZNS1_14transform_implILb0ES3_S5_NS0_18transform_iteratorINS0_17counting_iteratorImlEEZNS1_24adjacent_difference_implIS3_Lb1ELb0EPdSB_N6thrust23THRUST_200600_302600_NS4plusIdEEEE10hipError_tPvRmT2_T3_mT4_P12ihipStream_tbEUlmE_dEESB_NS0_8identityIvEEEESG_SJ_SK_mSL_SN_bEUlT_E_NS1_11comp_targetILNS1_3genE10ELNS1_11target_archE1200ELNS1_3gpuE4ELNS1_3repE0EEENS1_30default_config_static_selectorELNS0_4arch9wavefront6targetE1EEEvT1_
	.p2align	8
	.type	_ZN7rocprim17ROCPRIM_400000_NS6detail17trampoline_kernelINS0_14default_configENS1_25transform_config_selectorIdLb0EEEZNS1_14transform_implILb0ES3_S5_NS0_18transform_iteratorINS0_17counting_iteratorImlEEZNS1_24adjacent_difference_implIS3_Lb1ELb0EPdSB_N6thrust23THRUST_200600_302600_NS4plusIdEEEE10hipError_tPvRmT2_T3_mT4_P12ihipStream_tbEUlmE_dEESB_NS0_8identityIvEEEESG_SJ_SK_mSL_SN_bEUlT_E_NS1_11comp_targetILNS1_3genE10ELNS1_11target_archE1200ELNS1_3gpuE4ELNS1_3repE0EEENS1_30default_config_static_selectorELNS0_4arch9wavefront6targetE1EEEvT1_,@function
_ZN7rocprim17ROCPRIM_400000_NS6detail17trampoline_kernelINS0_14default_configENS1_25transform_config_selectorIdLb0EEEZNS1_14transform_implILb0ES3_S5_NS0_18transform_iteratorINS0_17counting_iteratorImlEEZNS1_24adjacent_difference_implIS3_Lb1ELb0EPdSB_N6thrust23THRUST_200600_302600_NS4plusIdEEEE10hipError_tPvRmT2_T3_mT4_P12ihipStream_tbEUlmE_dEESB_NS0_8identityIvEEEESG_SJ_SK_mSL_SN_bEUlT_E_NS1_11comp_targetILNS1_3genE10ELNS1_11target_archE1200ELNS1_3gpuE4ELNS1_3repE0EEENS1_30default_config_static_selectorELNS0_4arch9wavefront6targetE1EEEvT1_: ; @_ZN7rocprim17ROCPRIM_400000_NS6detail17trampoline_kernelINS0_14default_configENS1_25transform_config_selectorIdLb0EEEZNS1_14transform_implILb0ES3_S5_NS0_18transform_iteratorINS0_17counting_iteratorImlEEZNS1_24adjacent_difference_implIS3_Lb1ELb0EPdSB_N6thrust23THRUST_200600_302600_NS4plusIdEEEE10hipError_tPvRmT2_T3_mT4_P12ihipStream_tbEUlmE_dEESB_NS0_8identityIvEEEESG_SJ_SK_mSL_SN_bEUlT_E_NS1_11comp_targetILNS1_3genE10ELNS1_11target_archE1200ELNS1_3gpuE4ELNS1_3repE0EEENS1_30default_config_static_selectorELNS0_4arch9wavefront6targetE1EEEvT1_
; %bb.0:
	.section	.rodata,"a",@progbits
	.p2align	6, 0x0
	.amdhsa_kernel _ZN7rocprim17ROCPRIM_400000_NS6detail17trampoline_kernelINS0_14default_configENS1_25transform_config_selectorIdLb0EEEZNS1_14transform_implILb0ES3_S5_NS0_18transform_iteratorINS0_17counting_iteratorImlEEZNS1_24adjacent_difference_implIS3_Lb1ELb0EPdSB_N6thrust23THRUST_200600_302600_NS4plusIdEEEE10hipError_tPvRmT2_T3_mT4_P12ihipStream_tbEUlmE_dEESB_NS0_8identityIvEEEESG_SJ_SK_mSL_SN_bEUlT_E_NS1_11comp_targetILNS1_3genE10ELNS1_11target_archE1200ELNS1_3gpuE4ELNS1_3repE0EEENS1_30default_config_static_selectorELNS0_4arch9wavefront6targetE1EEEvT1_
		.amdhsa_group_segment_fixed_size 0
		.amdhsa_private_segment_fixed_size 0
		.amdhsa_kernarg_size 56
		.amdhsa_user_sgpr_count 6
		.amdhsa_user_sgpr_private_segment_buffer 1
		.amdhsa_user_sgpr_dispatch_ptr 0
		.amdhsa_user_sgpr_queue_ptr 0
		.amdhsa_user_sgpr_kernarg_segment_ptr 1
		.amdhsa_user_sgpr_dispatch_id 0
		.amdhsa_user_sgpr_flat_scratch_init 0
		.amdhsa_user_sgpr_private_segment_size 0
		.amdhsa_uses_dynamic_stack 0
		.amdhsa_system_sgpr_private_segment_wavefront_offset 0
		.amdhsa_system_sgpr_workgroup_id_x 1
		.amdhsa_system_sgpr_workgroup_id_y 0
		.amdhsa_system_sgpr_workgroup_id_z 0
		.amdhsa_system_sgpr_workgroup_info 0
		.amdhsa_system_vgpr_workitem_id 0
		.amdhsa_next_free_vgpr 1
		.amdhsa_next_free_sgpr 0
		.amdhsa_reserve_vcc 0
		.amdhsa_reserve_flat_scratch 0
		.amdhsa_float_round_mode_32 0
		.amdhsa_float_round_mode_16_64 0
		.amdhsa_float_denorm_mode_32 3
		.amdhsa_float_denorm_mode_16_64 3
		.amdhsa_dx10_clamp 1
		.amdhsa_ieee_mode 1
		.amdhsa_fp16_overflow 0
		.amdhsa_exception_fp_ieee_invalid_op 0
		.amdhsa_exception_fp_denorm_src 0
		.amdhsa_exception_fp_ieee_div_zero 0
		.amdhsa_exception_fp_ieee_overflow 0
		.amdhsa_exception_fp_ieee_underflow 0
		.amdhsa_exception_fp_ieee_inexact 0
		.amdhsa_exception_int_div_zero 0
	.end_amdhsa_kernel
	.section	.text._ZN7rocprim17ROCPRIM_400000_NS6detail17trampoline_kernelINS0_14default_configENS1_25transform_config_selectorIdLb0EEEZNS1_14transform_implILb0ES3_S5_NS0_18transform_iteratorINS0_17counting_iteratorImlEEZNS1_24adjacent_difference_implIS3_Lb1ELb0EPdSB_N6thrust23THRUST_200600_302600_NS4plusIdEEEE10hipError_tPvRmT2_T3_mT4_P12ihipStream_tbEUlmE_dEESB_NS0_8identityIvEEEESG_SJ_SK_mSL_SN_bEUlT_E_NS1_11comp_targetILNS1_3genE10ELNS1_11target_archE1200ELNS1_3gpuE4ELNS1_3repE0EEENS1_30default_config_static_selectorELNS0_4arch9wavefront6targetE1EEEvT1_,"axG",@progbits,_ZN7rocprim17ROCPRIM_400000_NS6detail17trampoline_kernelINS0_14default_configENS1_25transform_config_selectorIdLb0EEEZNS1_14transform_implILb0ES3_S5_NS0_18transform_iteratorINS0_17counting_iteratorImlEEZNS1_24adjacent_difference_implIS3_Lb1ELb0EPdSB_N6thrust23THRUST_200600_302600_NS4plusIdEEEE10hipError_tPvRmT2_T3_mT4_P12ihipStream_tbEUlmE_dEESB_NS0_8identityIvEEEESG_SJ_SK_mSL_SN_bEUlT_E_NS1_11comp_targetILNS1_3genE10ELNS1_11target_archE1200ELNS1_3gpuE4ELNS1_3repE0EEENS1_30default_config_static_selectorELNS0_4arch9wavefront6targetE1EEEvT1_,comdat
.Lfunc_end41:
	.size	_ZN7rocprim17ROCPRIM_400000_NS6detail17trampoline_kernelINS0_14default_configENS1_25transform_config_selectorIdLb0EEEZNS1_14transform_implILb0ES3_S5_NS0_18transform_iteratorINS0_17counting_iteratorImlEEZNS1_24adjacent_difference_implIS3_Lb1ELb0EPdSB_N6thrust23THRUST_200600_302600_NS4plusIdEEEE10hipError_tPvRmT2_T3_mT4_P12ihipStream_tbEUlmE_dEESB_NS0_8identityIvEEEESG_SJ_SK_mSL_SN_bEUlT_E_NS1_11comp_targetILNS1_3genE10ELNS1_11target_archE1200ELNS1_3gpuE4ELNS1_3repE0EEENS1_30default_config_static_selectorELNS0_4arch9wavefront6targetE1EEEvT1_, .Lfunc_end41-_ZN7rocprim17ROCPRIM_400000_NS6detail17trampoline_kernelINS0_14default_configENS1_25transform_config_selectorIdLb0EEEZNS1_14transform_implILb0ES3_S5_NS0_18transform_iteratorINS0_17counting_iteratorImlEEZNS1_24adjacent_difference_implIS3_Lb1ELb0EPdSB_N6thrust23THRUST_200600_302600_NS4plusIdEEEE10hipError_tPvRmT2_T3_mT4_P12ihipStream_tbEUlmE_dEESB_NS0_8identityIvEEEESG_SJ_SK_mSL_SN_bEUlT_E_NS1_11comp_targetILNS1_3genE10ELNS1_11target_archE1200ELNS1_3gpuE4ELNS1_3repE0EEENS1_30default_config_static_selectorELNS0_4arch9wavefront6targetE1EEEvT1_
                                        ; -- End function
	.set _ZN7rocprim17ROCPRIM_400000_NS6detail17trampoline_kernelINS0_14default_configENS1_25transform_config_selectorIdLb0EEEZNS1_14transform_implILb0ES3_S5_NS0_18transform_iteratorINS0_17counting_iteratorImlEEZNS1_24adjacent_difference_implIS3_Lb1ELb0EPdSB_N6thrust23THRUST_200600_302600_NS4plusIdEEEE10hipError_tPvRmT2_T3_mT4_P12ihipStream_tbEUlmE_dEESB_NS0_8identityIvEEEESG_SJ_SK_mSL_SN_bEUlT_E_NS1_11comp_targetILNS1_3genE10ELNS1_11target_archE1200ELNS1_3gpuE4ELNS1_3repE0EEENS1_30default_config_static_selectorELNS0_4arch9wavefront6targetE1EEEvT1_.num_vgpr, 0
	.set _ZN7rocprim17ROCPRIM_400000_NS6detail17trampoline_kernelINS0_14default_configENS1_25transform_config_selectorIdLb0EEEZNS1_14transform_implILb0ES3_S5_NS0_18transform_iteratorINS0_17counting_iteratorImlEEZNS1_24adjacent_difference_implIS3_Lb1ELb0EPdSB_N6thrust23THRUST_200600_302600_NS4plusIdEEEE10hipError_tPvRmT2_T3_mT4_P12ihipStream_tbEUlmE_dEESB_NS0_8identityIvEEEESG_SJ_SK_mSL_SN_bEUlT_E_NS1_11comp_targetILNS1_3genE10ELNS1_11target_archE1200ELNS1_3gpuE4ELNS1_3repE0EEENS1_30default_config_static_selectorELNS0_4arch9wavefront6targetE1EEEvT1_.num_agpr, 0
	.set _ZN7rocprim17ROCPRIM_400000_NS6detail17trampoline_kernelINS0_14default_configENS1_25transform_config_selectorIdLb0EEEZNS1_14transform_implILb0ES3_S5_NS0_18transform_iteratorINS0_17counting_iteratorImlEEZNS1_24adjacent_difference_implIS3_Lb1ELb0EPdSB_N6thrust23THRUST_200600_302600_NS4plusIdEEEE10hipError_tPvRmT2_T3_mT4_P12ihipStream_tbEUlmE_dEESB_NS0_8identityIvEEEESG_SJ_SK_mSL_SN_bEUlT_E_NS1_11comp_targetILNS1_3genE10ELNS1_11target_archE1200ELNS1_3gpuE4ELNS1_3repE0EEENS1_30default_config_static_selectorELNS0_4arch9wavefront6targetE1EEEvT1_.numbered_sgpr, 0
	.set _ZN7rocprim17ROCPRIM_400000_NS6detail17trampoline_kernelINS0_14default_configENS1_25transform_config_selectorIdLb0EEEZNS1_14transform_implILb0ES3_S5_NS0_18transform_iteratorINS0_17counting_iteratorImlEEZNS1_24adjacent_difference_implIS3_Lb1ELb0EPdSB_N6thrust23THRUST_200600_302600_NS4plusIdEEEE10hipError_tPvRmT2_T3_mT4_P12ihipStream_tbEUlmE_dEESB_NS0_8identityIvEEEESG_SJ_SK_mSL_SN_bEUlT_E_NS1_11comp_targetILNS1_3genE10ELNS1_11target_archE1200ELNS1_3gpuE4ELNS1_3repE0EEENS1_30default_config_static_selectorELNS0_4arch9wavefront6targetE1EEEvT1_.num_named_barrier, 0
	.set _ZN7rocprim17ROCPRIM_400000_NS6detail17trampoline_kernelINS0_14default_configENS1_25transform_config_selectorIdLb0EEEZNS1_14transform_implILb0ES3_S5_NS0_18transform_iteratorINS0_17counting_iteratorImlEEZNS1_24adjacent_difference_implIS3_Lb1ELb0EPdSB_N6thrust23THRUST_200600_302600_NS4plusIdEEEE10hipError_tPvRmT2_T3_mT4_P12ihipStream_tbEUlmE_dEESB_NS0_8identityIvEEEESG_SJ_SK_mSL_SN_bEUlT_E_NS1_11comp_targetILNS1_3genE10ELNS1_11target_archE1200ELNS1_3gpuE4ELNS1_3repE0EEENS1_30default_config_static_selectorELNS0_4arch9wavefront6targetE1EEEvT1_.private_seg_size, 0
	.set _ZN7rocprim17ROCPRIM_400000_NS6detail17trampoline_kernelINS0_14default_configENS1_25transform_config_selectorIdLb0EEEZNS1_14transform_implILb0ES3_S5_NS0_18transform_iteratorINS0_17counting_iteratorImlEEZNS1_24adjacent_difference_implIS3_Lb1ELb0EPdSB_N6thrust23THRUST_200600_302600_NS4plusIdEEEE10hipError_tPvRmT2_T3_mT4_P12ihipStream_tbEUlmE_dEESB_NS0_8identityIvEEEESG_SJ_SK_mSL_SN_bEUlT_E_NS1_11comp_targetILNS1_3genE10ELNS1_11target_archE1200ELNS1_3gpuE4ELNS1_3repE0EEENS1_30default_config_static_selectorELNS0_4arch9wavefront6targetE1EEEvT1_.uses_vcc, 0
	.set _ZN7rocprim17ROCPRIM_400000_NS6detail17trampoline_kernelINS0_14default_configENS1_25transform_config_selectorIdLb0EEEZNS1_14transform_implILb0ES3_S5_NS0_18transform_iteratorINS0_17counting_iteratorImlEEZNS1_24adjacent_difference_implIS3_Lb1ELb0EPdSB_N6thrust23THRUST_200600_302600_NS4plusIdEEEE10hipError_tPvRmT2_T3_mT4_P12ihipStream_tbEUlmE_dEESB_NS0_8identityIvEEEESG_SJ_SK_mSL_SN_bEUlT_E_NS1_11comp_targetILNS1_3genE10ELNS1_11target_archE1200ELNS1_3gpuE4ELNS1_3repE0EEENS1_30default_config_static_selectorELNS0_4arch9wavefront6targetE1EEEvT1_.uses_flat_scratch, 0
	.set _ZN7rocprim17ROCPRIM_400000_NS6detail17trampoline_kernelINS0_14default_configENS1_25transform_config_selectorIdLb0EEEZNS1_14transform_implILb0ES3_S5_NS0_18transform_iteratorINS0_17counting_iteratorImlEEZNS1_24adjacent_difference_implIS3_Lb1ELb0EPdSB_N6thrust23THRUST_200600_302600_NS4plusIdEEEE10hipError_tPvRmT2_T3_mT4_P12ihipStream_tbEUlmE_dEESB_NS0_8identityIvEEEESG_SJ_SK_mSL_SN_bEUlT_E_NS1_11comp_targetILNS1_3genE10ELNS1_11target_archE1200ELNS1_3gpuE4ELNS1_3repE0EEENS1_30default_config_static_selectorELNS0_4arch9wavefront6targetE1EEEvT1_.has_dyn_sized_stack, 0
	.set _ZN7rocprim17ROCPRIM_400000_NS6detail17trampoline_kernelINS0_14default_configENS1_25transform_config_selectorIdLb0EEEZNS1_14transform_implILb0ES3_S5_NS0_18transform_iteratorINS0_17counting_iteratorImlEEZNS1_24adjacent_difference_implIS3_Lb1ELb0EPdSB_N6thrust23THRUST_200600_302600_NS4plusIdEEEE10hipError_tPvRmT2_T3_mT4_P12ihipStream_tbEUlmE_dEESB_NS0_8identityIvEEEESG_SJ_SK_mSL_SN_bEUlT_E_NS1_11comp_targetILNS1_3genE10ELNS1_11target_archE1200ELNS1_3gpuE4ELNS1_3repE0EEENS1_30default_config_static_selectorELNS0_4arch9wavefront6targetE1EEEvT1_.has_recursion, 0
	.set _ZN7rocprim17ROCPRIM_400000_NS6detail17trampoline_kernelINS0_14default_configENS1_25transform_config_selectorIdLb0EEEZNS1_14transform_implILb0ES3_S5_NS0_18transform_iteratorINS0_17counting_iteratorImlEEZNS1_24adjacent_difference_implIS3_Lb1ELb0EPdSB_N6thrust23THRUST_200600_302600_NS4plusIdEEEE10hipError_tPvRmT2_T3_mT4_P12ihipStream_tbEUlmE_dEESB_NS0_8identityIvEEEESG_SJ_SK_mSL_SN_bEUlT_E_NS1_11comp_targetILNS1_3genE10ELNS1_11target_archE1200ELNS1_3gpuE4ELNS1_3repE0EEENS1_30default_config_static_selectorELNS0_4arch9wavefront6targetE1EEEvT1_.has_indirect_call, 0
	.section	.AMDGPU.csdata,"",@progbits
; Kernel info:
; codeLenInByte = 0
; TotalNumSgprs: 4
; NumVgprs: 0
; ScratchSize: 0
; MemoryBound: 0
; FloatMode: 240
; IeeeMode: 1
; LDSByteSize: 0 bytes/workgroup (compile time only)
; SGPRBlocks: 0
; VGPRBlocks: 0
; NumSGPRsForWavesPerEU: 4
; NumVGPRsForWavesPerEU: 1
; Occupancy: 10
; WaveLimiterHint : 0
; COMPUTE_PGM_RSRC2:SCRATCH_EN: 0
; COMPUTE_PGM_RSRC2:USER_SGPR: 6
; COMPUTE_PGM_RSRC2:TRAP_HANDLER: 0
; COMPUTE_PGM_RSRC2:TGID_X_EN: 1
; COMPUTE_PGM_RSRC2:TGID_Y_EN: 0
; COMPUTE_PGM_RSRC2:TGID_Z_EN: 0
; COMPUTE_PGM_RSRC2:TIDIG_COMP_CNT: 0
	.section	.text._ZN7rocprim17ROCPRIM_400000_NS6detail17trampoline_kernelINS0_14default_configENS1_25transform_config_selectorIdLb0EEEZNS1_14transform_implILb0ES3_S5_NS0_18transform_iteratorINS0_17counting_iteratorImlEEZNS1_24adjacent_difference_implIS3_Lb1ELb0EPdSB_N6thrust23THRUST_200600_302600_NS4plusIdEEEE10hipError_tPvRmT2_T3_mT4_P12ihipStream_tbEUlmE_dEESB_NS0_8identityIvEEEESG_SJ_SK_mSL_SN_bEUlT_E_NS1_11comp_targetILNS1_3genE9ELNS1_11target_archE1100ELNS1_3gpuE3ELNS1_3repE0EEENS1_30default_config_static_selectorELNS0_4arch9wavefront6targetE1EEEvT1_,"axG",@progbits,_ZN7rocprim17ROCPRIM_400000_NS6detail17trampoline_kernelINS0_14default_configENS1_25transform_config_selectorIdLb0EEEZNS1_14transform_implILb0ES3_S5_NS0_18transform_iteratorINS0_17counting_iteratorImlEEZNS1_24adjacent_difference_implIS3_Lb1ELb0EPdSB_N6thrust23THRUST_200600_302600_NS4plusIdEEEE10hipError_tPvRmT2_T3_mT4_P12ihipStream_tbEUlmE_dEESB_NS0_8identityIvEEEESG_SJ_SK_mSL_SN_bEUlT_E_NS1_11comp_targetILNS1_3genE9ELNS1_11target_archE1100ELNS1_3gpuE3ELNS1_3repE0EEENS1_30default_config_static_selectorELNS0_4arch9wavefront6targetE1EEEvT1_,comdat
	.protected	_ZN7rocprim17ROCPRIM_400000_NS6detail17trampoline_kernelINS0_14default_configENS1_25transform_config_selectorIdLb0EEEZNS1_14transform_implILb0ES3_S5_NS0_18transform_iteratorINS0_17counting_iteratorImlEEZNS1_24adjacent_difference_implIS3_Lb1ELb0EPdSB_N6thrust23THRUST_200600_302600_NS4plusIdEEEE10hipError_tPvRmT2_T3_mT4_P12ihipStream_tbEUlmE_dEESB_NS0_8identityIvEEEESG_SJ_SK_mSL_SN_bEUlT_E_NS1_11comp_targetILNS1_3genE9ELNS1_11target_archE1100ELNS1_3gpuE3ELNS1_3repE0EEENS1_30default_config_static_selectorELNS0_4arch9wavefront6targetE1EEEvT1_ ; -- Begin function _ZN7rocprim17ROCPRIM_400000_NS6detail17trampoline_kernelINS0_14default_configENS1_25transform_config_selectorIdLb0EEEZNS1_14transform_implILb0ES3_S5_NS0_18transform_iteratorINS0_17counting_iteratorImlEEZNS1_24adjacent_difference_implIS3_Lb1ELb0EPdSB_N6thrust23THRUST_200600_302600_NS4plusIdEEEE10hipError_tPvRmT2_T3_mT4_P12ihipStream_tbEUlmE_dEESB_NS0_8identityIvEEEESG_SJ_SK_mSL_SN_bEUlT_E_NS1_11comp_targetILNS1_3genE9ELNS1_11target_archE1100ELNS1_3gpuE3ELNS1_3repE0EEENS1_30default_config_static_selectorELNS0_4arch9wavefront6targetE1EEEvT1_
	.globl	_ZN7rocprim17ROCPRIM_400000_NS6detail17trampoline_kernelINS0_14default_configENS1_25transform_config_selectorIdLb0EEEZNS1_14transform_implILb0ES3_S5_NS0_18transform_iteratorINS0_17counting_iteratorImlEEZNS1_24adjacent_difference_implIS3_Lb1ELb0EPdSB_N6thrust23THRUST_200600_302600_NS4plusIdEEEE10hipError_tPvRmT2_T3_mT4_P12ihipStream_tbEUlmE_dEESB_NS0_8identityIvEEEESG_SJ_SK_mSL_SN_bEUlT_E_NS1_11comp_targetILNS1_3genE9ELNS1_11target_archE1100ELNS1_3gpuE3ELNS1_3repE0EEENS1_30default_config_static_selectorELNS0_4arch9wavefront6targetE1EEEvT1_
	.p2align	8
	.type	_ZN7rocprim17ROCPRIM_400000_NS6detail17trampoline_kernelINS0_14default_configENS1_25transform_config_selectorIdLb0EEEZNS1_14transform_implILb0ES3_S5_NS0_18transform_iteratorINS0_17counting_iteratorImlEEZNS1_24adjacent_difference_implIS3_Lb1ELb0EPdSB_N6thrust23THRUST_200600_302600_NS4plusIdEEEE10hipError_tPvRmT2_T3_mT4_P12ihipStream_tbEUlmE_dEESB_NS0_8identityIvEEEESG_SJ_SK_mSL_SN_bEUlT_E_NS1_11comp_targetILNS1_3genE9ELNS1_11target_archE1100ELNS1_3gpuE3ELNS1_3repE0EEENS1_30default_config_static_selectorELNS0_4arch9wavefront6targetE1EEEvT1_,@function
_ZN7rocprim17ROCPRIM_400000_NS6detail17trampoline_kernelINS0_14default_configENS1_25transform_config_selectorIdLb0EEEZNS1_14transform_implILb0ES3_S5_NS0_18transform_iteratorINS0_17counting_iteratorImlEEZNS1_24adjacent_difference_implIS3_Lb1ELb0EPdSB_N6thrust23THRUST_200600_302600_NS4plusIdEEEE10hipError_tPvRmT2_T3_mT4_P12ihipStream_tbEUlmE_dEESB_NS0_8identityIvEEEESG_SJ_SK_mSL_SN_bEUlT_E_NS1_11comp_targetILNS1_3genE9ELNS1_11target_archE1100ELNS1_3gpuE3ELNS1_3repE0EEENS1_30default_config_static_selectorELNS0_4arch9wavefront6targetE1EEEvT1_: ; @_ZN7rocprim17ROCPRIM_400000_NS6detail17trampoline_kernelINS0_14default_configENS1_25transform_config_selectorIdLb0EEEZNS1_14transform_implILb0ES3_S5_NS0_18transform_iteratorINS0_17counting_iteratorImlEEZNS1_24adjacent_difference_implIS3_Lb1ELb0EPdSB_N6thrust23THRUST_200600_302600_NS4plusIdEEEE10hipError_tPvRmT2_T3_mT4_P12ihipStream_tbEUlmE_dEESB_NS0_8identityIvEEEESG_SJ_SK_mSL_SN_bEUlT_E_NS1_11comp_targetILNS1_3genE9ELNS1_11target_archE1100ELNS1_3gpuE3ELNS1_3repE0EEENS1_30default_config_static_selectorELNS0_4arch9wavefront6targetE1EEEvT1_
; %bb.0:
	.section	.rodata,"a",@progbits
	.p2align	6, 0x0
	.amdhsa_kernel _ZN7rocprim17ROCPRIM_400000_NS6detail17trampoline_kernelINS0_14default_configENS1_25transform_config_selectorIdLb0EEEZNS1_14transform_implILb0ES3_S5_NS0_18transform_iteratorINS0_17counting_iteratorImlEEZNS1_24adjacent_difference_implIS3_Lb1ELb0EPdSB_N6thrust23THRUST_200600_302600_NS4plusIdEEEE10hipError_tPvRmT2_T3_mT4_P12ihipStream_tbEUlmE_dEESB_NS0_8identityIvEEEESG_SJ_SK_mSL_SN_bEUlT_E_NS1_11comp_targetILNS1_3genE9ELNS1_11target_archE1100ELNS1_3gpuE3ELNS1_3repE0EEENS1_30default_config_static_selectorELNS0_4arch9wavefront6targetE1EEEvT1_
		.amdhsa_group_segment_fixed_size 0
		.amdhsa_private_segment_fixed_size 0
		.amdhsa_kernarg_size 56
		.amdhsa_user_sgpr_count 6
		.amdhsa_user_sgpr_private_segment_buffer 1
		.amdhsa_user_sgpr_dispatch_ptr 0
		.amdhsa_user_sgpr_queue_ptr 0
		.amdhsa_user_sgpr_kernarg_segment_ptr 1
		.amdhsa_user_sgpr_dispatch_id 0
		.amdhsa_user_sgpr_flat_scratch_init 0
		.amdhsa_user_sgpr_private_segment_size 0
		.amdhsa_uses_dynamic_stack 0
		.amdhsa_system_sgpr_private_segment_wavefront_offset 0
		.amdhsa_system_sgpr_workgroup_id_x 1
		.amdhsa_system_sgpr_workgroup_id_y 0
		.amdhsa_system_sgpr_workgroup_id_z 0
		.amdhsa_system_sgpr_workgroup_info 0
		.amdhsa_system_vgpr_workitem_id 0
		.amdhsa_next_free_vgpr 1
		.amdhsa_next_free_sgpr 0
		.amdhsa_reserve_vcc 0
		.amdhsa_reserve_flat_scratch 0
		.amdhsa_float_round_mode_32 0
		.amdhsa_float_round_mode_16_64 0
		.amdhsa_float_denorm_mode_32 3
		.amdhsa_float_denorm_mode_16_64 3
		.amdhsa_dx10_clamp 1
		.amdhsa_ieee_mode 1
		.amdhsa_fp16_overflow 0
		.amdhsa_exception_fp_ieee_invalid_op 0
		.amdhsa_exception_fp_denorm_src 0
		.amdhsa_exception_fp_ieee_div_zero 0
		.amdhsa_exception_fp_ieee_overflow 0
		.amdhsa_exception_fp_ieee_underflow 0
		.amdhsa_exception_fp_ieee_inexact 0
		.amdhsa_exception_int_div_zero 0
	.end_amdhsa_kernel
	.section	.text._ZN7rocprim17ROCPRIM_400000_NS6detail17trampoline_kernelINS0_14default_configENS1_25transform_config_selectorIdLb0EEEZNS1_14transform_implILb0ES3_S5_NS0_18transform_iteratorINS0_17counting_iteratorImlEEZNS1_24adjacent_difference_implIS3_Lb1ELb0EPdSB_N6thrust23THRUST_200600_302600_NS4plusIdEEEE10hipError_tPvRmT2_T3_mT4_P12ihipStream_tbEUlmE_dEESB_NS0_8identityIvEEEESG_SJ_SK_mSL_SN_bEUlT_E_NS1_11comp_targetILNS1_3genE9ELNS1_11target_archE1100ELNS1_3gpuE3ELNS1_3repE0EEENS1_30default_config_static_selectorELNS0_4arch9wavefront6targetE1EEEvT1_,"axG",@progbits,_ZN7rocprim17ROCPRIM_400000_NS6detail17trampoline_kernelINS0_14default_configENS1_25transform_config_selectorIdLb0EEEZNS1_14transform_implILb0ES3_S5_NS0_18transform_iteratorINS0_17counting_iteratorImlEEZNS1_24adjacent_difference_implIS3_Lb1ELb0EPdSB_N6thrust23THRUST_200600_302600_NS4plusIdEEEE10hipError_tPvRmT2_T3_mT4_P12ihipStream_tbEUlmE_dEESB_NS0_8identityIvEEEESG_SJ_SK_mSL_SN_bEUlT_E_NS1_11comp_targetILNS1_3genE9ELNS1_11target_archE1100ELNS1_3gpuE3ELNS1_3repE0EEENS1_30default_config_static_selectorELNS0_4arch9wavefront6targetE1EEEvT1_,comdat
.Lfunc_end42:
	.size	_ZN7rocprim17ROCPRIM_400000_NS6detail17trampoline_kernelINS0_14default_configENS1_25transform_config_selectorIdLb0EEEZNS1_14transform_implILb0ES3_S5_NS0_18transform_iteratorINS0_17counting_iteratorImlEEZNS1_24adjacent_difference_implIS3_Lb1ELb0EPdSB_N6thrust23THRUST_200600_302600_NS4plusIdEEEE10hipError_tPvRmT2_T3_mT4_P12ihipStream_tbEUlmE_dEESB_NS0_8identityIvEEEESG_SJ_SK_mSL_SN_bEUlT_E_NS1_11comp_targetILNS1_3genE9ELNS1_11target_archE1100ELNS1_3gpuE3ELNS1_3repE0EEENS1_30default_config_static_selectorELNS0_4arch9wavefront6targetE1EEEvT1_, .Lfunc_end42-_ZN7rocprim17ROCPRIM_400000_NS6detail17trampoline_kernelINS0_14default_configENS1_25transform_config_selectorIdLb0EEEZNS1_14transform_implILb0ES3_S5_NS0_18transform_iteratorINS0_17counting_iteratorImlEEZNS1_24adjacent_difference_implIS3_Lb1ELb0EPdSB_N6thrust23THRUST_200600_302600_NS4plusIdEEEE10hipError_tPvRmT2_T3_mT4_P12ihipStream_tbEUlmE_dEESB_NS0_8identityIvEEEESG_SJ_SK_mSL_SN_bEUlT_E_NS1_11comp_targetILNS1_3genE9ELNS1_11target_archE1100ELNS1_3gpuE3ELNS1_3repE0EEENS1_30default_config_static_selectorELNS0_4arch9wavefront6targetE1EEEvT1_
                                        ; -- End function
	.set _ZN7rocprim17ROCPRIM_400000_NS6detail17trampoline_kernelINS0_14default_configENS1_25transform_config_selectorIdLb0EEEZNS1_14transform_implILb0ES3_S5_NS0_18transform_iteratorINS0_17counting_iteratorImlEEZNS1_24adjacent_difference_implIS3_Lb1ELb0EPdSB_N6thrust23THRUST_200600_302600_NS4plusIdEEEE10hipError_tPvRmT2_T3_mT4_P12ihipStream_tbEUlmE_dEESB_NS0_8identityIvEEEESG_SJ_SK_mSL_SN_bEUlT_E_NS1_11comp_targetILNS1_3genE9ELNS1_11target_archE1100ELNS1_3gpuE3ELNS1_3repE0EEENS1_30default_config_static_selectorELNS0_4arch9wavefront6targetE1EEEvT1_.num_vgpr, 0
	.set _ZN7rocprim17ROCPRIM_400000_NS6detail17trampoline_kernelINS0_14default_configENS1_25transform_config_selectorIdLb0EEEZNS1_14transform_implILb0ES3_S5_NS0_18transform_iteratorINS0_17counting_iteratorImlEEZNS1_24adjacent_difference_implIS3_Lb1ELb0EPdSB_N6thrust23THRUST_200600_302600_NS4plusIdEEEE10hipError_tPvRmT2_T3_mT4_P12ihipStream_tbEUlmE_dEESB_NS0_8identityIvEEEESG_SJ_SK_mSL_SN_bEUlT_E_NS1_11comp_targetILNS1_3genE9ELNS1_11target_archE1100ELNS1_3gpuE3ELNS1_3repE0EEENS1_30default_config_static_selectorELNS0_4arch9wavefront6targetE1EEEvT1_.num_agpr, 0
	.set _ZN7rocprim17ROCPRIM_400000_NS6detail17trampoline_kernelINS0_14default_configENS1_25transform_config_selectorIdLb0EEEZNS1_14transform_implILb0ES3_S5_NS0_18transform_iteratorINS0_17counting_iteratorImlEEZNS1_24adjacent_difference_implIS3_Lb1ELb0EPdSB_N6thrust23THRUST_200600_302600_NS4plusIdEEEE10hipError_tPvRmT2_T3_mT4_P12ihipStream_tbEUlmE_dEESB_NS0_8identityIvEEEESG_SJ_SK_mSL_SN_bEUlT_E_NS1_11comp_targetILNS1_3genE9ELNS1_11target_archE1100ELNS1_3gpuE3ELNS1_3repE0EEENS1_30default_config_static_selectorELNS0_4arch9wavefront6targetE1EEEvT1_.numbered_sgpr, 0
	.set _ZN7rocprim17ROCPRIM_400000_NS6detail17trampoline_kernelINS0_14default_configENS1_25transform_config_selectorIdLb0EEEZNS1_14transform_implILb0ES3_S5_NS0_18transform_iteratorINS0_17counting_iteratorImlEEZNS1_24adjacent_difference_implIS3_Lb1ELb0EPdSB_N6thrust23THRUST_200600_302600_NS4plusIdEEEE10hipError_tPvRmT2_T3_mT4_P12ihipStream_tbEUlmE_dEESB_NS0_8identityIvEEEESG_SJ_SK_mSL_SN_bEUlT_E_NS1_11comp_targetILNS1_3genE9ELNS1_11target_archE1100ELNS1_3gpuE3ELNS1_3repE0EEENS1_30default_config_static_selectorELNS0_4arch9wavefront6targetE1EEEvT1_.num_named_barrier, 0
	.set _ZN7rocprim17ROCPRIM_400000_NS6detail17trampoline_kernelINS0_14default_configENS1_25transform_config_selectorIdLb0EEEZNS1_14transform_implILb0ES3_S5_NS0_18transform_iteratorINS0_17counting_iteratorImlEEZNS1_24adjacent_difference_implIS3_Lb1ELb0EPdSB_N6thrust23THRUST_200600_302600_NS4plusIdEEEE10hipError_tPvRmT2_T3_mT4_P12ihipStream_tbEUlmE_dEESB_NS0_8identityIvEEEESG_SJ_SK_mSL_SN_bEUlT_E_NS1_11comp_targetILNS1_3genE9ELNS1_11target_archE1100ELNS1_3gpuE3ELNS1_3repE0EEENS1_30default_config_static_selectorELNS0_4arch9wavefront6targetE1EEEvT1_.private_seg_size, 0
	.set _ZN7rocprim17ROCPRIM_400000_NS6detail17trampoline_kernelINS0_14default_configENS1_25transform_config_selectorIdLb0EEEZNS1_14transform_implILb0ES3_S5_NS0_18transform_iteratorINS0_17counting_iteratorImlEEZNS1_24adjacent_difference_implIS3_Lb1ELb0EPdSB_N6thrust23THRUST_200600_302600_NS4plusIdEEEE10hipError_tPvRmT2_T3_mT4_P12ihipStream_tbEUlmE_dEESB_NS0_8identityIvEEEESG_SJ_SK_mSL_SN_bEUlT_E_NS1_11comp_targetILNS1_3genE9ELNS1_11target_archE1100ELNS1_3gpuE3ELNS1_3repE0EEENS1_30default_config_static_selectorELNS0_4arch9wavefront6targetE1EEEvT1_.uses_vcc, 0
	.set _ZN7rocprim17ROCPRIM_400000_NS6detail17trampoline_kernelINS0_14default_configENS1_25transform_config_selectorIdLb0EEEZNS1_14transform_implILb0ES3_S5_NS0_18transform_iteratorINS0_17counting_iteratorImlEEZNS1_24adjacent_difference_implIS3_Lb1ELb0EPdSB_N6thrust23THRUST_200600_302600_NS4plusIdEEEE10hipError_tPvRmT2_T3_mT4_P12ihipStream_tbEUlmE_dEESB_NS0_8identityIvEEEESG_SJ_SK_mSL_SN_bEUlT_E_NS1_11comp_targetILNS1_3genE9ELNS1_11target_archE1100ELNS1_3gpuE3ELNS1_3repE0EEENS1_30default_config_static_selectorELNS0_4arch9wavefront6targetE1EEEvT1_.uses_flat_scratch, 0
	.set _ZN7rocprim17ROCPRIM_400000_NS6detail17trampoline_kernelINS0_14default_configENS1_25transform_config_selectorIdLb0EEEZNS1_14transform_implILb0ES3_S5_NS0_18transform_iteratorINS0_17counting_iteratorImlEEZNS1_24adjacent_difference_implIS3_Lb1ELb0EPdSB_N6thrust23THRUST_200600_302600_NS4plusIdEEEE10hipError_tPvRmT2_T3_mT4_P12ihipStream_tbEUlmE_dEESB_NS0_8identityIvEEEESG_SJ_SK_mSL_SN_bEUlT_E_NS1_11comp_targetILNS1_3genE9ELNS1_11target_archE1100ELNS1_3gpuE3ELNS1_3repE0EEENS1_30default_config_static_selectorELNS0_4arch9wavefront6targetE1EEEvT1_.has_dyn_sized_stack, 0
	.set _ZN7rocprim17ROCPRIM_400000_NS6detail17trampoline_kernelINS0_14default_configENS1_25transform_config_selectorIdLb0EEEZNS1_14transform_implILb0ES3_S5_NS0_18transform_iteratorINS0_17counting_iteratorImlEEZNS1_24adjacent_difference_implIS3_Lb1ELb0EPdSB_N6thrust23THRUST_200600_302600_NS4plusIdEEEE10hipError_tPvRmT2_T3_mT4_P12ihipStream_tbEUlmE_dEESB_NS0_8identityIvEEEESG_SJ_SK_mSL_SN_bEUlT_E_NS1_11comp_targetILNS1_3genE9ELNS1_11target_archE1100ELNS1_3gpuE3ELNS1_3repE0EEENS1_30default_config_static_selectorELNS0_4arch9wavefront6targetE1EEEvT1_.has_recursion, 0
	.set _ZN7rocprim17ROCPRIM_400000_NS6detail17trampoline_kernelINS0_14default_configENS1_25transform_config_selectorIdLb0EEEZNS1_14transform_implILb0ES3_S5_NS0_18transform_iteratorINS0_17counting_iteratorImlEEZNS1_24adjacent_difference_implIS3_Lb1ELb0EPdSB_N6thrust23THRUST_200600_302600_NS4plusIdEEEE10hipError_tPvRmT2_T3_mT4_P12ihipStream_tbEUlmE_dEESB_NS0_8identityIvEEEESG_SJ_SK_mSL_SN_bEUlT_E_NS1_11comp_targetILNS1_3genE9ELNS1_11target_archE1100ELNS1_3gpuE3ELNS1_3repE0EEENS1_30default_config_static_selectorELNS0_4arch9wavefront6targetE1EEEvT1_.has_indirect_call, 0
	.section	.AMDGPU.csdata,"",@progbits
; Kernel info:
; codeLenInByte = 0
; TotalNumSgprs: 4
; NumVgprs: 0
; ScratchSize: 0
; MemoryBound: 0
; FloatMode: 240
; IeeeMode: 1
; LDSByteSize: 0 bytes/workgroup (compile time only)
; SGPRBlocks: 0
; VGPRBlocks: 0
; NumSGPRsForWavesPerEU: 4
; NumVGPRsForWavesPerEU: 1
; Occupancy: 10
; WaveLimiterHint : 0
; COMPUTE_PGM_RSRC2:SCRATCH_EN: 0
; COMPUTE_PGM_RSRC2:USER_SGPR: 6
; COMPUTE_PGM_RSRC2:TRAP_HANDLER: 0
; COMPUTE_PGM_RSRC2:TGID_X_EN: 1
; COMPUTE_PGM_RSRC2:TGID_Y_EN: 0
; COMPUTE_PGM_RSRC2:TGID_Z_EN: 0
; COMPUTE_PGM_RSRC2:TIDIG_COMP_CNT: 0
	.section	.text._ZN7rocprim17ROCPRIM_400000_NS6detail17trampoline_kernelINS0_14default_configENS1_25transform_config_selectorIdLb0EEEZNS1_14transform_implILb0ES3_S5_NS0_18transform_iteratorINS0_17counting_iteratorImlEEZNS1_24adjacent_difference_implIS3_Lb1ELb0EPdSB_N6thrust23THRUST_200600_302600_NS4plusIdEEEE10hipError_tPvRmT2_T3_mT4_P12ihipStream_tbEUlmE_dEESB_NS0_8identityIvEEEESG_SJ_SK_mSL_SN_bEUlT_E_NS1_11comp_targetILNS1_3genE8ELNS1_11target_archE1030ELNS1_3gpuE2ELNS1_3repE0EEENS1_30default_config_static_selectorELNS0_4arch9wavefront6targetE1EEEvT1_,"axG",@progbits,_ZN7rocprim17ROCPRIM_400000_NS6detail17trampoline_kernelINS0_14default_configENS1_25transform_config_selectorIdLb0EEEZNS1_14transform_implILb0ES3_S5_NS0_18transform_iteratorINS0_17counting_iteratorImlEEZNS1_24adjacent_difference_implIS3_Lb1ELb0EPdSB_N6thrust23THRUST_200600_302600_NS4plusIdEEEE10hipError_tPvRmT2_T3_mT4_P12ihipStream_tbEUlmE_dEESB_NS0_8identityIvEEEESG_SJ_SK_mSL_SN_bEUlT_E_NS1_11comp_targetILNS1_3genE8ELNS1_11target_archE1030ELNS1_3gpuE2ELNS1_3repE0EEENS1_30default_config_static_selectorELNS0_4arch9wavefront6targetE1EEEvT1_,comdat
	.protected	_ZN7rocprim17ROCPRIM_400000_NS6detail17trampoline_kernelINS0_14default_configENS1_25transform_config_selectorIdLb0EEEZNS1_14transform_implILb0ES3_S5_NS0_18transform_iteratorINS0_17counting_iteratorImlEEZNS1_24adjacent_difference_implIS3_Lb1ELb0EPdSB_N6thrust23THRUST_200600_302600_NS4plusIdEEEE10hipError_tPvRmT2_T3_mT4_P12ihipStream_tbEUlmE_dEESB_NS0_8identityIvEEEESG_SJ_SK_mSL_SN_bEUlT_E_NS1_11comp_targetILNS1_3genE8ELNS1_11target_archE1030ELNS1_3gpuE2ELNS1_3repE0EEENS1_30default_config_static_selectorELNS0_4arch9wavefront6targetE1EEEvT1_ ; -- Begin function _ZN7rocprim17ROCPRIM_400000_NS6detail17trampoline_kernelINS0_14default_configENS1_25transform_config_selectorIdLb0EEEZNS1_14transform_implILb0ES3_S5_NS0_18transform_iteratorINS0_17counting_iteratorImlEEZNS1_24adjacent_difference_implIS3_Lb1ELb0EPdSB_N6thrust23THRUST_200600_302600_NS4plusIdEEEE10hipError_tPvRmT2_T3_mT4_P12ihipStream_tbEUlmE_dEESB_NS0_8identityIvEEEESG_SJ_SK_mSL_SN_bEUlT_E_NS1_11comp_targetILNS1_3genE8ELNS1_11target_archE1030ELNS1_3gpuE2ELNS1_3repE0EEENS1_30default_config_static_selectorELNS0_4arch9wavefront6targetE1EEEvT1_
	.globl	_ZN7rocprim17ROCPRIM_400000_NS6detail17trampoline_kernelINS0_14default_configENS1_25transform_config_selectorIdLb0EEEZNS1_14transform_implILb0ES3_S5_NS0_18transform_iteratorINS0_17counting_iteratorImlEEZNS1_24adjacent_difference_implIS3_Lb1ELb0EPdSB_N6thrust23THRUST_200600_302600_NS4plusIdEEEE10hipError_tPvRmT2_T3_mT4_P12ihipStream_tbEUlmE_dEESB_NS0_8identityIvEEEESG_SJ_SK_mSL_SN_bEUlT_E_NS1_11comp_targetILNS1_3genE8ELNS1_11target_archE1030ELNS1_3gpuE2ELNS1_3repE0EEENS1_30default_config_static_selectorELNS0_4arch9wavefront6targetE1EEEvT1_
	.p2align	8
	.type	_ZN7rocprim17ROCPRIM_400000_NS6detail17trampoline_kernelINS0_14default_configENS1_25transform_config_selectorIdLb0EEEZNS1_14transform_implILb0ES3_S5_NS0_18transform_iteratorINS0_17counting_iteratorImlEEZNS1_24adjacent_difference_implIS3_Lb1ELb0EPdSB_N6thrust23THRUST_200600_302600_NS4plusIdEEEE10hipError_tPvRmT2_T3_mT4_P12ihipStream_tbEUlmE_dEESB_NS0_8identityIvEEEESG_SJ_SK_mSL_SN_bEUlT_E_NS1_11comp_targetILNS1_3genE8ELNS1_11target_archE1030ELNS1_3gpuE2ELNS1_3repE0EEENS1_30default_config_static_selectorELNS0_4arch9wavefront6targetE1EEEvT1_,@function
_ZN7rocprim17ROCPRIM_400000_NS6detail17trampoline_kernelINS0_14default_configENS1_25transform_config_selectorIdLb0EEEZNS1_14transform_implILb0ES3_S5_NS0_18transform_iteratorINS0_17counting_iteratorImlEEZNS1_24adjacent_difference_implIS3_Lb1ELb0EPdSB_N6thrust23THRUST_200600_302600_NS4plusIdEEEE10hipError_tPvRmT2_T3_mT4_P12ihipStream_tbEUlmE_dEESB_NS0_8identityIvEEEESG_SJ_SK_mSL_SN_bEUlT_E_NS1_11comp_targetILNS1_3genE8ELNS1_11target_archE1030ELNS1_3gpuE2ELNS1_3repE0EEENS1_30default_config_static_selectorELNS0_4arch9wavefront6targetE1EEEvT1_: ; @_ZN7rocprim17ROCPRIM_400000_NS6detail17trampoline_kernelINS0_14default_configENS1_25transform_config_selectorIdLb0EEEZNS1_14transform_implILb0ES3_S5_NS0_18transform_iteratorINS0_17counting_iteratorImlEEZNS1_24adjacent_difference_implIS3_Lb1ELb0EPdSB_N6thrust23THRUST_200600_302600_NS4plusIdEEEE10hipError_tPvRmT2_T3_mT4_P12ihipStream_tbEUlmE_dEESB_NS0_8identityIvEEEESG_SJ_SK_mSL_SN_bEUlT_E_NS1_11comp_targetILNS1_3genE8ELNS1_11target_archE1030ELNS1_3gpuE2ELNS1_3repE0EEENS1_30default_config_static_selectorELNS0_4arch9wavefront6targetE1EEEvT1_
; %bb.0:
	.section	.rodata,"a",@progbits
	.p2align	6, 0x0
	.amdhsa_kernel _ZN7rocprim17ROCPRIM_400000_NS6detail17trampoline_kernelINS0_14default_configENS1_25transform_config_selectorIdLb0EEEZNS1_14transform_implILb0ES3_S5_NS0_18transform_iteratorINS0_17counting_iteratorImlEEZNS1_24adjacent_difference_implIS3_Lb1ELb0EPdSB_N6thrust23THRUST_200600_302600_NS4plusIdEEEE10hipError_tPvRmT2_T3_mT4_P12ihipStream_tbEUlmE_dEESB_NS0_8identityIvEEEESG_SJ_SK_mSL_SN_bEUlT_E_NS1_11comp_targetILNS1_3genE8ELNS1_11target_archE1030ELNS1_3gpuE2ELNS1_3repE0EEENS1_30default_config_static_selectorELNS0_4arch9wavefront6targetE1EEEvT1_
		.amdhsa_group_segment_fixed_size 0
		.amdhsa_private_segment_fixed_size 0
		.amdhsa_kernarg_size 56
		.amdhsa_user_sgpr_count 6
		.amdhsa_user_sgpr_private_segment_buffer 1
		.amdhsa_user_sgpr_dispatch_ptr 0
		.amdhsa_user_sgpr_queue_ptr 0
		.amdhsa_user_sgpr_kernarg_segment_ptr 1
		.amdhsa_user_sgpr_dispatch_id 0
		.amdhsa_user_sgpr_flat_scratch_init 0
		.amdhsa_user_sgpr_private_segment_size 0
		.amdhsa_uses_dynamic_stack 0
		.amdhsa_system_sgpr_private_segment_wavefront_offset 0
		.amdhsa_system_sgpr_workgroup_id_x 1
		.amdhsa_system_sgpr_workgroup_id_y 0
		.amdhsa_system_sgpr_workgroup_id_z 0
		.amdhsa_system_sgpr_workgroup_info 0
		.amdhsa_system_vgpr_workitem_id 0
		.amdhsa_next_free_vgpr 1
		.amdhsa_next_free_sgpr 0
		.amdhsa_reserve_vcc 0
		.amdhsa_reserve_flat_scratch 0
		.amdhsa_float_round_mode_32 0
		.amdhsa_float_round_mode_16_64 0
		.amdhsa_float_denorm_mode_32 3
		.amdhsa_float_denorm_mode_16_64 3
		.amdhsa_dx10_clamp 1
		.amdhsa_ieee_mode 1
		.amdhsa_fp16_overflow 0
		.amdhsa_exception_fp_ieee_invalid_op 0
		.amdhsa_exception_fp_denorm_src 0
		.amdhsa_exception_fp_ieee_div_zero 0
		.amdhsa_exception_fp_ieee_overflow 0
		.amdhsa_exception_fp_ieee_underflow 0
		.amdhsa_exception_fp_ieee_inexact 0
		.amdhsa_exception_int_div_zero 0
	.end_amdhsa_kernel
	.section	.text._ZN7rocprim17ROCPRIM_400000_NS6detail17trampoline_kernelINS0_14default_configENS1_25transform_config_selectorIdLb0EEEZNS1_14transform_implILb0ES3_S5_NS0_18transform_iteratorINS0_17counting_iteratorImlEEZNS1_24adjacent_difference_implIS3_Lb1ELb0EPdSB_N6thrust23THRUST_200600_302600_NS4plusIdEEEE10hipError_tPvRmT2_T3_mT4_P12ihipStream_tbEUlmE_dEESB_NS0_8identityIvEEEESG_SJ_SK_mSL_SN_bEUlT_E_NS1_11comp_targetILNS1_3genE8ELNS1_11target_archE1030ELNS1_3gpuE2ELNS1_3repE0EEENS1_30default_config_static_selectorELNS0_4arch9wavefront6targetE1EEEvT1_,"axG",@progbits,_ZN7rocprim17ROCPRIM_400000_NS6detail17trampoline_kernelINS0_14default_configENS1_25transform_config_selectorIdLb0EEEZNS1_14transform_implILb0ES3_S5_NS0_18transform_iteratorINS0_17counting_iteratorImlEEZNS1_24adjacent_difference_implIS3_Lb1ELb0EPdSB_N6thrust23THRUST_200600_302600_NS4plusIdEEEE10hipError_tPvRmT2_T3_mT4_P12ihipStream_tbEUlmE_dEESB_NS0_8identityIvEEEESG_SJ_SK_mSL_SN_bEUlT_E_NS1_11comp_targetILNS1_3genE8ELNS1_11target_archE1030ELNS1_3gpuE2ELNS1_3repE0EEENS1_30default_config_static_selectorELNS0_4arch9wavefront6targetE1EEEvT1_,comdat
.Lfunc_end43:
	.size	_ZN7rocprim17ROCPRIM_400000_NS6detail17trampoline_kernelINS0_14default_configENS1_25transform_config_selectorIdLb0EEEZNS1_14transform_implILb0ES3_S5_NS0_18transform_iteratorINS0_17counting_iteratorImlEEZNS1_24adjacent_difference_implIS3_Lb1ELb0EPdSB_N6thrust23THRUST_200600_302600_NS4plusIdEEEE10hipError_tPvRmT2_T3_mT4_P12ihipStream_tbEUlmE_dEESB_NS0_8identityIvEEEESG_SJ_SK_mSL_SN_bEUlT_E_NS1_11comp_targetILNS1_3genE8ELNS1_11target_archE1030ELNS1_3gpuE2ELNS1_3repE0EEENS1_30default_config_static_selectorELNS0_4arch9wavefront6targetE1EEEvT1_, .Lfunc_end43-_ZN7rocprim17ROCPRIM_400000_NS6detail17trampoline_kernelINS0_14default_configENS1_25transform_config_selectorIdLb0EEEZNS1_14transform_implILb0ES3_S5_NS0_18transform_iteratorINS0_17counting_iteratorImlEEZNS1_24adjacent_difference_implIS3_Lb1ELb0EPdSB_N6thrust23THRUST_200600_302600_NS4plusIdEEEE10hipError_tPvRmT2_T3_mT4_P12ihipStream_tbEUlmE_dEESB_NS0_8identityIvEEEESG_SJ_SK_mSL_SN_bEUlT_E_NS1_11comp_targetILNS1_3genE8ELNS1_11target_archE1030ELNS1_3gpuE2ELNS1_3repE0EEENS1_30default_config_static_selectorELNS0_4arch9wavefront6targetE1EEEvT1_
                                        ; -- End function
	.set _ZN7rocprim17ROCPRIM_400000_NS6detail17trampoline_kernelINS0_14default_configENS1_25transform_config_selectorIdLb0EEEZNS1_14transform_implILb0ES3_S5_NS0_18transform_iteratorINS0_17counting_iteratorImlEEZNS1_24adjacent_difference_implIS3_Lb1ELb0EPdSB_N6thrust23THRUST_200600_302600_NS4plusIdEEEE10hipError_tPvRmT2_T3_mT4_P12ihipStream_tbEUlmE_dEESB_NS0_8identityIvEEEESG_SJ_SK_mSL_SN_bEUlT_E_NS1_11comp_targetILNS1_3genE8ELNS1_11target_archE1030ELNS1_3gpuE2ELNS1_3repE0EEENS1_30default_config_static_selectorELNS0_4arch9wavefront6targetE1EEEvT1_.num_vgpr, 0
	.set _ZN7rocprim17ROCPRIM_400000_NS6detail17trampoline_kernelINS0_14default_configENS1_25transform_config_selectorIdLb0EEEZNS1_14transform_implILb0ES3_S5_NS0_18transform_iteratorINS0_17counting_iteratorImlEEZNS1_24adjacent_difference_implIS3_Lb1ELb0EPdSB_N6thrust23THRUST_200600_302600_NS4plusIdEEEE10hipError_tPvRmT2_T3_mT4_P12ihipStream_tbEUlmE_dEESB_NS0_8identityIvEEEESG_SJ_SK_mSL_SN_bEUlT_E_NS1_11comp_targetILNS1_3genE8ELNS1_11target_archE1030ELNS1_3gpuE2ELNS1_3repE0EEENS1_30default_config_static_selectorELNS0_4arch9wavefront6targetE1EEEvT1_.num_agpr, 0
	.set _ZN7rocprim17ROCPRIM_400000_NS6detail17trampoline_kernelINS0_14default_configENS1_25transform_config_selectorIdLb0EEEZNS1_14transform_implILb0ES3_S5_NS0_18transform_iteratorINS0_17counting_iteratorImlEEZNS1_24adjacent_difference_implIS3_Lb1ELb0EPdSB_N6thrust23THRUST_200600_302600_NS4plusIdEEEE10hipError_tPvRmT2_T3_mT4_P12ihipStream_tbEUlmE_dEESB_NS0_8identityIvEEEESG_SJ_SK_mSL_SN_bEUlT_E_NS1_11comp_targetILNS1_3genE8ELNS1_11target_archE1030ELNS1_3gpuE2ELNS1_3repE0EEENS1_30default_config_static_selectorELNS0_4arch9wavefront6targetE1EEEvT1_.numbered_sgpr, 0
	.set _ZN7rocprim17ROCPRIM_400000_NS6detail17trampoline_kernelINS0_14default_configENS1_25transform_config_selectorIdLb0EEEZNS1_14transform_implILb0ES3_S5_NS0_18transform_iteratorINS0_17counting_iteratorImlEEZNS1_24adjacent_difference_implIS3_Lb1ELb0EPdSB_N6thrust23THRUST_200600_302600_NS4plusIdEEEE10hipError_tPvRmT2_T3_mT4_P12ihipStream_tbEUlmE_dEESB_NS0_8identityIvEEEESG_SJ_SK_mSL_SN_bEUlT_E_NS1_11comp_targetILNS1_3genE8ELNS1_11target_archE1030ELNS1_3gpuE2ELNS1_3repE0EEENS1_30default_config_static_selectorELNS0_4arch9wavefront6targetE1EEEvT1_.num_named_barrier, 0
	.set _ZN7rocprim17ROCPRIM_400000_NS6detail17trampoline_kernelINS0_14default_configENS1_25transform_config_selectorIdLb0EEEZNS1_14transform_implILb0ES3_S5_NS0_18transform_iteratorINS0_17counting_iteratorImlEEZNS1_24adjacent_difference_implIS3_Lb1ELb0EPdSB_N6thrust23THRUST_200600_302600_NS4plusIdEEEE10hipError_tPvRmT2_T3_mT4_P12ihipStream_tbEUlmE_dEESB_NS0_8identityIvEEEESG_SJ_SK_mSL_SN_bEUlT_E_NS1_11comp_targetILNS1_3genE8ELNS1_11target_archE1030ELNS1_3gpuE2ELNS1_3repE0EEENS1_30default_config_static_selectorELNS0_4arch9wavefront6targetE1EEEvT1_.private_seg_size, 0
	.set _ZN7rocprim17ROCPRIM_400000_NS6detail17trampoline_kernelINS0_14default_configENS1_25transform_config_selectorIdLb0EEEZNS1_14transform_implILb0ES3_S5_NS0_18transform_iteratorINS0_17counting_iteratorImlEEZNS1_24adjacent_difference_implIS3_Lb1ELb0EPdSB_N6thrust23THRUST_200600_302600_NS4plusIdEEEE10hipError_tPvRmT2_T3_mT4_P12ihipStream_tbEUlmE_dEESB_NS0_8identityIvEEEESG_SJ_SK_mSL_SN_bEUlT_E_NS1_11comp_targetILNS1_3genE8ELNS1_11target_archE1030ELNS1_3gpuE2ELNS1_3repE0EEENS1_30default_config_static_selectorELNS0_4arch9wavefront6targetE1EEEvT1_.uses_vcc, 0
	.set _ZN7rocprim17ROCPRIM_400000_NS6detail17trampoline_kernelINS0_14default_configENS1_25transform_config_selectorIdLb0EEEZNS1_14transform_implILb0ES3_S5_NS0_18transform_iteratorINS0_17counting_iteratorImlEEZNS1_24adjacent_difference_implIS3_Lb1ELb0EPdSB_N6thrust23THRUST_200600_302600_NS4plusIdEEEE10hipError_tPvRmT2_T3_mT4_P12ihipStream_tbEUlmE_dEESB_NS0_8identityIvEEEESG_SJ_SK_mSL_SN_bEUlT_E_NS1_11comp_targetILNS1_3genE8ELNS1_11target_archE1030ELNS1_3gpuE2ELNS1_3repE0EEENS1_30default_config_static_selectorELNS0_4arch9wavefront6targetE1EEEvT1_.uses_flat_scratch, 0
	.set _ZN7rocprim17ROCPRIM_400000_NS6detail17trampoline_kernelINS0_14default_configENS1_25transform_config_selectorIdLb0EEEZNS1_14transform_implILb0ES3_S5_NS0_18transform_iteratorINS0_17counting_iteratorImlEEZNS1_24adjacent_difference_implIS3_Lb1ELb0EPdSB_N6thrust23THRUST_200600_302600_NS4plusIdEEEE10hipError_tPvRmT2_T3_mT4_P12ihipStream_tbEUlmE_dEESB_NS0_8identityIvEEEESG_SJ_SK_mSL_SN_bEUlT_E_NS1_11comp_targetILNS1_3genE8ELNS1_11target_archE1030ELNS1_3gpuE2ELNS1_3repE0EEENS1_30default_config_static_selectorELNS0_4arch9wavefront6targetE1EEEvT1_.has_dyn_sized_stack, 0
	.set _ZN7rocprim17ROCPRIM_400000_NS6detail17trampoline_kernelINS0_14default_configENS1_25transform_config_selectorIdLb0EEEZNS1_14transform_implILb0ES3_S5_NS0_18transform_iteratorINS0_17counting_iteratorImlEEZNS1_24adjacent_difference_implIS3_Lb1ELb0EPdSB_N6thrust23THRUST_200600_302600_NS4plusIdEEEE10hipError_tPvRmT2_T3_mT4_P12ihipStream_tbEUlmE_dEESB_NS0_8identityIvEEEESG_SJ_SK_mSL_SN_bEUlT_E_NS1_11comp_targetILNS1_3genE8ELNS1_11target_archE1030ELNS1_3gpuE2ELNS1_3repE0EEENS1_30default_config_static_selectorELNS0_4arch9wavefront6targetE1EEEvT1_.has_recursion, 0
	.set _ZN7rocprim17ROCPRIM_400000_NS6detail17trampoline_kernelINS0_14default_configENS1_25transform_config_selectorIdLb0EEEZNS1_14transform_implILb0ES3_S5_NS0_18transform_iteratorINS0_17counting_iteratorImlEEZNS1_24adjacent_difference_implIS3_Lb1ELb0EPdSB_N6thrust23THRUST_200600_302600_NS4plusIdEEEE10hipError_tPvRmT2_T3_mT4_P12ihipStream_tbEUlmE_dEESB_NS0_8identityIvEEEESG_SJ_SK_mSL_SN_bEUlT_E_NS1_11comp_targetILNS1_3genE8ELNS1_11target_archE1030ELNS1_3gpuE2ELNS1_3repE0EEENS1_30default_config_static_selectorELNS0_4arch9wavefront6targetE1EEEvT1_.has_indirect_call, 0
	.section	.AMDGPU.csdata,"",@progbits
; Kernel info:
; codeLenInByte = 0
; TotalNumSgprs: 4
; NumVgprs: 0
; ScratchSize: 0
; MemoryBound: 0
; FloatMode: 240
; IeeeMode: 1
; LDSByteSize: 0 bytes/workgroup (compile time only)
; SGPRBlocks: 0
; VGPRBlocks: 0
; NumSGPRsForWavesPerEU: 4
; NumVGPRsForWavesPerEU: 1
; Occupancy: 10
; WaveLimiterHint : 0
; COMPUTE_PGM_RSRC2:SCRATCH_EN: 0
; COMPUTE_PGM_RSRC2:USER_SGPR: 6
; COMPUTE_PGM_RSRC2:TRAP_HANDLER: 0
; COMPUTE_PGM_RSRC2:TGID_X_EN: 1
; COMPUTE_PGM_RSRC2:TGID_Y_EN: 0
; COMPUTE_PGM_RSRC2:TGID_Z_EN: 0
; COMPUTE_PGM_RSRC2:TIDIG_COMP_CNT: 0
	.section	.text._ZN7rocprim17ROCPRIM_400000_NS6detail17trampoline_kernelINS0_14default_configENS1_35adjacent_difference_config_selectorILb1EdEEZNS1_24adjacent_difference_implIS3_Lb1ELb0EPdS7_N6thrust23THRUST_200600_302600_NS4plusIdEEEE10hipError_tPvRmT2_T3_mT4_P12ihipStream_tbEUlT_E_NS1_11comp_targetILNS1_3genE0ELNS1_11target_archE4294967295ELNS1_3gpuE0ELNS1_3repE0EEENS1_30default_config_static_selectorELNS0_4arch9wavefront6targetE1EEEvT1_,"axG",@progbits,_ZN7rocprim17ROCPRIM_400000_NS6detail17trampoline_kernelINS0_14default_configENS1_35adjacent_difference_config_selectorILb1EdEEZNS1_24adjacent_difference_implIS3_Lb1ELb0EPdS7_N6thrust23THRUST_200600_302600_NS4plusIdEEEE10hipError_tPvRmT2_T3_mT4_P12ihipStream_tbEUlT_E_NS1_11comp_targetILNS1_3genE0ELNS1_11target_archE4294967295ELNS1_3gpuE0ELNS1_3repE0EEENS1_30default_config_static_selectorELNS0_4arch9wavefront6targetE1EEEvT1_,comdat
	.protected	_ZN7rocprim17ROCPRIM_400000_NS6detail17trampoline_kernelINS0_14default_configENS1_35adjacent_difference_config_selectorILb1EdEEZNS1_24adjacent_difference_implIS3_Lb1ELb0EPdS7_N6thrust23THRUST_200600_302600_NS4plusIdEEEE10hipError_tPvRmT2_T3_mT4_P12ihipStream_tbEUlT_E_NS1_11comp_targetILNS1_3genE0ELNS1_11target_archE4294967295ELNS1_3gpuE0ELNS1_3repE0EEENS1_30default_config_static_selectorELNS0_4arch9wavefront6targetE1EEEvT1_ ; -- Begin function _ZN7rocprim17ROCPRIM_400000_NS6detail17trampoline_kernelINS0_14default_configENS1_35adjacent_difference_config_selectorILb1EdEEZNS1_24adjacent_difference_implIS3_Lb1ELb0EPdS7_N6thrust23THRUST_200600_302600_NS4plusIdEEEE10hipError_tPvRmT2_T3_mT4_P12ihipStream_tbEUlT_E_NS1_11comp_targetILNS1_3genE0ELNS1_11target_archE4294967295ELNS1_3gpuE0ELNS1_3repE0EEENS1_30default_config_static_selectorELNS0_4arch9wavefront6targetE1EEEvT1_
	.globl	_ZN7rocprim17ROCPRIM_400000_NS6detail17trampoline_kernelINS0_14default_configENS1_35adjacent_difference_config_selectorILb1EdEEZNS1_24adjacent_difference_implIS3_Lb1ELb0EPdS7_N6thrust23THRUST_200600_302600_NS4plusIdEEEE10hipError_tPvRmT2_T3_mT4_P12ihipStream_tbEUlT_E_NS1_11comp_targetILNS1_3genE0ELNS1_11target_archE4294967295ELNS1_3gpuE0ELNS1_3repE0EEENS1_30default_config_static_selectorELNS0_4arch9wavefront6targetE1EEEvT1_
	.p2align	8
	.type	_ZN7rocprim17ROCPRIM_400000_NS6detail17trampoline_kernelINS0_14default_configENS1_35adjacent_difference_config_selectorILb1EdEEZNS1_24adjacent_difference_implIS3_Lb1ELb0EPdS7_N6thrust23THRUST_200600_302600_NS4plusIdEEEE10hipError_tPvRmT2_T3_mT4_P12ihipStream_tbEUlT_E_NS1_11comp_targetILNS1_3genE0ELNS1_11target_archE4294967295ELNS1_3gpuE0ELNS1_3repE0EEENS1_30default_config_static_selectorELNS0_4arch9wavefront6targetE1EEEvT1_,@function
_ZN7rocprim17ROCPRIM_400000_NS6detail17trampoline_kernelINS0_14default_configENS1_35adjacent_difference_config_selectorILb1EdEEZNS1_24adjacent_difference_implIS3_Lb1ELb0EPdS7_N6thrust23THRUST_200600_302600_NS4plusIdEEEE10hipError_tPvRmT2_T3_mT4_P12ihipStream_tbEUlT_E_NS1_11comp_targetILNS1_3genE0ELNS1_11target_archE4294967295ELNS1_3gpuE0ELNS1_3repE0EEENS1_30default_config_static_selectorELNS0_4arch9wavefront6targetE1EEEvT1_: ; @_ZN7rocprim17ROCPRIM_400000_NS6detail17trampoline_kernelINS0_14default_configENS1_35adjacent_difference_config_selectorILb1EdEEZNS1_24adjacent_difference_implIS3_Lb1ELb0EPdS7_N6thrust23THRUST_200600_302600_NS4plusIdEEEE10hipError_tPvRmT2_T3_mT4_P12ihipStream_tbEUlT_E_NS1_11comp_targetILNS1_3genE0ELNS1_11target_archE4294967295ELNS1_3gpuE0ELNS1_3repE0EEENS1_30default_config_static_selectorELNS0_4arch9wavefront6targetE1EEEvT1_
; %bb.0:
	.section	.rodata,"a",@progbits
	.p2align	6, 0x0
	.amdhsa_kernel _ZN7rocprim17ROCPRIM_400000_NS6detail17trampoline_kernelINS0_14default_configENS1_35adjacent_difference_config_selectorILb1EdEEZNS1_24adjacent_difference_implIS3_Lb1ELb0EPdS7_N6thrust23THRUST_200600_302600_NS4plusIdEEEE10hipError_tPvRmT2_T3_mT4_P12ihipStream_tbEUlT_E_NS1_11comp_targetILNS1_3genE0ELNS1_11target_archE4294967295ELNS1_3gpuE0ELNS1_3repE0EEENS1_30default_config_static_selectorELNS0_4arch9wavefront6targetE1EEEvT1_
		.amdhsa_group_segment_fixed_size 0
		.amdhsa_private_segment_fixed_size 0
		.amdhsa_kernarg_size 56
		.amdhsa_user_sgpr_count 6
		.amdhsa_user_sgpr_private_segment_buffer 1
		.amdhsa_user_sgpr_dispatch_ptr 0
		.amdhsa_user_sgpr_queue_ptr 0
		.amdhsa_user_sgpr_kernarg_segment_ptr 1
		.amdhsa_user_sgpr_dispatch_id 0
		.amdhsa_user_sgpr_flat_scratch_init 0
		.amdhsa_user_sgpr_private_segment_size 0
		.amdhsa_uses_dynamic_stack 0
		.amdhsa_system_sgpr_private_segment_wavefront_offset 0
		.amdhsa_system_sgpr_workgroup_id_x 1
		.amdhsa_system_sgpr_workgroup_id_y 0
		.amdhsa_system_sgpr_workgroup_id_z 0
		.amdhsa_system_sgpr_workgroup_info 0
		.amdhsa_system_vgpr_workitem_id 0
		.amdhsa_next_free_vgpr 1
		.amdhsa_next_free_sgpr 0
		.amdhsa_reserve_vcc 0
		.amdhsa_reserve_flat_scratch 0
		.amdhsa_float_round_mode_32 0
		.amdhsa_float_round_mode_16_64 0
		.amdhsa_float_denorm_mode_32 3
		.amdhsa_float_denorm_mode_16_64 3
		.amdhsa_dx10_clamp 1
		.amdhsa_ieee_mode 1
		.amdhsa_fp16_overflow 0
		.amdhsa_exception_fp_ieee_invalid_op 0
		.amdhsa_exception_fp_denorm_src 0
		.amdhsa_exception_fp_ieee_div_zero 0
		.amdhsa_exception_fp_ieee_overflow 0
		.amdhsa_exception_fp_ieee_underflow 0
		.amdhsa_exception_fp_ieee_inexact 0
		.amdhsa_exception_int_div_zero 0
	.end_amdhsa_kernel
	.section	.text._ZN7rocprim17ROCPRIM_400000_NS6detail17trampoline_kernelINS0_14default_configENS1_35adjacent_difference_config_selectorILb1EdEEZNS1_24adjacent_difference_implIS3_Lb1ELb0EPdS7_N6thrust23THRUST_200600_302600_NS4plusIdEEEE10hipError_tPvRmT2_T3_mT4_P12ihipStream_tbEUlT_E_NS1_11comp_targetILNS1_3genE0ELNS1_11target_archE4294967295ELNS1_3gpuE0ELNS1_3repE0EEENS1_30default_config_static_selectorELNS0_4arch9wavefront6targetE1EEEvT1_,"axG",@progbits,_ZN7rocprim17ROCPRIM_400000_NS6detail17trampoline_kernelINS0_14default_configENS1_35adjacent_difference_config_selectorILb1EdEEZNS1_24adjacent_difference_implIS3_Lb1ELb0EPdS7_N6thrust23THRUST_200600_302600_NS4plusIdEEEE10hipError_tPvRmT2_T3_mT4_P12ihipStream_tbEUlT_E_NS1_11comp_targetILNS1_3genE0ELNS1_11target_archE4294967295ELNS1_3gpuE0ELNS1_3repE0EEENS1_30default_config_static_selectorELNS0_4arch9wavefront6targetE1EEEvT1_,comdat
.Lfunc_end44:
	.size	_ZN7rocprim17ROCPRIM_400000_NS6detail17trampoline_kernelINS0_14default_configENS1_35adjacent_difference_config_selectorILb1EdEEZNS1_24adjacent_difference_implIS3_Lb1ELb0EPdS7_N6thrust23THRUST_200600_302600_NS4plusIdEEEE10hipError_tPvRmT2_T3_mT4_P12ihipStream_tbEUlT_E_NS1_11comp_targetILNS1_3genE0ELNS1_11target_archE4294967295ELNS1_3gpuE0ELNS1_3repE0EEENS1_30default_config_static_selectorELNS0_4arch9wavefront6targetE1EEEvT1_, .Lfunc_end44-_ZN7rocprim17ROCPRIM_400000_NS6detail17trampoline_kernelINS0_14default_configENS1_35adjacent_difference_config_selectorILb1EdEEZNS1_24adjacent_difference_implIS3_Lb1ELb0EPdS7_N6thrust23THRUST_200600_302600_NS4plusIdEEEE10hipError_tPvRmT2_T3_mT4_P12ihipStream_tbEUlT_E_NS1_11comp_targetILNS1_3genE0ELNS1_11target_archE4294967295ELNS1_3gpuE0ELNS1_3repE0EEENS1_30default_config_static_selectorELNS0_4arch9wavefront6targetE1EEEvT1_
                                        ; -- End function
	.set _ZN7rocprim17ROCPRIM_400000_NS6detail17trampoline_kernelINS0_14default_configENS1_35adjacent_difference_config_selectorILb1EdEEZNS1_24adjacent_difference_implIS3_Lb1ELb0EPdS7_N6thrust23THRUST_200600_302600_NS4plusIdEEEE10hipError_tPvRmT2_T3_mT4_P12ihipStream_tbEUlT_E_NS1_11comp_targetILNS1_3genE0ELNS1_11target_archE4294967295ELNS1_3gpuE0ELNS1_3repE0EEENS1_30default_config_static_selectorELNS0_4arch9wavefront6targetE1EEEvT1_.num_vgpr, 0
	.set _ZN7rocprim17ROCPRIM_400000_NS6detail17trampoline_kernelINS0_14default_configENS1_35adjacent_difference_config_selectorILb1EdEEZNS1_24adjacent_difference_implIS3_Lb1ELb0EPdS7_N6thrust23THRUST_200600_302600_NS4plusIdEEEE10hipError_tPvRmT2_T3_mT4_P12ihipStream_tbEUlT_E_NS1_11comp_targetILNS1_3genE0ELNS1_11target_archE4294967295ELNS1_3gpuE0ELNS1_3repE0EEENS1_30default_config_static_selectorELNS0_4arch9wavefront6targetE1EEEvT1_.num_agpr, 0
	.set _ZN7rocprim17ROCPRIM_400000_NS6detail17trampoline_kernelINS0_14default_configENS1_35adjacent_difference_config_selectorILb1EdEEZNS1_24adjacent_difference_implIS3_Lb1ELb0EPdS7_N6thrust23THRUST_200600_302600_NS4plusIdEEEE10hipError_tPvRmT2_T3_mT4_P12ihipStream_tbEUlT_E_NS1_11comp_targetILNS1_3genE0ELNS1_11target_archE4294967295ELNS1_3gpuE0ELNS1_3repE0EEENS1_30default_config_static_selectorELNS0_4arch9wavefront6targetE1EEEvT1_.numbered_sgpr, 0
	.set _ZN7rocprim17ROCPRIM_400000_NS6detail17trampoline_kernelINS0_14default_configENS1_35adjacent_difference_config_selectorILb1EdEEZNS1_24adjacent_difference_implIS3_Lb1ELb0EPdS7_N6thrust23THRUST_200600_302600_NS4plusIdEEEE10hipError_tPvRmT2_T3_mT4_P12ihipStream_tbEUlT_E_NS1_11comp_targetILNS1_3genE0ELNS1_11target_archE4294967295ELNS1_3gpuE0ELNS1_3repE0EEENS1_30default_config_static_selectorELNS0_4arch9wavefront6targetE1EEEvT1_.num_named_barrier, 0
	.set _ZN7rocprim17ROCPRIM_400000_NS6detail17trampoline_kernelINS0_14default_configENS1_35adjacent_difference_config_selectorILb1EdEEZNS1_24adjacent_difference_implIS3_Lb1ELb0EPdS7_N6thrust23THRUST_200600_302600_NS4plusIdEEEE10hipError_tPvRmT2_T3_mT4_P12ihipStream_tbEUlT_E_NS1_11comp_targetILNS1_3genE0ELNS1_11target_archE4294967295ELNS1_3gpuE0ELNS1_3repE0EEENS1_30default_config_static_selectorELNS0_4arch9wavefront6targetE1EEEvT1_.private_seg_size, 0
	.set _ZN7rocprim17ROCPRIM_400000_NS6detail17trampoline_kernelINS0_14default_configENS1_35adjacent_difference_config_selectorILb1EdEEZNS1_24adjacent_difference_implIS3_Lb1ELb0EPdS7_N6thrust23THRUST_200600_302600_NS4plusIdEEEE10hipError_tPvRmT2_T3_mT4_P12ihipStream_tbEUlT_E_NS1_11comp_targetILNS1_3genE0ELNS1_11target_archE4294967295ELNS1_3gpuE0ELNS1_3repE0EEENS1_30default_config_static_selectorELNS0_4arch9wavefront6targetE1EEEvT1_.uses_vcc, 0
	.set _ZN7rocprim17ROCPRIM_400000_NS6detail17trampoline_kernelINS0_14default_configENS1_35adjacent_difference_config_selectorILb1EdEEZNS1_24adjacent_difference_implIS3_Lb1ELb0EPdS7_N6thrust23THRUST_200600_302600_NS4plusIdEEEE10hipError_tPvRmT2_T3_mT4_P12ihipStream_tbEUlT_E_NS1_11comp_targetILNS1_3genE0ELNS1_11target_archE4294967295ELNS1_3gpuE0ELNS1_3repE0EEENS1_30default_config_static_selectorELNS0_4arch9wavefront6targetE1EEEvT1_.uses_flat_scratch, 0
	.set _ZN7rocprim17ROCPRIM_400000_NS6detail17trampoline_kernelINS0_14default_configENS1_35adjacent_difference_config_selectorILb1EdEEZNS1_24adjacent_difference_implIS3_Lb1ELb0EPdS7_N6thrust23THRUST_200600_302600_NS4plusIdEEEE10hipError_tPvRmT2_T3_mT4_P12ihipStream_tbEUlT_E_NS1_11comp_targetILNS1_3genE0ELNS1_11target_archE4294967295ELNS1_3gpuE0ELNS1_3repE0EEENS1_30default_config_static_selectorELNS0_4arch9wavefront6targetE1EEEvT1_.has_dyn_sized_stack, 0
	.set _ZN7rocprim17ROCPRIM_400000_NS6detail17trampoline_kernelINS0_14default_configENS1_35adjacent_difference_config_selectorILb1EdEEZNS1_24adjacent_difference_implIS3_Lb1ELb0EPdS7_N6thrust23THRUST_200600_302600_NS4plusIdEEEE10hipError_tPvRmT2_T3_mT4_P12ihipStream_tbEUlT_E_NS1_11comp_targetILNS1_3genE0ELNS1_11target_archE4294967295ELNS1_3gpuE0ELNS1_3repE0EEENS1_30default_config_static_selectorELNS0_4arch9wavefront6targetE1EEEvT1_.has_recursion, 0
	.set _ZN7rocprim17ROCPRIM_400000_NS6detail17trampoline_kernelINS0_14default_configENS1_35adjacent_difference_config_selectorILb1EdEEZNS1_24adjacent_difference_implIS3_Lb1ELb0EPdS7_N6thrust23THRUST_200600_302600_NS4plusIdEEEE10hipError_tPvRmT2_T3_mT4_P12ihipStream_tbEUlT_E_NS1_11comp_targetILNS1_3genE0ELNS1_11target_archE4294967295ELNS1_3gpuE0ELNS1_3repE0EEENS1_30default_config_static_selectorELNS0_4arch9wavefront6targetE1EEEvT1_.has_indirect_call, 0
	.section	.AMDGPU.csdata,"",@progbits
; Kernel info:
; codeLenInByte = 0
; TotalNumSgprs: 4
; NumVgprs: 0
; ScratchSize: 0
; MemoryBound: 0
; FloatMode: 240
; IeeeMode: 1
; LDSByteSize: 0 bytes/workgroup (compile time only)
; SGPRBlocks: 0
; VGPRBlocks: 0
; NumSGPRsForWavesPerEU: 4
; NumVGPRsForWavesPerEU: 1
; Occupancy: 10
; WaveLimiterHint : 0
; COMPUTE_PGM_RSRC2:SCRATCH_EN: 0
; COMPUTE_PGM_RSRC2:USER_SGPR: 6
; COMPUTE_PGM_RSRC2:TRAP_HANDLER: 0
; COMPUTE_PGM_RSRC2:TGID_X_EN: 1
; COMPUTE_PGM_RSRC2:TGID_Y_EN: 0
; COMPUTE_PGM_RSRC2:TGID_Z_EN: 0
; COMPUTE_PGM_RSRC2:TIDIG_COMP_CNT: 0
	.section	.text._ZN7rocprim17ROCPRIM_400000_NS6detail17trampoline_kernelINS0_14default_configENS1_35adjacent_difference_config_selectorILb1EdEEZNS1_24adjacent_difference_implIS3_Lb1ELb0EPdS7_N6thrust23THRUST_200600_302600_NS4plusIdEEEE10hipError_tPvRmT2_T3_mT4_P12ihipStream_tbEUlT_E_NS1_11comp_targetILNS1_3genE10ELNS1_11target_archE1201ELNS1_3gpuE5ELNS1_3repE0EEENS1_30default_config_static_selectorELNS0_4arch9wavefront6targetE1EEEvT1_,"axG",@progbits,_ZN7rocprim17ROCPRIM_400000_NS6detail17trampoline_kernelINS0_14default_configENS1_35adjacent_difference_config_selectorILb1EdEEZNS1_24adjacent_difference_implIS3_Lb1ELb0EPdS7_N6thrust23THRUST_200600_302600_NS4plusIdEEEE10hipError_tPvRmT2_T3_mT4_P12ihipStream_tbEUlT_E_NS1_11comp_targetILNS1_3genE10ELNS1_11target_archE1201ELNS1_3gpuE5ELNS1_3repE0EEENS1_30default_config_static_selectorELNS0_4arch9wavefront6targetE1EEEvT1_,comdat
	.protected	_ZN7rocprim17ROCPRIM_400000_NS6detail17trampoline_kernelINS0_14default_configENS1_35adjacent_difference_config_selectorILb1EdEEZNS1_24adjacent_difference_implIS3_Lb1ELb0EPdS7_N6thrust23THRUST_200600_302600_NS4plusIdEEEE10hipError_tPvRmT2_T3_mT4_P12ihipStream_tbEUlT_E_NS1_11comp_targetILNS1_3genE10ELNS1_11target_archE1201ELNS1_3gpuE5ELNS1_3repE0EEENS1_30default_config_static_selectorELNS0_4arch9wavefront6targetE1EEEvT1_ ; -- Begin function _ZN7rocprim17ROCPRIM_400000_NS6detail17trampoline_kernelINS0_14default_configENS1_35adjacent_difference_config_selectorILb1EdEEZNS1_24adjacent_difference_implIS3_Lb1ELb0EPdS7_N6thrust23THRUST_200600_302600_NS4plusIdEEEE10hipError_tPvRmT2_T3_mT4_P12ihipStream_tbEUlT_E_NS1_11comp_targetILNS1_3genE10ELNS1_11target_archE1201ELNS1_3gpuE5ELNS1_3repE0EEENS1_30default_config_static_selectorELNS0_4arch9wavefront6targetE1EEEvT1_
	.globl	_ZN7rocprim17ROCPRIM_400000_NS6detail17trampoline_kernelINS0_14default_configENS1_35adjacent_difference_config_selectorILb1EdEEZNS1_24adjacent_difference_implIS3_Lb1ELb0EPdS7_N6thrust23THRUST_200600_302600_NS4plusIdEEEE10hipError_tPvRmT2_T3_mT4_P12ihipStream_tbEUlT_E_NS1_11comp_targetILNS1_3genE10ELNS1_11target_archE1201ELNS1_3gpuE5ELNS1_3repE0EEENS1_30default_config_static_selectorELNS0_4arch9wavefront6targetE1EEEvT1_
	.p2align	8
	.type	_ZN7rocprim17ROCPRIM_400000_NS6detail17trampoline_kernelINS0_14default_configENS1_35adjacent_difference_config_selectorILb1EdEEZNS1_24adjacent_difference_implIS3_Lb1ELb0EPdS7_N6thrust23THRUST_200600_302600_NS4plusIdEEEE10hipError_tPvRmT2_T3_mT4_P12ihipStream_tbEUlT_E_NS1_11comp_targetILNS1_3genE10ELNS1_11target_archE1201ELNS1_3gpuE5ELNS1_3repE0EEENS1_30default_config_static_selectorELNS0_4arch9wavefront6targetE1EEEvT1_,@function
_ZN7rocprim17ROCPRIM_400000_NS6detail17trampoline_kernelINS0_14default_configENS1_35adjacent_difference_config_selectorILb1EdEEZNS1_24adjacent_difference_implIS3_Lb1ELb0EPdS7_N6thrust23THRUST_200600_302600_NS4plusIdEEEE10hipError_tPvRmT2_T3_mT4_P12ihipStream_tbEUlT_E_NS1_11comp_targetILNS1_3genE10ELNS1_11target_archE1201ELNS1_3gpuE5ELNS1_3repE0EEENS1_30default_config_static_selectorELNS0_4arch9wavefront6targetE1EEEvT1_: ; @_ZN7rocprim17ROCPRIM_400000_NS6detail17trampoline_kernelINS0_14default_configENS1_35adjacent_difference_config_selectorILb1EdEEZNS1_24adjacent_difference_implIS3_Lb1ELb0EPdS7_N6thrust23THRUST_200600_302600_NS4plusIdEEEE10hipError_tPvRmT2_T3_mT4_P12ihipStream_tbEUlT_E_NS1_11comp_targetILNS1_3genE10ELNS1_11target_archE1201ELNS1_3gpuE5ELNS1_3repE0EEENS1_30default_config_static_selectorELNS0_4arch9wavefront6targetE1EEEvT1_
; %bb.0:
	.section	.rodata,"a",@progbits
	.p2align	6, 0x0
	.amdhsa_kernel _ZN7rocprim17ROCPRIM_400000_NS6detail17trampoline_kernelINS0_14default_configENS1_35adjacent_difference_config_selectorILb1EdEEZNS1_24adjacent_difference_implIS3_Lb1ELb0EPdS7_N6thrust23THRUST_200600_302600_NS4plusIdEEEE10hipError_tPvRmT2_T3_mT4_P12ihipStream_tbEUlT_E_NS1_11comp_targetILNS1_3genE10ELNS1_11target_archE1201ELNS1_3gpuE5ELNS1_3repE0EEENS1_30default_config_static_selectorELNS0_4arch9wavefront6targetE1EEEvT1_
		.amdhsa_group_segment_fixed_size 0
		.amdhsa_private_segment_fixed_size 0
		.amdhsa_kernarg_size 56
		.amdhsa_user_sgpr_count 6
		.amdhsa_user_sgpr_private_segment_buffer 1
		.amdhsa_user_sgpr_dispatch_ptr 0
		.amdhsa_user_sgpr_queue_ptr 0
		.amdhsa_user_sgpr_kernarg_segment_ptr 1
		.amdhsa_user_sgpr_dispatch_id 0
		.amdhsa_user_sgpr_flat_scratch_init 0
		.amdhsa_user_sgpr_private_segment_size 0
		.amdhsa_uses_dynamic_stack 0
		.amdhsa_system_sgpr_private_segment_wavefront_offset 0
		.amdhsa_system_sgpr_workgroup_id_x 1
		.amdhsa_system_sgpr_workgroup_id_y 0
		.amdhsa_system_sgpr_workgroup_id_z 0
		.amdhsa_system_sgpr_workgroup_info 0
		.amdhsa_system_vgpr_workitem_id 0
		.amdhsa_next_free_vgpr 1
		.amdhsa_next_free_sgpr 0
		.amdhsa_reserve_vcc 0
		.amdhsa_reserve_flat_scratch 0
		.amdhsa_float_round_mode_32 0
		.amdhsa_float_round_mode_16_64 0
		.amdhsa_float_denorm_mode_32 3
		.amdhsa_float_denorm_mode_16_64 3
		.amdhsa_dx10_clamp 1
		.amdhsa_ieee_mode 1
		.amdhsa_fp16_overflow 0
		.amdhsa_exception_fp_ieee_invalid_op 0
		.amdhsa_exception_fp_denorm_src 0
		.amdhsa_exception_fp_ieee_div_zero 0
		.amdhsa_exception_fp_ieee_overflow 0
		.amdhsa_exception_fp_ieee_underflow 0
		.amdhsa_exception_fp_ieee_inexact 0
		.amdhsa_exception_int_div_zero 0
	.end_amdhsa_kernel
	.section	.text._ZN7rocprim17ROCPRIM_400000_NS6detail17trampoline_kernelINS0_14default_configENS1_35adjacent_difference_config_selectorILb1EdEEZNS1_24adjacent_difference_implIS3_Lb1ELb0EPdS7_N6thrust23THRUST_200600_302600_NS4plusIdEEEE10hipError_tPvRmT2_T3_mT4_P12ihipStream_tbEUlT_E_NS1_11comp_targetILNS1_3genE10ELNS1_11target_archE1201ELNS1_3gpuE5ELNS1_3repE0EEENS1_30default_config_static_selectorELNS0_4arch9wavefront6targetE1EEEvT1_,"axG",@progbits,_ZN7rocprim17ROCPRIM_400000_NS6detail17trampoline_kernelINS0_14default_configENS1_35adjacent_difference_config_selectorILb1EdEEZNS1_24adjacent_difference_implIS3_Lb1ELb0EPdS7_N6thrust23THRUST_200600_302600_NS4plusIdEEEE10hipError_tPvRmT2_T3_mT4_P12ihipStream_tbEUlT_E_NS1_11comp_targetILNS1_3genE10ELNS1_11target_archE1201ELNS1_3gpuE5ELNS1_3repE0EEENS1_30default_config_static_selectorELNS0_4arch9wavefront6targetE1EEEvT1_,comdat
.Lfunc_end45:
	.size	_ZN7rocprim17ROCPRIM_400000_NS6detail17trampoline_kernelINS0_14default_configENS1_35adjacent_difference_config_selectorILb1EdEEZNS1_24adjacent_difference_implIS3_Lb1ELb0EPdS7_N6thrust23THRUST_200600_302600_NS4plusIdEEEE10hipError_tPvRmT2_T3_mT4_P12ihipStream_tbEUlT_E_NS1_11comp_targetILNS1_3genE10ELNS1_11target_archE1201ELNS1_3gpuE5ELNS1_3repE0EEENS1_30default_config_static_selectorELNS0_4arch9wavefront6targetE1EEEvT1_, .Lfunc_end45-_ZN7rocprim17ROCPRIM_400000_NS6detail17trampoline_kernelINS0_14default_configENS1_35adjacent_difference_config_selectorILb1EdEEZNS1_24adjacent_difference_implIS3_Lb1ELb0EPdS7_N6thrust23THRUST_200600_302600_NS4plusIdEEEE10hipError_tPvRmT2_T3_mT4_P12ihipStream_tbEUlT_E_NS1_11comp_targetILNS1_3genE10ELNS1_11target_archE1201ELNS1_3gpuE5ELNS1_3repE0EEENS1_30default_config_static_selectorELNS0_4arch9wavefront6targetE1EEEvT1_
                                        ; -- End function
	.set _ZN7rocprim17ROCPRIM_400000_NS6detail17trampoline_kernelINS0_14default_configENS1_35adjacent_difference_config_selectorILb1EdEEZNS1_24adjacent_difference_implIS3_Lb1ELb0EPdS7_N6thrust23THRUST_200600_302600_NS4plusIdEEEE10hipError_tPvRmT2_T3_mT4_P12ihipStream_tbEUlT_E_NS1_11comp_targetILNS1_3genE10ELNS1_11target_archE1201ELNS1_3gpuE5ELNS1_3repE0EEENS1_30default_config_static_selectorELNS0_4arch9wavefront6targetE1EEEvT1_.num_vgpr, 0
	.set _ZN7rocprim17ROCPRIM_400000_NS6detail17trampoline_kernelINS0_14default_configENS1_35adjacent_difference_config_selectorILb1EdEEZNS1_24adjacent_difference_implIS3_Lb1ELb0EPdS7_N6thrust23THRUST_200600_302600_NS4plusIdEEEE10hipError_tPvRmT2_T3_mT4_P12ihipStream_tbEUlT_E_NS1_11comp_targetILNS1_3genE10ELNS1_11target_archE1201ELNS1_3gpuE5ELNS1_3repE0EEENS1_30default_config_static_selectorELNS0_4arch9wavefront6targetE1EEEvT1_.num_agpr, 0
	.set _ZN7rocprim17ROCPRIM_400000_NS6detail17trampoline_kernelINS0_14default_configENS1_35adjacent_difference_config_selectorILb1EdEEZNS1_24adjacent_difference_implIS3_Lb1ELb0EPdS7_N6thrust23THRUST_200600_302600_NS4plusIdEEEE10hipError_tPvRmT2_T3_mT4_P12ihipStream_tbEUlT_E_NS1_11comp_targetILNS1_3genE10ELNS1_11target_archE1201ELNS1_3gpuE5ELNS1_3repE0EEENS1_30default_config_static_selectorELNS0_4arch9wavefront6targetE1EEEvT1_.numbered_sgpr, 0
	.set _ZN7rocprim17ROCPRIM_400000_NS6detail17trampoline_kernelINS0_14default_configENS1_35adjacent_difference_config_selectorILb1EdEEZNS1_24adjacent_difference_implIS3_Lb1ELb0EPdS7_N6thrust23THRUST_200600_302600_NS4plusIdEEEE10hipError_tPvRmT2_T3_mT4_P12ihipStream_tbEUlT_E_NS1_11comp_targetILNS1_3genE10ELNS1_11target_archE1201ELNS1_3gpuE5ELNS1_3repE0EEENS1_30default_config_static_selectorELNS0_4arch9wavefront6targetE1EEEvT1_.num_named_barrier, 0
	.set _ZN7rocprim17ROCPRIM_400000_NS6detail17trampoline_kernelINS0_14default_configENS1_35adjacent_difference_config_selectorILb1EdEEZNS1_24adjacent_difference_implIS3_Lb1ELb0EPdS7_N6thrust23THRUST_200600_302600_NS4plusIdEEEE10hipError_tPvRmT2_T3_mT4_P12ihipStream_tbEUlT_E_NS1_11comp_targetILNS1_3genE10ELNS1_11target_archE1201ELNS1_3gpuE5ELNS1_3repE0EEENS1_30default_config_static_selectorELNS0_4arch9wavefront6targetE1EEEvT1_.private_seg_size, 0
	.set _ZN7rocprim17ROCPRIM_400000_NS6detail17trampoline_kernelINS0_14default_configENS1_35adjacent_difference_config_selectorILb1EdEEZNS1_24adjacent_difference_implIS3_Lb1ELb0EPdS7_N6thrust23THRUST_200600_302600_NS4plusIdEEEE10hipError_tPvRmT2_T3_mT4_P12ihipStream_tbEUlT_E_NS1_11comp_targetILNS1_3genE10ELNS1_11target_archE1201ELNS1_3gpuE5ELNS1_3repE0EEENS1_30default_config_static_selectorELNS0_4arch9wavefront6targetE1EEEvT1_.uses_vcc, 0
	.set _ZN7rocprim17ROCPRIM_400000_NS6detail17trampoline_kernelINS0_14default_configENS1_35adjacent_difference_config_selectorILb1EdEEZNS1_24adjacent_difference_implIS3_Lb1ELb0EPdS7_N6thrust23THRUST_200600_302600_NS4plusIdEEEE10hipError_tPvRmT2_T3_mT4_P12ihipStream_tbEUlT_E_NS1_11comp_targetILNS1_3genE10ELNS1_11target_archE1201ELNS1_3gpuE5ELNS1_3repE0EEENS1_30default_config_static_selectorELNS0_4arch9wavefront6targetE1EEEvT1_.uses_flat_scratch, 0
	.set _ZN7rocprim17ROCPRIM_400000_NS6detail17trampoline_kernelINS0_14default_configENS1_35adjacent_difference_config_selectorILb1EdEEZNS1_24adjacent_difference_implIS3_Lb1ELb0EPdS7_N6thrust23THRUST_200600_302600_NS4plusIdEEEE10hipError_tPvRmT2_T3_mT4_P12ihipStream_tbEUlT_E_NS1_11comp_targetILNS1_3genE10ELNS1_11target_archE1201ELNS1_3gpuE5ELNS1_3repE0EEENS1_30default_config_static_selectorELNS0_4arch9wavefront6targetE1EEEvT1_.has_dyn_sized_stack, 0
	.set _ZN7rocprim17ROCPRIM_400000_NS6detail17trampoline_kernelINS0_14default_configENS1_35adjacent_difference_config_selectorILb1EdEEZNS1_24adjacent_difference_implIS3_Lb1ELb0EPdS7_N6thrust23THRUST_200600_302600_NS4plusIdEEEE10hipError_tPvRmT2_T3_mT4_P12ihipStream_tbEUlT_E_NS1_11comp_targetILNS1_3genE10ELNS1_11target_archE1201ELNS1_3gpuE5ELNS1_3repE0EEENS1_30default_config_static_selectorELNS0_4arch9wavefront6targetE1EEEvT1_.has_recursion, 0
	.set _ZN7rocprim17ROCPRIM_400000_NS6detail17trampoline_kernelINS0_14default_configENS1_35adjacent_difference_config_selectorILb1EdEEZNS1_24adjacent_difference_implIS3_Lb1ELb0EPdS7_N6thrust23THRUST_200600_302600_NS4plusIdEEEE10hipError_tPvRmT2_T3_mT4_P12ihipStream_tbEUlT_E_NS1_11comp_targetILNS1_3genE10ELNS1_11target_archE1201ELNS1_3gpuE5ELNS1_3repE0EEENS1_30default_config_static_selectorELNS0_4arch9wavefront6targetE1EEEvT1_.has_indirect_call, 0
	.section	.AMDGPU.csdata,"",@progbits
; Kernel info:
; codeLenInByte = 0
; TotalNumSgprs: 4
; NumVgprs: 0
; ScratchSize: 0
; MemoryBound: 0
; FloatMode: 240
; IeeeMode: 1
; LDSByteSize: 0 bytes/workgroup (compile time only)
; SGPRBlocks: 0
; VGPRBlocks: 0
; NumSGPRsForWavesPerEU: 4
; NumVGPRsForWavesPerEU: 1
; Occupancy: 10
; WaveLimiterHint : 0
; COMPUTE_PGM_RSRC2:SCRATCH_EN: 0
; COMPUTE_PGM_RSRC2:USER_SGPR: 6
; COMPUTE_PGM_RSRC2:TRAP_HANDLER: 0
; COMPUTE_PGM_RSRC2:TGID_X_EN: 1
; COMPUTE_PGM_RSRC2:TGID_Y_EN: 0
; COMPUTE_PGM_RSRC2:TGID_Z_EN: 0
; COMPUTE_PGM_RSRC2:TIDIG_COMP_CNT: 0
	.section	.text._ZN7rocprim17ROCPRIM_400000_NS6detail17trampoline_kernelINS0_14default_configENS1_35adjacent_difference_config_selectorILb1EdEEZNS1_24adjacent_difference_implIS3_Lb1ELb0EPdS7_N6thrust23THRUST_200600_302600_NS4plusIdEEEE10hipError_tPvRmT2_T3_mT4_P12ihipStream_tbEUlT_E_NS1_11comp_targetILNS1_3genE5ELNS1_11target_archE942ELNS1_3gpuE9ELNS1_3repE0EEENS1_30default_config_static_selectorELNS0_4arch9wavefront6targetE1EEEvT1_,"axG",@progbits,_ZN7rocprim17ROCPRIM_400000_NS6detail17trampoline_kernelINS0_14default_configENS1_35adjacent_difference_config_selectorILb1EdEEZNS1_24adjacent_difference_implIS3_Lb1ELb0EPdS7_N6thrust23THRUST_200600_302600_NS4plusIdEEEE10hipError_tPvRmT2_T3_mT4_P12ihipStream_tbEUlT_E_NS1_11comp_targetILNS1_3genE5ELNS1_11target_archE942ELNS1_3gpuE9ELNS1_3repE0EEENS1_30default_config_static_selectorELNS0_4arch9wavefront6targetE1EEEvT1_,comdat
	.protected	_ZN7rocprim17ROCPRIM_400000_NS6detail17trampoline_kernelINS0_14default_configENS1_35adjacent_difference_config_selectorILb1EdEEZNS1_24adjacent_difference_implIS3_Lb1ELb0EPdS7_N6thrust23THRUST_200600_302600_NS4plusIdEEEE10hipError_tPvRmT2_T3_mT4_P12ihipStream_tbEUlT_E_NS1_11comp_targetILNS1_3genE5ELNS1_11target_archE942ELNS1_3gpuE9ELNS1_3repE0EEENS1_30default_config_static_selectorELNS0_4arch9wavefront6targetE1EEEvT1_ ; -- Begin function _ZN7rocprim17ROCPRIM_400000_NS6detail17trampoline_kernelINS0_14default_configENS1_35adjacent_difference_config_selectorILb1EdEEZNS1_24adjacent_difference_implIS3_Lb1ELb0EPdS7_N6thrust23THRUST_200600_302600_NS4plusIdEEEE10hipError_tPvRmT2_T3_mT4_P12ihipStream_tbEUlT_E_NS1_11comp_targetILNS1_3genE5ELNS1_11target_archE942ELNS1_3gpuE9ELNS1_3repE0EEENS1_30default_config_static_selectorELNS0_4arch9wavefront6targetE1EEEvT1_
	.globl	_ZN7rocprim17ROCPRIM_400000_NS6detail17trampoline_kernelINS0_14default_configENS1_35adjacent_difference_config_selectorILb1EdEEZNS1_24adjacent_difference_implIS3_Lb1ELb0EPdS7_N6thrust23THRUST_200600_302600_NS4plusIdEEEE10hipError_tPvRmT2_T3_mT4_P12ihipStream_tbEUlT_E_NS1_11comp_targetILNS1_3genE5ELNS1_11target_archE942ELNS1_3gpuE9ELNS1_3repE0EEENS1_30default_config_static_selectorELNS0_4arch9wavefront6targetE1EEEvT1_
	.p2align	8
	.type	_ZN7rocprim17ROCPRIM_400000_NS6detail17trampoline_kernelINS0_14default_configENS1_35adjacent_difference_config_selectorILb1EdEEZNS1_24adjacent_difference_implIS3_Lb1ELb0EPdS7_N6thrust23THRUST_200600_302600_NS4plusIdEEEE10hipError_tPvRmT2_T3_mT4_P12ihipStream_tbEUlT_E_NS1_11comp_targetILNS1_3genE5ELNS1_11target_archE942ELNS1_3gpuE9ELNS1_3repE0EEENS1_30default_config_static_selectorELNS0_4arch9wavefront6targetE1EEEvT1_,@function
_ZN7rocprim17ROCPRIM_400000_NS6detail17trampoline_kernelINS0_14default_configENS1_35adjacent_difference_config_selectorILb1EdEEZNS1_24adjacent_difference_implIS3_Lb1ELb0EPdS7_N6thrust23THRUST_200600_302600_NS4plusIdEEEE10hipError_tPvRmT2_T3_mT4_P12ihipStream_tbEUlT_E_NS1_11comp_targetILNS1_3genE5ELNS1_11target_archE942ELNS1_3gpuE9ELNS1_3repE0EEENS1_30default_config_static_selectorELNS0_4arch9wavefront6targetE1EEEvT1_: ; @_ZN7rocprim17ROCPRIM_400000_NS6detail17trampoline_kernelINS0_14default_configENS1_35adjacent_difference_config_selectorILb1EdEEZNS1_24adjacent_difference_implIS3_Lb1ELb0EPdS7_N6thrust23THRUST_200600_302600_NS4plusIdEEEE10hipError_tPvRmT2_T3_mT4_P12ihipStream_tbEUlT_E_NS1_11comp_targetILNS1_3genE5ELNS1_11target_archE942ELNS1_3gpuE9ELNS1_3repE0EEENS1_30default_config_static_selectorELNS0_4arch9wavefront6targetE1EEEvT1_
; %bb.0:
	.section	.rodata,"a",@progbits
	.p2align	6, 0x0
	.amdhsa_kernel _ZN7rocprim17ROCPRIM_400000_NS6detail17trampoline_kernelINS0_14default_configENS1_35adjacent_difference_config_selectorILb1EdEEZNS1_24adjacent_difference_implIS3_Lb1ELb0EPdS7_N6thrust23THRUST_200600_302600_NS4plusIdEEEE10hipError_tPvRmT2_T3_mT4_P12ihipStream_tbEUlT_E_NS1_11comp_targetILNS1_3genE5ELNS1_11target_archE942ELNS1_3gpuE9ELNS1_3repE0EEENS1_30default_config_static_selectorELNS0_4arch9wavefront6targetE1EEEvT1_
		.amdhsa_group_segment_fixed_size 0
		.amdhsa_private_segment_fixed_size 0
		.amdhsa_kernarg_size 56
		.amdhsa_user_sgpr_count 6
		.amdhsa_user_sgpr_private_segment_buffer 1
		.amdhsa_user_sgpr_dispatch_ptr 0
		.amdhsa_user_sgpr_queue_ptr 0
		.amdhsa_user_sgpr_kernarg_segment_ptr 1
		.amdhsa_user_sgpr_dispatch_id 0
		.amdhsa_user_sgpr_flat_scratch_init 0
		.amdhsa_user_sgpr_private_segment_size 0
		.amdhsa_uses_dynamic_stack 0
		.amdhsa_system_sgpr_private_segment_wavefront_offset 0
		.amdhsa_system_sgpr_workgroup_id_x 1
		.amdhsa_system_sgpr_workgroup_id_y 0
		.amdhsa_system_sgpr_workgroup_id_z 0
		.amdhsa_system_sgpr_workgroup_info 0
		.amdhsa_system_vgpr_workitem_id 0
		.amdhsa_next_free_vgpr 1
		.amdhsa_next_free_sgpr 0
		.amdhsa_reserve_vcc 0
		.amdhsa_reserve_flat_scratch 0
		.amdhsa_float_round_mode_32 0
		.amdhsa_float_round_mode_16_64 0
		.amdhsa_float_denorm_mode_32 3
		.amdhsa_float_denorm_mode_16_64 3
		.amdhsa_dx10_clamp 1
		.amdhsa_ieee_mode 1
		.amdhsa_fp16_overflow 0
		.amdhsa_exception_fp_ieee_invalid_op 0
		.amdhsa_exception_fp_denorm_src 0
		.amdhsa_exception_fp_ieee_div_zero 0
		.amdhsa_exception_fp_ieee_overflow 0
		.amdhsa_exception_fp_ieee_underflow 0
		.amdhsa_exception_fp_ieee_inexact 0
		.amdhsa_exception_int_div_zero 0
	.end_amdhsa_kernel
	.section	.text._ZN7rocprim17ROCPRIM_400000_NS6detail17trampoline_kernelINS0_14default_configENS1_35adjacent_difference_config_selectorILb1EdEEZNS1_24adjacent_difference_implIS3_Lb1ELb0EPdS7_N6thrust23THRUST_200600_302600_NS4plusIdEEEE10hipError_tPvRmT2_T3_mT4_P12ihipStream_tbEUlT_E_NS1_11comp_targetILNS1_3genE5ELNS1_11target_archE942ELNS1_3gpuE9ELNS1_3repE0EEENS1_30default_config_static_selectorELNS0_4arch9wavefront6targetE1EEEvT1_,"axG",@progbits,_ZN7rocprim17ROCPRIM_400000_NS6detail17trampoline_kernelINS0_14default_configENS1_35adjacent_difference_config_selectorILb1EdEEZNS1_24adjacent_difference_implIS3_Lb1ELb0EPdS7_N6thrust23THRUST_200600_302600_NS4plusIdEEEE10hipError_tPvRmT2_T3_mT4_P12ihipStream_tbEUlT_E_NS1_11comp_targetILNS1_3genE5ELNS1_11target_archE942ELNS1_3gpuE9ELNS1_3repE0EEENS1_30default_config_static_selectorELNS0_4arch9wavefront6targetE1EEEvT1_,comdat
.Lfunc_end46:
	.size	_ZN7rocprim17ROCPRIM_400000_NS6detail17trampoline_kernelINS0_14default_configENS1_35adjacent_difference_config_selectorILb1EdEEZNS1_24adjacent_difference_implIS3_Lb1ELb0EPdS7_N6thrust23THRUST_200600_302600_NS4plusIdEEEE10hipError_tPvRmT2_T3_mT4_P12ihipStream_tbEUlT_E_NS1_11comp_targetILNS1_3genE5ELNS1_11target_archE942ELNS1_3gpuE9ELNS1_3repE0EEENS1_30default_config_static_selectorELNS0_4arch9wavefront6targetE1EEEvT1_, .Lfunc_end46-_ZN7rocprim17ROCPRIM_400000_NS6detail17trampoline_kernelINS0_14default_configENS1_35adjacent_difference_config_selectorILb1EdEEZNS1_24adjacent_difference_implIS3_Lb1ELb0EPdS7_N6thrust23THRUST_200600_302600_NS4plusIdEEEE10hipError_tPvRmT2_T3_mT4_P12ihipStream_tbEUlT_E_NS1_11comp_targetILNS1_3genE5ELNS1_11target_archE942ELNS1_3gpuE9ELNS1_3repE0EEENS1_30default_config_static_selectorELNS0_4arch9wavefront6targetE1EEEvT1_
                                        ; -- End function
	.set _ZN7rocprim17ROCPRIM_400000_NS6detail17trampoline_kernelINS0_14default_configENS1_35adjacent_difference_config_selectorILb1EdEEZNS1_24adjacent_difference_implIS3_Lb1ELb0EPdS7_N6thrust23THRUST_200600_302600_NS4plusIdEEEE10hipError_tPvRmT2_T3_mT4_P12ihipStream_tbEUlT_E_NS1_11comp_targetILNS1_3genE5ELNS1_11target_archE942ELNS1_3gpuE9ELNS1_3repE0EEENS1_30default_config_static_selectorELNS0_4arch9wavefront6targetE1EEEvT1_.num_vgpr, 0
	.set _ZN7rocprim17ROCPRIM_400000_NS6detail17trampoline_kernelINS0_14default_configENS1_35adjacent_difference_config_selectorILb1EdEEZNS1_24adjacent_difference_implIS3_Lb1ELb0EPdS7_N6thrust23THRUST_200600_302600_NS4plusIdEEEE10hipError_tPvRmT2_T3_mT4_P12ihipStream_tbEUlT_E_NS1_11comp_targetILNS1_3genE5ELNS1_11target_archE942ELNS1_3gpuE9ELNS1_3repE0EEENS1_30default_config_static_selectorELNS0_4arch9wavefront6targetE1EEEvT1_.num_agpr, 0
	.set _ZN7rocprim17ROCPRIM_400000_NS6detail17trampoline_kernelINS0_14default_configENS1_35adjacent_difference_config_selectorILb1EdEEZNS1_24adjacent_difference_implIS3_Lb1ELb0EPdS7_N6thrust23THRUST_200600_302600_NS4plusIdEEEE10hipError_tPvRmT2_T3_mT4_P12ihipStream_tbEUlT_E_NS1_11comp_targetILNS1_3genE5ELNS1_11target_archE942ELNS1_3gpuE9ELNS1_3repE0EEENS1_30default_config_static_selectorELNS0_4arch9wavefront6targetE1EEEvT1_.numbered_sgpr, 0
	.set _ZN7rocprim17ROCPRIM_400000_NS6detail17trampoline_kernelINS0_14default_configENS1_35adjacent_difference_config_selectorILb1EdEEZNS1_24adjacent_difference_implIS3_Lb1ELb0EPdS7_N6thrust23THRUST_200600_302600_NS4plusIdEEEE10hipError_tPvRmT2_T3_mT4_P12ihipStream_tbEUlT_E_NS1_11comp_targetILNS1_3genE5ELNS1_11target_archE942ELNS1_3gpuE9ELNS1_3repE0EEENS1_30default_config_static_selectorELNS0_4arch9wavefront6targetE1EEEvT1_.num_named_barrier, 0
	.set _ZN7rocprim17ROCPRIM_400000_NS6detail17trampoline_kernelINS0_14default_configENS1_35adjacent_difference_config_selectorILb1EdEEZNS1_24adjacent_difference_implIS3_Lb1ELb0EPdS7_N6thrust23THRUST_200600_302600_NS4plusIdEEEE10hipError_tPvRmT2_T3_mT4_P12ihipStream_tbEUlT_E_NS1_11comp_targetILNS1_3genE5ELNS1_11target_archE942ELNS1_3gpuE9ELNS1_3repE0EEENS1_30default_config_static_selectorELNS0_4arch9wavefront6targetE1EEEvT1_.private_seg_size, 0
	.set _ZN7rocprim17ROCPRIM_400000_NS6detail17trampoline_kernelINS0_14default_configENS1_35adjacent_difference_config_selectorILb1EdEEZNS1_24adjacent_difference_implIS3_Lb1ELb0EPdS7_N6thrust23THRUST_200600_302600_NS4plusIdEEEE10hipError_tPvRmT2_T3_mT4_P12ihipStream_tbEUlT_E_NS1_11comp_targetILNS1_3genE5ELNS1_11target_archE942ELNS1_3gpuE9ELNS1_3repE0EEENS1_30default_config_static_selectorELNS0_4arch9wavefront6targetE1EEEvT1_.uses_vcc, 0
	.set _ZN7rocprim17ROCPRIM_400000_NS6detail17trampoline_kernelINS0_14default_configENS1_35adjacent_difference_config_selectorILb1EdEEZNS1_24adjacent_difference_implIS3_Lb1ELb0EPdS7_N6thrust23THRUST_200600_302600_NS4plusIdEEEE10hipError_tPvRmT2_T3_mT4_P12ihipStream_tbEUlT_E_NS1_11comp_targetILNS1_3genE5ELNS1_11target_archE942ELNS1_3gpuE9ELNS1_3repE0EEENS1_30default_config_static_selectorELNS0_4arch9wavefront6targetE1EEEvT1_.uses_flat_scratch, 0
	.set _ZN7rocprim17ROCPRIM_400000_NS6detail17trampoline_kernelINS0_14default_configENS1_35adjacent_difference_config_selectorILb1EdEEZNS1_24adjacent_difference_implIS3_Lb1ELb0EPdS7_N6thrust23THRUST_200600_302600_NS4plusIdEEEE10hipError_tPvRmT2_T3_mT4_P12ihipStream_tbEUlT_E_NS1_11comp_targetILNS1_3genE5ELNS1_11target_archE942ELNS1_3gpuE9ELNS1_3repE0EEENS1_30default_config_static_selectorELNS0_4arch9wavefront6targetE1EEEvT1_.has_dyn_sized_stack, 0
	.set _ZN7rocprim17ROCPRIM_400000_NS6detail17trampoline_kernelINS0_14default_configENS1_35adjacent_difference_config_selectorILb1EdEEZNS1_24adjacent_difference_implIS3_Lb1ELb0EPdS7_N6thrust23THRUST_200600_302600_NS4plusIdEEEE10hipError_tPvRmT2_T3_mT4_P12ihipStream_tbEUlT_E_NS1_11comp_targetILNS1_3genE5ELNS1_11target_archE942ELNS1_3gpuE9ELNS1_3repE0EEENS1_30default_config_static_selectorELNS0_4arch9wavefront6targetE1EEEvT1_.has_recursion, 0
	.set _ZN7rocprim17ROCPRIM_400000_NS6detail17trampoline_kernelINS0_14default_configENS1_35adjacent_difference_config_selectorILb1EdEEZNS1_24adjacent_difference_implIS3_Lb1ELb0EPdS7_N6thrust23THRUST_200600_302600_NS4plusIdEEEE10hipError_tPvRmT2_T3_mT4_P12ihipStream_tbEUlT_E_NS1_11comp_targetILNS1_3genE5ELNS1_11target_archE942ELNS1_3gpuE9ELNS1_3repE0EEENS1_30default_config_static_selectorELNS0_4arch9wavefront6targetE1EEEvT1_.has_indirect_call, 0
	.section	.AMDGPU.csdata,"",@progbits
; Kernel info:
; codeLenInByte = 0
; TotalNumSgprs: 4
; NumVgprs: 0
; ScratchSize: 0
; MemoryBound: 0
; FloatMode: 240
; IeeeMode: 1
; LDSByteSize: 0 bytes/workgroup (compile time only)
; SGPRBlocks: 0
; VGPRBlocks: 0
; NumSGPRsForWavesPerEU: 4
; NumVGPRsForWavesPerEU: 1
; Occupancy: 10
; WaveLimiterHint : 0
; COMPUTE_PGM_RSRC2:SCRATCH_EN: 0
; COMPUTE_PGM_RSRC2:USER_SGPR: 6
; COMPUTE_PGM_RSRC2:TRAP_HANDLER: 0
; COMPUTE_PGM_RSRC2:TGID_X_EN: 1
; COMPUTE_PGM_RSRC2:TGID_Y_EN: 0
; COMPUTE_PGM_RSRC2:TGID_Z_EN: 0
; COMPUTE_PGM_RSRC2:TIDIG_COMP_CNT: 0
	.section	.text._ZN7rocprim17ROCPRIM_400000_NS6detail17trampoline_kernelINS0_14default_configENS1_35adjacent_difference_config_selectorILb1EdEEZNS1_24adjacent_difference_implIS3_Lb1ELb0EPdS7_N6thrust23THRUST_200600_302600_NS4plusIdEEEE10hipError_tPvRmT2_T3_mT4_P12ihipStream_tbEUlT_E_NS1_11comp_targetILNS1_3genE4ELNS1_11target_archE910ELNS1_3gpuE8ELNS1_3repE0EEENS1_30default_config_static_selectorELNS0_4arch9wavefront6targetE1EEEvT1_,"axG",@progbits,_ZN7rocprim17ROCPRIM_400000_NS6detail17trampoline_kernelINS0_14default_configENS1_35adjacent_difference_config_selectorILb1EdEEZNS1_24adjacent_difference_implIS3_Lb1ELb0EPdS7_N6thrust23THRUST_200600_302600_NS4plusIdEEEE10hipError_tPvRmT2_T3_mT4_P12ihipStream_tbEUlT_E_NS1_11comp_targetILNS1_3genE4ELNS1_11target_archE910ELNS1_3gpuE8ELNS1_3repE0EEENS1_30default_config_static_selectorELNS0_4arch9wavefront6targetE1EEEvT1_,comdat
	.protected	_ZN7rocprim17ROCPRIM_400000_NS6detail17trampoline_kernelINS0_14default_configENS1_35adjacent_difference_config_selectorILb1EdEEZNS1_24adjacent_difference_implIS3_Lb1ELb0EPdS7_N6thrust23THRUST_200600_302600_NS4plusIdEEEE10hipError_tPvRmT2_T3_mT4_P12ihipStream_tbEUlT_E_NS1_11comp_targetILNS1_3genE4ELNS1_11target_archE910ELNS1_3gpuE8ELNS1_3repE0EEENS1_30default_config_static_selectorELNS0_4arch9wavefront6targetE1EEEvT1_ ; -- Begin function _ZN7rocprim17ROCPRIM_400000_NS6detail17trampoline_kernelINS0_14default_configENS1_35adjacent_difference_config_selectorILb1EdEEZNS1_24adjacent_difference_implIS3_Lb1ELb0EPdS7_N6thrust23THRUST_200600_302600_NS4plusIdEEEE10hipError_tPvRmT2_T3_mT4_P12ihipStream_tbEUlT_E_NS1_11comp_targetILNS1_3genE4ELNS1_11target_archE910ELNS1_3gpuE8ELNS1_3repE0EEENS1_30default_config_static_selectorELNS0_4arch9wavefront6targetE1EEEvT1_
	.globl	_ZN7rocprim17ROCPRIM_400000_NS6detail17trampoline_kernelINS0_14default_configENS1_35adjacent_difference_config_selectorILb1EdEEZNS1_24adjacent_difference_implIS3_Lb1ELb0EPdS7_N6thrust23THRUST_200600_302600_NS4plusIdEEEE10hipError_tPvRmT2_T3_mT4_P12ihipStream_tbEUlT_E_NS1_11comp_targetILNS1_3genE4ELNS1_11target_archE910ELNS1_3gpuE8ELNS1_3repE0EEENS1_30default_config_static_selectorELNS0_4arch9wavefront6targetE1EEEvT1_
	.p2align	8
	.type	_ZN7rocprim17ROCPRIM_400000_NS6detail17trampoline_kernelINS0_14default_configENS1_35adjacent_difference_config_selectorILb1EdEEZNS1_24adjacent_difference_implIS3_Lb1ELb0EPdS7_N6thrust23THRUST_200600_302600_NS4plusIdEEEE10hipError_tPvRmT2_T3_mT4_P12ihipStream_tbEUlT_E_NS1_11comp_targetILNS1_3genE4ELNS1_11target_archE910ELNS1_3gpuE8ELNS1_3repE0EEENS1_30default_config_static_selectorELNS0_4arch9wavefront6targetE1EEEvT1_,@function
_ZN7rocprim17ROCPRIM_400000_NS6detail17trampoline_kernelINS0_14default_configENS1_35adjacent_difference_config_selectorILb1EdEEZNS1_24adjacent_difference_implIS3_Lb1ELb0EPdS7_N6thrust23THRUST_200600_302600_NS4plusIdEEEE10hipError_tPvRmT2_T3_mT4_P12ihipStream_tbEUlT_E_NS1_11comp_targetILNS1_3genE4ELNS1_11target_archE910ELNS1_3gpuE8ELNS1_3repE0EEENS1_30default_config_static_selectorELNS0_4arch9wavefront6targetE1EEEvT1_: ; @_ZN7rocprim17ROCPRIM_400000_NS6detail17trampoline_kernelINS0_14default_configENS1_35adjacent_difference_config_selectorILb1EdEEZNS1_24adjacent_difference_implIS3_Lb1ELb0EPdS7_N6thrust23THRUST_200600_302600_NS4plusIdEEEE10hipError_tPvRmT2_T3_mT4_P12ihipStream_tbEUlT_E_NS1_11comp_targetILNS1_3genE4ELNS1_11target_archE910ELNS1_3gpuE8ELNS1_3repE0EEENS1_30default_config_static_selectorELNS0_4arch9wavefront6targetE1EEEvT1_
; %bb.0:
	.section	.rodata,"a",@progbits
	.p2align	6, 0x0
	.amdhsa_kernel _ZN7rocprim17ROCPRIM_400000_NS6detail17trampoline_kernelINS0_14default_configENS1_35adjacent_difference_config_selectorILb1EdEEZNS1_24adjacent_difference_implIS3_Lb1ELb0EPdS7_N6thrust23THRUST_200600_302600_NS4plusIdEEEE10hipError_tPvRmT2_T3_mT4_P12ihipStream_tbEUlT_E_NS1_11comp_targetILNS1_3genE4ELNS1_11target_archE910ELNS1_3gpuE8ELNS1_3repE0EEENS1_30default_config_static_selectorELNS0_4arch9wavefront6targetE1EEEvT1_
		.amdhsa_group_segment_fixed_size 0
		.amdhsa_private_segment_fixed_size 0
		.amdhsa_kernarg_size 56
		.amdhsa_user_sgpr_count 6
		.amdhsa_user_sgpr_private_segment_buffer 1
		.amdhsa_user_sgpr_dispatch_ptr 0
		.amdhsa_user_sgpr_queue_ptr 0
		.amdhsa_user_sgpr_kernarg_segment_ptr 1
		.amdhsa_user_sgpr_dispatch_id 0
		.amdhsa_user_sgpr_flat_scratch_init 0
		.amdhsa_user_sgpr_private_segment_size 0
		.amdhsa_uses_dynamic_stack 0
		.amdhsa_system_sgpr_private_segment_wavefront_offset 0
		.amdhsa_system_sgpr_workgroup_id_x 1
		.amdhsa_system_sgpr_workgroup_id_y 0
		.amdhsa_system_sgpr_workgroup_id_z 0
		.amdhsa_system_sgpr_workgroup_info 0
		.amdhsa_system_vgpr_workitem_id 0
		.amdhsa_next_free_vgpr 1
		.amdhsa_next_free_sgpr 0
		.amdhsa_reserve_vcc 0
		.amdhsa_reserve_flat_scratch 0
		.amdhsa_float_round_mode_32 0
		.amdhsa_float_round_mode_16_64 0
		.amdhsa_float_denorm_mode_32 3
		.amdhsa_float_denorm_mode_16_64 3
		.amdhsa_dx10_clamp 1
		.amdhsa_ieee_mode 1
		.amdhsa_fp16_overflow 0
		.amdhsa_exception_fp_ieee_invalid_op 0
		.amdhsa_exception_fp_denorm_src 0
		.amdhsa_exception_fp_ieee_div_zero 0
		.amdhsa_exception_fp_ieee_overflow 0
		.amdhsa_exception_fp_ieee_underflow 0
		.amdhsa_exception_fp_ieee_inexact 0
		.amdhsa_exception_int_div_zero 0
	.end_amdhsa_kernel
	.section	.text._ZN7rocprim17ROCPRIM_400000_NS6detail17trampoline_kernelINS0_14default_configENS1_35adjacent_difference_config_selectorILb1EdEEZNS1_24adjacent_difference_implIS3_Lb1ELb0EPdS7_N6thrust23THRUST_200600_302600_NS4plusIdEEEE10hipError_tPvRmT2_T3_mT4_P12ihipStream_tbEUlT_E_NS1_11comp_targetILNS1_3genE4ELNS1_11target_archE910ELNS1_3gpuE8ELNS1_3repE0EEENS1_30default_config_static_selectorELNS0_4arch9wavefront6targetE1EEEvT1_,"axG",@progbits,_ZN7rocprim17ROCPRIM_400000_NS6detail17trampoline_kernelINS0_14default_configENS1_35adjacent_difference_config_selectorILb1EdEEZNS1_24adjacent_difference_implIS3_Lb1ELb0EPdS7_N6thrust23THRUST_200600_302600_NS4plusIdEEEE10hipError_tPvRmT2_T3_mT4_P12ihipStream_tbEUlT_E_NS1_11comp_targetILNS1_3genE4ELNS1_11target_archE910ELNS1_3gpuE8ELNS1_3repE0EEENS1_30default_config_static_selectorELNS0_4arch9wavefront6targetE1EEEvT1_,comdat
.Lfunc_end47:
	.size	_ZN7rocprim17ROCPRIM_400000_NS6detail17trampoline_kernelINS0_14default_configENS1_35adjacent_difference_config_selectorILb1EdEEZNS1_24adjacent_difference_implIS3_Lb1ELb0EPdS7_N6thrust23THRUST_200600_302600_NS4plusIdEEEE10hipError_tPvRmT2_T3_mT4_P12ihipStream_tbEUlT_E_NS1_11comp_targetILNS1_3genE4ELNS1_11target_archE910ELNS1_3gpuE8ELNS1_3repE0EEENS1_30default_config_static_selectorELNS0_4arch9wavefront6targetE1EEEvT1_, .Lfunc_end47-_ZN7rocprim17ROCPRIM_400000_NS6detail17trampoline_kernelINS0_14default_configENS1_35adjacent_difference_config_selectorILb1EdEEZNS1_24adjacent_difference_implIS3_Lb1ELb0EPdS7_N6thrust23THRUST_200600_302600_NS4plusIdEEEE10hipError_tPvRmT2_T3_mT4_P12ihipStream_tbEUlT_E_NS1_11comp_targetILNS1_3genE4ELNS1_11target_archE910ELNS1_3gpuE8ELNS1_3repE0EEENS1_30default_config_static_selectorELNS0_4arch9wavefront6targetE1EEEvT1_
                                        ; -- End function
	.set _ZN7rocprim17ROCPRIM_400000_NS6detail17trampoline_kernelINS0_14default_configENS1_35adjacent_difference_config_selectorILb1EdEEZNS1_24adjacent_difference_implIS3_Lb1ELb0EPdS7_N6thrust23THRUST_200600_302600_NS4plusIdEEEE10hipError_tPvRmT2_T3_mT4_P12ihipStream_tbEUlT_E_NS1_11comp_targetILNS1_3genE4ELNS1_11target_archE910ELNS1_3gpuE8ELNS1_3repE0EEENS1_30default_config_static_selectorELNS0_4arch9wavefront6targetE1EEEvT1_.num_vgpr, 0
	.set _ZN7rocprim17ROCPRIM_400000_NS6detail17trampoline_kernelINS0_14default_configENS1_35adjacent_difference_config_selectorILb1EdEEZNS1_24adjacent_difference_implIS3_Lb1ELb0EPdS7_N6thrust23THRUST_200600_302600_NS4plusIdEEEE10hipError_tPvRmT2_T3_mT4_P12ihipStream_tbEUlT_E_NS1_11comp_targetILNS1_3genE4ELNS1_11target_archE910ELNS1_3gpuE8ELNS1_3repE0EEENS1_30default_config_static_selectorELNS0_4arch9wavefront6targetE1EEEvT1_.num_agpr, 0
	.set _ZN7rocprim17ROCPRIM_400000_NS6detail17trampoline_kernelINS0_14default_configENS1_35adjacent_difference_config_selectorILb1EdEEZNS1_24adjacent_difference_implIS3_Lb1ELb0EPdS7_N6thrust23THRUST_200600_302600_NS4plusIdEEEE10hipError_tPvRmT2_T3_mT4_P12ihipStream_tbEUlT_E_NS1_11comp_targetILNS1_3genE4ELNS1_11target_archE910ELNS1_3gpuE8ELNS1_3repE0EEENS1_30default_config_static_selectorELNS0_4arch9wavefront6targetE1EEEvT1_.numbered_sgpr, 0
	.set _ZN7rocprim17ROCPRIM_400000_NS6detail17trampoline_kernelINS0_14default_configENS1_35adjacent_difference_config_selectorILb1EdEEZNS1_24adjacent_difference_implIS3_Lb1ELb0EPdS7_N6thrust23THRUST_200600_302600_NS4plusIdEEEE10hipError_tPvRmT2_T3_mT4_P12ihipStream_tbEUlT_E_NS1_11comp_targetILNS1_3genE4ELNS1_11target_archE910ELNS1_3gpuE8ELNS1_3repE0EEENS1_30default_config_static_selectorELNS0_4arch9wavefront6targetE1EEEvT1_.num_named_barrier, 0
	.set _ZN7rocprim17ROCPRIM_400000_NS6detail17trampoline_kernelINS0_14default_configENS1_35adjacent_difference_config_selectorILb1EdEEZNS1_24adjacent_difference_implIS3_Lb1ELb0EPdS7_N6thrust23THRUST_200600_302600_NS4plusIdEEEE10hipError_tPvRmT2_T3_mT4_P12ihipStream_tbEUlT_E_NS1_11comp_targetILNS1_3genE4ELNS1_11target_archE910ELNS1_3gpuE8ELNS1_3repE0EEENS1_30default_config_static_selectorELNS0_4arch9wavefront6targetE1EEEvT1_.private_seg_size, 0
	.set _ZN7rocprim17ROCPRIM_400000_NS6detail17trampoline_kernelINS0_14default_configENS1_35adjacent_difference_config_selectorILb1EdEEZNS1_24adjacent_difference_implIS3_Lb1ELb0EPdS7_N6thrust23THRUST_200600_302600_NS4plusIdEEEE10hipError_tPvRmT2_T3_mT4_P12ihipStream_tbEUlT_E_NS1_11comp_targetILNS1_3genE4ELNS1_11target_archE910ELNS1_3gpuE8ELNS1_3repE0EEENS1_30default_config_static_selectorELNS0_4arch9wavefront6targetE1EEEvT1_.uses_vcc, 0
	.set _ZN7rocprim17ROCPRIM_400000_NS6detail17trampoline_kernelINS0_14default_configENS1_35adjacent_difference_config_selectorILb1EdEEZNS1_24adjacent_difference_implIS3_Lb1ELb0EPdS7_N6thrust23THRUST_200600_302600_NS4plusIdEEEE10hipError_tPvRmT2_T3_mT4_P12ihipStream_tbEUlT_E_NS1_11comp_targetILNS1_3genE4ELNS1_11target_archE910ELNS1_3gpuE8ELNS1_3repE0EEENS1_30default_config_static_selectorELNS0_4arch9wavefront6targetE1EEEvT1_.uses_flat_scratch, 0
	.set _ZN7rocprim17ROCPRIM_400000_NS6detail17trampoline_kernelINS0_14default_configENS1_35adjacent_difference_config_selectorILb1EdEEZNS1_24adjacent_difference_implIS3_Lb1ELb0EPdS7_N6thrust23THRUST_200600_302600_NS4plusIdEEEE10hipError_tPvRmT2_T3_mT4_P12ihipStream_tbEUlT_E_NS1_11comp_targetILNS1_3genE4ELNS1_11target_archE910ELNS1_3gpuE8ELNS1_3repE0EEENS1_30default_config_static_selectorELNS0_4arch9wavefront6targetE1EEEvT1_.has_dyn_sized_stack, 0
	.set _ZN7rocprim17ROCPRIM_400000_NS6detail17trampoline_kernelINS0_14default_configENS1_35adjacent_difference_config_selectorILb1EdEEZNS1_24adjacent_difference_implIS3_Lb1ELb0EPdS7_N6thrust23THRUST_200600_302600_NS4plusIdEEEE10hipError_tPvRmT2_T3_mT4_P12ihipStream_tbEUlT_E_NS1_11comp_targetILNS1_3genE4ELNS1_11target_archE910ELNS1_3gpuE8ELNS1_3repE0EEENS1_30default_config_static_selectorELNS0_4arch9wavefront6targetE1EEEvT1_.has_recursion, 0
	.set _ZN7rocprim17ROCPRIM_400000_NS6detail17trampoline_kernelINS0_14default_configENS1_35adjacent_difference_config_selectorILb1EdEEZNS1_24adjacent_difference_implIS3_Lb1ELb0EPdS7_N6thrust23THRUST_200600_302600_NS4plusIdEEEE10hipError_tPvRmT2_T3_mT4_P12ihipStream_tbEUlT_E_NS1_11comp_targetILNS1_3genE4ELNS1_11target_archE910ELNS1_3gpuE8ELNS1_3repE0EEENS1_30default_config_static_selectorELNS0_4arch9wavefront6targetE1EEEvT1_.has_indirect_call, 0
	.section	.AMDGPU.csdata,"",@progbits
; Kernel info:
; codeLenInByte = 0
; TotalNumSgprs: 4
; NumVgprs: 0
; ScratchSize: 0
; MemoryBound: 0
; FloatMode: 240
; IeeeMode: 1
; LDSByteSize: 0 bytes/workgroup (compile time only)
; SGPRBlocks: 0
; VGPRBlocks: 0
; NumSGPRsForWavesPerEU: 4
; NumVGPRsForWavesPerEU: 1
; Occupancy: 10
; WaveLimiterHint : 0
; COMPUTE_PGM_RSRC2:SCRATCH_EN: 0
; COMPUTE_PGM_RSRC2:USER_SGPR: 6
; COMPUTE_PGM_RSRC2:TRAP_HANDLER: 0
; COMPUTE_PGM_RSRC2:TGID_X_EN: 1
; COMPUTE_PGM_RSRC2:TGID_Y_EN: 0
; COMPUTE_PGM_RSRC2:TGID_Z_EN: 0
; COMPUTE_PGM_RSRC2:TIDIG_COMP_CNT: 0
	.section	.text._ZN7rocprim17ROCPRIM_400000_NS6detail17trampoline_kernelINS0_14default_configENS1_35adjacent_difference_config_selectorILb1EdEEZNS1_24adjacent_difference_implIS3_Lb1ELb0EPdS7_N6thrust23THRUST_200600_302600_NS4plusIdEEEE10hipError_tPvRmT2_T3_mT4_P12ihipStream_tbEUlT_E_NS1_11comp_targetILNS1_3genE3ELNS1_11target_archE908ELNS1_3gpuE7ELNS1_3repE0EEENS1_30default_config_static_selectorELNS0_4arch9wavefront6targetE1EEEvT1_,"axG",@progbits,_ZN7rocprim17ROCPRIM_400000_NS6detail17trampoline_kernelINS0_14default_configENS1_35adjacent_difference_config_selectorILb1EdEEZNS1_24adjacent_difference_implIS3_Lb1ELb0EPdS7_N6thrust23THRUST_200600_302600_NS4plusIdEEEE10hipError_tPvRmT2_T3_mT4_P12ihipStream_tbEUlT_E_NS1_11comp_targetILNS1_3genE3ELNS1_11target_archE908ELNS1_3gpuE7ELNS1_3repE0EEENS1_30default_config_static_selectorELNS0_4arch9wavefront6targetE1EEEvT1_,comdat
	.protected	_ZN7rocprim17ROCPRIM_400000_NS6detail17trampoline_kernelINS0_14default_configENS1_35adjacent_difference_config_selectorILb1EdEEZNS1_24adjacent_difference_implIS3_Lb1ELb0EPdS7_N6thrust23THRUST_200600_302600_NS4plusIdEEEE10hipError_tPvRmT2_T3_mT4_P12ihipStream_tbEUlT_E_NS1_11comp_targetILNS1_3genE3ELNS1_11target_archE908ELNS1_3gpuE7ELNS1_3repE0EEENS1_30default_config_static_selectorELNS0_4arch9wavefront6targetE1EEEvT1_ ; -- Begin function _ZN7rocprim17ROCPRIM_400000_NS6detail17trampoline_kernelINS0_14default_configENS1_35adjacent_difference_config_selectorILb1EdEEZNS1_24adjacent_difference_implIS3_Lb1ELb0EPdS7_N6thrust23THRUST_200600_302600_NS4plusIdEEEE10hipError_tPvRmT2_T3_mT4_P12ihipStream_tbEUlT_E_NS1_11comp_targetILNS1_3genE3ELNS1_11target_archE908ELNS1_3gpuE7ELNS1_3repE0EEENS1_30default_config_static_selectorELNS0_4arch9wavefront6targetE1EEEvT1_
	.globl	_ZN7rocprim17ROCPRIM_400000_NS6detail17trampoline_kernelINS0_14default_configENS1_35adjacent_difference_config_selectorILb1EdEEZNS1_24adjacent_difference_implIS3_Lb1ELb0EPdS7_N6thrust23THRUST_200600_302600_NS4plusIdEEEE10hipError_tPvRmT2_T3_mT4_P12ihipStream_tbEUlT_E_NS1_11comp_targetILNS1_3genE3ELNS1_11target_archE908ELNS1_3gpuE7ELNS1_3repE0EEENS1_30default_config_static_selectorELNS0_4arch9wavefront6targetE1EEEvT1_
	.p2align	8
	.type	_ZN7rocprim17ROCPRIM_400000_NS6detail17trampoline_kernelINS0_14default_configENS1_35adjacent_difference_config_selectorILb1EdEEZNS1_24adjacent_difference_implIS3_Lb1ELb0EPdS7_N6thrust23THRUST_200600_302600_NS4plusIdEEEE10hipError_tPvRmT2_T3_mT4_P12ihipStream_tbEUlT_E_NS1_11comp_targetILNS1_3genE3ELNS1_11target_archE908ELNS1_3gpuE7ELNS1_3repE0EEENS1_30default_config_static_selectorELNS0_4arch9wavefront6targetE1EEEvT1_,@function
_ZN7rocprim17ROCPRIM_400000_NS6detail17trampoline_kernelINS0_14default_configENS1_35adjacent_difference_config_selectorILb1EdEEZNS1_24adjacent_difference_implIS3_Lb1ELb0EPdS7_N6thrust23THRUST_200600_302600_NS4plusIdEEEE10hipError_tPvRmT2_T3_mT4_P12ihipStream_tbEUlT_E_NS1_11comp_targetILNS1_3genE3ELNS1_11target_archE908ELNS1_3gpuE7ELNS1_3repE0EEENS1_30default_config_static_selectorELNS0_4arch9wavefront6targetE1EEEvT1_: ; @_ZN7rocprim17ROCPRIM_400000_NS6detail17trampoline_kernelINS0_14default_configENS1_35adjacent_difference_config_selectorILb1EdEEZNS1_24adjacent_difference_implIS3_Lb1ELb0EPdS7_N6thrust23THRUST_200600_302600_NS4plusIdEEEE10hipError_tPvRmT2_T3_mT4_P12ihipStream_tbEUlT_E_NS1_11comp_targetILNS1_3genE3ELNS1_11target_archE908ELNS1_3gpuE7ELNS1_3repE0EEENS1_30default_config_static_selectorELNS0_4arch9wavefront6targetE1EEEvT1_
; %bb.0:
	.section	.rodata,"a",@progbits
	.p2align	6, 0x0
	.amdhsa_kernel _ZN7rocprim17ROCPRIM_400000_NS6detail17trampoline_kernelINS0_14default_configENS1_35adjacent_difference_config_selectorILb1EdEEZNS1_24adjacent_difference_implIS3_Lb1ELb0EPdS7_N6thrust23THRUST_200600_302600_NS4plusIdEEEE10hipError_tPvRmT2_T3_mT4_P12ihipStream_tbEUlT_E_NS1_11comp_targetILNS1_3genE3ELNS1_11target_archE908ELNS1_3gpuE7ELNS1_3repE0EEENS1_30default_config_static_selectorELNS0_4arch9wavefront6targetE1EEEvT1_
		.amdhsa_group_segment_fixed_size 0
		.amdhsa_private_segment_fixed_size 0
		.amdhsa_kernarg_size 56
		.amdhsa_user_sgpr_count 6
		.amdhsa_user_sgpr_private_segment_buffer 1
		.amdhsa_user_sgpr_dispatch_ptr 0
		.amdhsa_user_sgpr_queue_ptr 0
		.amdhsa_user_sgpr_kernarg_segment_ptr 1
		.amdhsa_user_sgpr_dispatch_id 0
		.amdhsa_user_sgpr_flat_scratch_init 0
		.amdhsa_user_sgpr_private_segment_size 0
		.amdhsa_uses_dynamic_stack 0
		.amdhsa_system_sgpr_private_segment_wavefront_offset 0
		.amdhsa_system_sgpr_workgroup_id_x 1
		.amdhsa_system_sgpr_workgroup_id_y 0
		.amdhsa_system_sgpr_workgroup_id_z 0
		.amdhsa_system_sgpr_workgroup_info 0
		.amdhsa_system_vgpr_workitem_id 0
		.amdhsa_next_free_vgpr 1
		.amdhsa_next_free_sgpr 0
		.amdhsa_reserve_vcc 0
		.amdhsa_reserve_flat_scratch 0
		.amdhsa_float_round_mode_32 0
		.amdhsa_float_round_mode_16_64 0
		.amdhsa_float_denorm_mode_32 3
		.amdhsa_float_denorm_mode_16_64 3
		.amdhsa_dx10_clamp 1
		.amdhsa_ieee_mode 1
		.amdhsa_fp16_overflow 0
		.amdhsa_exception_fp_ieee_invalid_op 0
		.amdhsa_exception_fp_denorm_src 0
		.amdhsa_exception_fp_ieee_div_zero 0
		.amdhsa_exception_fp_ieee_overflow 0
		.amdhsa_exception_fp_ieee_underflow 0
		.amdhsa_exception_fp_ieee_inexact 0
		.amdhsa_exception_int_div_zero 0
	.end_amdhsa_kernel
	.section	.text._ZN7rocprim17ROCPRIM_400000_NS6detail17trampoline_kernelINS0_14default_configENS1_35adjacent_difference_config_selectorILb1EdEEZNS1_24adjacent_difference_implIS3_Lb1ELb0EPdS7_N6thrust23THRUST_200600_302600_NS4plusIdEEEE10hipError_tPvRmT2_T3_mT4_P12ihipStream_tbEUlT_E_NS1_11comp_targetILNS1_3genE3ELNS1_11target_archE908ELNS1_3gpuE7ELNS1_3repE0EEENS1_30default_config_static_selectorELNS0_4arch9wavefront6targetE1EEEvT1_,"axG",@progbits,_ZN7rocprim17ROCPRIM_400000_NS6detail17trampoline_kernelINS0_14default_configENS1_35adjacent_difference_config_selectorILb1EdEEZNS1_24adjacent_difference_implIS3_Lb1ELb0EPdS7_N6thrust23THRUST_200600_302600_NS4plusIdEEEE10hipError_tPvRmT2_T3_mT4_P12ihipStream_tbEUlT_E_NS1_11comp_targetILNS1_3genE3ELNS1_11target_archE908ELNS1_3gpuE7ELNS1_3repE0EEENS1_30default_config_static_selectorELNS0_4arch9wavefront6targetE1EEEvT1_,comdat
.Lfunc_end48:
	.size	_ZN7rocprim17ROCPRIM_400000_NS6detail17trampoline_kernelINS0_14default_configENS1_35adjacent_difference_config_selectorILb1EdEEZNS1_24adjacent_difference_implIS3_Lb1ELb0EPdS7_N6thrust23THRUST_200600_302600_NS4plusIdEEEE10hipError_tPvRmT2_T3_mT4_P12ihipStream_tbEUlT_E_NS1_11comp_targetILNS1_3genE3ELNS1_11target_archE908ELNS1_3gpuE7ELNS1_3repE0EEENS1_30default_config_static_selectorELNS0_4arch9wavefront6targetE1EEEvT1_, .Lfunc_end48-_ZN7rocprim17ROCPRIM_400000_NS6detail17trampoline_kernelINS0_14default_configENS1_35adjacent_difference_config_selectorILb1EdEEZNS1_24adjacent_difference_implIS3_Lb1ELb0EPdS7_N6thrust23THRUST_200600_302600_NS4plusIdEEEE10hipError_tPvRmT2_T3_mT4_P12ihipStream_tbEUlT_E_NS1_11comp_targetILNS1_3genE3ELNS1_11target_archE908ELNS1_3gpuE7ELNS1_3repE0EEENS1_30default_config_static_selectorELNS0_4arch9wavefront6targetE1EEEvT1_
                                        ; -- End function
	.set _ZN7rocprim17ROCPRIM_400000_NS6detail17trampoline_kernelINS0_14default_configENS1_35adjacent_difference_config_selectorILb1EdEEZNS1_24adjacent_difference_implIS3_Lb1ELb0EPdS7_N6thrust23THRUST_200600_302600_NS4plusIdEEEE10hipError_tPvRmT2_T3_mT4_P12ihipStream_tbEUlT_E_NS1_11comp_targetILNS1_3genE3ELNS1_11target_archE908ELNS1_3gpuE7ELNS1_3repE0EEENS1_30default_config_static_selectorELNS0_4arch9wavefront6targetE1EEEvT1_.num_vgpr, 0
	.set _ZN7rocprim17ROCPRIM_400000_NS6detail17trampoline_kernelINS0_14default_configENS1_35adjacent_difference_config_selectorILb1EdEEZNS1_24adjacent_difference_implIS3_Lb1ELb0EPdS7_N6thrust23THRUST_200600_302600_NS4plusIdEEEE10hipError_tPvRmT2_T3_mT4_P12ihipStream_tbEUlT_E_NS1_11comp_targetILNS1_3genE3ELNS1_11target_archE908ELNS1_3gpuE7ELNS1_3repE0EEENS1_30default_config_static_selectorELNS0_4arch9wavefront6targetE1EEEvT1_.num_agpr, 0
	.set _ZN7rocprim17ROCPRIM_400000_NS6detail17trampoline_kernelINS0_14default_configENS1_35adjacent_difference_config_selectorILb1EdEEZNS1_24adjacent_difference_implIS3_Lb1ELb0EPdS7_N6thrust23THRUST_200600_302600_NS4plusIdEEEE10hipError_tPvRmT2_T3_mT4_P12ihipStream_tbEUlT_E_NS1_11comp_targetILNS1_3genE3ELNS1_11target_archE908ELNS1_3gpuE7ELNS1_3repE0EEENS1_30default_config_static_selectorELNS0_4arch9wavefront6targetE1EEEvT1_.numbered_sgpr, 0
	.set _ZN7rocprim17ROCPRIM_400000_NS6detail17trampoline_kernelINS0_14default_configENS1_35adjacent_difference_config_selectorILb1EdEEZNS1_24adjacent_difference_implIS3_Lb1ELb0EPdS7_N6thrust23THRUST_200600_302600_NS4plusIdEEEE10hipError_tPvRmT2_T3_mT4_P12ihipStream_tbEUlT_E_NS1_11comp_targetILNS1_3genE3ELNS1_11target_archE908ELNS1_3gpuE7ELNS1_3repE0EEENS1_30default_config_static_selectorELNS0_4arch9wavefront6targetE1EEEvT1_.num_named_barrier, 0
	.set _ZN7rocprim17ROCPRIM_400000_NS6detail17trampoline_kernelINS0_14default_configENS1_35adjacent_difference_config_selectorILb1EdEEZNS1_24adjacent_difference_implIS3_Lb1ELb0EPdS7_N6thrust23THRUST_200600_302600_NS4plusIdEEEE10hipError_tPvRmT2_T3_mT4_P12ihipStream_tbEUlT_E_NS1_11comp_targetILNS1_3genE3ELNS1_11target_archE908ELNS1_3gpuE7ELNS1_3repE0EEENS1_30default_config_static_selectorELNS0_4arch9wavefront6targetE1EEEvT1_.private_seg_size, 0
	.set _ZN7rocprim17ROCPRIM_400000_NS6detail17trampoline_kernelINS0_14default_configENS1_35adjacent_difference_config_selectorILb1EdEEZNS1_24adjacent_difference_implIS3_Lb1ELb0EPdS7_N6thrust23THRUST_200600_302600_NS4plusIdEEEE10hipError_tPvRmT2_T3_mT4_P12ihipStream_tbEUlT_E_NS1_11comp_targetILNS1_3genE3ELNS1_11target_archE908ELNS1_3gpuE7ELNS1_3repE0EEENS1_30default_config_static_selectorELNS0_4arch9wavefront6targetE1EEEvT1_.uses_vcc, 0
	.set _ZN7rocprim17ROCPRIM_400000_NS6detail17trampoline_kernelINS0_14default_configENS1_35adjacent_difference_config_selectorILb1EdEEZNS1_24adjacent_difference_implIS3_Lb1ELb0EPdS7_N6thrust23THRUST_200600_302600_NS4plusIdEEEE10hipError_tPvRmT2_T3_mT4_P12ihipStream_tbEUlT_E_NS1_11comp_targetILNS1_3genE3ELNS1_11target_archE908ELNS1_3gpuE7ELNS1_3repE0EEENS1_30default_config_static_selectorELNS0_4arch9wavefront6targetE1EEEvT1_.uses_flat_scratch, 0
	.set _ZN7rocprim17ROCPRIM_400000_NS6detail17trampoline_kernelINS0_14default_configENS1_35adjacent_difference_config_selectorILb1EdEEZNS1_24adjacent_difference_implIS3_Lb1ELb0EPdS7_N6thrust23THRUST_200600_302600_NS4plusIdEEEE10hipError_tPvRmT2_T3_mT4_P12ihipStream_tbEUlT_E_NS1_11comp_targetILNS1_3genE3ELNS1_11target_archE908ELNS1_3gpuE7ELNS1_3repE0EEENS1_30default_config_static_selectorELNS0_4arch9wavefront6targetE1EEEvT1_.has_dyn_sized_stack, 0
	.set _ZN7rocprim17ROCPRIM_400000_NS6detail17trampoline_kernelINS0_14default_configENS1_35adjacent_difference_config_selectorILb1EdEEZNS1_24adjacent_difference_implIS3_Lb1ELb0EPdS7_N6thrust23THRUST_200600_302600_NS4plusIdEEEE10hipError_tPvRmT2_T3_mT4_P12ihipStream_tbEUlT_E_NS1_11comp_targetILNS1_3genE3ELNS1_11target_archE908ELNS1_3gpuE7ELNS1_3repE0EEENS1_30default_config_static_selectorELNS0_4arch9wavefront6targetE1EEEvT1_.has_recursion, 0
	.set _ZN7rocprim17ROCPRIM_400000_NS6detail17trampoline_kernelINS0_14default_configENS1_35adjacent_difference_config_selectorILb1EdEEZNS1_24adjacent_difference_implIS3_Lb1ELb0EPdS7_N6thrust23THRUST_200600_302600_NS4plusIdEEEE10hipError_tPvRmT2_T3_mT4_P12ihipStream_tbEUlT_E_NS1_11comp_targetILNS1_3genE3ELNS1_11target_archE908ELNS1_3gpuE7ELNS1_3repE0EEENS1_30default_config_static_selectorELNS0_4arch9wavefront6targetE1EEEvT1_.has_indirect_call, 0
	.section	.AMDGPU.csdata,"",@progbits
; Kernel info:
; codeLenInByte = 0
; TotalNumSgprs: 4
; NumVgprs: 0
; ScratchSize: 0
; MemoryBound: 0
; FloatMode: 240
; IeeeMode: 1
; LDSByteSize: 0 bytes/workgroup (compile time only)
; SGPRBlocks: 0
; VGPRBlocks: 0
; NumSGPRsForWavesPerEU: 4
; NumVGPRsForWavesPerEU: 1
; Occupancy: 10
; WaveLimiterHint : 0
; COMPUTE_PGM_RSRC2:SCRATCH_EN: 0
; COMPUTE_PGM_RSRC2:USER_SGPR: 6
; COMPUTE_PGM_RSRC2:TRAP_HANDLER: 0
; COMPUTE_PGM_RSRC2:TGID_X_EN: 1
; COMPUTE_PGM_RSRC2:TGID_Y_EN: 0
; COMPUTE_PGM_RSRC2:TGID_Z_EN: 0
; COMPUTE_PGM_RSRC2:TIDIG_COMP_CNT: 0
	.section	.text._ZN7rocprim17ROCPRIM_400000_NS6detail17trampoline_kernelINS0_14default_configENS1_35adjacent_difference_config_selectorILb1EdEEZNS1_24adjacent_difference_implIS3_Lb1ELb0EPdS7_N6thrust23THRUST_200600_302600_NS4plusIdEEEE10hipError_tPvRmT2_T3_mT4_P12ihipStream_tbEUlT_E_NS1_11comp_targetILNS1_3genE2ELNS1_11target_archE906ELNS1_3gpuE6ELNS1_3repE0EEENS1_30default_config_static_selectorELNS0_4arch9wavefront6targetE1EEEvT1_,"axG",@progbits,_ZN7rocprim17ROCPRIM_400000_NS6detail17trampoline_kernelINS0_14default_configENS1_35adjacent_difference_config_selectorILb1EdEEZNS1_24adjacent_difference_implIS3_Lb1ELb0EPdS7_N6thrust23THRUST_200600_302600_NS4plusIdEEEE10hipError_tPvRmT2_T3_mT4_P12ihipStream_tbEUlT_E_NS1_11comp_targetILNS1_3genE2ELNS1_11target_archE906ELNS1_3gpuE6ELNS1_3repE0EEENS1_30default_config_static_selectorELNS0_4arch9wavefront6targetE1EEEvT1_,comdat
	.protected	_ZN7rocprim17ROCPRIM_400000_NS6detail17trampoline_kernelINS0_14default_configENS1_35adjacent_difference_config_selectorILb1EdEEZNS1_24adjacent_difference_implIS3_Lb1ELb0EPdS7_N6thrust23THRUST_200600_302600_NS4plusIdEEEE10hipError_tPvRmT2_T3_mT4_P12ihipStream_tbEUlT_E_NS1_11comp_targetILNS1_3genE2ELNS1_11target_archE906ELNS1_3gpuE6ELNS1_3repE0EEENS1_30default_config_static_selectorELNS0_4arch9wavefront6targetE1EEEvT1_ ; -- Begin function _ZN7rocprim17ROCPRIM_400000_NS6detail17trampoline_kernelINS0_14default_configENS1_35adjacent_difference_config_selectorILb1EdEEZNS1_24adjacent_difference_implIS3_Lb1ELb0EPdS7_N6thrust23THRUST_200600_302600_NS4plusIdEEEE10hipError_tPvRmT2_T3_mT4_P12ihipStream_tbEUlT_E_NS1_11comp_targetILNS1_3genE2ELNS1_11target_archE906ELNS1_3gpuE6ELNS1_3repE0EEENS1_30default_config_static_selectorELNS0_4arch9wavefront6targetE1EEEvT1_
	.globl	_ZN7rocprim17ROCPRIM_400000_NS6detail17trampoline_kernelINS0_14default_configENS1_35adjacent_difference_config_selectorILb1EdEEZNS1_24adjacent_difference_implIS3_Lb1ELb0EPdS7_N6thrust23THRUST_200600_302600_NS4plusIdEEEE10hipError_tPvRmT2_T3_mT4_P12ihipStream_tbEUlT_E_NS1_11comp_targetILNS1_3genE2ELNS1_11target_archE906ELNS1_3gpuE6ELNS1_3repE0EEENS1_30default_config_static_selectorELNS0_4arch9wavefront6targetE1EEEvT1_
	.p2align	8
	.type	_ZN7rocprim17ROCPRIM_400000_NS6detail17trampoline_kernelINS0_14default_configENS1_35adjacent_difference_config_selectorILb1EdEEZNS1_24adjacent_difference_implIS3_Lb1ELb0EPdS7_N6thrust23THRUST_200600_302600_NS4plusIdEEEE10hipError_tPvRmT2_T3_mT4_P12ihipStream_tbEUlT_E_NS1_11comp_targetILNS1_3genE2ELNS1_11target_archE906ELNS1_3gpuE6ELNS1_3repE0EEENS1_30default_config_static_selectorELNS0_4arch9wavefront6targetE1EEEvT1_,@function
_ZN7rocprim17ROCPRIM_400000_NS6detail17trampoline_kernelINS0_14default_configENS1_35adjacent_difference_config_selectorILb1EdEEZNS1_24adjacent_difference_implIS3_Lb1ELb0EPdS7_N6thrust23THRUST_200600_302600_NS4plusIdEEEE10hipError_tPvRmT2_T3_mT4_P12ihipStream_tbEUlT_E_NS1_11comp_targetILNS1_3genE2ELNS1_11target_archE906ELNS1_3gpuE6ELNS1_3repE0EEENS1_30default_config_static_selectorELNS0_4arch9wavefront6targetE1EEEvT1_: ; @_ZN7rocprim17ROCPRIM_400000_NS6detail17trampoline_kernelINS0_14default_configENS1_35adjacent_difference_config_selectorILb1EdEEZNS1_24adjacent_difference_implIS3_Lb1ELb0EPdS7_N6thrust23THRUST_200600_302600_NS4plusIdEEEE10hipError_tPvRmT2_T3_mT4_P12ihipStream_tbEUlT_E_NS1_11comp_targetILNS1_3genE2ELNS1_11target_archE906ELNS1_3gpuE6ELNS1_3repE0EEENS1_30default_config_static_selectorELNS0_4arch9wavefront6targetE1EEEvT1_
; %bb.0:
	s_load_dwordx8 s[8:15], s[4:5], 0x0
	s_load_dwordx4 s[16:19], s[4:5], 0x28
	s_mul_i32 s4, s6, 0x580
	s_mov_b32 s7, 0
	s_mov_b64 s[22:23], -1
	s_waitcnt lgkmcnt(0)
	s_lshl_b64 s[10:11], s[10:11], 3
	s_add_u32 s26, s8, s10
	s_addc_u32 s27, s9, s11
	s_mul_i32 s3, s15, 0xba2e8ba3
	s_mul_hi_u32 s5, s14, 0xba2e8ba3
	s_mul_hi_u32 s2, s15, 0xba2e8ba3
	s_add_u32 s3, s3, s5
	s_mul_i32 s1, s14, 0x2e8ba2e8
	s_addc_u32 s2, s2, 0
	s_mul_hi_u32 s0, s14, 0x2e8ba2e8
	s_add_u32 s1, s1, s3
	s_addc_u32 s0, s0, 0
	s_add_u32 s0, s2, s0
	s_addc_u32 s1, 0, 0
	s_mul_i32 s3, s15, 0x2e8ba2e8
	s_mul_hi_u32 s2, s15, 0x2e8ba2e8
	s_add_u32 s0, s3, s0
	s_addc_u32 s1, s2, s1
	s_lshr_b64 s[2:3], s[0:1], 8
	s_lshr_b32 s0, s1, 8
	s_mulk_i32 s0, 0x580
	s_mul_hi_u32 s1, s2, 0x580
	s_add_i32 s1, s1, s0
	s_mul_i32 s0, s2, 0x580
	s_sub_u32 s0, s14, s0
	s_subb_u32 s1, s15, s1
	s_cmp_lg_u64 s[0:1], 0
	s_cselect_b64 s[0:1], -1, 0
	v_cndmask_b32_e64 v1, 0, 1, s[0:1]
	v_readfirstlane_b32 s0, v1
	s_add_u32 s2, s2, s0
	s_addc_u32 s3, s3, 0
	s_add_u32 s8, s18, s6
	s_addc_u32 s9, s19, 0
	s_add_u32 s20, s2, -1
	s_addc_u32 s21, s3, -1
	v_mov_b32_e32 v1, s20
	v_mov_b32_e32 v2, s21
	v_cmp_ge_u64_e64 s[0:1], s[8:9], v[1:2]
	s_mul_i32 s15, s20, 0xfffffa80
	s_and_b64 vcc, exec, s[0:1]
	s_cbranch_vccz .LBB49_24
; %bb.1:
	s_mov_b32 s5, s7
	s_add_i32 s28, s15, s14
	s_lshl_b64 s[22:23], s[4:5], 3
	s_add_u32 s22, s26, s22
	s_addc_u32 s23, s27, s23
	v_cmp_gt_u32_e32 vcc, s28, v0
                                        ; implicit-def: $vgpr1_vgpr2
	s_and_saveexec_b64 s[24:25], vcc
	s_cbranch_execz .LBB49_3
; %bb.2:
	v_lshlrev_b32_e32 v1, 3, v0
	global_load_dwordx2 v[1:2], v1, s[22:23]
.LBB49_3:
	s_or_b64 exec, exec, s[24:25]
	v_or_b32_e32 v3, 0x80, v0
	v_cmp_gt_u32_e32 vcc, s28, v3
                                        ; implicit-def: $vgpr3_vgpr4
	s_and_saveexec_b64 s[24:25], vcc
	s_cbranch_execz .LBB49_5
; %bb.4:
	v_lshlrev_b32_e32 v3, 3, v0
	global_load_dwordx2 v[3:4], v3, s[22:23] offset:1024
.LBB49_5:
	s_or_b64 exec, exec, s[24:25]
	v_or_b32_e32 v5, 0x100, v0
	v_cmp_gt_u32_e32 vcc, s28, v5
                                        ; implicit-def: $vgpr5_vgpr6
	s_and_saveexec_b64 s[24:25], vcc
	s_cbranch_execz .LBB49_7
; %bb.6:
	v_lshlrev_b32_e32 v5, 3, v0
	global_load_dwordx2 v[5:6], v5, s[22:23] offset:2048
.LBB49_7:
	s_or_b64 exec, exec, s[24:25]
	v_or_b32_e32 v7, 0x180, v0
	v_cmp_gt_u32_e32 vcc, s28, v7
                                        ; implicit-def: $vgpr7_vgpr8
	s_and_saveexec_b64 s[24:25], vcc
	s_cbranch_execz .LBB49_9
; %bb.8:
	v_lshlrev_b32_e32 v7, 3, v0
	global_load_dwordx2 v[7:8], v7, s[22:23] offset:3072
.LBB49_9:
	s_or_b64 exec, exec, s[24:25]
	v_or_b32_e32 v11, 0x200, v0
	v_cmp_gt_u32_e32 vcc, s28, v11
                                        ; implicit-def: $vgpr9_vgpr10
	s_and_saveexec_b64 s[24:25], vcc
	s_cbranch_execz .LBB49_11
; %bb.10:
	v_lshlrev_b32_e32 v9, 3, v11
	global_load_dwordx2 v[9:10], v9, s[22:23]
.LBB49_11:
	s_or_b64 exec, exec, s[24:25]
	v_or_b32_e32 v13, 0x280, v0
	v_cmp_gt_u32_e32 vcc, s28, v13
                                        ; implicit-def: $vgpr11_vgpr12
	s_and_saveexec_b64 s[24:25], vcc
	s_cbranch_execz .LBB49_13
; %bb.12:
	v_lshlrev_b32_e32 v11, 3, v13
	global_load_dwordx2 v[11:12], v11, s[22:23]
.LBB49_13:
	s_or_b64 exec, exec, s[24:25]
	v_or_b32_e32 v15, 0x300, v0
	v_cmp_gt_u32_e32 vcc, s28, v15
                                        ; implicit-def: $vgpr13_vgpr14
	s_and_saveexec_b64 s[24:25], vcc
	s_cbranch_execz .LBB49_15
; %bb.14:
	v_lshlrev_b32_e32 v13, 3, v15
	global_load_dwordx2 v[13:14], v13, s[22:23]
.LBB49_15:
	s_or_b64 exec, exec, s[24:25]
	v_or_b32_e32 v17, 0x380, v0
	v_cmp_gt_u32_e32 vcc, s28, v17
                                        ; implicit-def: $vgpr15_vgpr16
	s_and_saveexec_b64 s[24:25], vcc
	s_cbranch_execz .LBB49_17
; %bb.16:
	v_lshlrev_b32_e32 v15, 3, v17
	global_load_dwordx2 v[15:16], v15, s[22:23]
.LBB49_17:
	s_or_b64 exec, exec, s[24:25]
	v_or_b32_e32 v19, 0x400, v0
	v_cmp_gt_u32_e32 vcc, s28, v19
                                        ; implicit-def: $vgpr17_vgpr18
	s_and_saveexec_b64 s[24:25], vcc
	s_cbranch_execz .LBB49_19
; %bb.18:
	v_lshlrev_b32_e32 v17, 3, v19
	global_load_dwordx2 v[17:18], v17, s[22:23]
.LBB49_19:
	s_or_b64 exec, exec, s[24:25]
	v_or_b32_e32 v21, 0x480, v0
	v_cmp_gt_u32_e32 vcc, s28, v21
                                        ; implicit-def: $vgpr19_vgpr20
	s_and_saveexec_b64 s[24:25], vcc
	s_cbranch_execz .LBB49_21
; %bb.20:
	v_lshlrev_b32_e32 v19, 3, v21
	global_load_dwordx2 v[19:20], v19, s[22:23]
.LBB49_21:
	s_or_b64 exec, exec, s[24:25]
	v_or_b32_e32 v23, 0x500, v0
	v_cmp_gt_u32_e32 vcc, s28, v23
                                        ; implicit-def: $vgpr21_vgpr22
	s_and_saveexec_b64 s[24:25], vcc
	s_cbranch_execz .LBB49_23
; %bb.22:
	v_lshlrev_b32_e32 v21, 3, v23
	global_load_dwordx2 v[21:22], v21, s[22:23]
.LBB49_23:
	s_or_b64 exec, exec, s[24:25]
	v_lshlrev_b32_e32 v23, 3, v0
	s_mov_b64 s[22:23], 0
	s_waitcnt vmcnt(0)
	ds_write2st64_b64 v23, v[1:2], v[3:4] offset1:2
	ds_write2st64_b64 v23, v[5:6], v[7:8] offset0:4 offset1:6
	ds_write2st64_b64 v23, v[9:10], v[11:12] offset0:8 offset1:10
	;; [unrolled: 1-line block ×4, first 2 shown]
	ds_write_b64 v23, v[21:22] offset:10240
	s_waitcnt lgkmcnt(0)
	s_barrier
.LBB49_24:
	s_and_b64 vcc, exec, s[22:23]
	v_lshlrev_b32_e32 v45, 3, v0
	s_cbranch_vccz .LBB49_26
; %bb.25:
	s_mov_b32 s5, 0
	s_lshl_b64 s[22:23], s[4:5], 3
	s_add_u32 s22, s26, s22
	s_addc_u32 s23, s27, s23
	v_mov_b32_e32 v1, s23
	v_add_co_u32_e32 v19, vcc, s22, v45
	v_addc_co_u32_e32 v20, vcc, 0, v1, vcc
	v_add_co_u32_e32 v9, vcc, 0x1000, v19
	v_addc_co_u32_e32 v10, vcc, 0, v20, vcc
	global_load_dwordx2 v[1:2], v45, s[22:23]
	global_load_dwordx2 v[3:4], v45, s[22:23] offset:1024
	global_load_dwordx2 v[5:6], v45, s[22:23] offset:2048
	;; [unrolled: 1-line block ×3, first 2 shown]
	global_load_dwordx2 v[11:12], v[9:10], off
	global_load_dwordx2 v[13:14], v[9:10], off offset:1024
	global_load_dwordx2 v[15:16], v[9:10], off offset:2048
	;; [unrolled: 1-line block ×3, first 2 shown]
	v_add_co_u32_e32 v9, vcc, 0x2000, v19
	v_addc_co_u32_e32 v10, vcc, 0, v20, vcc
	global_load_dwordx2 v[19:20], v[9:10], off
	global_load_dwordx2 v[21:22], v[9:10], off offset:1024
	global_load_dwordx2 v[23:24], v[9:10], off offset:2048
	s_waitcnt vmcnt(9)
	ds_write2st64_b64 v45, v[1:2], v[3:4] offset1:2
	s_waitcnt vmcnt(7)
	ds_write2st64_b64 v45, v[5:6], v[7:8] offset0:4 offset1:6
	s_waitcnt vmcnt(5)
	ds_write2st64_b64 v45, v[11:12], v[13:14] offset0:8 offset1:10
	;; [unrolled: 2-line block ×4, first 2 shown]
	s_waitcnt vmcnt(0)
	ds_write_b64 v45, v[23:24] offset:10240
	s_waitcnt lgkmcnt(0)
	s_barrier
.LBB49_26:
	v_mul_u32_u24_e32 v13, 0x58, v0
	ds_read_b64 v[43:44], v13 offset:80
	ds_read2_b64 v[9:12], v13 offset0:8 offset1:9
	ds_read2_b64 v[1:4], v13 offset1:1
	ds_read2_b64 v[5:8], v13 offset0:2 offset1:3
	ds_read2_b64 v[17:20], v13 offset0:6 offset1:7
	;; [unrolled: 1-line block ×3, first 2 shown]
	s_cmp_eq_u64 s[8:9], 0
	s_waitcnt lgkmcnt(0)
	s_barrier
	s_cbranch_scc1 .LBB49_31
; %bb.27:
	s_lshl_b64 s[18:19], s[18:19], 3
	s_add_u32 s5, s16, s18
	s_addc_u32 s16, s17, s19
	s_lshl_b64 s[6:7], s[6:7], 3
	s_add_u32 s5, s5, s6
	s_addc_u32 s7, s16, s7
	s_add_u32 s6, s5, -8
	s_addc_u32 s7, s7, -1
	s_load_dwordx2 s[6:7], s[6:7], 0x0
	s_cmp_eq_u64 s[8:9], s[20:21]
	s_cbranch_scc1 .LBB49_32
; %bb.28:
	s_waitcnt lgkmcnt(0)
	v_mov_b32_e32 v42, s7
	v_cmp_ne_u32_e32 vcc, 0, v0
	v_mov_b32_e32 v41, s6
	ds_write_b64 v45, v[43:44]
	s_waitcnt lgkmcnt(0)
	s_barrier
	s_and_saveexec_b64 s[16:17], vcc
; %bb.29:
	v_add_u32_e32 v21, -8, v45
	ds_read_b64 v[41:42], v21
; %bb.30:
	s_or_b64 exec, exec, s[16:17]
	v_add_f64 v[21:22], v[43:44], v[11:12]
	v_add_f64 v[23:24], v[11:12], v[9:10]
	;; [unrolled: 1-line block ×10, first 2 shown]
	s_waitcnt lgkmcnt(0)
	v_add_f64 v[41:42], v[1:2], v[41:42]
	s_branch .LBB49_36
.LBB49_31:
                                        ; implicit-def: $vgpr41_vgpr42
                                        ; implicit-def: $vgpr35_vgpr36
                                        ; implicit-def: $vgpr31_vgpr32
                                        ; implicit-def: $vgpr29_vgpr30
                                        ; implicit-def: $vgpr25_vgpr26
                                        ; implicit-def: $vgpr21_vgpr22
                                        ; implicit-def: $vgpr23_vgpr24
                                        ; implicit-def: $vgpr27_vgpr28
                                        ; implicit-def: $vgpr33_vgpr34
                                        ; implicit-def: $vgpr37_vgpr38
                                        ; implicit-def: $vgpr39_vgpr40
	s_branch .LBB49_37
.LBB49_32:
                                        ; implicit-def: $vgpr41_vgpr42
                                        ; implicit-def: $vgpr35_vgpr36
                                        ; implicit-def: $vgpr31_vgpr32
                                        ; implicit-def: $vgpr29_vgpr30
                                        ; implicit-def: $vgpr25_vgpr26
                                        ; implicit-def: $vgpr21_vgpr22
                                        ; implicit-def: $vgpr23_vgpr24
                                        ; implicit-def: $vgpr27_vgpr28
                                        ; implicit-def: $vgpr33_vgpr34
                                        ; implicit-def: $vgpr37_vgpr38
                                        ; implicit-def: $vgpr39_vgpr40
	s_cbranch_execz .LBB49_36
; %bb.33:
	s_waitcnt lgkmcnt(0)
	v_mov_b32_e32 v36, s7
	v_mul_u32_u24_e32 v41, 11, v0
	v_cmp_ne_u32_e32 vcc, 0, v0
	v_mov_b32_e32 v35, s6
	ds_write_b64 v45, v[43:44]
	s_waitcnt lgkmcnt(0)
	s_barrier
	s_and_saveexec_b64 s[6:7], vcc
; %bb.34:
	v_add_u32_e32 v21, -8, v45
	ds_read_b64 v[35:36], v21
; %bb.35:
	s_or_b64 exec, exec, s[6:7]
	v_add_f64 v[21:22], v[43:44], v[11:12]
	v_add_f64 v[23:24], v[11:12], v[9:10]
	;; [unrolled: 1-line block ×3, first 2 shown]
	s_mul_i32 s5, s8, 0xfffffa80
	v_add_u32_e32 v27, 10, v41
	s_add_i32 s5, s5, s14
	v_cmp_gt_u32_e32 vcc, s5, v27
	v_add_u32_e32 v27, 9, v41
	v_cndmask_b32_e32 v22, v44, v22, vcc
	v_cndmask_b32_e32 v21, v43, v21, vcc
	v_cmp_gt_u32_e32 vcc, s5, v27
	v_add_f64 v[27:28], v[19:20], v[17:18]
	v_add_u32_e32 v29, 8, v41
	v_cndmask_b32_e32 v24, v12, v24, vcc
	v_cndmask_b32_e32 v23, v11, v23, vcc
	v_cmp_gt_u32_e32 vcc, s5, v29
	v_add_f64 v[29:30], v[17:18], v[15:16]
	;; [unrolled: 5-line block ×3, first 2 shown]
	v_add_f64 v[37:38], v[7:8], v[13:14]
	v_add_f64 v[39:40], v[5:6], v[7:8]
	v_add_u32_e32 v33, 6, v41
	v_cndmask_b32_e32 v28, v20, v28, vcc
	v_cndmask_b32_e32 v27, v19, v27, vcc
	v_cmp_gt_u32_e32 vcc, s5, v33
	v_add_u32_e32 v33, 5, v41
	v_cndmask_b32_e32 v30, v18, v30, vcc
	v_cndmask_b32_e32 v29, v17, v29, vcc
	v_cmp_gt_u32_e32 vcc, s5, v33
	v_cndmask_b32_e32 v33, v15, v31, vcc
	v_add_u32_e32 v31, 4, v41
	v_cndmask_b32_e32 v34, v16, v32, vcc
	v_cmp_gt_u32_e32 vcc, s5, v31
	v_cndmask_b32_e32 v31, v13, v37, vcc
	v_add_u32_e32 v37, 3, v41
	v_cndmask_b32_e32 v32, v14, v38, vcc
	v_add_f64 v[46:47], v[3:4], v[5:6]
	v_cmp_gt_u32_e32 vcc, s5, v37
	v_cndmask_b32_e32 v38, v8, v40, vcc
	v_cndmask_b32_e32 v37, v7, v39, vcc
	v_add_f64 v[39:40], v[1:2], v[3:4]
	s_waitcnt lgkmcnt(0)
	v_add_f64 v[48:49], v[1:2], v[35:36]
	v_add_u32_e32 v42, 2, v41
	v_cmp_gt_u32_e32 vcc, s5, v42
	v_add_u32_e32 v42, 1, v41
	v_cndmask_b32_e32 v36, v6, v47, vcc
	v_cndmask_b32_e32 v35, v5, v46, vcc
	v_cmp_gt_u32_e32 vcc, s5, v42
	v_cndmask_b32_e32 v40, v4, v40, vcc
	v_cndmask_b32_e32 v39, v3, v39, vcc
	v_cmp_gt_u32_e32 vcc, s5, v41
	v_cndmask_b32_e32 v42, v2, v49, vcc
	v_cndmask_b32_e32 v41, v1, v48, vcc
.LBB49_36:
	s_waitcnt lgkmcnt(0)
	s_cbranch_execnz .LBB49_45
.LBB49_37:
	v_add_f64 v[21:22], v[43:44], v[11:12]
	v_add_f64 v[23:24], v[11:12], v[9:10]
	;; [unrolled: 1-line block ×10, first 2 shown]
	s_cmp_eq_u64 s[2:3], 1
	v_cmp_ne_u32_e32 vcc, 0, v0
	s_cbranch_scc1 .LBB49_41
; %bb.38:
	v_mov_b32_e32 v42, v2
	v_mov_b32_e32 v41, v1
	ds_write_b64 v45, v[43:44]
	s_waitcnt lgkmcnt(0)
	s_barrier
	s_and_saveexec_b64 s[2:3], vcc
	s_cbranch_execz .LBB49_40
; %bb.39:
	v_add_u32_e32 v41, -8, v45
	ds_read_b64 v[41:42], v41
	s_waitcnt lgkmcnt(0)
	v_add_f64 v[41:42], v[1:2], v[41:42]
.LBB49_40:
	s_or_b64 exec, exec, s[2:3]
	s_cbranch_execz .LBB49_42
	s_branch .LBB49_45
.LBB49_41:
                                        ; implicit-def: $vgpr41_vgpr42
.LBB49_42:
	v_mul_u32_u24_e32 v41, 11, v0
	v_add_u32_e32 v42, 10, v41
	v_cmp_gt_u32_e32 vcc, s14, v42
	v_add_u32_e32 v42, 9, v41
	v_cndmask_b32_e32 v22, v44, v22, vcc
	v_cndmask_b32_e32 v21, v43, v21, vcc
	v_cmp_gt_u32_e32 vcc, s14, v42
	v_cndmask_b32_e32 v23, v11, v23, vcc
	v_add_u32_e32 v11, 8, v41
	v_cndmask_b32_e32 v24, v12, v24, vcc
	v_cmp_gt_u32_e32 vcc, s14, v11
	v_cndmask_b32_e32 v25, v9, v25, vcc
	v_add_u32_e32 v9, 7, v41
	v_cndmask_b32_e32 v26, v10, v26, vcc
	v_cmp_gt_u32_e32 vcc, s14, v9
	v_add_u32_e32 v9, 6, v41
	v_cndmask_b32_e32 v28, v20, v28, vcc
	v_cndmask_b32_e32 v27, v19, v27, vcc
	v_cmp_gt_u32_e32 vcc, s14, v9
	v_add_u32_e32 v9, 5, v41
	v_cndmask_b32_e32 v30, v18, v30, vcc
	;; [unrolled: 4-line block ×4, first 2 shown]
	v_cndmask_b32_e32 v31, v13, v31, vcc
	v_cmp_gt_u32_e32 vcc, s14, v9
	v_cndmask_b32_e32 v37, v7, v37, vcc
	v_add_u32_e32 v7, 2, v41
	v_cndmask_b32_e32 v38, v8, v38, vcc
	v_cmp_gt_u32_e32 vcc, s14, v7
	v_cndmask_b32_e32 v35, v5, v35, vcc
	v_add_u32_e32 v5, 1, v41
	v_cndmask_b32_e32 v36, v6, v36, vcc
	v_cmp_gt_u32_e32 vcc, s14, v5
	v_cndmask_b32_e32 v40, v4, v40, vcc
	v_cndmask_b32_e32 v39, v3, v39, vcc
	v_cmp_ne_u32_e32 vcc, 0, v0
	v_cmp_gt_u32_e64 s[2:3], s14, v41
	s_and_b64 s[6:7], vcc, s[2:3]
	ds_write_b64 v45, v[43:44]
	s_waitcnt lgkmcnt(0)
	s_barrier
	s_and_saveexec_b64 s[2:3], s[6:7]
	s_cbranch_execz .LBB49_44
; %bb.43:
	v_add_u32_e32 v3, -8, v45
	ds_read_b64 v[3:4], v3
	s_waitcnt lgkmcnt(0)
	v_add_f64 v[1:2], v[1:2], v[3:4]
.LBB49_44:
	s_or_b64 exec, exec, s[2:3]
	v_mov_b32_e32 v42, v2
	v_mov_b32_e32 v41, v1
.LBB49_45:
	s_add_u32 s6, s12, s10
	s_addc_u32 s7, s13, s11
	s_and_b64 vcc, exec, s[0:1]
	s_barrier
	s_cbranch_vccz .LBB49_67
; %bb.46:
	s_movk_i32 s2, 0x58
	v_mul_i32_i24_e32 v47, 0xffffffb0, v0
	v_mul_u32_u24_e32 v46, 0x58, v0
	v_mad_u32_u24 v1, v0, s2, v47
	ds_write2_b64 v46, v[41:42], v[39:40] offset1:1
	ds_write2_b64 v46, v[35:36], v[37:38] offset0:2 offset1:3
	ds_write2_b64 v46, v[31:32], v[33:34] offset0:4 offset1:5
	;; [unrolled: 1-line block ×4, first 2 shown]
	ds_write_b64 v46, v[21:22] offset:80
	s_waitcnt lgkmcnt(0)
	s_barrier
	ds_read2st64_b64 v[17:20], v1 offset0:2 offset1:4
	ds_read2st64_b64 v[13:16], v1 offset0:6 offset1:8
	;; [unrolled: 1-line block ×5, first 2 shown]
	s_mov_b32 s5, 0
	s_add_i32 s15, s15, s14
	s_lshl_b64 s[0:1], s[4:5], 3
	s_add_u32 s0, s6, s0
	s_addc_u32 s1, s7, s1
	v_mov_b32_e32 v44, s1
	v_add_co_u32_e32 v43, vcc, s0, v45
	v_addc_co_u32_e32 v44, vcc, 0, v44, vcc
	v_cmp_gt_u32_e32 vcc, s15, v0
	s_and_saveexec_b64 s[0:1], vcc
	s_cbranch_execz .LBB49_48
; %bb.47:
	v_add_u32_e32 v46, v46, v47
	ds_read_b64 v[46:47], v46
	s_waitcnt lgkmcnt(0)
	global_store_dwordx2 v[43:44], v[46:47], off
.LBB49_48:
	s_or_b64 exec, exec, s[0:1]
	v_or_b32_e32 v46, 0x80, v0
	v_cmp_gt_u32_e32 vcc, s15, v46
	s_and_saveexec_b64 s[0:1], vcc
	s_cbranch_execz .LBB49_50
; %bb.49:
	s_waitcnt lgkmcnt(4)
	global_store_dwordx2 v[43:44], v[17:18], off offset:1024
.LBB49_50:
	s_or_b64 exec, exec, s[0:1]
	s_waitcnt lgkmcnt(4)
	v_or_b32_e32 v17, 0x100, v0
	v_cmp_gt_u32_e32 vcc, s15, v17
	s_and_saveexec_b64 s[0:1], vcc
	s_cbranch_execz .LBB49_52
; %bb.51:
	global_store_dwordx2 v[43:44], v[19:20], off offset:2048
.LBB49_52:
	s_or_b64 exec, exec, s[0:1]
	v_or_b32_e32 v17, 0x180, v0
	v_cmp_gt_u32_e32 vcc, s15, v17
	s_and_saveexec_b64 s[0:1], vcc
	s_cbranch_execz .LBB49_54
; %bb.53:
	s_waitcnt lgkmcnt(3)
	global_store_dwordx2 v[43:44], v[13:14], off offset:3072
.LBB49_54:
	s_or_b64 exec, exec, s[0:1]
	s_waitcnt lgkmcnt(3)
	v_or_b32_e32 v13, 0x200, v0
	v_cmp_gt_u32_e32 vcc, s15, v13
	s_and_saveexec_b64 s[0:1], vcc
	s_cbranch_execz .LBB49_56
; %bb.55:
	v_add_co_u32_e32 v13, vcc, 0x1000, v43
	v_addc_co_u32_e32 v14, vcc, 0, v44, vcc
	global_store_dwordx2 v[13:14], v[15:16], off
.LBB49_56:
	s_or_b64 exec, exec, s[0:1]
	v_or_b32_e32 v13, 0x280, v0
	v_cmp_gt_u32_e32 vcc, s15, v13
	s_and_saveexec_b64 s[0:1], vcc
	s_cbranch_execz .LBB49_58
; %bb.57:
	v_add_co_u32_e32 v13, vcc, 0x1000, v43
	v_addc_co_u32_e32 v14, vcc, 0, v44, vcc
	s_waitcnt lgkmcnt(2)
	global_store_dwordx2 v[13:14], v[9:10], off offset:1024
.LBB49_58:
	s_or_b64 exec, exec, s[0:1]
	s_waitcnt lgkmcnt(2)
	v_or_b32_e32 v9, 0x300, v0
	v_cmp_gt_u32_e32 vcc, s15, v9
	s_and_saveexec_b64 s[0:1], vcc
	s_cbranch_execz .LBB49_60
; %bb.59:
	v_add_co_u32_e32 v9, vcc, 0x1000, v43
	v_addc_co_u32_e32 v10, vcc, 0, v44, vcc
	global_store_dwordx2 v[9:10], v[11:12], off offset:2048
.LBB49_60:
	s_or_b64 exec, exec, s[0:1]
	v_or_b32_e32 v9, 0x380, v0
	v_cmp_gt_u32_e32 vcc, s15, v9
	s_and_saveexec_b64 s[0:1], vcc
	s_cbranch_execz .LBB49_62
; %bb.61:
	v_add_co_u32_e32 v9, vcc, 0x1000, v43
	v_addc_co_u32_e32 v10, vcc, 0, v44, vcc
	s_waitcnt lgkmcnt(1)
	global_store_dwordx2 v[9:10], v[5:6], off offset:3072
.LBB49_62:
	s_or_b64 exec, exec, s[0:1]
	s_waitcnt lgkmcnt(1)
	v_or_b32_e32 v5, 0x400, v0
	v_cmp_gt_u32_e32 vcc, s15, v5
	s_and_saveexec_b64 s[0:1], vcc
	s_cbranch_execz .LBB49_64
; %bb.63:
	v_add_co_u32_e32 v5, vcc, 0x2000, v43
	v_addc_co_u32_e32 v6, vcc, 0, v44, vcc
	global_store_dwordx2 v[5:6], v[7:8], off
.LBB49_64:
	s_or_b64 exec, exec, s[0:1]
	v_or_b32_e32 v5, 0x480, v0
	v_cmp_gt_u32_e32 vcc, s15, v5
	s_and_saveexec_b64 s[0:1], vcc
	s_cbranch_execz .LBB49_66
; %bb.65:
	v_add_co_u32_e32 v5, vcc, 0x2000, v43
	v_addc_co_u32_e32 v6, vcc, 0, v44, vcc
	s_waitcnt lgkmcnt(0)
	global_store_dwordx2 v[5:6], v[1:2], off offset:1024
.LBB49_66:
	s_or_b64 exec, exec, s[0:1]
	s_waitcnt lgkmcnt(0)
	v_or_b32_e32 v1, 0x500, v0
	v_cmp_gt_u32_e64 s[0:1], s15, v1
	s_branch .LBB49_69
.LBB49_67:
	s_mov_b64 s[0:1], 0
                                        ; implicit-def: $vgpr3_vgpr4
                                        ; implicit-def: $vgpr43_vgpr44
	s_cbranch_execz .LBB49_69
; %bb.68:
	s_mov_b32 s5, 0
	s_lshl_b64 s[2:3], s[4:5], 3
	v_mul_u32_u24_e32 v1, 0x58, v0
	s_add_u32 s2, s6, s2
	s_movk_i32 s4, 0x58
	ds_write2_b64 v1, v[41:42], v[39:40] offset1:1
	ds_write2_b64 v1, v[35:36], v[37:38] offset0:2 offset1:3
	ds_write2_b64 v1, v[31:32], v[33:34] offset0:4 offset1:5
	;; [unrolled: 1-line block ×4, first 2 shown]
	ds_write_b64 v1, v[21:22] offset:80
	v_mul_i32_i24_e32 v1, 0xffffffb0, v0
	s_addc_u32 s3, s7, s3
	v_mad_u32_u24 v0, v0, s4, v1
	s_waitcnt vmcnt(0) lgkmcnt(0)
	s_barrier
	ds_read2st64_b64 v[5:8], v0 offset1:2
	ds_read2st64_b64 v[9:12], v0 offset0:4 offset1:6
	ds_read2st64_b64 v[13:16], v0 offset0:8 offset1:10
	;; [unrolled: 1-line block ×4, first 2 shown]
	ds_read_b64 v[3:4], v0 offset:10240
	v_mov_b32_e32 v0, s3
	v_add_co_u32_e32 v43, vcc, s2, v45
	v_addc_co_u32_e32 v44, vcc, 0, v0, vcc
	s_waitcnt lgkmcnt(5)
	global_store_dwordx2 v45, v[5:6], s[2:3]
	global_store_dwordx2 v45, v[7:8], s[2:3] offset:1024
	s_waitcnt lgkmcnt(4)
	global_store_dwordx2 v45, v[9:10], s[2:3] offset:2048
	global_store_dwordx2 v45, v[11:12], s[2:3] offset:3072
	s_movk_i32 s2, 0x1000
	v_add_co_u32_e32 v0, vcc, s2, v43
	v_addc_co_u32_e32 v1, vcc, 0, v44, vcc
	s_waitcnt lgkmcnt(3)
	global_store_dwordx2 v[0:1], v[13:14], off
	global_store_dwordx2 v[0:1], v[15:16], off offset:1024
	s_waitcnt lgkmcnt(2)
	global_store_dwordx2 v[0:1], v[17:18], off offset:2048
	global_store_dwordx2 v[0:1], v[19:20], off offset:3072
	v_add_co_u32_e32 v0, vcc, 0x2000, v43
	v_addc_co_u32_e32 v1, vcc, 0, v44, vcc
	s_or_b64 s[0:1], s[0:1], exec
	s_waitcnt lgkmcnt(1)
	global_store_dwordx2 v[0:1], v[21:22], off
	global_store_dwordx2 v[0:1], v[23:24], off offset:1024
.LBB49_69:
	s_and_saveexec_b64 s[2:3], s[0:1]
	s_cbranch_execnz .LBB49_71
; %bb.70:
	s_endpgm
.LBB49_71:
	v_add_co_u32_e32 v0, vcc, 0x2000, v43
	v_addc_co_u32_e32 v1, vcc, 0, v44, vcc
	s_waitcnt lgkmcnt(0)
	global_store_dwordx2 v[0:1], v[3:4], off offset:2048
	s_endpgm
	.section	.rodata,"a",@progbits
	.p2align	6, 0x0
	.amdhsa_kernel _ZN7rocprim17ROCPRIM_400000_NS6detail17trampoline_kernelINS0_14default_configENS1_35adjacent_difference_config_selectorILb1EdEEZNS1_24adjacent_difference_implIS3_Lb1ELb0EPdS7_N6thrust23THRUST_200600_302600_NS4plusIdEEEE10hipError_tPvRmT2_T3_mT4_P12ihipStream_tbEUlT_E_NS1_11comp_targetILNS1_3genE2ELNS1_11target_archE906ELNS1_3gpuE6ELNS1_3repE0EEENS1_30default_config_static_selectorELNS0_4arch9wavefront6targetE1EEEvT1_
		.amdhsa_group_segment_fixed_size 11264
		.amdhsa_private_segment_fixed_size 0
		.amdhsa_kernarg_size 56
		.amdhsa_user_sgpr_count 6
		.amdhsa_user_sgpr_private_segment_buffer 1
		.amdhsa_user_sgpr_dispatch_ptr 0
		.amdhsa_user_sgpr_queue_ptr 0
		.amdhsa_user_sgpr_kernarg_segment_ptr 1
		.amdhsa_user_sgpr_dispatch_id 0
		.amdhsa_user_sgpr_flat_scratch_init 0
		.amdhsa_user_sgpr_private_segment_size 0
		.amdhsa_uses_dynamic_stack 0
		.amdhsa_system_sgpr_private_segment_wavefront_offset 0
		.amdhsa_system_sgpr_workgroup_id_x 1
		.amdhsa_system_sgpr_workgroup_id_y 0
		.amdhsa_system_sgpr_workgroup_id_z 0
		.amdhsa_system_sgpr_workgroup_info 0
		.amdhsa_system_vgpr_workitem_id 0
		.amdhsa_next_free_vgpr 65
		.amdhsa_next_free_sgpr 98
		.amdhsa_reserve_vcc 1
		.amdhsa_reserve_flat_scratch 0
		.amdhsa_float_round_mode_32 0
		.amdhsa_float_round_mode_16_64 0
		.amdhsa_float_denorm_mode_32 3
		.amdhsa_float_denorm_mode_16_64 3
		.amdhsa_dx10_clamp 1
		.amdhsa_ieee_mode 1
		.amdhsa_fp16_overflow 0
		.amdhsa_exception_fp_ieee_invalid_op 0
		.amdhsa_exception_fp_denorm_src 0
		.amdhsa_exception_fp_ieee_div_zero 0
		.amdhsa_exception_fp_ieee_overflow 0
		.amdhsa_exception_fp_ieee_underflow 0
		.amdhsa_exception_fp_ieee_inexact 0
		.amdhsa_exception_int_div_zero 0
	.end_amdhsa_kernel
	.section	.text._ZN7rocprim17ROCPRIM_400000_NS6detail17trampoline_kernelINS0_14default_configENS1_35adjacent_difference_config_selectorILb1EdEEZNS1_24adjacent_difference_implIS3_Lb1ELb0EPdS7_N6thrust23THRUST_200600_302600_NS4plusIdEEEE10hipError_tPvRmT2_T3_mT4_P12ihipStream_tbEUlT_E_NS1_11comp_targetILNS1_3genE2ELNS1_11target_archE906ELNS1_3gpuE6ELNS1_3repE0EEENS1_30default_config_static_selectorELNS0_4arch9wavefront6targetE1EEEvT1_,"axG",@progbits,_ZN7rocprim17ROCPRIM_400000_NS6detail17trampoline_kernelINS0_14default_configENS1_35adjacent_difference_config_selectorILb1EdEEZNS1_24adjacent_difference_implIS3_Lb1ELb0EPdS7_N6thrust23THRUST_200600_302600_NS4plusIdEEEE10hipError_tPvRmT2_T3_mT4_P12ihipStream_tbEUlT_E_NS1_11comp_targetILNS1_3genE2ELNS1_11target_archE906ELNS1_3gpuE6ELNS1_3repE0EEENS1_30default_config_static_selectorELNS0_4arch9wavefront6targetE1EEEvT1_,comdat
.Lfunc_end49:
	.size	_ZN7rocprim17ROCPRIM_400000_NS6detail17trampoline_kernelINS0_14default_configENS1_35adjacent_difference_config_selectorILb1EdEEZNS1_24adjacent_difference_implIS3_Lb1ELb0EPdS7_N6thrust23THRUST_200600_302600_NS4plusIdEEEE10hipError_tPvRmT2_T3_mT4_P12ihipStream_tbEUlT_E_NS1_11comp_targetILNS1_3genE2ELNS1_11target_archE906ELNS1_3gpuE6ELNS1_3repE0EEENS1_30default_config_static_selectorELNS0_4arch9wavefront6targetE1EEEvT1_, .Lfunc_end49-_ZN7rocprim17ROCPRIM_400000_NS6detail17trampoline_kernelINS0_14default_configENS1_35adjacent_difference_config_selectorILb1EdEEZNS1_24adjacent_difference_implIS3_Lb1ELb0EPdS7_N6thrust23THRUST_200600_302600_NS4plusIdEEEE10hipError_tPvRmT2_T3_mT4_P12ihipStream_tbEUlT_E_NS1_11comp_targetILNS1_3genE2ELNS1_11target_archE906ELNS1_3gpuE6ELNS1_3repE0EEENS1_30default_config_static_selectorELNS0_4arch9wavefront6targetE1EEEvT1_
                                        ; -- End function
	.set _ZN7rocprim17ROCPRIM_400000_NS6detail17trampoline_kernelINS0_14default_configENS1_35adjacent_difference_config_selectorILb1EdEEZNS1_24adjacent_difference_implIS3_Lb1ELb0EPdS7_N6thrust23THRUST_200600_302600_NS4plusIdEEEE10hipError_tPvRmT2_T3_mT4_P12ihipStream_tbEUlT_E_NS1_11comp_targetILNS1_3genE2ELNS1_11target_archE906ELNS1_3gpuE6ELNS1_3repE0EEENS1_30default_config_static_selectorELNS0_4arch9wavefront6targetE1EEEvT1_.num_vgpr, 50
	.set _ZN7rocprim17ROCPRIM_400000_NS6detail17trampoline_kernelINS0_14default_configENS1_35adjacent_difference_config_selectorILb1EdEEZNS1_24adjacent_difference_implIS3_Lb1ELb0EPdS7_N6thrust23THRUST_200600_302600_NS4plusIdEEEE10hipError_tPvRmT2_T3_mT4_P12ihipStream_tbEUlT_E_NS1_11comp_targetILNS1_3genE2ELNS1_11target_archE906ELNS1_3gpuE6ELNS1_3repE0EEENS1_30default_config_static_selectorELNS0_4arch9wavefront6targetE1EEEvT1_.num_agpr, 0
	.set _ZN7rocprim17ROCPRIM_400000_NS6detail17trampoline_kernelINS0_14default_configENS1_35adjacent_difference_config_selectorILb1EdEEZNS1_24adjacent_difference_implIS3_Lb1ELb0EPdS7_N6thrust23THRUST_200600_302600_NS4plusIdEEEE10hipError_tPvRmT2_T3_mT4_P12ihipStream_tbEUlT_E_NS1_11comp_targetILNS1_3genE2ELNS1_11target_archE906ELNS1_3gpuE6ELNS1_3repE0EEENS1_30default_config_static_selectorELNS0_4arch9wavefront6targetE1EEEvT1_.numbered_sgpr, 29
	.set _ZN7rocprim17ROCPRIM_400000_NS6detail17trampoline_kernelINS0_14default_configENS1_35adjacent_difference_config_selectorILb1EdEEZNS1_24adjacent_difference_implIS3_Lb1ELb0EPdS7_N6thrust23THRUST_200600_302600_NS4plusIdEEEE10hipError_tPvRmT2_T3_mT4_P12ihipStream_tbEUlT_E_NS1_11comp_targetILNS1_3genE2ELNS1_11target_archE906ELNS1_3gpuE6ELNS1_3repE0EEENS1_30default_config_static_selectorELNS0_4arch9wavefront6targetE1EEEvT1_.num_named_barrier, 0
	.set _ZN7rocprim17ROCPRIM_400000_NS6detail17trampoline_kernelINS0_14default_configENS1_35adjacent_difference_config_selectorILb1EdEEZNS1_24adjacent_difference_implIS3_Lb1ELb0EPdS7_N6thrust23THRUST_200600_302600_NS4plusIdEEEE10hipError_tPvRmT2_T3_mT4_P12ihipStream_tbEUlT_E_NS1_11comp_targetILNS1_3genE2ELNS1_11target_archE906ELNS1_3gpuE6ELNS1_3repE0EEENS1_30default_config_static_selectorELNS0_4arch9wavefront6targetE1EEEvT1_.private_seg_size, 0
	.set _ZN7rocprim17ROCPRIM_400000_NS6detail17trampoline_kernelINS0_14default_configENS1_35adjacent_difference_config_selectorILb1EdEEZNS1_24adjacent_difference_implIS3_Lb1ELb0EPdS7_N6thrust23THRUST_200600_302600_NS4plusIdEEEE10hipError_tPvRmT2_T3_mT4_P12ihipStream_tbEUlT_E_NS1_11comp_targetILNS1_3genE2ELNS1_11target_archE906ELNS1_3gpuE6ELNS1_3repE0EEENS1_30default_config_static_selectorELNS0_4arch9wavefront6targetE1EEEvT1_.uses_vcc, 1
	.set _ZN7rocprim17ROCPRIM_400000_NS6detail17trampoline_kernelINS0_14default_configENS1_35adjacent_difference_config_selectorILb1EdEEZNS1_24adjacent_difference_implIS3_Lb1ELb0EPdS7_N6thrust23THRUST_200600_302600_NS4plusIdEEEE10hipError_tPvRmT2_T3_mT4_P12ihipStream_tbEUlT_E_NS1_11comp_targetILNS1_3genE2ELNS1_11target_archE906ELNS1_3gpuE6ELNS1_3repE0EEENS1_30default_config_static_selectorELNS0_4arch9wavefront6targetE1EEEvT1_.uses_flat_scratch, 0
	.set _ZN7rocprim17ROCPRIM_400000_NS6detail17trampoline_kernelINS0_14default_configENS1_35adjacent_difference_config_selectorILb1EdEEZNS1_24adjacent_difference_implIS3_Lb1ELb0EPdS7_N6thrust23THRUST_200600_302600_NS4plusIdEEEE10hipError_tPvRmT2_T3_mT4_P12ihipStream_tbEUlT_E_NS1_11comp_targetILNS1_3genE2ELNS1_11target_archE906ELNS1_3gpuE6ELNS1_3repE0EEENS1_30default_config_static_selectorELNS0_4arch9wavefront6targetE1EEEvT1_.has_dyn_sized_stack, 0
	.set _ZN7rocprim17ROCPRIM_400000_NS6detail17trampoline_kernelINS0_14default_configENS1_35adjacent_difference_config_selectorILb1EdEEZNS1_24adjacent_difference_implIS3_Lb1ELb0EPdS7_N6thrust23THRUST_200600_302600_NS4plusIdEEEE10hipError_tPvRmT2_T3_mT4_P12ihipStream_tbEUlT_E_NS1_11comp_targetILNS1_3genE2ELNS1_11target_archE906ELNS1_3gpuE6ELNS1_3repE0EEENS1_30default_config_static_selectorELNS0_4arch9wavefront6targetE1EEEvT1_.has_recursion, 0
	.set _ZN7rocprim17ROCPRIM_400000_NS6detail17trampoline_kernelINS0_14default_configENS1_35adjacent_difference_config_selectorILb1EdEEZNS1_24adjacent_difference_implIS3_Lb1ELb0EPdS7_N6thrust23THRUST_200600_302600_NS4plusIdEEEE10hipError_tPvRmT2_T3_mT4_P12ihipStream_tbEUlT_E_NS1_11comp_targetILNS1_3genE2ELNS1_11target_archE906ELNS1_3gpuE6ELNS1_3repE0EEENS1_30default_config_static_selectorELNS0_4arch9wavefront6targetE1EEEvT1_.has_indirect_call, 0
	.section	.AMDGPU.csdata,"",@progbits
; Kernel info:
; codeLenInByte = 2948
; TotalNumSgprs: 33
; NumVgprs: 50
; ScratchSize: 0
; MemoryBound: 0
; FloatMode: 240
; IeeeMode: 1
; LDSByteSize: 11264 bytes/workgroup (compile time only)
; SGPRBlocks: 12
; VGPRBlocks: 16
; NumSGPRsForWavesPerEU: 102
; NumVGPRsForWavesPerEU: 65
; Occupancy: 3
; WaveLimiterHint : 1
; COMPUTE_PGM_RSRC2:SCRATCH_EN: 0
; COMPUTE_PGM_RSRC2:USER_SGPR: 6
; COMPUTE_PGM_RSRC2:TRAP_HANDLER: 0
; COMPUTE_PGM_RSRC2:TGID_X_EN: 1
; COMPUTE_PGM_RSRC2:TGID_Y_EN: 0
; COMPUTE_PGM_RSRC2:TGID_Z_EN: 0
; COMPUTE_PGM_RSRC2:TIDIG_COMP_CNT: 0
	.section	.text._ZN7rocprim17ROCPRIM_400000_NS6detail17trampoline_kernelINS0_14default_configENS1_35adjacent_difference_config_selectorILb1EdEEZNS1_24adjacent_difference_implIS3_Lb1ELb0EPdS7_N6thrust23THRUST_200600_302600_NS4plusIdEEEE10hipError_tPvRmT2_T3_mT4_P12ihipStream_tbEUlT_E_NS1_11comp_targetILNS1_3genE9ELNS1_11target_archE1100ELNS1_3gpuE3ELNS1_3repE0EEENS1_30default_config_static_selectorELNS0_4arch9wavefront6targetE1EEEvT1_,"axG",@progbits,_ZN7rocprim17ROCPRIM_400000_NS6detail17trampoline_kernelINS0_14default_configENS1_35adjacent_difference_config_selectorILb1EdEEZNS1_24adjacent_difference_implIS3_Lb1ELb0EPdS7_N6thrust23THRUST_200600_302600_NS4plusIdEEEE10hipError_tPvRmT2_T3_mT4_P12ihipStream_tbEUlT_E_NS1_11comp_targetILNS1_3genE9ELNS1_11target_archE1100ELNS1_3gpuE3ELNS1_3repE0EEENS1_30default_config_static_selectorELNS0_4arch9wavefront6targetE1EEEvT1_,comdat
	.protected	_ZN7rocprim17ROCPRIM_400000_NS6detail17trampoline_kernelINS0_14default_configENS1_35adjacent_difference_config_selectorILb1EdEEZNS1_24adjacent_difference_implIS3_Lb1ELb0EPdS7_N6thrust23THRUST_200600_302600_NS4plusIdEEEE10hipError_tPvRmT2_T3_mT4_P12ihipStream_tbEUlT_E_NS1_11comp_targetILNS1_3genE9ELNS1_11target_archE1100ELNS1_3gpuE3ELNS1_3repE0EEENS1_30default_config_static_selectorELNS0_4arch9wavefront6targetE1EEEvT1_ ; -- Begin function _ZN7rocprim17ROCPRIM_400000_NS6detail17trampoline_kernelINS0_14default_configENS1_35adjacent_difference_config_selectorILb1EdEEZNS1_24adjacent_difference_implIS3_Lb1ELb0EPdS7_N6thrust23THRUST_200600_302600_NS4plusIdEEEE10hipError_tPvRmT2_T3_mT4_P12ihipStream_tbEUlT_E_NS1_11comp_targetILNS1_3genE9ELNS1_11target_archE1100ELNS1_3gpuE3ELNS1_3repE0EEENS1_30default_config_static_selectorELNS0_4arch9wavefront6targetE1EEEvT1_
	.globl	_ZN7rocprim17ROCPRIM_400000_NS6detail17trampoline_kernelINS0_14default_configENS1_35adjacent_difference_config_selectorILb1EdEEZNS1_24adjacent_difference_implIS3_Lb1ELb0EPdS7_N6thrust23THRUST_200600_302600_NS4plusIdEEEE10hipError_tPvRmT2_T3_mT4_P12ihipStream_tbEUlT_E_NS1_11comp_targetILNS1_3genE9ELNS1_11target_archE1100ELNS1_3gpuE3ELNS1_3repE0EEENS1_30default_config_static_selectorELNS0_4arch9wavefront6targetE1EEEvT1_
	.p2align	8
	.type	_ZN7rocprim17ROCPRIM_400000_NS6detail17trampoline_kernelINS0_14default_configENS1_35adjacent_difference_config_selectorILb1EdEEZNS1_24adjacent_difference_implIS3_Lb1ELb0EPdS7_N6thrust23THRUST_200600_302600_NS4plusIdEEEE10hipError_tPvRmT2_T3_mT4_P12ihipStream_tbEUlT_E_NS1_11comp_targetILNS1_3genE9ELNS1_11target_archE1100ELNS1_3gpuE3ELNS1_3repE0EEENS1_30default_config_static_selectorELNS0_4arch9wavefront6targetE1EEEvT1_,@function
_ZN7rocprim17ROCPRIM_400000_NS6detail17trampoline_kernelINS0_14default_configENS1_35adjacent_difference_config_selectorILb1EdEEZNS1_24adjacent_difference_implIS3_Lb1ELb0EPdS7_N6thrust23THRUST_200600_302600_NS4plusIdEEEE10hipError_tPvRmT2_T3_mT4_P12ihipStream_tbEUlT_E_NS1_11comp_targetILNS1_3genE9ELNS1_11target_archE1100ELNS1_3gpuE3ELNS1_3repE0EEENS1_30default_config_static_selectorELNS0_4arch9wavefront6targetE1EEEvT1_: ; @_ZN7rocprim17ROCPRIM_400000_NS6detail17trampoline_kernelINS0_14default_configENS1_35adjacent_difference_config_selectorILb1EdEEZNS1_24adjacent_difference_implIS3_Lb1ELb0EPdS7_N6thrust23THRUST_200600_302600_NS4plusIdEEEE10hipError_tPvRmT2_T3_mT4_P12ihipStream_tbEUlT_E_NS1_11comp_targetILNS1_3genE9ELNS1_11target_archE1100ELNS1_3gpuE3ELNS1_3repE0EEENS1_30default_config_static_selectorELNS0_4arch9wavefront6targetE1EEEvT1_
; %bb.0:
	.section	.rodata,"a",@progbits
	.p2align	6, 0x0
	.amdhsa_kernel _ZN7rocprim17ROCPRIM_400000_NS6detail17trampoline_kernelINS0_14default_configENS1_35adjacent_difference_config_selectorILb1EdEEZNS1_24adjacent_difference_implIS3_Lb1ELb0EPdS7_N6thrust23THRUST_200600_302600_NS4plusIdEEEE10hipError_tPvRmT2_T3_mT4_P12ihipStream_tbEUlT_E_NS1_11comp_targetILNS1_3genE9ELNS1_11target_archE1100ELNS1_3gpuE3ELNS1_3repE0EEENS1_30default_config_static_selectorELNS0_4arch9wavefront6targetE1EEEvT1_
		.amdhsa_group_segment_fixed_size 0
		.amdhsa_private_segment_fixed_size 0
		.amdhsa_kernarg_size 56
		.amdhsa_user_sgpr_count 6
		.amdhsa_user_sgpr_private_segment_buffer 1
		.amdhsa_user_sgpr_dispatch_ptr 0
		.amdhsa_user_sgpr_queue_ptr 0
		.amdhsa_user_sgpr_kernarg_segment_ptr 1
		.amdhsa_user_sgpr_dispatch_id 0
		.amdhsa_user_sgpr_flat_scratch_init 0
		.amdhsa_user_sgpr_private_segment_size 0
		.amdhsa_uses_dynamic_stack 0
		.amdhsa_system_sgpr_private_segment_wavefront_offset 0
		.amdhsa_system_sgpr_workgroup_id_x 1
		.amdhsa_system_sgpr_workgroup_id_y 0
		.amdhsa_system_sgpr_workgroup_id_z 0
		.amdhsa_system_sgpr_workgroup_info 0
		.amdhsa_system_vgpr_workitem_id 0
		.amdhsa_next_free_vgpr 1
		.amdhsa_next_free_sgpr 0
		.amdhsa_reserve_vcc 0
		.amdhsa_reserve_flat_scratch 0
		.amdhsa_float_round_mode_32 0
		.amdhsa_float_round_mode_16_64 0
		.amdhsa_float_denorm_mode_32 3
		.amdhsa_float_denorm_mode_16_64 3
		.amdhsa_dx10_clamp 1
		.amdhsa_ieee_mode 1
		.amdhsa_fp16_overflow 0
		.amdhsa_exception_fp_ieee_invalid_op 0
		.amdhsa_exception_fp_denorm_src 0
		.amdhsa_exception_fp_ieee_div_zero 0
		.amdhsa_exception_fp_ieee_overflow 0
		.amdhsa_exception_fp_ieee_underflow 0
		.amdhsa_exception_fp_ieee_inexact 0
		.amdhsa_exception_int_div_zero 0
	.end_amdhsa_kernel
	.section	.text._ZN7rocprim17ROCPRIM_400000_NS6detail17trampoline_kernelINS0_14default_configENS1_35adjacent_difference_config_selectorILb1EdEEZNS1_24adjacent_difference_implIS3_Lb1ELb0EPdS7_N6thrust23THRUST_200600_302600_NS4plusIdEEEE10hipError_tPvRmT2_T3_mT4_P12ihipStream_tbEUlT_E_NS1_11comp_targetILNS1_3genE9ELNS1_11target_archE1100ELNS1_3gpuE3ELNS1_3repE0EEENS1_30default_config_static_selectorELNS0_4arch9wavefront6targetE1EEEvT1_,"axG",@progbits,_ZN7rocprim17ROCPRIM_400000_NS6detail17trampoline_kernelINS0_14default_configENS1_35adjacent_difference_config_selectorILb1EdEEZNS1_24adjacent_difference_implIS3_Lb1ELb0EPdS7_N6thrust23THRUST_200600_302600_NS4plusIdEEEE10hipError_tPvRmT2_T3_mT4_P12ihipStream_tbEUlT_E_NS1_11comp_targetILNS1_3genE9ELNS1_11target_archE1100ELNS1_3gpuE3ELNS1_3repE0EEENS1_30default_config_static_selectorELNS0_4arch9wavefront6targetE1EEEvT1_,comdat
.Lfunc_end50:
	.size	_ZN7rocprim17ROCPRIM_400000_NS6detail17trampoline_kernelINS0_14default_configENS1_35adjacent_difference_config_selectorILb1EdEEZNS1_24adjacent_difference_implIS3_Lb1ELb0EPdS7_N6thrust23THRUST_200600_302600_NS4plusIdEEEE10hipError_tPvRmT2_T3_mT4_P12ihipStream_tbEUlT_E_NS1_11comp_targetILNS1_3genE9ELNS1_11target_archE1100ELNS1_3gpuE3ELNS1_3repE0EEENS1_30default_config_static_selectorELNS0_4arch9wavefront6targetE1EEEvT1_, .Lfunc_end50-_ZN7rocprim17ROCPRIM_400000_NS6detail17trampoline_kernelINS0_14default_configENS1_35adjacent_difference_config_selectorILb1EdEEZNS1_24adjacent_difference_implIS3_Lb1ELb0EPdS7_N6thrust23THRUST_200600_302600_NS4plusIdEEEE10hipError_tPvRmT2_T3_mT4_P12ihipStream_tbEUlT_E_NS1_11comp_targetILNS1_3genE9ELNS1_11target_archE1100ELNS1_3gpuE3ELNS1_3repE0EEENS1_30default_config_static_selectorELNS0_4arch9wavefront6targetE1EEEvT1_
                                        ; -- End function
	.set _ZN7rocprim17ROCPRIM_400000_NS6detail17trampoline_kernelINS0_14default_configENS1_35adjacent_difference_config_selectorILb1EdEEZNS1_24adjacent_difference_implIS3_Lb1ELb0EPdS7_N6thrust23THRUST_200600_302600_NS4plusIdEEEE10hipError_tPvRmT2_T3_mT4_P12ihipStream_tbEUlT_E_NS1_11comp_targetILNS1_3genE9ELNS1_11target_archE1100ELNS1_3gpuE3ELNS1_3repE0EEENS1_30default_config_static_selectorELNS0_4arch9wavefront6targetE1EEEvT1_.num_vgpr, 0
	.set _ZN7rocprim17ROCPRIM_400000_NS6detail17trampoline_kernelINS0_14default_configENS1_35adjacent_difference_config_selectorILb1EdEEZNS1_24adjacent_difference_implIS3_Lb1ELb0EPdS7_N6thrust23THRUST_200600_302600_NS4plusIdEEEE10hipError_tPvRmT2_T3_mT4_P12ihipStream_tbEUlT_E_NS1_11comp_targetILNS1_3genE9ELNS1_11target_archE1100ELNS1_3gpuE3ELNS1_3repE0EEENS1_30default_config_static_selectorELNS0_4arch9wavefront6targetE1EEEvT1_.num_agpr, 0
	.set _ZN7rocprim17ROCPRIM_400000_NS6detail17trampoline_kernelINS0_14default_configENS1_35adjacent_difference_config_selectorILb1EdEEZNS1_24adjacent_difference_implIS3_Lb1ELb0EPdS7_N6thrust23THRUST_200600_302600_NS4plusIdEEEE10hipError_tPvRmT2_T3_mT4_P12ihipStream_tbEUlT_E_NS1_11comp_targetILNS1_3genE9ELNS1_11target_archE1100ELNS1_3gpuE3ELNS1_3repE0EEENS1_30default_config_static_selectorELNS0_4arch9wavefront6targetE1EEEvT1_.numbered_sgpr, 0
	.set _ZN7rocprim17ROCPRIM_400000_NS6detail17trampoline_kernelINS0_14default_configENS1_35adjacent_difference_config_selectorILb1EdEEZNS1_24adjacent_difference_implIS3_Lb1ELb0EPdS7_N6thrust23THRUST_200600_302600_NS4plusIdEEEE10hipError_tPvRmT2_T3_mT4_P12ihipStream_tbEUlT_E_NS1_11comp_targetILNS1_3genE9ELNS1_11target_archE1100ELNS1_3gpuE3ELNS1_3repE0EEENS1_30default_config_static_selectorELNS0_4arch9wavefront6targetE1EEEvT1_.num_named_barrier, 0
	.set _ZN7rocprim17ROCPRIM_400000_NS6detail17trampoline_kernelINS0_14default_configENS1_35adjacent_difference_config_selectorILb1EdEEZNS1_24adjacent_difference_implIS3_Lb1ELb0EPdS7_N6thrust23THRUST_200600_302600_NS4plusIdEEEE10hipError_tPvRmT2_T3_mT4_P12ihipStream_tbEUlT_E_NS1_11comp_targetILNS1_3genE9ELNS1_11target_archE1100ELNS1_3gpuE3ELNS1_3repE0EEENS1_30default_config_static_selectorELNS0_4arch9wavefront6targetE1EEEvT1_.private_seg_size, 0
	.set _ZN7rocprim17ROCPRIM_400000_NS6detail17trampoline_kernelINS0_14default_configENS1_35adjacent_difference_config_selectorILb1EdEEZNS1_24adjacent_difference_implIS3_Lb1ELb0EPdS7_N6thrust23THRUST_200600_302600_NS4plusIdEEEE10hipError_tPvRmT2_T3_mT4_P12ihipStream_tbEUlT_E_NS1_11comp_targetILNS1_3genE9ELNS1_11target_archE1100ELNS1_3gpuE3ELNS1_3repE0EEENS1_30default_config_static_selectorELNS0_4arch9wavefront6targetE1EEEvT1_.uses_vcc, 0
	.set _ZN7rocprim17ROCPRIM_400000_NS6detail17trampoline_kernelINS0_14default_configENS1_35adjacent_difference_config_selectorILb1EdEEZNS1_24adjacent_difference_implIS3_Lb1ELb0EPdS7_N6thrust23THRUST_200600_302600_NS4plusIdEEEE10hipError_tPvRmT2_T3_mT4_P12ihipStream_tbEUlT_E_NS1_11comp_targetILNS1_3genE9ELNS1_11target_archE1100ELNS1_3gpuE3ELNS1_3repE0EEENS1_30default_config_static_selectorELNS0_4arch9wavefront6targetE1EEEvT1_.uses_flat_scratch, 0
	.set _ZN7rocprim17ROCPRIM_400000_NS6detail17trampoline_kernelINS0_14default_configENS1_35adjacent_difference_config_selectorILb1EdEEZNS1_24adjacent_difference_implIS3_Lb1ELb0EPdS7_N6thrust23THRUST_200600_302600_NS4plusIdEEEE10hipError_tPvRmT2_T3_mT4_P12ihipStream_tbEUlT_E_NS1_11comp_targetILNS1_3genE9ELNS1_11target_archE1100ELNS1_3gpuE3ELNS1_3repE0EEENS1_30default_config_static_selectorELNS0_4arch9wavefront6targetE1EEEvT1_.has_dyn_sized_stack, 0
	.set _ZN7rocprim17ROCPRIM_400000_NS6detail17trampoline_kernelINS0_14default_configENS1_35adjacent_difference_config_selectorILb1EdEEZNS1_24adjacent_difference_implIS3_Lb1ELb0EPdS7_N6thrust23THRUST_200600_302600_NS4plusIdEEEE10hipError_tPvRmT2_T3_mT4_P12ihipStream_tbEUlT_E_NS1_11comp_targetILNS1_3genE9ELNS1_11target_archE1100ELNS1_3gpuE3ELNS1_3repE0EEENS1_30default_config_static_selectorELNS0_4arch9wavefront6targetE1EEEvT1_.has_recursion, 0
	.set _ZN7rocprim17ROCPRIM_400000_NS6detail17trampoline_kernelINS0_14default_configENS1_35adjacent_difference_config_selectorILb1EdEEZNS1_24adjacent_difference_implIS3_Lb1ELb0EPdS7_N6thrust23THRUST_200600_302600_NS4plusIdEEEE10hipError_tPvRmT2_T3_mT4_P12ihipStream_tbEUlT_E_NS1_11comp_targetILNS1_3genE9ELNS1_11target_archE1100ELNS1_3gpuE3ELNS1_3repE0EEENS1_30default_config_static_selectorELNS0_4arch9wavefront6targetE1EEEvT1_.has_indirect_call, 0
	.section	.AMDGPU.csdata,"",@progbits
; Kernel info:
; codeLenInByte = 0
; TotalNumSgprs: 4
; NumVgprs: 0
; ScratchSize: 0
; MemoryBound: 0
; FloatMode: 240
; IeeeMode: 1
; LDSByteSize: 0 bytes/workgroup (compile time only)
; SGPRBlocks: 0
; VGPRBlocks: 0
; NumSGPRsForWavesPerEU: 4
; NumVGPRsForWavesPerEU: 1
; Occupancy: 10
; WaveLimiterHint : 0
; COMPUTE_PGM_RSRC2:SCRATCH_EN: 0
; COMPUTE_PGM_RSRC2:USER_SGPR: 6
; COMPUTE_PGM_RSRC2:TRAP_HANDLER: 0
; COMPUTE_PGM_RSRC2:TGID_X_EN: 1
; COMPUTE_PGM_RSRC2:TGID_Y_EN: 0
; COMPUTE_PGM_RSRC2:TGID_Z_EN: 0
; COMPUTE_PGM_RSRC2:TIDIG_COMP_CNT: 0
	.section	.text._ZN7rocprim17ROCPRIM_400000_NS6detail17trampoline_kernelINS0_14default_configENS1_35adjacent_difference_config_selectorILb1EdEEZNS1_24adjacent_difference_implIS3_Lb1ELb0EPdS7_N6thrust23THRUST_200600_302600_NS4plusIdEEEE10hipError_tPvRmT2_T3_mT4_P12ihipStream_tbEUlT_E_NS1_11comp_targetILNS1_3genE8ELNS1_11target_archE1030ELNS1_3gpuE2ELNS1_3repE0EEENS1_30default_config_static_selectorELNS0_4arch9wavefront6targetE1EEEvT1_,"axG",@progbits,_ZN7rocprim17ROCPRIM_400000_NS6detail17trampoline_kernelINS0_14default_configENS1_35adjacent_difference_config_selectorILb1EdEEZNS1_24adjacent_difference_implIS3_Lb1ELb0EPdS7_N6thrust23THRUST_200600_302600_NS4plusIdEEEE10hipError_tPvRmT2_T3_mT4_P12ihipStream_tbEUlT_E_NS1_11comp_targetILNS1_3genE8ELNS1_11target_archE1030ELNS1_3gpuE2ELNS1_3repE0EEENS1_30default_config_static_selectorELNS0_4arch9wavefront6targetE1EEEvT1_,comdat
	.protected	_ZN7rocprim17ROCPRIM_400000_NS6detail17trampoline_kernelINS0_14default_configENS1_35adjacent_difference_config_selectorILb1EdEEZNS1_24adjacent_difference_implIS3_Lb1ELb0EPdS7_N6thrust23THRUST_200600_302600_NS4plusIdEEEE10hipError_tPvRmT2_T3_mT4_P12ihipStream_tbEUlT_E_NS1_11comp_targetILNS1_3genE8ELNS1_11target_archE1030ELNS1_3gpuE2ELNS1_3repE0EEENS1_30default_config_static_selectorELNS0_4arch9wavefront6targetE1EEEvT1_ ; -- Begin function _ZN7rocprim17ROCPRIM_400000_NS6detail17trampoline_kernelINS0_14default_configENS1_35adjacent_difference_config_selectorILb1EdEEZNS1_24adjacent_difference_implIS3_Lb1ELb0EPdS7_N6thrust23THRUST_200600_302600_NS4plusIdEEEE10hipError_tPvRmT2_T3_mT4_P12ihipStream_tbEUlT_E_NS1_11comp_targetILNS1_3genE8ELNS1_11target_archE1030ELNS1_3gpuE2ELNS1_3repE0EEENS1_30default_config_static_selectorELNS0_4arch9wavefront6targetE1EEEvT1_
	.globl	_ZN7rocprim17ROCPRIM_400000_NS6detail17trampoline_kernelINS0_14default_configENS1_35adjacent_difference_config_selectorILb1EdEEZNS1_24adjacent_difference_implIS3_Lb1ELb0EPdS7_N6thrust23THRUST_200600_302600_NS4plusIdEEEE10hipError_tPvRmT2_T3_mT4_P12ihipStream_tbEUlT_E_NS1_11comp_targetILNS1_3genE8ELNS1_11target_archE1030ELNS1_3gpuE2ELNS1_3repE0EEENS1_30default_config_static_selectorELNS0_4arch9wavefront6targetE1EEEvT1_
	.p2align	8
	.type	_ZN7rocprim17ROCPRIM_400000_NS6detail17trampoline_kernelINS0_14default_configENS1_35adjacent_difference_config_selectorILb1EdEEZNS1_24adjacent_difference_implIS3_Lb1ELb0EPdS7_N6thrust23THRUST_200600_302600_NS4plusIdEEEE10hipError_tPvRmT2_T3_mT4_P12ihipStream_tbEUlT_E_NS1_11comp_targetILNS1_3genE8ELNS1_11target_archE1030ELNS1_3gpuE2ELNS1_3repE0EEENS1_30default_config_static_selectorELNS0_4arch9wavefront6targetE1EEEvT1_,@function
_ZN7rocprim17ROCPRIM_400000_NS6detail17trampoline_kernelINS0_14default_configENS1_35adjacent_difference_config_selectorILb1EdEEZNS1_24adjacent_difference_implIS3_Lb1ELb0EPdS7_N6thrust23THRUST_200600_302600_NS4plusIdEEEE10hipError_tPvRmT2_T3_mT4_P12ihipStream_tbEUlT_E_NS1_11comp_targetILNS1_3genE8ELNS1_11target_archE1030ELNS1_3gpuE2ELNS1_3repE0EEENS1_30default_config_static_selectorELNS0_4arch9wavefront6targetE1EEEvT1_: ; @_ZN7rocprim17ROCPRIM_400000_NS6detail17trampoline_kernelINS0_14default_configENS1_35adjacent_difference_config_selectorILb1EdEEZNS1_24adjacent_difference_implIS3_Lb1ELb0EPdS7_N6thrust23THRUST_200600_302600_NS4plusIdEEEE10hipError_tPvRmT2_T3_mT4_P12ihipStream_tbEUlT_E_NS1_11comp_targetILNS1_3genE8ELNS1_11target_archE1030ELNS1_3gpuE2ELNS1_3repE0EEENS1_30default_config_static_selectorELNS0_4arch9wavefront6targetE1EEEvT1_
; %bb.0:
	.section	.rodata,"a",@progbits
	.p2align	6, 0x0
	.amdhsa_kernel _ZN7rocprim17ROCPRIM_400000_NS6detail17trampoline_kernelINS0_14default_configENS1_35adjacent_difference_config_selectorILb1EdEEZNS1_24adjacent_difference_implIS3_Lb1ELb0EPdS7_N6thrust23THRUST_200600_302600_NS4plusIdEEEE10hipError_tPvRmT2_T3_mT4_P12ihipStream_tbEUlT_E_NS1_11comp_targetILNS1_3genE8ELNS1_11target_archE1030ELNS1_3gpuE2ELNS1_3repE0EEENS1_30default_config_static_selectorELNS0_4arch9wavefront6targetE1EEEvT1_
		.amdhsa_group_segment_fixed_size 0
		.amdhsa_private_segment_fixed_size 0
		.amdhsa_kernarg_size 56
		.amdhsa_user_sgpr_count 6
		.amdhsa_user_sgpr_private_segment_buffer 1
		.amdhsa_user_sgpr_dispatch_ptr 0
		.amdhsa_user_sgpr_queue_ptr 0
		.amdhsa_user_sgpr_kernarg_segment_ptr 1
		.amdhsa_user_sgpr_dispatch_id 0
		.amdhsa_user_sgpr_flat_scratch_init 0
		.amdhsa_user_sgpr_private_segment_size 0
		.amdhsa_uses_dynamic_stack 0
		.amdhsa_system_sgpr_private_segment_wavefront_offset 0
		.amdhsa_system_sgpr_workgroup_id_x 1
		.amdhsa_system_sgpr_workgroup_id_y 0
		.amdhsa_system_sgpr_workgroup_id_z 0
		.amdhsa_system_sgpr_workgroup_info 0
		.amdhsa_system_vgpr_workitem_id 0
		.amdhsa_next_free_vgpr 1
		.amdhsa_next_free_sgpr 0
		.amdhsa_reserve_vcc 0
		.amdhsa_reserve_flat_scratch 0
		.amdhsa_float_round_mode_32 0
		.amdhsa_float_round_mode_16_64 0
		.amdhsa_float_denorm_mode_32 3
		.amdhsa_float_denorm_mode_16_64 3
		.amdhsa_dx10_clamp 1
		.amdhsa_ieee_mode 1
		.amdhsa_fp16_overflow 0
		.amdhsa_exception_fp_ieee_invalid_op 0
		.amdhsa_exception_fp_denorm_src 0
		.amdhsa_exception_fp_ieee_div_zero 0
		.amdhsa_exception_fp_ieee_overflow 0
		.amdhsa_exception_fp_ieee_underflow 0
		.amdhsa_exception_fp_ieee_inexact 0
		.amdhsa_exception_int_div_zero 0
	.end_amdhsa_kernel
	.section	.text._ZN7rocprim17ROCPRIM_400000_NS6detail17trampoline_kernelINS0_14default_configENS1_35adjacent_difference_config_selectorILb1EdEEZNS1_24adjacent_difference_implIS3_Lb1ELb0EPdS7_N6thrust23THRUST_200600_302600_NS4plusIdEEEE10hipError_tPvRmT2_T3_mT4_P12ihipStream_tbEUlT_E_NS1_11comp_targetILNS1_3genE8ELNS1_11target_archE1030ELNS1_3gpuE2ELNS1_3repE0EEENS1_30default_config_static_selectorELNS0_4arch9wavefront6targetE1EEEvT1_,"axG",@progbits,_ZN7rocprim17ROCPRIM_400000_NS6detail17trampoline_kernelINS0_14default_configENS1_35adjacent_difference_config_selectorILb1EdEEZNS1_24adjacent_difference_implIS3_Lb1ELb0EPdS7_N6thrust23THRUST_200600_302600_NS4plusIdEEEE10hipError_tPvRmT2_T3_mT4_P12ihipStream_tbEUlT_E_NS1_11comp_targetILNS1_3genE8ELNS1_11target_archE1030ELNS1_3gpuE2ELNS1_3repE0EEENS1_30default_config_static_selectorELNS0_4arch9wavefront6targetE1EEEvT1_,comdat
.Lfunc_end51:
	.size	_ZN7rocprim17ROCPRIM_400000_NS6detail17trampoline_kernelINS0_14default_configENS1_35adjacent_difference_config_selectorILb1EdEEZNS1_24adjacent_difference_implIS3_Lb1ELb0EPdS7_N6thrust23THRUST_200600_302600_NS4plusIdEEEE10hipError_tPvRmT2_T3_mT4_P12ihipStream_tbEUlT_E_NS1_11comp_targetILNS1_3genE8ELNS1_11target_archE1030ELNS1_3gpuE2ELNS1_3repE0EEENS1_30default_config_static_selectorELNS0_4arch9wavefront6targetE1EEEvT1_, .Lfunc_end51-_ZN7rocprim17ROCPRIM_400000_NS6detail17trampoline_kernelINS0_14default_configENS1_35adjacent_difference_config_selectorILb1EdEEZNS1_24adjacent_difference_implIS3_Lb1ELb0EPdS7_N6thrust23THRUST_200600_302600_NS4plusIdEEEE10hipError_tPvRmT2_T3_mT4_P12ihipStream_tbEUlT_E_NS1_11comp_targetILNS1_3genE8ELNS1_11target_archE1030ELNS1_3gpuE2ELNS1_3repE0EEENS1_30default_config_static_selectorELNS0_4arch9wavefront6targetE1EEEvT1_
                                        ; -- End function
	.set _ZN7rocprim17ROCPRIM_400000_NS6detail17trampoline_kernelINS0_14default_configENS1_35adjacent_difference_config_selectorILb1EdEEZNS1_24adjacent_difference_implIS3_Lb1ELb0EPdS7_N6thrust23THRUST_200600_302600_NS4plusIdEEEE10hipError_tPvRmT2_T3_mT4_P12ihipStream_tbEUlT_E_NS1_11comp_targetILNS1_3genE8ELNS1_11target_archE1030ELNS1_3gpuE2ELNS1_3repE0EEENS1_30default_config_static_selectorELNS0_4arch9wavefront6targetE1EEEvT1_.num_vgpr, 0
	.set _ZN7rocprim17ROCPRIM_400000_NS6detail17trampoline_kernelINS0_14default_configENS1_35adjacent_difference_config_selectorILb1EdEEZNS1_24adjacent_difference_implIS3_Lb1ELb0EPdS7_N6thrust23THRUST_200600_302600_NS4plusIdEEEE10hipError_tPvRmT2_T3_mT4_P12ihipStream_tbEUlT_E_NS1_11comp_targetILNS1_3genE8ELNS1_11target_archE1030ELNS1_3gpuE2ELNS1_3repE0EEENS1_30default_config_static_selectorELNS0_4arch9wavefront6targetE1EEEvT1_.num_agpr, 0
	.set _ZN7rocprim17ROCPRIM_400000_NS6detail17trampoline_kernelINS0_14default_configENS1_35adjacent_difference_config_selectorILb1EdEEZNS1_24adjacent_difference_implIS3_Lb1ELb0EPdS7_N6thrust23THRUST_200600_302600_NS4plusIdEEEE10hipError_tPvRmT2_T3_mT4_P12ihipStream_tbEUlT_E_NS1_11comp_targetILNS1_3genE8ELNS1_11target_archE1030ELNS1_3gpuE2ELNS1_3repE0EEENS1_30default_config_static_selectorELNS0_4arch9wavefront6targetE1EEEvT1_.numbered_sgpr, 0
	.set _ZN7rocprim17ROCPRIM_400000_NS6detail17trampoline_kernelINS0_14default_configENS1_35adjacent_difference_config_selectorILb1EdEEZNS1_24adjacent_difference_implIS3_Lb1ELb0EPdS7_N6thrust23THRUST_200600_302600_NS4plusIdEEEE10hipError_tPvRmT2_T3_mT4_P12ihipStream_tbEUlT_E_NS1_11comp_targetILNS1_3genE8ELNS1_11target_archE1030ELNS1_3gpuE2ELNS1_3repE0EEENS1_30default_config_static_selectorELNS0_4arch9wavefront6targetE1EEEvT1_.num_named_barrier, 0
	.set _ZN7rocprim17ROCPRIM_400000_NS6detail17trampoline_kernelINS0_14default_configENS1_35adjacent_difference_config_selectorILb1EdEEZNS1_24adjacent_difference_implIS3_Lb1ELb0EPdS7_N6thrust23THRUST_200600_302600_NS4plusIdEEEE10hipError_tPvRmT2_T3_mT4_P12ihipStream_tbEUlT_E_NS1_11comp_targetILNS1_3genE8ELNS1_11target_archE1030ELNS1_3gpuE2ELNS1_3repE0EEENS1_30default_config_static_selectorELNS0_4arch9wavefront6targetE1EEEvT1_.private_seg_size, 0
	.set _ZN7rocprim17ROCPRIM_400000_NS6detail17trampoline_kernelINS0_14default_configENS1_35adjacent_difference_config_selectorILb1EdEEZNS1_24adjacent_difference_implIS3_Lb1ELb0EPdS7_N6thrust23THRUST_200600_302600_NS4plusIdEEEE10hipError_tPvRmT2_T3_mT4_P12ihipStream_tbEUlT_E_NS1_11comp_targetILNS1_3genE8ELNS1_11target_archE1030ELNS1_3gpuE2ELNS1_3repE0EEENS1_30default_config_static_selectorELNS0_4arch9wavefront6targetE1EEEvT1_.uses_vcc, 0
	.set _ZN7rocprim17ROCPRIM_400000_NS6detail17trampoline_kernelINS0_14default_configENS1_35adjacent_difference_config_selectorILb1EdEEZNS1_24adjacent_difference_implIS3_Lb1ELb0EPdS7_N6thrust23THRUST_200600_302600_NS4plusIdEEEE10hipError_tPvRmT2_T3_mT4_P12ihipStream_tbEUlT_E_NS1_11comp_targetILNS1_3genE8ELNS1_11target_archE1030ELNS1_3gpuE2ELNS1_3repE0EEENS1_30default_config_static_selectorELNS0_4arch9wavefront6targetE1EEEvT1_.uses_flat_scratch, 0
	.set _ZN7rocprim17ROCPRIM_400000_NS6detail17trampoline_kernelINS0_14default_configENS1_35adjacent_difference_config_selectorILb1EdEEZNS1_24adjacent_difference_implIS3_Lb1ELb0EPdS7_N6thrust23THRUST_200600_302600_NS4plusIdEEEE10hipError_tPvRmT2_T3_mT4_P12ihipStream_tbEUlT_E_NS1_11comp_targetILNS1_3genE8ELNS1_11target_archE1030ELNS1_3gpuE2ELNS1_3repE0EEENS1_30default_config_static_selectorELNS0_4arch9wavefront6targetE1EEEvT1_.has_dyn_sized_stack, 0
	.set _ZN7rocprim17ROCPRIM_400000_NS6detail17trampoline_kernelINS0_14default_configENS1_35adjacent_difference_config_selectorILb1EdEEZNS1_24adjacent_difference_implIS3_Lb1ELb0EPdS7_N6thrust23THRUST_200600_302600_NS4plusIdEEEE10hipError_tPvRmT2_T3_mT4_P12ihipStream_tbEUlT_E_NS1_11comp_targetILNS1_3genE8ELNS1_11target_archE1030ELNS1_3gpuE2ELNS1_3repE0EEENS1_30default_config_static_selectorELNS0_4arch9wavefront6targetE1EEEvT1_.has_recursion, 0
	.set _ZN7rocprim17ROCPRIM_400000_NS6detail17trampoline_kernelINS0_14default_configENS1_35adjacent_difference_config_selectorILb1EdEEZNS1_24adjacent_difference_implIS3_Lb1ELb0EPdS7_N6thrust23THRUST_200600_302600_NS4plusIdEEEE10hipError_tPvRmT2_T3_mT4_P12ihipStream_tbEUlT_E_NS1_11comp_targetILNS1_3genE8ELNS1_11target_archE1030ELNS1_3gpuE2ELNS1_3repE0EEENS1_30default_config_static_selectorELNS0_4arch9wavefront6targetE1EEEvT1_.has_indirect_call, 0
	.section	.AMDGPU.csdata,"",@progbits
; Kernel info:
; codeLenInByte = 0
; TotalNumSgprs: 4
; NumVgprs: 0
; ScratchSize: 0
; MemoryBound: 0
; FloatMode: 240
; IeeeMode: 1
; LDSByteSize: 0 bytes/workgroup (compile time only)
; SGPRBlocks: 0
; VGPRBlocks: 0
; NumSGPRsForWavesPerEU: 4
; NumVGPRsForWavesPerEU: 1
; Occupancy: 10
; WaveLimiterHint : 0
; COMPUTE_PGM_RSRC2:SCRATCH_EN: 0
; COMPUTE_PGM_RSRC2:USER_SGPR: 6
; COMPUTE_PGM_RSRC2:TRAP_HANDLER: 0
; COMPUTE_PGM_RSRC2:TGID_X_EN: 1
; COMPUTE_PGM_RSRC2:TGID_Y_EN: 0
; COMPUTE_PGM_RSRC2:TGID_Z_EN: 0
; COMPUTE_PGM_RSRC2:TIDIG_COMP_CNT: 0
	.section	.text._ZN6thrust23THRUST_200600_302600_NS11hip_rocprim14__parallel_for6kernelILj256ENS1_20__uninitialized_fill7functorINS0_10device_ptrIfEEfEEmLj1EEEvT0_T1_SA_,"axG",@progbits,_ZN6thrust23THRUST_200600_302600_NS11hip_rocprim14__parallel_for6kernelILj256ENS1_20__uninitialized_fill7functorINS0_10device_ptrIfEEfEEmLj1EEEvT0_T1_SA_,comdat
	.protected	_ZN6thrust23THRUST_200600_302600_NS11hip_rocprim14__parallel_for6kernelILj256ENS1_20__uninitialized_fill7functorINS0_10device_ptrIfEEfEEmLj1EEEvT0_T1_SA_ ; -- Begin function _ZN6thrust23THRUST_200600_302600_NS11hip_rocprim14__parallel_for6kernelILj256ENS1_20__uninitialized_fill7functorINS0_10device_ptrIfEEfEEmLj1EEEvT0_T1_SA_
	.globl	_ZN6thrust23THRUST_200600_302600_NS11hip_rocprim14__parallel_for6kernelILj256ENS1_20__uninitialized_fill7functorINS0_10device_ptrIfEEfEEmLj1EEEvT0_T1_SA_
	.p2align	8
	.type	_ZN6thrust23THRUST_200600_302600_NS11hip_rocprim14__parallel_for6kernelILj256ENS1_20__uninitialized_fill7functorINS0_10device_ptrIfEEfEEmLj1EEEvT0_T1_SA_,@function
_ZN6thrust23THRUST_200600_302600_NS11hip_rocprim14__parallel_for6kernelILj256ENS1_20__uninitialized_fill7functorINS0_10device_ptrIfEEfEEmLj1EEEvT0_T1_SA_: ; @_ZN6thrust23THRUST_200600_302600_NS11hip_rocprim14__parallel_for6kernelILj256ENS1_20__uninitialized_fill7functorINS0_10device_ptrIfEEfEEmLj1EEEvT0_T1_SA_
; %bb.0:
	s_load_dwordx4 s[12:15], s[4:5], 0x10
	s_load_dwordx2 s[0:1], s[4:5], 0x0
	s_load_dword s8, s[4:5], 0x8
	s_lshl_b32 s2, s6, 8
	v_mov_b32_e32 v1, 0xff
	s_waitcnt lgkmcnt(0)
	s_add_u32 s2, s14, s2
	s_addc_u32 s3, s15, 0
	s_sub_u32 s4, s12, s2
	v_mov_b32_e32 v2, 0
	s_subb_u32 s5, s13, s3
	v_cmp_gt_u64_e32 vcc, s[4:5], v[1:2]
	s_mov_b64 s[6:7], -1
	s_cbranch_vccz .LBB52_3
; %bb.1:
	s_andn2_b64 vcc, exec, s[6:7]
	s_cbranch_vccz .LBB52_6
.LBB52_2:
	s_endpgm
.LBB52_3:
	v_cmp_gt_u32_e32 vcc, s4, v0
	s_and_saveexec_b64 s[4:5], vcc
	s_cbranch_execz .LBB52_5
; %bb.4:
	s_lshl_b64 s[6:7], s[2:3], 2
	s_add_u32 s6, s0, s6
	s_addc_u32 s7, s1, s7
	v_lshlrev_b32_e32 v1, 2, v0
	v_mov_b32_e32 v2, s7
	v_add_co_u32_e32 v1, vcc, s6, v1
	v_addc_co_u32_e32 v2, vcc, 0, v2, vcc
	v_mov_b32_e32 v3, s8
	flat_store_dword v[1:2], v3
.LBB52_5:
	s_or_b64 exec, exec, s[4:5]
	s_cbranch_execnz .LBB52_2
.LBB52_6:
	s_lshl_b64 s[2:3], s[2:3], 2
	s_add_u32 s0, s0, s2
	s_addc_u32 s1, s1, s3
	v_lshlrev_b32_e32 v0, 2, v0
	v_mov_b32_e32 v1, s1
	v_add_co_u32_e32 v0, vcc, s0, v0
	v_addc_co_u32_e32 v1, vcc, 0, v1, vcc
	v_mov_b32_e32 v2, s8
	flat_store_dword v[0:1], v2
	s_endpgm
	.section	.rodata,"a",@progbits
	.p2align	6, 0x0
	.amdhsa_kernel _ZN6thrust23THRUST_200600_302600_NS11hip_rocprim14__parallel_for6kernelILj256ENS1_20__uninitialized_fill7functorINS0_10device_ptrIfEEfEEmLj1EEEvT0_T1_SA_
		.amdhsa_group_segment_fixed_size 0
		.amdhsa_private_segment_fixed_size 0
		.amdhsa_kernarg_size 32
		.amdhsa_user_sgpr_count 6
		.amdhsa_user_sgpr_private_segment_buffer 1
		.amdhsa_user_sgpr_dispatch_ptr 0
		.amdhsa_user_sgpr_queue_ptr 0
		.amdhsa_user_sgpr_kernarg_segment_ptr 1
		.amdhsa_user_sgpr_dispatch_id 0
		.amdhsa_user_sgpr_flat_scratch_init 0
		.amdhsa_user_sgpr_private_segment_size 0
		.amdhsa_uses_dynamic_stack 0
		.amdhsa_system_sgpr_private_segment_wavefront_offset 0
		.amdhsa_system_sgpr_workgroup_id_x 1
		.amdhsa_system_sgpr_workgroup_id_y 0
		.amdhsa_system_sgpr_workgroup_id_z 0
		.amdhsa_system_sgpr_workgroup_info 0
		.amdhsa_system_vgpr_workitem_id 0
		.amdhsa_next_free_vgpr 4
		.amdhsa_next_free_sgpr 16
		.amdhsa_reserve_vcc 1
		.amdhsa_reserve_flat_scratch 0
		.amdhsa_float_round_mode_32 0
		.amdhsa_float_round_mode_16_64 0
		.amdhsa_float_denorm_mode_32 3
		.amdhsa_float_denorm_mode_16_64 3
		.amdhsa_dx10_clamp 1
		.amdhsa_ieee_mode 1
		.amdhsa_fp16_overflow 0
		.amdhsa_exception_fp_ieee_invalid_op 0
		.amdhsa_exception_fp_denorm_src 0
		.amdhsa_exception_fp_ieee_div_zero 0
		.amdhsa_exception_fp_ieee_overflow 0
		.amdhsa_exception_fp_ieee_underflow 0
		.amdhsa_exception_fp_ieee_inexact 0
		.amdhsa_exception_int_div_zero 0
	.end_amdhsa_kernel
	.section	.text._ZN6thrust23THRUST_200600_302600_NS11hip_rocprim14__parallel_for6kernelILj256ENS1_20__uninitialized_fill7functorINS0_10device_ptrIfEEfEEmLj1EEEvT0_T1_SA_,"axG",@progbits,_ZN6thrust23THRUST_200600_302600_NS11hip_rocprim14__parallel_for6kernelILj256ENS1_20__uninitialized_fill7functorINS0_10device_ptrIfEEfEEmLj1EEEvT0_T1_SA_,comdat
.Lfunc_end52:
	.size	_ZN6thrust23THRUST_200600_302600_NS11hip_rocprim14__parallel_for6kernelILj256ENS1_20__uninitialized_fill7functorINS0_10device_ptrIfEEfEEmLj1EEEvT0_T1_SA_, .Lfunc_end52-_ZN6thrust23THRUST_200600_302600_NS11hip_rocprim14__parallel_for6kernelILj256ENS1_20__uninitialized_fill7functorINS0_10device_ptrIfEEfEEmLj1EEEvT0_T1_SA_
                                        ; -- End function
	.set _ZN6thrust23THRUST_200600_302600_NS11hip_rocprim14__parallel_for6kernelILj256ENS1_20__uninitialized_fill7functorINS0_10device_ptrIfEEfEEmLj1EEEvT0_T1_SA_.num_vgpr, 4
	.set _ZN6thrust23THRUST_200600_302600_NS11hip_rocprim14__parallel_for6kernelILj256ENS1_20__uninitialized_fill7functorINS0_10device_ptrIfEEfEEmLj1EEEvT0_T1_SA_.num_agpr, 0
	.set _ZN6thrust23THRUST_200600_302600_NS11hip_rocprim14__parallel_for6kernelILj256ENS1_20__uninitialized_fill7functorINS0_10device_ptrIfEEfEEmLj1EEEvT0_T1_SA_.numbered_sgpr, 16
	.set _ZN6thrust23THRUST_200600_302600_NS11hip_rocprim14__parallel_for6kernelILj256ENS1_20__uninitialized_fill7functorINS0_10device_ptrIfEEfEEmLj1EEEvT0_T1_SA_.num_named_barrier, 0
	.set _ZN6thrust23THRUST_200600_302600_NS11hip_rocprim14__parallel_for6kernelILj256ENS1_20__uninitialized_fill7functorINS0_10device_ptrIfEEfEEmLj1EEEvT0_T1_SA_.private_seg_size, 0
	.set _ZN6thrust23THRUST_200600_302600_NS11hip_rocprim14__parallel_for6kernelILj256ENS1_20__uninitialized_fill7functorINS0_10device_ptrIfEEfEEmLj1EEEvT0_T1_SA_.uses_vcc, 1
	.set _ZN6thrust23THRUST_200600_302600_NS11hip_rocprim14__parallel_for6kernelILj256ENS1_20__uninitialized_fill7functorINS0_10device_ptrIfEEfEEmLj1EEEvT0_T1_SA_.uses_flat_scratch, 0
	.set _ZN6thrust23THRUST_200600_302600_NS11hip_rocprim14__parallel_for6kernelILj256ENS1_20__uninitialized_fill7functorINS0_10device_ptrIfEEfEEmLj1EEEvT0_T1_SA_.has_dyn_sized_stack, 0
	.set _ZN6thrust23THRUST_200600_302600_NS11hip_rocprim14__parallel_for6kernelILj256ENS1_20__uninitialized_fill7functorINS0_10device_ptrIfEEfEEmLj1EEEvT0_T1_SA_.has_recursion, 0
	.set _ZN6thrust23THRUST_200600_302600_NS11hip_rocprim14__parallel_for6kernelILj256ENS1_20__uninitialized_fill7functorINS0_10device_ptrIfEEfEEmLj1EEEvT0_T1_SA_.has_indirect_call, 0
	.section	.AMDGPU.csdata,"",@progbits
; Kernel info:
; codeLenInByte = 188
; TotalNumSgprs: 20
; NumVgprs: 4
; ScratchSize: 0
; MemoryBound: 0
; FloatMode: 240
; IeeeMode: 1
; LDSByteSize: 0 bytes/workgroup (compile time only)
; SGPRBlocks: 2
; VGPRBlocks: 0
; NumSGPRsForWavesPerEU: 20
; NumVGPRsForWavesPerEU: 4
; Occupancy: 10
; WaveLimiterHint : 0
; COMPUTE_PGM_RSRC2:SCRATCH_EN: 0
; COMPUTE_PGM_RSRC2:USER_SGPR: 6
; COMPUTE_PGM_RSRC2:TRAP_HANDLER: 0
; COMPUTE_PGM_RSRC2:TGID_X_EN: 1
; COMPUTE_PGM_RSRC2:TGID_Y_EN: 0
; COMPUTE_PGM_RSRC2:TGID_Z_EN: 0
; COMPUTE_PGM_RSRC2:TIDIG_COMP_CNT: 0
	.section	.text._ZN7rocprim17ROCPRIM_400000_NS6detail17trampoline_kernelINS0_14default_configENS1_35adjacent_difference_config_selectorILb0EfEEZNS1_24adjacent_difference_implIS3_Lb0ELb0EPfS7_N6thrust23THRUST_200600_302600_NS5minusIfEEEE10hipError_tPvRmT2_T3_mT4_P12ihipStream_tbEUlT_E_NS1_11comp_targetILNS1_3genE0ELNS1_11target_archE4294967295ELNS1_3gpuE0ELNS1_3repE0EEENS1_30default_config_static_selectorELNS0_4arch9wavefront6targetE1EEEvT1_,"axG",@progbits,_ZN7rocprim17ROCPRIM_400000_NS6detail17trampoline_kernelINS0_14default_configENS1_35adjacent_difference_config_selectorILb0EfEEZNS1_24adjacent_difference_implIS3_Lb0ELb0EPfS7_N6thrust23THRUST_200600_302600_NS5minusIfEEEE10hipError_tPvRmT2_T3_mT4_P12ihipStream_tbEUlT_E_NS1_11comp_targetILNS1_3genE0ELNS1_11target_archE4294967295ELNS1_3gpuE0ELNS1_3repE0EEENS1_30default_config_static_selectorELNS0_4arch9wavefront6targetE1EEEvT1_,comdat
	.protected	_ZN7rocprim17ROCPRIM_400000_NS6detail17trampoline_kernelINS0_14default_configENS1_35adjacent_difference_config_selectorILb0EfEEZNS1_24adjacent_difference_implIS3_Lb0ELb0EPfS7_N6thrust23THRUST_200600_302600_NS5minusIfEEEE10hipError_tPvRmT2_T3_mT4_P12ihipStream_tbEUlT_E_NS1_11comp_targetILNS1_3genE0ELNS1_11target_archE4294967295ELNS1_3gpuE0ELNS1_3repE0EEENS1_30default_config_static_selectorELNS0_4arch9wavefront6targetE1EEEvT1_ ; -- Begin function _ZN7rocprim17ROCPRIM_400000_NS6detail17trampoline_kernelINS0_14default_configENS1_35adjacent_difference_config_selectorILb0EfEEZNS1_24adjacent_difference_implIS3_Lb0ELb0EPfS7_N6thrust23THRUST_200600_302600_NS5minusIfEEEE10hipError_tPvRmT2_T3_mT4_P12ihipStream_tbEUlT_E_NS1_11comp_targetILNS1_3genE0ELNS1_11target_archE4294967295ELNS1_3gpuE0ELNS1_3repE0EEENS1_30default_config_static_selectorELNS0_4arch9wavefront6targetE1EEEvT1_
	.globl	_ZN7rocprim17ROCPRIM_400000_NS6detail17trampoline_kernelINS0_14default_configENS1_35adjacent_difference_config_selectorILb0EfEEZNS1_24adjacent_difference_implIS3_Lb0ELb0EPfS7_N6thrust23THRUST_200600_302600_NS5minusIfEEEE10hipError_tPvRmT2_T3_mT4_P12ihipStream_tbEUlT_E_NS1_11comp_targetILNS1_3genE0ELNS1_11target_archE4294967295ELNS1_3gpuE0ELNS1_3repE0EEENS1_30default_config_static_selectorELNS0_4arch9wavefront6targetE1EEEvT1_
	.p2align	8
	.type	_ZN7rocprim17ROCPRIM_400000_NS6detail17trampoline_kernelINS0_14default_configENS1_35adjacent_difference_config_selectorILb0EfEEZNS1_24adjacent_difference_implIS3_Lb0ELb0EPfS7_N6thrust23THRUST_200600_302600_NS5minusIfEEEE10hipError_tPvRmT2_T3_mT4_P12ihipStream_tbEUlT_E_NS1_11comp_targetILNS1_3genE0ELNS1_11target_archE4294967295ELNS1_3gpuE0ELNS1_3repE0EEENS1_30default_config_static_selectorELNS0_4arch9wavefront6targetE1EEEvT1_,@function
_ZN7rocprim17ROCPRIM_400000_NS6detail17trampoline_kernelINS0_14default_configENS1_35adjacent_difference_config_selectorILb0EfEEZNS1_24adjacent_difference_implIS3_Lb0ELb0EPfS7_N6thrust23THRUST_200600_302600_NS5minusIfEEEE10hipError_tPvRmT2_T3_mT4_P12ihipStream_tbEUlT_E_NS1_11comp_targetILNS1_3genE0ELNS1_11target_archE4294967295ELNS1_3gpuE0ELNS1_3repE0EEENS1_30default_config_static_selectorELNS0_4arch9wavefront6targetE1EEEvT1_: ; @_ZN7rocprim17ROCPRIM_400000_NS6detail17trampoline_kernelINS0_14default_configENS1_35adjacent_difference_config_selectorILb0EfEEZNS1_24adjacent_difference_implIS3_Lb0ELb0EPfS7_N6thrust23THRUST_200600_302600_NS5minusIfEEEE10hipError_tPvRmT2_T3_mT4_P12ihipStream_tbEUlT_E_NS1_11comp_targetILNS1_3genE0ELNS1_11target_archE4294967295ELNS1_3gpuE0ELNS1_3repE0EEENS1_30default_config_static_selectorELNS0_4arch9wavefront6targetE1EEEvT1_
; %bb.0:
	.section	.rodata,"a",@progbits
	.p2align	6, 0x0
	.amdhsa_kernel _ZN7rocprim17ROCPRIM_400000_NS6detail17trampoline_kernelINS0_14default_configENS1_35adjacent_difference_config_selectorILb0EfEEZNS1_24adjacent_difference_implIS3_Lb0ELb0EPfS7_N6thrust23THRUST_200600_302600_NS5minusIfEEEE10hipError_tPvRmT2_T3_mT4_P12ihipStream_tbEUlT_E_NS1_11comp_targetILNS1_3genE0ELNS1_11target_archE4294967295ELNS1_3gpuE0ELNS1_3repE0EEENS1_30default_config_static_selectorELNS0_4arch9wavefront6targetE1EEEvT1_
		.amdhsa_group_segment_fixed_size 0
		.amdhsa_private_segment_fixed_size 0
		.amdhsa_kernarg_size 56
		.amdhsa_user_sgpr_count 6
		.amdhsa_user_sgpr_private_segment_buffer 1
		.amdhsa_user_sgpr_dispatch_ptr 0
		.amdhsa_user_sgpr_queue_ptr 0
		.amdhsa_user_sgpr_kernarg_segment_ptr 1
		.amdhsa_user_sgpr_dispatch_id 0
		.amdhsa_user_sgpr_flat_scratch_init 0
		.amdhsa_user_sgpr_private_segment_size 0
		.amdhsa_uses_dynamic_stack 0
		.amdhsa_system_sgpr_private_segment_wavefront_offset 0
		.amdhsa_system_sgpr_workgroup_id_x 1
		.amdhsa_system_sgpr_workgroup_id_y 0
		.amdhsa_system_sgpr_workgroup_id_z 0
		.amdhsa_system_sgpr_workgroup_info 0
		.amdhsa_system_vgpr_workitem_id 0
		.amdhsa_next_free_vgpr 1
		.amdhsa_next_free_sgpr 0
		.amdhsa_reserve_vcc 0
		.amdhsa_reserve_flat_scratch 0
		.amdhsa_float_round_mode_32 0
		.amdhsa_float_round_mode_16_64 0
		.amdhsa_float_denorm_mode_32 3
		.amdhsa_float_denorm_mode_16_64 3
		.amdhsa_dx10_clamp 1
		.amdhsa_ieee_mode 1
		.amdhsa_fp16_overflow 0
		.amdhsa_exception_fp_ieee_invalid_op 0
		.amdhsa_exception_fp_denorm_src 0
		.amdhsa_exception_fp_ieee_div_zero 0
		.amdhsa_exception_fp_ieee_overflow 0
		.amdhsa_exception_fp_ieee_underflow 0
		.amdhsa_exception_fp_ieee_inexact 0
		.amdhsa_exception_int_div_zero 0
	.end_amdhsa_kernel
	.section	.text._ZN7rocprim17ROCPRIM_400000_NS6detail17trampoline_kernelINS0_14default_configENS1_35adjacent_difference_config_selectorILb0EfEEZNS1_24adjacent_difference_implIS3_Lb0ELb0EPfS7_N6thrust23THRUST_200600_302600_NS5minusIfEEEE10hipError_tPvRmT2_T3_mT4_P12ihipStream_tbEUlT_E_NS1_11comp_targetILNS1_3genE0ELNS1_11target_archE4294967295ELNS1_3gpuE0ELNS1_3repE0EEENS1_30default_config_static_selectorELNS0_4arch9wavefront6targetE1EEEvT1_,"axG",@progbits,_ZN7rocprim17ROCPRIM_400000_NS6detail17trampoline_kernelINS0_14default_configENS1_35adjacent_difference_config_selectorILb0EfEEZNS1_24adjacent_difference_implIS3_Lb0ELb0EPfS7_N6thrust23THRUST_200600_302600_NS5minusIfEEEE10hipError_tPvRmT2_T3_mT4_P12ihipStream_tbEUlT_E_NS1_11comp_targetILNS1_3genE0ELNS1_11target_archE4294967295ELNS1_3gpuE0ELNS1_3repE0EEENS1_30default_config_static_selectorELNS0_4arch9wavefront6targetE1EEEvT1_,comdat
.Lfunc_end53:
	.size	_ZN7rocprim17ROCPRIM_400000_NS6detail17trampoline_kernelINS0_14default_configENS1_35adjacent_difference_config_selectorILb0EfEEZNS1_24adjacent_difference_implIS3_Lb0ELb0EPfS7_N6thrust23THRUST_200600_302600_NS5minusIfEEEE10hipError_tPvRmT2_T3_mT4_P12ihipStream_tbEUlT_E_NS1_11comp_targetILNS1_3genE0ELNS1_11target_archE4294967295ELNS1_3gpuE0ELNS1_3repE0EEENS1_30default_config_static_selectorELNS0_4arch9wavefront6targetE1EEEvT1_, .Lfunc_end53-_ZN7rocprim17ROCPRIM_400000_NS6detail17trampoline_kernelINS0_14default_configENS1_35adjacent_difference_config_selectorILb0EfEEZNS1_24adjacent_difference_implIS3_Lb0ELb0EPfS7_N6thrust23THRUST_200600_302600_NS5minusIfEEEE10hipError_tPvRmT2_T3_mT4_P12ihipStream_tbEUlT_E_NS1_11comp_targetILNS1_3genE0ELNS1_11target_archE4294967295ELNS1_3gpuE0ELNS1_3repE0EEENS1_30default_config_static_selectorELNS0_4arch9wavefront6targetE1EEEvT1_
                                        ; -- End function
	.set _ZN7rocprim17ROCPRIM_400000_NS6detail17trampoline_kernelINS0_14default_configENS1_35adjacent_difference_config_selectorILb0EfEEZNS1_24adjacent_difference_implIS3_Lb0ELb0EPfS7_N6thrust23THRUST_200600_302600_NS5minusIfEEEE10hipError_tPvRmT2_T3_mT4_P12ihipStream_tbEUlT_E_NS1_11comp_targetILNS1_3genE0ELNS1_11target_archE4294967295ELNS1_3gpuE0ELNS1_3repE0EEENS1_30default_config_static_selectorELNS0_4arch9wavefront6targetE1EEEvT1_.num_vgpr, 0
	.set _ZN7rocprim17ROCPRIM_400000_NS6detail17trampoline_kernelINS0_14default_configENS1_35adjacent_difference_config_selectorILb0EfEEZNS1_24adjacent_difference_implIS3_Lb0ELb0EPfS7_N6thrust23THRUST_200600_302600_NS5minusIfEEEE10hipError_tPvRmT2_T3_mT4_P12ihipStream_tbEUlT_E_NS1_11comp_targetILNS1_3genE0ELNS1_11target_archE4294967295ELNS1_3gpuE0ELNS1_3repE0EEENS1_30default_config_static_selectorELNS0_4arch9wavefront6targetE1EEEvT1_.num_agpr, 0
	.set _ZN7rocprim17ROCPRIM_400000_NS6detail17trampoline_kernelINS0_14default_configENS1_35adjacent_difference_config_selectorILb0EfEEZNS1_24adjacent_difference_implIS3_Lb0ELb0EPfS7_N6thrust23THRUST_200600_302600_NS5minusIfEEEE10hipError_tPvRmT2_T3_mT4_P12ihipStream_tbEUlT_E_NS1_11comp_targetILNS1_3genE0ELNS1_11target_archE4294967295ELNS1_3gpuE0ELNS1_3repE0EEENS1_30default_config_static_selectorELNS0_4arch9wavefront6targetE1EEEvT1_.numbered_sgpr, 0
	.set _ZN7rocprim17ROCPRIM_400000_NS6detail17trampoline_kernelINS0_14default_configENS1_35adjacent_difference_config_selectorILb0EfEEZNS1_24adjacent_difference_implIS3_Lb0ELb0EPfS7_N6thrust23THRUST_200600_302600_NS5minusIfEEEE10hipError_tPvRmT2_T3_mT4_P12ihipStream_tbEUlT_E_NS1_11comp_targetILNS1_3genE0ELNS1_11target_archE4294967295ELNS1_3gpuE0ELNS1_3repE0EEENS1_30default_config_static_selectorELNS0_4arch9wavefront6targetE1EEEvT1_.num_named_barrier, 0
	.set _ZN7rocprim17ROCPRIM_400000_NS6detail17trampoline_kernelINS0_14default_configENS1_35adjacent_difference_config_selectorILb0EfEEZNS1_24adjacent_difference_implIS3_Lb0ELb0EPfS7_N6thrust23THRUST_200600_302600_NS5minusIfEEEE10hipError_tPvRmT2_T3_mT4_P12ihipStream_tbEUlT_E_NS1_11comp_targetILNS1_3genE0ELNS1_11target_archE4294967295ELNS1_3gpuE0ELNS1_3repE0EEENS1_30default_config_static_selectorELNS0_4arch9wavefront6targetE1EEEvT1_.private_seg_size, 0
	.set _ZN7rocprim17ROCPRIM_400000_NS6detail17trampoline_kernelINS0_14default_configENS1_35adjacent_difference_config_selectorILb0EfEEZNS1_24adjacent_difference_implIS3_Lb0ELb0EPfS7_N6thrust23THRUST_200600_302600_NS5minusIfEEEE10hipError_tPvRmT2_T3_mT4_P12ihipStream_tbEUlT_E_NS1_11comp_targetILNS1_3genE0ELNS1_11target_archE4294967295ELNS1_3gpuE0ELNS1_3repE0EEENS1_30default_config_static_selectorELNS0_4arch9wavefront6targetE1EEEvT1_.uses_vcc, 0
	.set _ZN7rocprim17ROCPRIM_400000_NS6detail17trampoline_kernelINS0_14default_configENS1_35adjacent_difference_config_selectorILb0EfEEZNS1_24adjacent_difference_implIS3_Lb0ELb0EPfS7_N6thrust23THRUST_200600_302600_NS5minusIfEEEE10hipError_tPvRmT2_T3_mT4_P12ihipStream_tbEUlT_E_NS1_11comp_targetILNS1_3genE0ELNS1_11target_archE4294967295ELNS1_3gpuE0ELNS1_3repE0EEENS1_30default_config_static_selectorELNS0_4arch9wavefront6targetE1EEEvT1_.uses_flat_scratch, 0
	.set _ZN7rocprim17ROCPRIM_400000_NS6detail17trampoline_kernelINS0_14default_configENS1_35adjacent_difference_config_selectorILb0EfEEZNS1_24adjacent_difference_implIS3_Lb0ELb0EPfS7_N6thrust23THRUST_200600_302600_NS5minusIfEEEE10hipError_tPvRmT2_T3_mT4_P12ihipStream_tbEUlT_E_NS1_11comp_targetILNS1_3genE0ELNS1_11target_archE4294967295ELNS1_3gpuE0ELNS1_3repE0EEENS1_30default_config_static_selectorELNS0_4arch9wavefront6targetE1EEEvT1_.has_dyn_sized_stack, 0
	.set _ZN7rocprim17ROCPRIM_400000_NS6detail17trampoline_kernelINS0_14default_configENS1_35adjacent_difference_config_selectorILb0EfEEZNS1_24adjacent_difference_implIS3_Lb0ELb0EPfS7_N6thrust23THRUST_200600_302600_NS5minusIfEEEE10hipError_tPvRmT2_T3_mT4_P12ihipStream_tbEUlT_E_NS1_11comp_targetILNS1_3genE0ELNS1_11target_archE4294967295ELNS1_3gpuE0ELNS1_3repE0EEENS1_30default_config_static_selectorELNS0_4arch9wavefront6targetE1EEEvT1_.has_recursion, 0
	.set _ZN7rocprim17ROCPRIM_400000_NS6detail17trampoline_kernelINS0_14default_configENS1_35adjacent_difference_config_selectorILb0EfEEZNS1_24adjacent_difference_implIS3_Lb0ELb0EPfS7_N6thrust23THRUST_200600_302600_NS5minusIfEEEE10hipError_tPvRmT2_T3_mT4_P12ihipStream_tbEUlT_E_NS1_11comp_targetILNS1_3genE0ELNS1_11target_archE4294967295ELNS1_3gpuE0ELNS1_3repE0EEENS1_30default_config_static_selectorELNS0_4arch9wavefront6targetE1EEEvT1_.has_indirect_call, 0
	.section	.AMDGPU.csdata,"",@progbits
; Kernel info:
; codeLenInByte = 0
; TotalNumSgprs: 4
; NumVgprs: 0
; ScratchSize: 0
; MemoryBound: 0
; FloatMode: 240
; IeeeMode: 1
; LDSByteSize: 0 bytes/workgroup (compile time only)
; SGPRBlocks: 0
; VGPRBlocks: 0
; NumSGPRsForWavesPerEU: 4
; NumVGPRsForWavesPerEU: 1
; Occupancy: 10
; WaveLimiterHint : 0
; COMPUTE_PGM_RSRC2:SCRATCH_EN: 0
; COMPUTE_PGM_RSRC2:USER_SGPR: 6
; COMPUTE_PGM_RSRC2:TRAP_HANDLER: 0
; COMPUTE_PGM_RSRC2:TGID_X_EN: 1
; COMPUTE_PGM_RSRC2:TGID_Y_EN: 0
; COMPUTE_PGM_RSRC2:TGID_Z_EN: 0
; COMPUTE_PGM_RSRC2:TIDIG_COMP_CNT: 0
	.section	.text._ZN7rocprim17ROCPRIM_400000_NS6detail17trampoline_kernelINS0_14default_configENS1_35adjacent_difference_config_selectorILb0EfEEZNS1_24adjacent_difference_implIS3_Lb0ELb0EPfS7_N6thrust23THRUST_200600_302600_NS5minusIfEEEE10hipError_tPvRmT2_T3_mT4_P12ihipStream_tbEUlT_E_NS1_11comp_targetILNS1_3genE10ELNS1_11target_archE1201ELNS1_3gpuE5ELNS1_3repE0EEENS1_30default_config_static_selectorELNS0_4arch9wavefront6targetE1EEEvT1_,"axG",@progbits,_ZN7rocprim17ROCPRIM_400000_NS6detail17trampoline_kernelINS0_14default_configENS1_35adjacent_difference_config_selectorILb0EfEEZNS1_24adjacent_difference_implIS3_Lb0ELb0EPfS7_N6thrust23THRUST_200600_302600_NS5minusIfEEEE10hipError_tPvRmT2_T3_mT4_P12ihipStream_tbEUlT_E_NS1_11comp_targetILNS1_3genE10ELNS1_11target_archE1201ELNS1_3gpuE5ELNS1_3repE0EEENS1_30default_config_static_selectorELNS0_4arch9wavefront6targetE1EEEvT1_,comdat
	.protected	_ZN7rocprim17ROCPRIM_400000_NS6detail17trampoline_kernelINS0_14default_configENS1_35adjacent_difference_config_selectorILb0EfEEZNS1_24adjacent_difference_implIS3_Lb0ELb0EPfS7_N6thrust23THRUST_200600_302600_NS5minusIfEEEE10hipError_tPvRmT2_T3_mT4_P12ihipStream_tbEUlT_E_NS1_11comp_targetILNS1_3genE10ELNS1_11target_archE1201ELNS1_3gpuE5ELNS1_3repE0EEENS1_30default_config_static_selectorELNS0_4arch9wavefront6targetE1EEEvT1_ ; -- Begin function _ZN7rocprim17ROCPRIM_400000_NS6detail17trampoline_kernelINS0_14default_configENS1_35adjacent_difference_config_selectorILb0EfEEZNS1_24adjacent_difference_implIS3_Lb0ELb0EPfS7_N6thrust23THRUST_200600_302600_NS5minusIfEEEE10hipError_tPvRmT2_T3_mT4_P12ihipStream_tbEUlT_E_NS1_11comp_targetILNS1_3genE10ELNS1_11target_archE1201ELNS1_3gpuE5ELNS1_3repE0EEENS1_30default_config_static_selectorELNS0_4arch9wavefront6targetE1EEEvT1_
	.globl	_ZN7rocprim17ROCPRIM_400000_NS6detail17trampoline_kernelINS0_14default_configENS1_35adjacent_difference_config_selectorILb0EfEEZNS1_24adjacent_difference_implIS3_Lb0ELb0EPfS7_N6thrust23THRUST_200600_302600_NS5minusIfEEEE10hipError_tPvRmT2_T3_mT4_P12ihipStream_tbEUlT_E_NS1_11comp_targetILNS1_3genE10ELNS1_11target_archE1201ELNS1_3gpuE5ELNS1_3repE0EEENS1_30default_config_static_selectorELNS0_4arch9wavefront6targetE1EEEvT1_
	.p2align	8
	.type	_ZN7rocprim17ROCPRIM_400000_NS6detail17trampoline_kernelINS0_14default_configENS1_35adjacent_difference_config_selectorILb0EfEEZNS1_24adjacent_difference_implIS3_Lb0ELb0EPfS7_N6thrust23THRUST_200600_302600_NS5minusIfEEEE10hipError_tPvRmT2_T3_mT4_P12ihipStream_tbEUlT_E_NS1_11comp_targetILNS1_3genE10ELNS1_11target_archE1201ELNS1_3gpuE5ELNS1_3repE0EEENS1_30default_config_static_selectorELNS0_4arch9wavefront6targetE1EEEvT1_,@function
_ZN7rocprim17ROCPRIM_400000_NS6detail17trampoline_kernelINS0_14default_configENS1_35adjacent_difference_config_selectorILb0EfEEZNS1_24adjacent_difference_implIS3_Lb0ELb0EPfS7_N6thrust23THRUST_200600_302600_NS5minusIfEEEE10hipError_tPvRmT2_T3_mT4_P12ihipStream_tbEUlT_E_NS1_11comp_targetILNS1_3genE10ELNS1_11target_archE1201ELNS1_3gpuE5ELNS1_3repE0EEENS1_30default_config_static_selectorELNS0_4arch9wavefront6targetE1EEEvT1_: ; @_ZN7rocprim17ROCPRIM_400000_NS6detail17trampoline_kernelINS0_14default_configENS1_35adjacent_difference_config_selectorILb0EfEEZNS1_24adjacent_difference_implIS3_Lb0ELb0EPfS7_N6thrust23THRUST_200600_302600_NS5minusIfEEEE10hipError_tPvRmT2_T3_mT4_P12ihipStream_tbEUlT_E_NS1_11comp_targetILNS1_3genE10ELNS1_11target_archE1201ELNS1_3gpuE5ELNS1_3repE0EEENS1_30default_config_static_selectorELNS0_4arch9wavefront6targetE1EEEvT1_
; %bb.0:
	.section	.rodata,"a",@progbits
	.p2align	6, 0x0
	.amdhsa_kernel _ZN7rocprim17ROCPRIM_400000_NS6detail17trampoline_kernelINS0_14default_configENS1_35adjacent_difference_config_selectorILb0EfEEZNS1_24adjacent_difference_implIS3_Lb0ELb0EPfS7_N6thrust23THRUST_200600_302600_NS5minusIfEEEE10hipError_tPvRmT2_T3_mT4_P12ihipStream_tbEUlT_E_NS1_11comp_targetILNS1_3genE10ELNS1_11target_archE1201ELNS1_3gpuE5ELNS1_3repE0EEENS1_30default_config_static_selectorELNS0_4arch9wavefront6targetE1EEEvT1_
		.amdhsa_group_segment_fixed_size 0
		.amdhsa_private_segment_fixed_size 0
		.amdhsa_kernarg_size 56
		.amdhsa_user_sgpr_count 6
		.amdhsa_user_sgpr_private_segment_buffer 1
		.amdhsa_user_sgpr_dispatch_ptr 0
		.amdhsa_user_sgpr_queue_ptr 0
		.amdhsa_user_sgpr_kernarg_segment_ptr 1
		.amdhsa_user_sgpr_dispatch_id 0
		.amdhsa_user_sgpr_flat_scratch_init 0
		.amdhsa_user_sgpr_private_segment_size 0
		.amdhsa_uses_dynamic_stack 0
		.amdhsa_system_sgpr_private_segment_wavefront_offset 0
		.amdhsa_system_sgpr_workgroup_id_x 1
		.amdhsa_system_sgpr_workgroup_id_y 0
		.amdhsa_system_sgpr_workgroup_id_z 0
		.amdhsa_system_sgpr_workgroup_info 0
		.amdhsa_system_vgpr_workitem_id 0
		.amdhsa_next_free_vgpr 1
		.amdhsa_next_free_sgpr 0
		.amdhsa_reserve_vcc 0
		.amdhsa_reserve_flat_scratch 0
		.amdhsa_float_round_mode_32 0
		.amdhsa_float_round_mode_16_64 0
		.amdhsa_float_denorm_mode_32 3
		.amdhsa_float_denorm_mode_16_64 3
		.amdhsa_dx10_clamp 1
		.amdhsa_ieee_mode 1
		.amdhsa_fp16_overflow 0
		.amdhsa_exception_fp_ieee_invalid_op 0
		.amdhsa_exception_fp_denorm_src 0
		.amdhsa_exception_fp_ieee_div_zero 0
		.amdhsa_exception_fp_ieee_overflow 0
		.amdhsa_exception_fp_ieee_underflow 0
		.amdhsa_exception_fp_ieee_inexact 0
		.amdhsa_exception_int_div_zero 0
	.end_amdhsa_kernel
	.section	.text._ZN7rocprim17ROCPRIM_400000_NS6detail17trampoline_kernelINS0_14default_configENS1_35adjacent_difference_config_selectorILb0EfEEZNS1_24adjacent_difference_implIS3_Lb0ELb0EPfS7_N6thrust23THRUST_200600_302600_NS5minusIfEEEE10hipError_tPvRmT2_T3_mT4_P12ihipStream_tbEUlT_E_NS1_11comp_targetILNS1_3genE10ELNS1_11target_archE1201ELNS1_3gpuE5ELNS1_3repE0EEENS1_30default_config_static_selectorELNS0_4arch9wavefront6targetE1EEEvT1_,"axG",@progbits,_ZN7rocprim17ROCPRIM_400000_NS6detail17trampoline_kernelINS0_14default_configENS1_35adjacent_difference_config_selectorILb0EfEEZNS1_24adjacent_difference_implIS3_Lb0ELb0EPfS7_N6thrust23THRUST_200600_302600_NS5minusIfEEEE10hipError_tPvRmT2_T3_mT4_P12ihipStream_tbEUlT_E_NS1_11comp_targetILNS1_3genE10ELNS1_11target_archE1201ELNS1_3gpuE5ELNS1_3repE0EEENS1_30default_config_static_selectorELNS0_4arch9wavefront6targetE1EEEvT1_,comdat
.Lfunc_end54:
	.size	_ZN7rocprim17ROCPRIM_400000_NS6detail17trampoline_kernelINS0_14default_configENS1_35adjacent_difference_config_selectorILb0EfEEZNS1_24adjacent_difference_implIS3_Lb0ELb0EPfS7_N6thrust23THRUST_200600_302600_NS5minusIfEEEE10hipError_tPvRmT2_T3_mT4_P12ihipStream_tbEUlT_E_NS1_11comp_targetILNS1_3genE10ELNS1_11target_archE1201ELNS1_3gpuE5ELNS1_3repE0EEENS1_30default_config_static_selectorELNS0_4arch9wavefront6targetE1EEEvT1_, .Lfunc_end54-_ZN7rocprim17ROCPRIM_400000_NS6detail17trampoline_kernelINS0_14default_configENS1_35adjacent_difference_config_selectorILb0EfEEZNS1_24adjacent_difference_implIS3_Lb0ELb0EPfS7_N6thrust23THRUST_200600_302600_NS5minusIfEEEE10hipError_tPvRmT2_T3_mT4_P12ihipStream_tbEUlT_E_NS1_11comp_targetILNS1_3genE10ELNS1_11target_archE1201ELNS1_3gpuE5ELNS1_3repE0EEENS1_30default_config_static_selectorELNS0_4arch9wavefront6targetE1EEEvT1_
                                        ; -- End function
	.set _ZN7rocprim17ROCPRIM_400000_NS6detail17trampoline_kernelINS0_14default_configENS1_35adjacent_difference_config_selectorILb0EfEEZNS1_24adjacent_difference_implIS3_Lb0ELb0EPfS7_N6thrust23THRUST_200600_302600_NS5minusIfEEEE10hipError_tPvRmT2_T3_mT4_P12ihipStream_tbEUlT_E_NS1_11comp_targetILNS1_3genE10ELNS1_11target_archE1201ELNS1_3gpuE5ELNS1_3repE0EEENS1_30default_config_static_selectorELNS0_4arch9wavefront6targetE1EEEvT1_.num_vgpr, 0
	.set _ZN7rocprim17ROCPRIM_400000_NS6detail17trampoline_kernelINS0_14default_configENS1_35adjacent_difference_config_selectorILb0EfEEZNS1_24adjacent_difference_implIS3_Lb0ELb0EPfS7_N6thrust23THRUST_200600_302600_NS5minusIfEEEE10hipError_tPvRmT2_T3_mT4_P12ihipStream_tbEUlT_E_NS1_11comp_targetILNS1_3genE10ELNS1_11target_archE1201ELNS1_3gpuE5ELNS1_3repE0EEENS1_30default_config_static_selectorELNS0_4arch9wavefront6targetE1EEEvT1_.num_agpr, 0
	.set _ZN7rocprim17ROCPRIM_400000_NS6detail17trampoline_kernelINS0_14default_configENS1_35adjacent_difference_config_selectorILb0EfEEZNS1_24adjacent_difference_implIS3_Lb0ELb0EPfS7_N6thrust23THRUST_200600_302600_NS5minusIfEEEE10hipError_tPvRmT2_T3_mT4_P12ihipStream_tbEUlT_E_NS1_11comp_targetILNS1_3genE10ELNS1_11target_archE1201ELNS1_3gpuE5ELNS1_3repE0EEENS1_30default_config_static_selectorELNS0_4arch9wavefront6targetE1EEEvT1_.numbered_sgpr, 0
	.set _ZN7rocprim17ROCPRIM_400000_NS6detail17trampoline_kernelINS0_14default_configENS1_35adjacent_difference_config_selectorILb0EfEEZNS1_24adjacent_difference_implIS3_Lb0ELb0EPfS7_N6thrust23THRUST_200600_302600_NS5minusIfEEEE10hipError_tPvRmT2_T3_mT4_P12ihipStream_tbEUlT_E_NS1_11comp_targetILNS1_3genE10ELNS1_11target_archE1201ELNS1_3gpuE5ELNS1_3repE0EEENS1_30default_config_static_selectorELNS0_4arch9wavefront6targetE1EEEvT1_.num_named_barrier, 0
	.set _ZN7rocprim17ROCPRIM_400000_NS6detail17trampoline_kernelINS0_14default_configENS1_35adjacent_difference_config_selectorILb0EfEEZNS1_24adjacent_difference_implIS3_Lb0ELb0EPfS7_N6thrust23THRUST_200600_302600_NS5minusIfEEEE10hipError_tPvRmT2_T3_mT4_P12ihipStream_tbEUlT_E_NS1_11comp_targetILNS1_3genE10ELNS1_11target_archE1201ELNS1_3gpuE5ELNS1_3repE0EEENS1_30default_config_static_selectorELNS0_4arch9wavefront6targetE1EEEvT1_.private_seg_size, 0
	.set _ZN7rocprim17ROCPRIM_400000_NS6detail17trampoline_kernelINS0_14default_configENS1_35adjacent_difference_config_selectorILb0EfEEZNS1_24adjacent_difference_implIS3_Lb0ELb0EPfS7_N6thrust23THRUST_200600_302600_NS5minusIfEEEE10hipError_tPvRmT2_T3_mT4_P12ihipStream_tbEUlT_E_NS1_11comp_targetILNS1_3genE10ELNS1_11target_archE1201ELNS1_3gpuE5ELNS1_3repE0EEENS1_30default_config_static_selectorELNS0_4arch9wavefront6targetE1EEEvT1_.uses_vcc, 0
	.set _ZN7rocprim17ROCPRIM_400000_NS6detail17trampoline_kernelINS0_14default_configENS1_35adjacent_difference_config_selectorILb0EfEEZNS1_24adjacent_difference_implIS3_Lb0ELb0EPfS7_N6thrust23THRUST_200600_302600_NS5minusIfEEEE10hipError_tPvRmT2_T3_mT4_P12ihipStream_tbEUlT_E_NS1_11comp_targetILNS1_3genE10ELNS1_11target_archE1201ELNS1_3gpuE5ELNS1_3repE0EEENS1_30default_config_static_selectorELNS0_4arch9wavefront6targetE1EEEvT1_.uses_flat_scratch, 0
	.set _ZN7rocprim17ROCPRIM_400000_NS6detail17trampoline_kernelINS0_14default_configENS1_35adjacent_difference_config_selectorILb0EfEEZNS1_24adjacent_difference_implIS3_Lb0ELb0EPfS7_N6thrust23THRUST_200600_302600_NS5minusIfEEEE10hipError_tPvRmT2_T3_mT4_P12ihipStream_tbEUlT_E_NS1_11comp_targetILNS1_3genE10ELNS1_11target_archE1201ELNS1_3gpuE5ELNS1_3repE0EEENS1_30default_config_static_selectorELNS0_4arch9wavefront6targetE1EEEvT1_.has_dyn_sized_stack, 0
	.set _ZN7rocprim17ROCPRIM_400000_NS6detail17trampoline_kernelINS0_14default_configENS1_35adjacent_difference_config_selectorILb0EfEEZNS1_24adjacent_difference_implIS3_Lb0ELb0EPfS7_N6thrust23THRUST_200600_302600_NS5minusIfEEEE10hipError_tPvRmT2_T3_mT4_P12ihipStream_tbEUlT_E_NS1_11comp_targetILNS1_3genE10ELNS1_11target_archE1201ELNS1_3gpuE5ELNS1_3repE0EEENS1_30default_config_static_selectorELNS0_4arch9wavefront6targetE1EEEvT1_.has_recursion, 0
	.set _ZN7rocprim17ROCPRIM_400000_NS6detail17trampoline_kernelINS0_14default_configENS1_35adjacent_difference_config_selectorILb0EfEEZNS1_24adjacent_difference_implIS3_Lb0ELb0EPfS7_N6thrust23THRUST_200600_302600_NS5minusIfEEEE10hipError_tPvRmT2_T3_mT4_P12ihipStream_tbEUlT_E_NS1_11comp_targetILNS1_3genE10ELNS1_11target_archE1201ELNS1_3gpuE5ELNS1_3repE0EEENS1_30default_config_static_selectorELNS0_4arch9wavefront6targetE1EEEvT1_.has_indirect_call, 0
	.section	.AMDGPU.csdata,"",@progbits
; Kernel info:
; codeLenInByte = 0
; TotalNumSgprs: 4
; NumVgprs: 0
; ScratchSize: 0
; MemoryBound: 0
; FloatMode: 240
; IeeeMode: 1
; LDSByteSize: 0 bytes/workgroup (compile time only)
; SGPRBlocks: 0
; VGPRBlocks: 0
; NumSGPRsForWavesPerEU: 4
; NumVGPRsForWavesPerEU: 1
; Occupancy: 10
; WaveLimiterHint : 0
; COMPUTE_PGM_RSRC2:SCRATCH_EN: 0
; COMPUTE_PGM_RSRC2:USER_SGPR: 6
; COMPUTE_PGM_RSRC2:TRAP_HANDLER: 0
; COMPUTE_PGM_RSRC2:TGID_X_EN: 1
; COMPUTE_PGM_RSRC2:TGID_Y_EN: 0
; COMPUTE_PGM_RSRC2:TGID_Z_EN: 0
; COMPUTE_PGM_RSRC2:TIDIG_COMP_CNT: 0
	.section	.text._ZN7rocprim17ROCPRIM_400000_NS6detail17trampoline_kernelINS0_14default_configENS1_35adjacent_difference_config_selectorILb0EfEEZNS1_24adjacent_difference_implIS3_Lb0ELb0EPfS7_N6thrust23THRUST_200600_302600_NS5minusIfEEEE10hipError_tPvRmT2_T3_mT4_P12ihipStream_tbEUlT_E_NS1_11comp_targetILNS1_3genE5ELNS1_11target_archE942ELNS1_3gpuE9ELNS1_3repE0EEENS1_30default_config_static_selectorELNS0_4arch9wavefront6targetE1EEEvT1_,"axG",@progbits,_ZN7rocprim17ROCPRIM_400000_NS6detail17trampoline_kernelINS0_14default_configENS1_35adjacent_difference_config_selectorILb0EfEEZNS1_24adjacent_difference_implIS3_Lb0ELb0EPfS7_N6thrust23THRUST_200600_302600_NS5minusIfEEEE10hipError_tPvRmT2_T3_mT4_P12ihipStream_tbEUlT_E_NS1_11comp_targetILNS1_3genE5ELNS1_11target_archE942ELNS1_3gpuE9ELNS1_3repE0EEENS1_30default_config_static_selectorELNS0_4arch9wavefront6targetE1EEEvT1_,comdat
	.protected	_ZN7rocprim17ROCPRIM_400000_NS6detail17trampoline_kernelINS0_14default_configENS1_35adjacent_difference_config_selectorILb0EfEEZNS1_24adjacent_difference_implIS3_Lb0ELb0EPfS7_N6thrust23THRUST_200600_302600_NS5minusIfEEEE10hipError_tPvRmT2_T3_mT4_P12ihipStream_tbEUlT_E_NS1_11comp_targetILNS1_3genE5ELNS1_11target_archE942ELNS1_3gpuE9ELNS1_3repE0EEENS1_30default_config_static_selectorELNS0_4arch9wavefront6targetE1EEEvT1_ ; -- Begin function _ZN7rocprim17ROCPRIM_400000_NS6detail17trampoline_kernelINS0_14default_configENS1_35adjacent_difference_config_selectorILb0EfEEZNS1_24adjacent_difference_implIS3_Lb0ELb0EPfS7_N6thrust23THRUST_200600_302600_NS5minusIfEEEE10hipError_tPvRmT2_T3_mT4_P12ihipStream_tbEUlT_E_NS1_11comp_targetILNS1_3genE5ELNS1_11target_archE942ELNS1_3gpuE9ELNS1_3repE0EEENS1_30default_config_static_selectorELNS0_4arch9wavefront6targetE1EEEvT1_
	.globl	_ZN7rocprim17ROCPRIM_400000_NS6detail17trampoline_kernelINS0_14default_configENS1_35adjacent_difference_config_selectorILb0EfEEZNS1_24adjacent_difference_implIS3_Lb0ELb0EPfS7_N6thrust23THRUST_200600_302600_NS5minusIfEEEE10hipError_tPvRmT2_T3_mT4_P12ihipStream_tbEUlT_E_NS1_11comp_targetILNS1_3genE5ELNS1_11target_archE942ELNS1_3gpuE9ELNS1_3repE0EEENS1_30default_config_static_selectorELNS0_4arch9wavefront6targetE1EEEvT1_
	.p2align	8
	.type	_ZN7rocprim17ROCPRIM_400000_NS6detail17trampoline_kernelINS0_14default_configENS1_35adjacent_difference_config_selectorILb0EfEEZNS1_24adjacent_difference_implIS3_Lb0ELb0EPfS7_N6thrust23THRUST_200600_302600_NS5minusIfEEEE10hipError_tPvRmT2_T3_mT4_P12ihipStream_tbEUlT_E_NS1_11comp_targetILNS1_3genE5ELNS1_11target_archE942ELNS1_3gpuE9ELNS1_3repE0EEENS1_30default_config_static_selectorELNS0_4arch9wavefront6targetE1EEEvT1_,@function
_ZN7rocprim17ROCPRIM_400000_NS6detail17trampoline_kernelINS0_14default_configENS1_35adjacent_difference_config_selectorILb0EfEEZNS1_24adjacent_difference_implIS3_Lb0ELb0EPfS7_N6thrust23THRUST_200600_302600_NS5minusIfEEEE10hipError_tPvRmT2_T3_mT4_P12ihipStream_tbEUlT_E_NS1_11comp_targetILNS1_3genE5ELNS1_11target_archE942ELNS1_3gpuE9ELNS1_3repE0EEENS1_30default_config_static_selectorELNS0_4arch9wavefront6targetE1EEEvT1_: ; @_ZN7rocprim17ROCPRIM_400000_NS6detail17trampoline_kernelINS0_14default_configENS1_35adjacent_difference_config_selectorILb0EfEEZNS1_24adjacent_difference_implIS3_Lb0ELb0EPfS7_N6thrust23THRUST_200600_302600_NS5minusIfEEEE10hipError_tPvRmT2_T3_mT4_P12ihipStream_tbEUlT_E_NS1_11comp_targetILNS1_3genE5ELNS1_11target_archE942ELNS1_3gpuE9ELNS1_3repE0EEENS1_30default_config_static_selectorELNS0_4arch9wavefront6targetE1EEEvT1_
; %bb.0:
	.section	.rodata,"a",@progbits
	.p2align	6, 0x0
	.amdhsa_kernel _ZN7rocprim17ROCPRIM_400000_NS6detail17trampoline_kernelINS0_14default_configENS1_35adjacent_difference_config_selectorILb0EfEEZNS1_24adjacent_difference_implIS3_Lb0ELb0EPfS7_N6thrust23THRUST_200600_302600_NS5minusIfEEEE10hipError_tPvRmT2_T3_mT4_P12ihipStream_tbEUlT_E_NS1_11comp_targetILNS1_3genE5ELNS1_11target_archE942ELNS1_3gpuE9ELNS1_3repE0EEENS1_30default_config_static_selectorELNS0_4arch9wavefront6targetE1EEEvT1_
		.amdhsa_group_segment_fixed_size 0
		.amdhsa_private_segment_fixed_size 0
		.amdhsa_kernarg_size 56
		.amdhsa_user_sgpr_count 6
		.amdhsa_user_sgpr_private_segment_buffer 1
		.amdhsa_user_sgpr_dispatch_ptr 0
		.amdhsa_user_sgpr_queue_ptr 0
		.amdhsa_user_sgpr_kernarg_segment_ptr 1
		.amdhsa_user_sgpr_dispatch_id 0
		.amdhsa_user_sgpr_flat_scratch_init 0
		.amdhsa_user_sgpr_private_segment_size 0
		.amdhsa_uses_dynamic_stack 0
		.amdhsa_system_sgpr_private_segment_wavefront_offset 0
		.amdhsa_system_sgpr_workgroup_id_x 1
		.amdhsa_system_sgpr_workgroup_id_y 0
		.amdhsa_system_sgpr_workgroup_id_z 0
		.amdhsa_system_sgpr_workgroup_info 0
		.amdhsa_system_vgpr_workitem_id 0
		.amdhsa_next_free_vgpr 1
		.amdhsa_next_free_sgpr 0
		.amdhsa_reserve_vcc 0
		.amdhsa_reserve_flat_scratch 0
		.amdhsa_float_round_mode_32 0
		.amdhsa_float_round_mode_16_64 0
		.amdhsa_float_denorm_mode_32 3
		.amdhsa_float_denorm_mode_16_64 3
		.amdhsa_dx10_clamp 1
		.amdhsa_ieee_mode 1
		.amdhsa_fp16_overflow 0
		.amdhsa_exception_fp_ieee_invalid_op 0
		.amdhsa_exception_fp_denorm_src 0
		.amdhsa_exception_fp_ieee_div_zero 0
		.amdhsa_exception_fp_ieee_overflow 0
		.amdhsa_exception_fp_ieee_underflow 0
		.amdhsa_exception_fp_ieee_inexact 0
		.amdhsa_exception_int_div_zero 0
	.end_amdhsa_kernel
	.section	.text._ZN7rocprim17ROCPRIM_400000_NS6detail17trampoline_kernelINS0_14default_configENS1_35adjacent_difference_config_selectorILb0EfEEZNS1_24adjacent_difference_implIS3_Lb0ELb0EPfS7_N6thrust23THRUST_200600_302600_NS5minusIfEEEE10hipError_tPvRmT2_T3_mT4_P12ihipStream_tbEUlT_E_NS1_11comp_targetILNS1_3genE5ELNS1_11target_archE942ELNS1_3gpuE9ELNS1_3repE0EEENS1_30default_config_static_selectorELNS0_4arch9wavefront6targetE1EEEvT1_,"axG",@progbits,_ZN7rocprim17ROCPRIM_400000_NS6detail17trampoline_kernelINS0_14default_configENS1_35adjacent_difference_config_selectorILb0EfEEZNS1_24adjacent_difference_implIS3_Lb0ELb0EPfS7_N6thrust23THRUST_200600_302600_NS5minusIfEEEE10hipError_tPvRmT2_T3_mT4_P12ihipStream_tbEUlT_E_NS1_11comp_targetILNS1_3genE5ELNS1_11target_archE942ELNS1_3gpuE9ELNS1_3repE0EEENS1_30default_config_static_selectorELNS0_4arch9wavefront6targetE1EEEvT1_,comdat
.Lfunc_end55:
	.size	_ZN7rocprim17ROCPRIM_400000_NS6detail17trampoline_kernelINS0_14default_configENS1_35adjacent_difference_config_selectorILb0EfEEZNS1_24adjacent_difference_implIS3_Lb0ELb0EPfS7_N6thrust23THRUST_200600_302600_NS5minusIfEEEE10hipError_tPvRmT2_T3_mT4_P12ihipStream_tbEUlT_E_NS1_11comp_targetILNS1_3genE5ELNS1_11target_archE942ELNS1_3gpuE9ELNS1_3repE0EEENS1_30default_config_static_selectorELNS0_4arch9wavefront6targetE1EEEvT1_, .Lfunc_end55-_ZN7rocprim17ROCPRIM_400000_NS6detail17trampoline_kernelINS0_14default_configENS1_35adjacent_difference_config_selectorILb0EfEEZNS1_24adjacent_difference_implIS3_Lb0ELb0EPfS7_N6thrust23THRUST_200600_302600_NS5minusIfEEEE10hipError_tPvRmT2_T3_mT4_P12ihipStream_tbEUlT_E_NS1_11comp_targetILNS1_3genE5ELNS1_11target_archE942ELNS1_3gpuE9ELNS1_3repE0EEENS1_30default_config_static_selectorELNS0_4arch9wavefront6targetE1EEEvT1_
                                        ; -- End function
	.set _ZN7rocprim17ROCPRIM_400000_NS6detail17trampoline_kernelINS0_14default_configENS1_35adjacent_difference_config_selectorILb0EfEEZNS1_24adjacent_difference_implIS3_Lb0ELb0EPfS7_N6thrust23THRUST_200600_302600_NS5minusIfEEEE10hipError_tPvRmT2_T3_mT4_P12ihipStream_tbEUlT_E_NS1_11comp_targetILNS1_3genE5ELNS1_11target_archE942ELNS1_3gpuE9ELNS1_3repE0EEENS1_30default_config_static_selectorELNS0_4arch9wavefront6targetE1EEEvT1_.num_vgpr, 0
	.set _ZN7rocprim17ROCPRIM_400000_NS6detail17trampoline_kernelINS0_14default_configENS1_35adjacent_difference_config_selectorILb0EfEEZNS1_24adjacent_difference_implIS3_Lb0ELb0EPfS7_N6thrust23THRUST_200600_302600_NS5minusIfEEEE10hipError_tPvRmT2_T3_mT4_P12ihipStream_tbEUlT_E_NS1_11comp_targetILNS1_3genE5ELNS1_11target_archE942ELNS1_3gpuE9ELNS1_3repE0EEENS1_30default_config_static_selectorELNS0_4arch9wavefront6targetE1EEEvT1_.num_agpr, 0
	.set _ZN7rocprim17ROCPRIM_400000_NS6detail17trampoline_kernelINS0_14default_configENS1_35adjacent_difference_config_selectorILb0EfEEZNS1_24adjacent_difference_implIS3_Lb0ELb0EPfS7_N6thrust23THRUST_200600_302600_NS5minusIfEEEE10hipError_tPvRmT2_T3_mT4_P12ihipStream_tbEUlT_E_NS1_11comp_targetILNS1_3genE5ELNS1_11target_archE942ELNS1_3gpuE9ELNS1_3repE0EEENS1_30default_config_static_selectorELNS0_4arch9wavefront6targetE1EEEvT1_.numbered_sgpr, 0
	.set _ZN7rocprim17ROCPRIM_400000_NS6detail17trampoline_kernelINS0_14default_configENS1_35adjacent_difference_config_selectorILb0EfEEZNS1_24adjacent_difference_implIS3_Lb0ELb0EPfS7_N6thrust23THRUST_200600_302600_NS5minusIfEEEE10hipError_tPvRmT2_T3_mT4_P12ihipStream_tbEUlT_E_NS1_11comp_targetILNS1_3genE5ELNS1_11target_archE942ELNS1_3gpuE9ELNS1_3repE0EEENS1_30default_config_static_selectorELNS0_4arch9wavefront6targetE1EEEvT1_.num_named_barrier, 0
	.set _ZN7rocprim17ROCPRIM_400000_NS6detail17trampoline_kernelINS0_14default_configENS1_35adjacent_difference_config_selectorILb0EfEEZNS1_24adjacent_difference_implIS3_Lb0ELb0EPfS7_N6thrust23THRUST_200600_302600_NS5minusIfEEEE10hipError_tPvRmT2_T3_mT4_P12ihipStream_tbEUlT_E_NS1_11comp_targetILNS1_3genE5ELNS1_11target_archE942ELNS1_3gpuE9ELNS1_3repE0EEENS1_30default_config_static_selectorELNS0_4arch9wavefront6targetE1EEEvT1_.private_seg_size, 0
	.set _ZN7rocprim17ROCPRIM_400000_NS6detail17trampoline_kernelINS0_14default_configENS1_35adjacent_difference_config_selectorILb0EfEEZNS1_24adjacent_difference_implIS3_Lb0ELb0EPfS7_N6thrust23THRUST_200600_302600_NS5minusIfEEEE10hipError_tPvRmT2_T3_mT4_P12ihipStream_tbEUlT_E_NS1_11comp_targetILNS1_3genE5ELNS1_11target_archE942ELNS1_3gpuE9ELNS1_3repE0EEENS1_30default_config_static_selectorELNS0_4arch9wavefront6targetE1EEEvT1_.uses_vcc, 0
	.set _ZN7rocprim17ROCPRIM_400000_NS6detail17trampoline_kernelINS0_14default_configENS1_35adjacent_difference_config_selectorILb0EfEEZNS1_24adjacent_difference_implIS3_Lb0ELb0EPfS7_N6thrust23THRUST_200600_302600_NS5minusIfEEEE10hipError_tPvRmT2_T3_mT4_P12ihipStream_tbEUlT_E_NS1_11comp_targetILNS1_3genE5ELNS1_11target_archE942ELNS1_3gpuE9ELNS1_3repE0EEENS1_30default_config_static_selectorELNS0_4arch9wavefront6targetE1EEEvT1_.uses_flat_scratch, 0
	.set _ZN7rocprim17ROCPRIM_400000_NS6detail17trampoline_kernelINS0_14default_configENS1_35adjacent_difference_config_selectorILb0EfEEZNS1_24adjacent_difference_implIS3_Lb0ELb0EPfS7_N6thrust23THRUST_200600_302600_NS5minusIfEEEE10hipError_tPvRmT2_T3_mT4_P12ihipStream_tbEUlT_E_NS1_11comp_targetILNS1_3genE5ELNS1_11target_archE942ELNS1_3gpuE9ELNS1_3repE0EEENS1_30default_config_static_selectorELNS0_4arch9wavefront6targetE1EEEvT1_.has_dyn_sized_stack, 0
	.set _ZN7rocprim17ROCPRIM_400000_NS6detail17trampoline_kernelINS0_14default_configENS1_35adjacent_difference_config_selectorILb0EfEEZNS1_24adjacent_difference_implIS3_Lb0ELb0EPfS7_N6thrust23THRUST_200600_302600_NS5minusIfEEEE10hipError_tPvRmT2_T3_mT4_P12ihipStream_tbEUlT_E_NS1_11comp_targetILNS1_3genE5ELNS1_11target_archE942ELNS1_3gpuE9ELNS1_3repE0EEENS1_30default_config_static_selectorELNS0_4arch9wavefront6targetE1EEEvT1_.has_recursion, 0
	.set _ZN7rocprim17ROCPRIM_400000_NS6detail17trampoline_kernelINS0_14default_configENS1_35adjacent_difference_config_selectorILb0EfEEZNS1_24adjacent_difference_implIS3_Lb0ELb0EPfS7_N6thrust23THRUST_200600_302600_NS5minusIfEEEE10hipError_tPvRmT2_T3_mT4_P12ihipStream_tbEUlT_E_NS1_11comp_targetILNS1_3genE5ELNS1_11target_archE942ELNS1_3gpuE9ELNS1_3repE0EEENS1_30default_config_static_selectorELNS0_4arch9wavefront6targetE1EEEvT1_.has_indirect_call, 0
	.section	.AMDGPU.csdata,"",@progbits
; Kernel info:
; codeLenInByte = 0
; TotalNumSgprs: 4
; NumVgprs: 0
; ScratchSize: 0
; MemoryBound: 0
; FloatMode: 240
; IeeeMode: 1
; LDSByteSize: 0 bytes/workgroup (compile time only)
; SGPRBlocks: 0
; VGPRBlocks: 0
; NumSGPRsForWavesPerEU: 4
; NumVGPRsForWavesPerEU: 1
; Occupancy: 10
; WaveLimiterHint : 0
; COMPUTE_PGM_RSRC2:SCRATCH_EN: 0
; COMPUTE_PGM_RSRC2:USER_SGPR: 6
; COMPUTE_PGM_RSRC2:TRAP_HANDLER: 0
; COMPUTE_PGM_RSRC2:TGID_X_EN: 1
; COMPUTE_PGM_RSRC2:TGID_Y_EN: 0
; COMPUTE_PGM_RSRC2:TGID_Z_EN: 0
; COMPUTE_PGM_RSRC2:TIDIG_COMP_CNT: 0
	.section	.text._ZN7rocprim17ROCPRIM_400000_NS6detail17trampoline_kernelINS0_14default_configENS1_35adjacent_difference_config_selectorILb0EfEEZNS1_24adjacent_difference_implIS3_Lb0ELb0EPfS7_N6thrust23THRUST_200600_302600_NS5minusIfEEEE10hipError_tPvRmT2_T3_mT4_P12ihipStream_tbEUlT_E_NS1_11comp_targetILNS1_3genE4ELNS1_11target_archE910ELNS1_3gpuE8ELNS1_3repE0EEENS1_30default_config_static_selectorELNS0_4arch9wavefront6targetE1EEEvT1_,"axG",@progbits,_ZN7rocprim17ROCPRIM_400000_NS6detail17trampoline_kernelINS0_14default_configENS1_35adjacent_difference_config_selectorILb0EfEEZNS1_24adjacent_difference_implIS3_Lb0ELb0EPfS7_N6thrust23THRUST_200600_302600_NS5minusIfEEEE10hipError_tPvRmT2_T3_mT4_P12ihipStream_tbEUlT_E_NS1_11comp_targetILNS1_3genE4ELNS1_11target_archE910ELNS1_3gpuE8ELNS1_3repE0EEENS1_30default_config_static_selectorELNS0_4arch9wavefront6targetE1EEEvT1_,comdat
	.protected	_ZN7rocprim17ROCPRIM_400000_NS6detail17trampoline_kernelINS0_14default_configENS1_35adjacent_difference_config_selectorILb0EfEEZNS1_24adjacent_difference_implIS3_Lb0ELb0EPfS7_N6thrust23THRUST_200600_302600_NS5minusIfEEEE10hipError_tPvRmT2_T3_mT4_P12ihipStream_tbEUlT_E_NS1_11comp_targetILNS1_3genE4ELNS1_11target_archE910ELNS1_3gpuE8ELNS1_3repE0EEENS1_30default_config_static_selectorELNS0_4arch9wavefront6targetE1EEEvT1_ ; -- Begin function _ZN7rocprim17ROCPRIM_400000_NS6detail17trampoline_kernelINS0_14default_configENS1_35adjacent_difference_config_selectorILb0EfEEZNS1_24adjacent_difference_implIS3_Lb0ELb0EPfS7_N6thrust23THRUST_200600_302600_NS5minusIfEEEE10hipError_tPvRmT2_T3_mT4_P12ihipStream_tbEUlT_E_NS1_11comp_targetILNS1_3genE4ELNS1_11target_archE910ELNS1_3gpuE8ELNS1_3repE0EEENS1_30default_config_static_selectorELNS0_4arch9wavefront6targetE1EEEvT1_
	.globl	_ZN7rocprim17ROCPRIM_400000_NS6detail17trampoline_kernelINS0_14default_configENS1_35adjacent_difference_config_selectorILb0EfEEZNS1_24adjacent_difference_implIS3_Lb0ELb0EPfS7_N6thrust23THRUST_200600_302600_NS5minusIfEEEE10hipError_tPvRmT2_T3_mT4_P12ihipStream_tbEUlT_E_NS1_11comp_targetILNS1_3genE4ELNS1_11target_archE910ELNS1_3gpuE8ELNS1_3repE0EEENS1_30default_config_static_selectorELNS0_4arch9wavefront6targetE1EEEvT1_
	.p2align	8
	.type	_ZN7rocprim17ROCPRIM_400000_NS6detail17trampoline_kernelINS0_14default_configENS1_35adjacent_difference_config_selectorILb0EfEEZNS1_24adjacent_difference_implIS3_Lb0ELb0EPfS7_N6thrust23THRUST_200600_302600_NS5minusIfEEEE10hipError_tPvRmT2_T3_mT4_P12ihipStream_tbEUlT_E_NS1_11comp_targetILNS1_3genE4ELNS1_11target_archE910ELNS1_3gpuE8ELNS1_3repE0EEENS1_30default_config_static_selectorELNS0_4arch9wavefront6targetE1EEEvT1_,@function
_ZN7rocprim17ROCPRIM_400000_NS6detail17trampoline_kernelINS0_14default_configENS1_35adjacent_difference_config_selectorILb0EfEEZNS1_24adjacent_difference_implIS3_Lb0ELb0EPfS7_N6thrust23THRUST_200600_302600_NS5minusIfEEEE10hipError_tPvRmT2_T3_mT4_P12ihipStream_tbEUlT_E_NS1_11comp_targetILNS1_3genE4ELNS1_11target_archE910ELNS1_3gpuE8ELNS1_3repE0EEENS1_30default_config_static_selectorELNS0_4arch9wavefront6targetE1EEEvT1_: ; @_ZN7rocprim17ROCPRIM_400000_NS6detail17trampoline_kernelINS0_14default_configENS1_35adjacent_difference_config_selectorILb0EfEEZNS1_24adjacent_difference_implIS3_Lb0ELb0EPfS7_N6thrust23THRUST_200600_302600_NS5minusIfEEEE10hipError_tPvRmT2_T3_mT4_P12ihipStream_tbEUlT_E_NS1_11comp_targetILNS1_3genE4ELNS1_11target_archE910ELNS1_3gpuE8ELNS1_3repE0EEENS1_30default_config_static_selectorELNS0_4arch9wavefront6targetE1EEEvT1_
; %bb.0:
	.section	.rodata,"a",@progbits
	.p2align	6, 0x0
	.amdhsa_kernel _ZN7rocprim17ROCPRIM_400000_NS6detail17trampoline_kernelINS0_14default_configENS1_35adjacent_difference_config_selectorILb0EfEEZNS1_24adjacent_difference_implIS3_Lb0ELb0EPfS7_N6thrust23THRUST_200600_302600_NS5minusIfEEEE10hipError_tPvRmT2_T3_mT4_P12ihipStream_tbEUlT_E_NS1_11comp_targetILNS1_3genE4ELNS1_11target_archE910ELNS1_3gpuE8ELNS1_3repE0EEENS1_30default_config_static_selectorELNS0_4arch9wavefront6targetE1EEEvT1_
		.amdhsa_group_segment_fixed_size 0
		.amdhsa_private_segment_fixed_size 0
		.amdhsa_kernarg_size 56
		.amdhsa_user_sgpr_count 6
		.amdhsa_user_sgpr_private_segment_buffer 1
		.amdhsa_user_sgpr_dispatch_ptr 0
		.amdhsa_user_sgpr_queue_ptr 0
		.amdhsa_user_sgpr_kernarg_segment_ptr 1
		.amdhsa_user_sgpr_dispatch_id 0
		.amdhsa_user_sgpr_flat_scratch_init 0
		.amdhsa_user_sgpr_private_segment_size 0
		.amdhsa_uses_dynamic_stack 0
		.amdhsa_system_sgpr_private_segment_wavefront_offset 0
		.amdhsa_system_sgpr_workgroup_id_x 1
		.amdhsa_system_sgpr_workgroup_id_y 0
		.amdhsa_system_sgpr_workgroup_id_z 0
		.amdhsa_system_sgpr_workgroup_info 0
		.amdhsa_system_vgpr_workitem_id 0
		.amdhsa_next_free_vgpr 1
		.amdhsa_next_free_sgpr 0
		.amdhsa_reserve_vcc 0
		.amdhsa_reserve_flat_scratch 0
		.amdhsa_float_round_mode_32 0
		.amdhsa_float_round_mode_16_64 0
		.amdhsa_float_denorm_mode_32 3
		.amdhsa_float_denorm_mode_16_64 3
		.amdhsa_dx10_clamp 1
		.amdhsa_ieee_mode 1
		.amdhsa_fp16_overflow 0
		.amdhsa_exception_fp_ieee_invalid_op 0
		.amdhsa_exception_fp_denorm_src 0
		.amdhsa_exception_fp_ieee_div_zero 0
		.amdhsa_exception_fp_ieee_overflow 0
		.amdhsa_exception_fp_ieee_underflow 0
		.amdhsa_exception_fp_ieee_inexact 0
		.amdhsa_exception_int_div_zero 0
	.end_amdhsa_kernel
	.section	.text._ZN7rocprim17ROCPRIM_400000_NS6detail17trampoline_kernelINS0_14default_configENS1_35adjacent_difference_config_selectorILb0EfEEZNS1_24adjacent_difference_implIS3_Lb0ELb0EPfS7_N6thrust23THRUST_200600_302600_NS5minusIfEEEE10hipError_tPvRmT2_T3_mT4_P12ihipStream_tbEUlT_E_NS1_11comp_targetILNS1_3genE4ELNS1_11target_archE910ELNS1_3gpuE8ELNS1_3repE0EEENS1_30default_config_static_selectorELNS0_4arch9wavefront6targetE1EEEvT1_,"axG",@progbits,_ZN7rocprim17ROCPRIM_400000_NS6detail17trampoline_kernelINS0_14default_configENS1_35adjacent_difference_config_selectorILb0EfEEZNS1_24adjacent_difference_implIS3_Lb0ELb0EPfS7_N6thrust23THRUST_200600_302600_NS5minusIfEEEE10hipError_tPvRmT2_T3_mT4_P12ihipStream_tbEUlT_E_NS1_11comp_targetILNS1_3genE4ELNS1_11target_archE910ELNS1_3gpuE8ELNS1_3repE0EEENS1_30default_config_static_selectorELNS0_4arch9wavefront6targetE1EEEvT1_,comdat
.Lfunc_end56:
	.size	_ZN7rocprim17ROCPRIM_400000_NS6detail17trampoline_kernelINS0_14default_configENS1_35adjacent_difference_config_selectorILb0EfEEZNS1_24adjacent_difference_implIS3_Lb0ELb0EPfS7_N6thrust23THRUST_200600_302600_NS5minusIfEEEE10hipError_tPvRmT2_T3_mT4_P12ihipStream_tbEUlT_E_NS1_11comp_targetILNS1_3genE4ELNS1_11target_archE910ELNS1_3gpuE8ELNS1_3repE0EEENS1_30default_config_static_selectorELNS0_4arch9wavefront6targetE1EEEvT1_, .Lfunc_end56-_ZN7rocprim17ROCPRIM_400000_NS6detail17trampoline_kernelINS0_14default_configENS1_35adjacent_difference_config_selectorILb0EfEEZNS1_24adjacent_difference_implIS3_Lb0ELb0EPfS7_N6thrust23THRUST_200600_302600_NS5minusIfEEEE10hipError_tPvRmT2_T3_mT4_P12ihipStream_tbEUlT_E_NS1_11comp_targetILNS1_3genE4ELNS1_11target_archE910ELNS1_3gpuE8ELNS1_3repE0EEENS1_30default_config_static_selectorELNS0_4arch9wavefront6targetE1EEEvT1_
                                        ; -- End function
	.set _ZN7rocprim17ROCPRIM_400000_NS6detail17trampoline_kernelINS0_14default_configENS1_35adjacent_difference_config_selectorILb0EfEEZNS1_24adjacent_difference_implIS3_Lb0ELb0EPfS7_N6thrust23THRUST_200600_302600_NS5minusIfEEEE10hipError_tPvRmT2_T3_mT4_P12ihipStream_tbEUlT_E_NS1_11comp_targetILNS1_3genE4ELNS1_11target_archE910ELNS1_3gpuE8ELNS1_3repE0EEENS1_30default_config_static_selectorELNS0_4arch9wavefront6targetE1EEEvT1_.num_vgpr, 0
	.set _ZN7rocprim17ROCPRIM_400000_NS6detail17trampoline_kernelINS0_14default_configENS1_35adjacent_difference_config_selectorILb0EfEEZNS1_24adjacent_difference_implIS3_Lb0ELb0EPfS7_N6thrust23THRUST_200600_302600_NS5minusIfEEEE10hipError_tPvRmT2_T3_mT4_P12ihipStream_tbEUlT_E_NS1_11comp_targetILNS1_3genE4ELNS1_11target_archE910ELNS1_3gpuE8ELNS1_3repE0EEENS1_30default_config_static_selectorELNS0_4arch9wavefront6targetE1EEEvT1_.num_agpr, 0
	.set _ZN7rocprim17ROCPRIM_400000_NS6detail17trampoline_kernelINS0_14default_configENS1_35adjacent_difference_config_selectorILb0EfEEZNS1_24adjacent_difference_implIS3_Lb0ELb0EPfS7_N6thrust23THRUST_200600_302600_NS5minusIfEEEE10hipError_tPvRmT2_T3_mT4_P12ihipStream_tbEUlT_E_NS1_11comp_targetILNS1_3genE4ELNS1_11target_archE910ELNS1_3gpuE8ELNS1_3repE0EEENS1_30default_config_static_selectorELNS0_4arch9wavefront6targetE1EEEvT1_.numbered_sgpr, 0
	.set _ZN7rocprim17ROCPRIM_400000_NS6detail17trampoline_kernelINS0_14default_configENS1_35adjacent_difference_config_selectorILb0EfEEZNS1_24adjacent_difference_implIS3_Lb0ELb0EPfS7_N6thrust23THRUST_200600_302600_NS5minusIfEEEE10hipError_tPvRmT2_T3_mT4_P12ihipStream_tbEUlT_E_NS1_11comp_targetILNS1_3genE4ELNS1_11target_archE910ELNS1_3gpuE8ELNS1_3repE0EEENS1_30default_config_static_selectorELNS0_4arch9wavefront6targetE1EEEvT1_.num_named_barrier, 0
	.set _ZN7rocprim17ROCPRIM_400000_NS6detail17trampoline_kernelINS0_14default_configENS1_35adjacent_difference_config_selectorILb0EfEEZNS1_24adjacent_difference_implIS3_Lb0ELb0EPfS7_N6thrust23THRUST_200600_302600_NS5minusIfEEEE10hipError_tPvRmT2_T3_mT4_P12ihipStream_tbEUlT_E_NS1_11comp_targetILNS1_3genE4ELNS1_11target_archE910ELNS1_3gpuE8ELNS1_3repE0EEENS1_30default_config_static_selectorELNS0_4arch9wavefront6targetE1EEEvT1_.private_seg_size, 0
	.set _ZN7rocprim17ROCPRIM_400000_NS6detail17trampoline_kernelINS0_14default_configENS1_35adjacent_difference_config_selectorILb0EfEEZNS1_24adjacent_difference_implIS3_Lb0ELb0EPfS7_N6thrust23THRUST_200600_302600_NS5minusIfEEEE10hipError_tPvRmT2_T3_mT4_P12ihipStream_tbEUlT_E_NS1_11comp_targetILNS1_3genE4ELNS1_11target_archE910ELNS1_3gpuE8ELNS1_3repE0EEENS1_30default_config_static_selectorELNS0_4arch9wavefront6targetE1EEEvT1_.uses_vcc, 0
	.set _ZN7rocprim17ROCPRIM_400000_NS6detail17trampoline_kernelINS0_14default_configENS1_35adjacent_difference_config_selectorILb0EfEEZNS1_24adjacent_difference_implIS3_Lb0ELb0EPfS7_N6thrust23THRUST_200600_302600_NS5minusIfEEEE10hipError_tPvRmT2_T3_mT4_P12ihipStream_tbEUlT_E_NS1_11comp_targetILNS1_3genE4ELNS1_11target_archE910ELNS1_3gpuE8ELNS1_3repE0EEENS1_30default_config_static_selectorELNS0_4arch9wavefront6targetE1EEEvT1_.uses_flat_scratch, 0
	.set _ZN7rocprim17ROCPRIM_400000_NS6detail17trampoline_kernelINS0_14default_configENS1_35adjacent_difference_config_selectorILb0EfEEZNS1_24adjacent_difference_implIS3_Lb0ELb0EPfS7_N6thrust23THRUST_200600_302600_NS5minusIfEEEE10hipError_tPvRmT2_T3_mT4_P12ihipStream_tbEUlT_E_NS1_11comp_targetILNS1_3genE4ELNS1_11target_archE910ELNS1_3gpuE8ELNS1_3repE0EEENS1_30default_config_static_selectorELNS0_4arch9wavefront6targetE1EEEvT1_.has_dyn_sized_stack, 0
	.set _ZN7rocprim17ROCPRIM_400000_NS6detail17trampoline_kernelINS0_14default_configENS1_35adjacent_difference_config_selectorILb0EfEEZNS1_24adjacent_difference_implIS3_Lb0ELb0EPfS7_N6thrust23THRUST_200600_302600_NS5minusIfEEEE10hipError_tPvRmT2_T3_mT4_P12ihipStream_tbEUlT_E_NS1_11comp_targetILNS1_3genE4ELNS1_11target_archE910ELNS1_3gpuE8ELNS1_3repE0EEENS1_30default_config_static_selectorELNS0_4arch9wavefront6targetE1EEEvT1_.has_recursion, 0
	.set _ZN7rocprim17ROCPRIM_400000_NS6detail17trampoline_kernelINS0_14default_configENS1_35adjacent_difference_config_selectorILb0EfEEZNS1_24adjacent_difference_implIS3_Lb0ELb0EPfS7_N6thrust23THRUST_200600_302600_NS5minusIfEEEE10hipError_tPvRmT2_T3_mT4_P12ihipStream_tbEUlT_E_NS1_11comp_targetILNS1_3genE4ELNS1_11target_archE910ELNS1_3gpuE8ELNS1_3repE0EEENS1_30default_config_static_selectorELNS0_4arch9wavefront6targetE1EEEvT1_.has_indirect_call, 0
	.section	.AMDGPU.csdata,"",@progbits
; Kernel info:
; codeLenInByte = 0
; TotalNumSgprs: 4
; NumVgprs: 0
; ScratchSize: 0
; MemoryBound: 0
; FloatMode: 240
; IeeeMode: 1
; LDSByteSize: 0 bytes/workgroup (compile time only)
; SGPRBlocks: 0
; VGPRBlocks: 0
; NumSGPRsForWavesPerEU: 4
; NumVGPRsForWavesPerEU: 1
; Occupancy: 10
; WaveLimiterHint : 0
; COMPUTE_PGM_RSRC2:SCRATCH_EN: 0
; COMPUTE_PGM_RSRC2:USER_SGPR: 6
; COMPUTE_PGM_RSRC2:TRAP_HANDLER: 0
; COMPUTE_PGM_RSRC2:TGID_X_EN: 1
; COMPUTE_PGM_RSRC2:TGID_Y_EN: 0
; COMPUTE_PGM_RSRC2:TGID_Z_EN: 0
; COMPUTE_PGM_RSRC2:TIDIG_COMP_CNT: 0
	.section	.text._ZN7rocprim17ROCPRIM_400000_NS6detail17trampoline_kernelINS0_14default_configENS1_35adjacent_difference_config_selectorILb0EfEEZNS1_24adjacent_difference_implIS3_Lb0ELb0EPfS7_N6thrust23THRUST_200600_302600_NS5minusIfEEEE10hipError_tPvRmT2_T3_mT4_P12ihipStream_tbEUlT_E_NS1_11comp_targetILNS1_3genE3ELNS1_11target_archE908ELNS1_3gpuE7ELNS1_3repE0EEENS1_30default_config_static_selectorELNS0_4arch9wavefront6targetE1EEEvT1_,"axG",@progbits,_ZN7rocprim17ROCPRIM_400000_NS6detail17trampoline_kernelINS0_14default_configENS1_35adjacent_difference_config_selectorILb0EfEEZNS1_24adjacent_difference_implIS3_Lb0ELb0EPfS7_N6thrust23THRUST_200600_302600_NS5minusIfEEEE10hipError_tPvRmT2_T3_mT4_P12ihipStream_tbEUlT_E_NS1_11comp_targetILNS1_3genE3ELNS1_11target_archE908ELNS1_3gpuE7ELNS1_3repE0EEENS1_30default_config_static_selectorELNS0_4arch9wavefront6targetE1EEEvT1_,comdat
	.protected	_ZN7rocprim17ROCPRIM_400000_NS6detail17trampoline_kernelINS0_14default_configENS1_35adjacent_difference_config_selectorILb0EfEEZNS1_24adjacent_difference_implIS3_Lb0ELb0EPfS7_N6thrust23THRUST_200600_302600_NS5minusIfEEEE10hipError_tPvRmT2_T3_mT4_P12ihipStream_tbEUlT_E_NS1_11comp_targetILNS1_3genE3ELNS1_11target_archE908ELNS1_3gpuE7ELNS1_3repE0EEENS1_30default_config_static_selectorELNS0_4arch9wavefront6targetE1EEEvT1_ ; -- Begin function _ZN7rocprim17ROCPRIM_400000_NS6detail17trampoline_kernelINS0_14default_configENS1_35adjacent_difference_config_selectorILb0EfEEZNS1_24adjacent_difference_implIS3_Lb0ELb0EPfS7_N6thrust23THRUST_200600_302600_NS5minusIfEEEE10hipError_tPvRmT2_T3_mT4_P12ihipStream_tbEUlT_E_NS1_11comp_targetILNS1_3genE3ELNS1_11target_archE908ELNS1_3gpuE7ELNS1_3repE0EEENS1_30default_config_static_selectorELNS0_4arch9wavefront6targetE1EEEvT1_
	.globl	_ZN7rocprim17ROCPRIM_400000_NS6detail17trampoline_kernelINS0_14default_configENS1_35adjacent_difference_config_selectorILb0EfEEZNS1_24adjacent_difference_implIS3_Lb0ELb0EPfS7_N6thrust23THRUST_200600_302600_NS5minusIfEEEE10hipError_tPvRmT2_T3_mT4_P12ihipStream_tbEUlT_E_NS1_11comp_targetILNS1_3genE3ELNS1_11target_archE908ELNS1_3gpuE7ELNS1_3repE0EEENS1_30default_config_static_selectorELNS0_4arch9wavefront6targetE1EEEvT1_
	.p2align	8
	.type	_ZN7rocprim17ROCPRIM_400000_NS6detail17trampoline_kernelINS0_14default_configENS1_35adjacent_difference_config_selectorILb0EfEEZNS1_24adjacent_difference_implIS3_Lb0ELb0EPfS7_N6thrust23THRUST_200600_302600_NS5minusIfEEEE10hipError_tPvRmT2_T3_mT4_P12ihipStream_tbEUlT_E_NS1_11comp_targetILNS1_3genE3ELNS1_11target_archE908ELNS1_3gpuE7ELNS1_3repE0EEENS1_30default_config_static_selectorELNS0_4arch9wavefront6targetE1EEEvT1_,@function
_ZN7rocprim17ROCPRIM_400000_NS6detail17trampoline_kernelINS0_14default_configENS1_35adjacent_difference_config_selectorILb0EfEEZNS1_24adjacent_difference_implIS3_Lb0ELb0EPfS7_N6thrust23THRUST_200600_302600_NS5minusIfEEEE10hipError_tPvRmT2_T3_mT4_P12ihipStream_tbEUlT_E_NS1_11comp_targetILNS1_3genE3ELNS1_11target_archE908ELNS1_3gpuE7ELNS1_3repE0EEENS1_30default_config_static_selectorELNS0_4arch9wavefront6targetE1EEEvT1_: ; @_ZN7rocprim17ROCPRIM_400000_NS6detail17trampoline_kernelINS0_14default_configENS1_35adjacent_difference_config_selectorILb0EfEEZNS1_24adjacent_difference_implIS3_Lb0ELb0EPfS7_N6thrust23THRUST_200600_302600_NS5minusIfEEEE10hipError_tPvRmT2_T3_mT4_P12ihipStream_tbEUlT_E_NS1_11comp_targetILNS1_3genE3ELNS1_11target_archE908ELNS1_3gpuE7ELNS1_3repE0EEENS1_30default_config_static_selectorELNS0_4arch9wavefront6targetE1EEEvT1_
; %bb.0:
	.section	.rodata,"a",@progbits
	.p2align	6, 0x0
	.amdhsa_kernel _ZN7rocprim17ROCPRIM_400000_NS6detail17trampoline_kernelINS0_14default_configENS1_35adjacent_difference_config_selectorILb0EfEEZNS1_24adjacent_difference_implIS3_Lb0ELb0EPfS7_N6thrust23THRUST_200600_302600_NS5minusIfEEEE10hipError_tPvRmT2_T3_mT4_P12ihipStream_tbEUlT_E_NS1_11comp_targetILNS1_3genE3ELNS1_11target_archE908ELNS1_3gpuE7ELNS1_3repE0EEENS1_30default_config_static_selectorELNS0_4arch9wavefront6targetE1EEEvT1_
		.amdhsa_group_segment_fixed_size 0
		.amdhsa_private_segment_fixed_size 0
		.amdhsa_kernarg_size 56
		.amdhsa_user_sgpr_count 6
		.amdhsa_user_sgpr_private_segment_buffer 1
		.amdhsa_user_sgpr_dispatch_ptr 0
		.amdhsa_user_sgpr_queue_ptr 0
		.amdhsa_user_sgpr_kernarg_segment_ptr 1
		.amdhsa_user_sgpr_dispatch_id 0
		.amdhsa_user_sgpr_flat_scratch_init 0
		.amdhsa_user_sgpr_private_segment_size 0
		.amdhsa_uses_dynamic_stack 0
		.amdhsa_system_sgpr_private_segment_wavefront_offset 0
		.amdhsa_system_sgpr_workgroup_id_x 1
		.amdhsa_system_sgpr_workgroup_id_y 0
		.amdhsa_system_sgpr_workgroup_id_z 0
		.amdhsa_system_sgpr_workgroup_info 0
		.amdhsa_system_vgpr_workitem_id 0
		.amdhsa_next_free_vgpr 1
		.amdhsa_next_free_sgpr 0
		.amdhsa_reserve_vcc 0
		.amdhsa_reserve_flat_scratch 0
		.amdhsa_float_round_mode_32 0
		.amdhsa_float_round_mode_16_64 0
		.amdhsa_float_denorm_mode_32 3
		.amdhsa_float_denorm_mode_16_64 3
		.amdhsa_dx10_clamp 1
		.amdhsa_ieee_mode 1
		.amdhsa_fp16_overflow 0
		.amdhsa_exception_fp_ieee_invalid_op 0
		.amdhsa_exception_fp_denorm_src 0
		.amdhsa_exception_fp_ieee_div_zero 0
		.amdhsa_exception_fp_ieee_overflow 0
		.amdhsa_exception_fp_ieee_underflow 0
		.amdhsa_exception_fp_ieee_inexact 0
		.amdhsa_exception_int_div_zero 0
	.end_amdhsa_kernel
	.section	.text._ZN7rocprim17ROCPRIM_400000_NS6detail17trampoline_kernelINS0_14default_configENS1_35adjacent_difference_config_selectorILb0EfEEZNS1_24adjacent_difference_implIS3_Lb0ELb0EPfS7_N6thrust23THRUST_200600_302600_NS5minusIfEEEE10hipError_tPvRmT2_T3_mT4_P12ihipStream_tbEUlT_E_NS1_11comp_targetILNS1_3genE3ELNS1_11target_archE908ELNS1_3gpuE7ELNS1_3repE0EEENS1_30default_config_static_selectorELNS0_4arch9wavefront6targetE1EEEvT1_,"axG",@progbits,_ZN7rocprim17ROCPRIM_400000_NS6detail17trampoline_kernelINS0_14default_configENS1_35adjacent_difference_config_selectorILb0EfEEZNS1_24adjacent_difference_implIS3_Lb0ELb0EPfS7_N6thrust23THRUST_200600_302600_NS5minusIfEEEE10hipError_tPvRmT2_T3_mT4_P12ihipStream_tbEUlT_E_NS1_11comp_targetILNS1_3genE3ELNS1_11target_archE908ELNS1_3gpuE7ELNS1_3repE0EEENS1_30default_config_static_selectorELNS0_4arch9wavefront6targetE1EEEvT1_,comdat
.Lfunc_end57:
	.size	_ZN7rocprim17ROCPRIM_400000_NS6detail17trampoline_kernelINS0_14default_configENS1_35adjacent_difference_config_selectorILb0EfEEZNS1_24adjacent_difference_implIS3_Lb0ELb0EPfS7_N6thrust23THRUST_200600_302600_NS5minusIfEEEE10hipError_tPvRmT2_T3_mT4_P12ihipStream_tbEUlT_E_NS1_11comp_targetILNS1_3genE3ELNS1_11target_archE908ELNS1_3gpuE7ELNS1_3repE0EEENS1_30default_config_static_selectorELNS0_4arch9wavefront6targetE1EEEvT1_, .Lfunc_end57-_ZN7rocprim17ROCPRIM_400000_NS6detail17trampoline_kernelINS0_14default_configENS1_35adjacent_difference_config_selectorILb0EfEEZNS1_24adjacent_difference_implIS3_Lb0ELb0EPfS7_N6thrust23THRUST_200600_302600_NS5minusIfEEEE10hipError_tPvRmT2_T3_mT4_P12ihipStream_tbEUlT_E_NS1_11comp_targetILNS1_3genE3ELNS1_11target_archE908ELNS1_3gpuE7ELNS1_3repE0EEENS1_30default_config_static_selectorELNS0_4arch9wavefront6targetE1EEEvT1_
                                        ; -- End function
	.set _ZN7rocprim17ROCPRIM_400000_NS6detail17trampoline_kernelINS0_14default_configENS1_35adjacent_difference_config_selectorILb0EfEEZNS1_24adjacent_difference_implIS3_Lb0ELb0EPfS7_N6thrust23THRUST_200600_302600_NS5minusIfEEEE10hipError_tPvRmT2_T3_mT4_P12ihipStream_tbEUlT_E_NS1_11comp_targetILNS1_3genE3ELNS1_11target_archE908ELNS1_3gpuE7ELNS1_3repE0EEENS1_30default_config_static_selectorELNS0_4arch9wavefront6targetE1EEEvT1_.num_vgpr, 0
	.set _ZN7rocprim17ROCPRIM_400000_NS6detail17trampoline_kernelINS0_14default_configENS1_35adjacent_difference_config_selectorILb0EfEEZNS1_24adjacent_difference_implIS3_Lb0ELb0EPfS7_N6thrust23THRUST_200600_302600_NS5minusIfEEEE10hipError_tPvRmT2_T3_mT4_P12ihipStream_tbEUlT_E_NS1_11comp_targetILNS1_3genE3ELNS1_11target_archE908ELNS1_3gpuE7ELNS1_3repE0EEENS1_30default_config_static_selectorELNS0_4arch9wavefront6targetE1EEEvT1_.num_agpr, 0
	.set _ZN7rocprim17ROCPRIM_400000_NS6detail17trampoline_kernelINS0_14default_configENS1_35adjacent_difference_config_selectorILb0EfEEZNS1_24adjacent_difference_implIS3_Lb0ELb0EPfS7_N6thrust23THRUST_200600_302600_NS5minusIfEEEE10hipError_tPvRmT2_T3_mT4_P12ihipStream_tbEUlT_E_NS1_11comp_targetILNS1_3genE3ELNS1_11target_archE908ELNS1_3gpuE7ELNS1_3repE0EEENS1_30default_config_static_selectorELNS0_4arch9wavefront6targetE1EEEvT1_.numbered_sgpr, 0
	.set _ZN7rocprim17ROCPRIM_400000_NS6detail17trampoline_kernelINS0_14default_configENS1_35adjacent_difference_config_selectorILb0EfEEZNS1_24adjacent_difference_implIS3_Lb0ELb0EPfS7_N6thrust23THRUST_200600_302600_NS5minusIfEEEE10hipError_tPvRmT2_T3_mT4_P12ihipStream_tbEUlT_E_NS1_11comp_targetILNS1_3genE3ELNS1_11target_archE908ELNS1_3gpuE7ELNS1_3repE0EEENS1_30default_config_static_selectorELNS0_4arch9wavefront6targetE1EEEvT1_.num_named_barrier, 0
	.set _ZN7rocprim17ROCPRIM_400000_NS6detail17trampoline_kernelINS0_14default_configENS1_35adjacent_difference_config_selectorILb0EfEEZNS1_24adjacent_difference_implIS3_Lb0ELb0EPfS7_N6thrust23THRUST_200600_302600_NS5minusIfEEEE10hipError_tPvRmT2_T3_mT4_P12ihipStream_tbEUlT_E_NS1_11comp_targetILNS1_3genE3ELNS1_11target_archE908ELNS1_3gpuE7ELNS1_3repE0EEENS1_30default_config_static_selectorELNS0_4arch9wavefront6targetE1EEEvT1_.private_seg_size, 0
	.set _ZN7rocprim17ROCPRIM_400000_NS6detail17trampoline_kernelINS0_14default_configENS1_35adjacent_difference_config_selectorILb0EfEEZNS1_24adjacent_difference_implIS3_Lb0ELb0EPfS7_N6thrust23THRUST_200600_302600_NS5minusIfEEEE10hipError_tPvRmT2_T3_mT4_P12ihipStream_tbEUlT_E_NS1_11comp_targetILNS1_3genE3ELNS1_11target_archE908ELNS1_3gpuE7ELNS1_3repE0EEENS1_30default_config_static_selectorELNS0_4arch9wavefront6targetE1EEEvT1_.uses_vcc, 0
	.set _ZN7rocprim17ROCPRIM_400000_NS6detail17trampoline_kernelINS0_14default_configENS1_35adjacent_difference_config_selectorILb0EfEEZNS1_24adjacent_difference_implIS3_Lb0ELb0EPfS7_N6thrust23THRUST_200600_302600_NS5minusIfEEEE10hipError_tPvRmT2_T3_mT4_P12ihipStream_tbEUlT_E_NS1_11comp_targetILNS1_3genE3ELNS1_11target_archE908ELNS1_3gpuE7ELNS1_3repE0EEENS1_30default_config_static_selectorELNS0_4arch9wavefront6targetE1EEEvT1_.uses_flat_scratch, 0
	.set _ZN7rocprim17ROCPRIM_400000_NS6detail17trampoline_kernelINS0_14default_configENS1_35adjacent_difference_config_selectorILb0EfEEZNS1_24adjacent_difference_implIS3_Lb0ELb0EPfS7_N6thrust23THRUST_200600_302600_NS5minusIfEEEE10hipError_tPvRmT2_T3_mT4_P12ihipStream_tbEUlT_E_NS1_11comp_targetILNS1_3genE3ELNS1_11target_archE908ELNS1_3gpuE7ELNS1_3repE0EEENS1_30default_config_static_selectorELNS0_4arch9wavefront6targetE1EEEvT1_.has_dyn_sized_stack, 0
	.set _ZN7rocprim17ROCPRIM_400000_NS6detail17trampoline_kernelINS0_14default_configENS1_35adjacent_difference_config_selectorILb0EfEEZNS1_24adjacent_difference_implIS3_Lb0ELb0EPfS7_N6thrust23THRUST_200600_302600_NS5minusIfEEEE10hipError_tPvRmT2_T3_mT4_P12ihipStream_tbEUlT_E_NS1_11comp_targetILNS1_3genE3ELNS1_11target_archE908ELNS1_3gpuE7ELNS1_3repE0EEENS1_30default_config_static_selectorELNS0_4arch9wavefront6targetE1EEEvT1_.has_recursion, 0
	.set _ZN7rocprim17ROCPRIM_400000_NS6detail17trampoline_kernelINS0_14default_configENS1_35adjacent_difference_config_selectorILb0EfEEZNS1_24adjacent_difference_implIS3_Lb0ELb0EPfS7_N6thrust23THRUST_200600_302600_NS5minusIfEEEE10hipError_tPvRmT2_T3_mT4_P12ihipStream_tbEUlT_E_NS1_11comp_targetILNS1_3genE3ELNS1_11target_archE908ELNS1_3gpuE7ELNS1_3repE0EEENS1_30default_config_static_selectorELNS0_4arch9wavefront6targetE1EEEvT1_.has_indirect_call, 0
	.section	.AMDGPU.csdata,"",@progbits
; Kernel info:
; codeLenInByte = 0
; TotalNumSgprs: 4
; NumVgprs: 0
; ScratchSize: 0
; MemoryBound: 0
; FloatMode: 240
; IeeeMode: 1
; LDSByteSize: 0 bytes/workgroup (compile time only)
; SGPRBlocks: 0
; VGPRBlocks: 0
; NumSGPRsForWavesPerEU: 4
; NumVGPRsForWavesPerEU: 1
; Occupancy: 10
; WaveLimiterHint : 0
; COMPUTE_PGM_RSRC2:SCRATCH_EN: 0
; COMPUTE_PGM_RSRC2:USER_SGPR: 6
; COMPUTE_PGM_RSRC2:TRAP_HANDLER: 0
; COMPUTE_PGM_RSRC2:TGID_X_EN: 1
; COMPUTE_PGM_RSRC2:TGID_Y_EN: 0
; COMPUTE_PGM_RSRC2:TGID_Z_EN: 0
; COMPUTE_PGM_RSRC2:TIDIG_COMP_CNT: 0
	.section	.text._ZN7rocprim17ROCPRIM_400000_NS6detail17trampoline_kernelINS0_14default_configENS1_35adjacent_difference_config_selectorILb0EfEEZNS1_24adjacent_difference_implIS3_Lb0ELb0EPfS7_N6thrust23THRUST_200600_302600_NS5minusIfEEEE10hipError_tPvRmT2_T3_mT4_P12ihipStream_tbEUlT_E_NS1_11comp_targetILNS1_3genE2ELNS1_11target_archE906ELNS1_3gpuE6ELNS1_3repE0EEENS1_30default_config_static_selectorELNS0_4arch9wavefront6targetE1EEEvT1_,"axG",@progbits,_ZN7rocprim17ROCPRIM_400000_NS6detail17trampoline_kernelINS0_14default_configENS1_35adjacent_difference_config_selectorILb0EfEEZNS1_24adjacent_difference_implIS3_Lb0ELb0EPfS7_N6thrust23THRUST_200600_302600_NS5minusIfEEEE10hipError_tPvRmT2_T3_mT4_P12ihipStream_tbEUlT_E_NS1_11comp_targetILNS1_3genE2ELNS1_11target_archE906ELNS1_3gpuE6ELNS1_3repE0EEENS1_30default_config_static_selectorELNS0_4arch9wavefront6targetE1EEEvT1_,comdat
	.protected	_ZN7rocprim17ROCPRIM_400000_NS6detail17trampoline_kernelINS0_14default_configENS1_35adjacent_difference_config_selectorILb0EfEEZNS1_24adjacent_difference_implIS3_Lb0ELb0EPfS7_N6thrust23THRUST_200600_302600_NS5minusIfEEEE10hipError_tPvRmT2_T3_mT4_P12ihipStream_tbEUlT_E_NS1_11comp_targetILNS1_3genE2ELNS1_11target_archE906ELNS1_3gpuE6ELNS1_3repE0EEENS1_30default_config_static_selectorELNS0_4arch9wavefront6targetE1EEEvT1_ ; -- Begin function _ZN7rocprim17ROCPRIM_400000_NS6detail17trampoline_kernelINS0_14default_configENS1_35adjacent_difference_config_selectorILb0EfEEZNS1_24adjacent_difference_implIS3_Lb0ELb0EPfS7_N6thrust23THRUST_200600_302600_NS5minusIfEEEE10hipError_tPvRmT2_T3_mT4_P12ihipStream_tbEUlT_E_NS1_11comp_targetILNS1_3genE2ELNS1_11target_archE906ELNS1_3gpuE6ELNS1_3repE0EEENS1_30default_config_static_selectorELNS0_4arch9wavefront6targetE1EEEvT1_
	.globl	_ZN7rocprim17ROCPRIM_400000_NS6detail17trampoline_kernelINS0_14default_configENS1_35adjacent_difference_config_selectorILb0EfEEZNS1_24adjacent_difference_implIS3_Lb0ELb0EPfS7_N6thrust23THRUST_200600_302600_NS5minusIfEEEE10hipError_tPvRmT2_T3_mT4_P12ihipStream_tbEUlT_E_NS1_11comp_targetILNS1_3genE2ELNS1_11target_archE906ELNS1_3gpuE6ELNS1_3repE0EEENS1_30default_config_static_selectorELNS0_4arch9wavefront6targetE1EEEvT1_
	.p2align	8
	.type	_ZN7rocprim17ROCPRIM_400000_NS6detail17trampoline_kernelINS0_14default_configENS1_35adjacent_difference_config_selectorILb0EfEEZNS1_24adjacent_difference_implIS3_Lb0ELb0EPfS7_N6thrust23THRUST_200600_302600_NS5minusIfEEEE10hipError_tPvRmT2_T3_mT4_P12ihipStream_tbEUlT_E_NS1_11comp_targetILNS1_3genE2ELNS1_11target_archE906ELNS1_3gpuE6ELNS1_3repE0EEENS1_30default_config_static_selectorELNS0_4arch9wavefront6targetE1EEEvT1_,@function
_ZN7rocprim17ROCPRIM_400000_NS6detail17trampoline_kernelINS0_14default_configENS1_35adjacent_difference_config_selectorILb0EfEEZNS1_24adjacent_difference_implIS3_Lb0ELb0EPfS7_N6thrust23THRUST_200600_302600_NS5minusIfEEEE10hipError_tPvRmT2_T3_mT4_P12ihipStream_tbEUlT_E_NS1_11comp_targetILNS1_3genE2ELNS1_11target_archE906ELNS1_3gpuE6ELNS1_3repE0EEENS1_30default_config_static_selectorELNS0_4arch9wavefront6targetE1EEEvT1_: ; @_ZN7rocprim17ROCPRIM_400000_NS6detail17trampoline_kernelINS0_14default_configENS1_35adjacent_difference_config_selectorILb0EfEEZNS1_24adjacent_difference_implIS3_Lb0ELb0EPfS7_N6thrust23THRUST_200600_302600_NS5minusIfEEEE10hipError_tPvRmT2_T3_mT4_P12ihipStream_tbEUlT_E_NS1_11comp_targetILNS1_3genE2ELNS1_11target_archE906ELNS1_3gpuE6ELNS1_3repE0EEENS1_30default_config_static_selectorELNS0_4arch9wavefront6targetE1EEEvT1_
; %bb.0:
	s_load_dwordx8 s[8:15], s[4:5], 0x0
	s_load_dwordx2 s[0:1], s[4:5], 0x30
	s_mul_i32 s16, s6, 0x1400
	s_mov_b32 s17, 0
	s_waitcnt lgkmcnt(0)
	s_lshl_b64 s[18:19], s[10:11], 2
	s_add_u32 s20, s8, s18
	s_addc_u32 s21, s9, s19
	s_mul_i32 s5, s15, 0xcccccccd
	s_mul_hi_u32 s7, s14, 0xcccccccd
	s_mul_hi_u32 s4, s15, 0xcccccccd
	s_add_u32 s5, s5, s7
	s_mul_i32 s3, s14, 0xcccccccc
	s_addc_u32 s4, s4, 0
	s_mul_hi_u32 s2, s14, 0xcccccccc
	s_add_u32 s3, s3, s5
	s_addc_u32 s2, s2, 0
	s_add_u32 s2, s4, s2
	s_addc_u32 s3, 0, 0
	s_mul_i32 s5, s15, 0xcccccccc
	s_mul_hi_u32 s4, s15, 0xcccccccc
	s_add_u32 s2, s5, s2
	s_addc_u32 s3, s4, s3
	s_lshr_b64 s[4:5], s[2:3], 12
	s_lshr_b32 s2, s3, 12
	s_mulk_i32 s2, 0x1400
	s_mul_hi_u32 s3, s4, 0x1400
	s_add_i32 s3, s3, s2
	s_mul_i32 s2, s4, 0x1400
	s_sub_u32 s2, s14, s2
	s_subb_u32 s3, s15, s3
	s_cmp_lg_u64 s[2:3], 0
	s_cselect_b64 s[2:3], -1, 0
	v_cndmask_b32_e64 v1, 0, 1, s[2:3]
	v_readfirstlane_b32 s2, v1
	s_add_u32 s2, s4, s2
	s_addc_u32 s3, s5, 0
	s_add_u32 s4, s0, s6
	s_addc_u32 s5, s1, 0
	s_add_u32 s6, s2, -1
	s_addc_u32 s7, s3, -1
	v_mov_b32_e32 v1, s6
	v_mov_b32_e32 v2, s7
	v_cmp_ge_u64_e64 s[0:1], s[4:5], v[1:2]
	s_mov_b64 s[8:9], -1
	s_and_b64 vcc, exec, s[0:1]
	s_mul_i32 s15, s6, 0xffffec00
	s_cbranch_vccz .LBB58_12
; %bb.1:
	s_add_i32 s22, s15, s14
	s_lshl_b64 s[8:9], s[16:17], 2
	s_add_u32 s8, s20, s8
	v_mov_b32_e32 v1, 0
	s_addc_u32 s9, s21, s9
	v_cmp_gt_u32_e32 vcc, s22, v0
	v_mov_b32_e32 v2, v1
	v_mov_b32_e32 v3, v1
	;; [unrolled: 1-line block ×4, first 2 shown]
	s_and_saveexec_b64 s[10:11], vcc
	s_cbranch_execz .LBB58_3
; %bb.2:
	v_lshlrev_b32_e32 v2, 2, v0
	global_load_dword v2, v2, s[8:9]
	v_mov_b32_e32 v3, v1
	v_mov_b32_e32 v4, v1
	;; [unrolled: 1-line block ×4, first 2 shown]
	s_waitcnt vmcnt(0)
	v_mov_b32_e32 v1, v2
	v_mov_b32_e32 v2, v3
	;; [unrolled: 1-line block ×5, first 2 shown]
.LBB58_3:
	s_or_b64 exec, exec, s[10:11]
	v_or_b32_e32 v6, 0x400, v0
	v_cmp_gt_u32_e32 vcc, s22, v6
	s_and_saveexec_b64 s[10:11], vcc
	s_cbranch_execz .LBB58_5
; %bb.4:
	v_lshlrev_b32_e32 v2, 2, v6
	global_load_dword v2, v2, s[8:9]
.LBB58_5:
	s_or_b64 exec, exec, s[10:11]
	v_or_b32_e32 v6, 0x800, v0
	v_cmp_gt_u32_e32 vcc, s22, v6
	s_and_saveexec_b64 s[10:11], vcc
	s_cbranch_execz .LBB58_7
; %bb.6:
	v_lshlrev_b32_e32 v3, 2, v6
	global_load_dword v3, v3, s[8:9]
.LBB58_7:
	;; [unrolled: 9-line block ×4, first 2 shown]
	s_or_b64 exec, exec, s[10:11]
	v_lshlrev_b32_e32 v6, 2, v0
	s_mov_b64 s[8:9], 0
	s_waitcnt vmcnt(0)
	ds_write2st64_b32 v6, v1, v2 offset1:16
	ds_write2st64_b32 v6, v3, v4 offset0:32 offset1:48
	ds_write_b32 v6, v5 offset:16384
	s_waitcnt lgkmcnt(0)
	s_barrier
.LBB58_12:
	s_and_b64 vcc, exec, s[8:9]
	v_lshlrev_b32_e32 v7, 2, v0
	s_cbranch_vccz .LBB58_14
; %bb.13:
	s_lshl_b64 s[8:9], s[16:17], 2
	s_add_u32 s8, s20, s8
	s_addc_u32 s9, s21, s9
	v_mov_b32_e32 v1, s9
	v_add_co_u32_e32 v8, vcc, s8, v7
	v_addc_co_u32_e32 v9, vcc, 0, v1, vcc
	v_add_co_u32_e32 v1, vcc, 0x1000, v8
	v_addc_co_u32_e32 v2, vcc, 0, v9, vcc
	;; [unrolled: 2-line block ×5, first 2 shown]
	global_load_dword v10, v7, s[8:9]
	global_load_dword v11, v[1:2], off
	global_load_dword v12, v[3:4], off
	;; [unrolled: 1-line block ×4, first 2 shown]
	s_waitcnt vmcnt(3)
	ds_write2st64_b32 v7, v10, v11 offset1:16
	s_waitcnt vmcnt(1)
	ds_write2st64_b32 v7, v12, v13 offset0:32 offset1:48
	s_waitcnt vmcnt(0)
	ds_write_b32 v7, v14 offset:16384
	s_waitcnt lgkmcnt(0)
	s_barrier
.LBB58_14:
	v_mul_u32_u24_e32 v8, 20, v0
	ds_read2_b32 v[1:2], v8 offset1:1
	ds_read2_b32 v[3:4], v8 offset0:2 offset1:3
	ds_read_b32 v5, v8 offset:16
	s_cmp_eq_u64 s[4:5], 0
	s_waitcnt lgkmcnt(0)
	s_barrier
	s_cbranch_scc1 .LBB58_19
; %bb.15:
	s_lshl_b64 s[8:9], s[16:17], 2
	s_add_u32 s8, s20, s8
	s_addc_u32 s9, s21, s9
	s_add_u32 s8, s8, -4
	s_addc_u32 s9, s9, -1
	s_load_dword s8, s[8:9], 0x0
	s_cmp_eq_u64 s[4:5], s[6:7]
	s_cbranch_scc1 .LBB58_20
; %bb.16:
	v_cmp_ne_u32_e32 vcc, 0, v0
	s_waitcnt lgkmcnt(0)
	v_mov_b32_e32 v6, s8
	ds_write_b32 v7, v5
	s_waitcnt lgkmcnt(0)
	s_barrier
	s_and_saveexec_b64 s[6:7], vcc
; %bb.17:
	v_add_u32_e32 v6, -4, v7
	ds_read_b32 v6, v6
; %bb.18:
	s_or_b64 exec, exec, s[6:7]
	v_sub_f32_e32 v9, v5, v4
	v_sub_f32_e32 v10, v4, v3
	;; [unrolled: 1-line block ×4, first 2 shown]
	s_waitcnt lgkmcnt(0)
	v_sub_f32_e32 v13, v1, v6
	s_branch .LBB58_24
.LBB58_19:
                                        ; implicit-def: $vgpr9
                                        ; implicit-def: $vgpr10
                                        ; implicit-def: $vgpr11
                                        ; implicit-def: $vgpr12
                                        ; implicit-def: $vgpr13
	s_branch .LBB58_25
.LBB58_20:
                                        ; implicit-def: $vgpr9
                                        ; implicit-def: $vgpr10
                                        ; implicit-def: $vgpr11
                                        ; implicit-def: $vgpr12
                                        ; implicit-def: $vgpr13
	s_cbranch_execz .LBB58_24
; %bb.21:
	v_mul_u32_u24_e32 v6, 5, v0
	v_cmp_ne_u32_e32 vcc, 0, v0
	s_waitcnt lgkmcnt(0)
	v_mov_b32_e32 v13, s8
	ds_write_b32 v7, v5
	s_waitcnt lgkmcnt(0)
	s_barrier
	s_and_saveexec_b64 s[6:7], vcc
; %bb.22:
	v_add_u32_e32 v9, -4, v7
	ds_read_b32 v13, v9
; %bb.23:
	s_or_b64 exec, exec, s[6:7]
	s_mulk_i32 s4, 0xec00
	s_add_i32 s4, s4, s14
	v_add_u32_e32 v9, 4, v6
	v_sub_f32_e32 v10, v5, v4
	v_cmp_gt_u32_e32 vcc, s4, v9
	v_cndmask_b32_e32 v9, v5, v10, vcc
	v_add_u32_e32 v10, 3, v6
	v_sub_f32_e32 v11, v4, v3
	v_cmp_gt_u32_e32 vcc, s4, v10
	v_cndmask_b32_e32 v10, v4, v11, vcc
	;; [unrolled: 4-line block ×4, first 2 shown]
	s_waitcnt lgkmcnt(0)
	v_sub_f32_e32 v13, v1, v13
	v_cmp_gt_u32_e32 vcc, s4, v6
	v_cndmask_b32_e32 v13, v1, v13, vcc
.LBB58_24:
	s_cbranch_execnz .LBB58_33
.LBB58_25:
	s_cmp_eq_u64 s[2:3], 1
	v_sub_f32_e32 v9, v5, v4
	v_sub_f32_e32 v10, v4, v3
	;; [unrolled: 1-line block ×4, first 2 shown]
	v_cmp_ne_u32_e32 vcc, 0, v0
	s_cbranch_scc1 .LBB58_29
; %bb.26:
	v_mov_b32_e32 v13, v1
	ds_write_b32 v7, v5
	s_waitcnt lgkmcnt(0)
	s_barrier
	s_and_saveexec_b64 s[2:3], vcc
	s_cbranch_execz .LBB58_28
; %bb.27:
	v_add_u32_e32 v6, -4, v7
	ds_read_b32 v6, v6
	s_waitcnt lgkmcnt(0)
	v_sub_f32_e32 v13, v1, v6
.LBB58_28:
	s_or_b64 exec, exec, s[2:3]
	s_cbranch_execz .LBB58_30
	s_branch .LBB58_33
.LBB58_29:
                                        ; implicit-def: $vgpr13
.LBB58_30:
	v_mad_u32_u24 v13, v0, 5, 4
	v_cmp_gt_u32_e32 vcc, s14, v13
	v_mad_u32_u24 v13, v0, 5, 3
	v_mul_u32_u24_e32 v6, 5, v0
	v_cmp_gt_u32_e64 s[2:3], s14, v13
	v_mad_u32_u24 v13, v0, 5, 2
	v_cmp_gt_u32_e64 s[4:5], s14, v13
	v_mad_u32_u24 v13, v0, 5, 1
	s_waitcnt lgkmcnt(0)
	v_cmp_ne_u32_e64 s[8:9], 0, v0
	v_cmp_gt_u32_e64 s[10:11], s14, v6
	v_cmp_gt_u32_e64 s[6:7], s14, v13
	s_and_b64 s[10:11], s[8:9], s[10:11]
	ds_write_b32 v7, v5
	s_waitcnt lgkmcnt(0)
	s_barrier
	s_and_saveexec_b64 s[8:9], s[10:11]
	s_cbranch_execz .LBB58_32
; %bb.31:
	v_add_u32_e32 v6, -4, v7
	ds_read_b32 v6, v6
	s_waitcnt lgkmcnt(0)
	v_sub_f32_e32 v1, v1, v6
.LBB58_32:
	s_or_b64 exec, exec, s[8:9]
	v_cndmask_b32_e32 v9, v5, v9, vcc
	v_cndmask_b32_e64 v10, v4, v10, s[2:3]
	v_cndmask_b32_e64 v11, v3, v11, s[4:5]
	;; [unrolled: 1-line block ×3, first 2 shown]
	v_mov_b32_e32 v13, v1
.LBB58_33:
	s_add_u32 s4, s12, s18
	s_addc_u32 s5, s13, s19
	s_and_b64 vcc, exec, s[0:1]
	v_lshlrev_b32_e32 v14, 4, v0
	s_waitcnt lgkmcnt(0)
	s_barrier
	s_cbranch_vccz .LBB58_43
; %bb.34:
	s_add_i32 s15, s15, s14
	s_lshl_b64 s[0:1], s[16:17], 2
	v_sub_u32_e32 v1, v8, v14
	s_add_u32 s0, s4, s0
	ds_write2_b32 v8, v13, v12 offset1:1
	ds_write2_b32 v8, v11, v10 offset0:2 offset1:3
	ds_write_b32 v8, v9 offset:16
	s_waitcnt lgkmcnt(0)
	s_barrier
	ds_read2st64_b32 v[5:6], v1 offset0:16 offset1:32
	ds_read2st64_b32 v[1:2], v1 offset0:48 offset1:64
	s_addc_u32 s1, s5, s1
	v_mov_b32_e32 v4, s1
	v_add_co_u32_e32 v3, vcc, s0, v7
	v_addc_co_u32_e32 v4, vcc, 0, v4, vcc
	v_cmp_gt_u32_e32 vcc, s15, v0
	s_and_saveexec_b64 s[0:1], vcc
	s_cbranch_execz .LBB58_36
; %bb.35:
	v_sub_u32_e32 v15, 0, v14
	v_add_u32_e32 v15, v8, v15
	ds_read_b32 v15, v15
	s_waitcnt lgkmcnt(0)
	global_store_dword v[3:4], v15, off
.LBB58_36:
	s_or_b64 exec, exec, s[0:1]
	v_or_b32_e32 v15, 0x400, v0
	v_cmp_gt_u32_e32 vcc, s15, v15
	s_and_saveexec_b64 s[0:1], vcc
	s_cbranch_execz .LBB58_38
; %bb.37:
	v_add_co_u32_e32 v15, vcc, 0x1000, v3
	v_addc_co_u32_e32 v16, vcc, 0, v4, vcc
	s_waitcnt lgkmcnt(1)
	global_store_dword v[15:16], v5, off
.LBB58_38:
	s_or_b64 exec, exec, s[0:1]
	s_waitcnt lgkmcnt(1)
	v_or_b32_e32 v5, 0x800, v0
	v_cmp_gt_u32_e32 vcc, s15, v5
	s_and_saveexec_b64 s[0:1], vcc
	s_cbranch_execz .LBB58_40
; %bb.39:
	v_add_co_u32_e32 v15, vcc, 0x2000, v3
	v_addc_co_u32_e32 v16, vcc, 0, v4, vcc
	global_store_dword v[15:16], v6, off
.LBB58_40:
	s_or_b64 exec, exec, s[0:1]
	v_or_b32_e32 v5, 0xc00, v0
	v_cmp_gt_u32_e32 vcc, s15, v5
	s_and_saveexec_b64 s[0:1], vcc
	s_cbranch_execz .LBB58_42
; %bb.41:
	v_add_co_u32_e32 v5, vcc, 0x3000, v3
	v_addc_co_u32_e32 v6, vcc, 0, v4, vcc
	s_waitcnt lgkmcnt(0)
	global_store_dword v[5:6], v1, off
.LBB58_42:
	s_or_b64 exec, exec, s[0:1]
	v_or_b32_e32 v0, 0x1000, v0
	v_cmp_gt_u32_e64 s[0:1], s15, v0
	s_branch .LBB58_45
.LBB58_43:
	s_mov_b64 s[0:1], 0
                                        ; implicit-def: $vgpr2
                                        ; implicit-def: $vgpr3_vgpr4
	s_cbranch_execz .LBB58_45
; %bb.44:
	s_lshl_b64 s[2:3], s[16:17], 2
	s_waitcnt lgkmcnt(0)
	v_sub_u32_e32 v2, v8, v14
	s_add_u32 s2, s4, s2
	ds_write2_b32 v8, v13, v12 offset1:1
	ds_write2_b32 v8, v11, v10 offset0:2 offset1:3
	ds_write_b32 v8, v9 offset:16
	s_waitcnt vmcnt(0) lgkmcnt(0)
	s_barrier
	ds_read2st64_b32 v[0:1], v2 offset1:16
	ds_read2st64_b32 v[5:6], v2 offset0:32 offset1:48
	ds_read_b32 v2, v2 offset:16384
	s_addc_u32 s3, s5, s3
	v_mov_b32_e32 v4, s3
	v_add_co_u32_e32 v3, vcc, s2, v7
	v_addc_co_u32_e32 v4, vcc, 0, v4, vcc
	s_waitcnt lgkmcnt(2)
	global_store_dword v7, v0, s[2:3]
	s_movk_i32 s2, 0x1000
	v_add_co_u32_e32 v7, vcc, s2, v3
	v_addc_co_u32_e32 v8, vcc, 0, v4, vcc
	v_add_co_u32_e32 v0, vcc, 0x2000, v3
	global_store_dword v[7:8], v1, off
	v_addc_co_u32_e32 v1, vcc, 0, v4, vcc
	s_waitcnt lgkmcnt(1)
	global_store_dword v[0:1], v5, off
	v_add_co_u32_e32 v0, vcc, 0x3000, v3
	v_addc_co_u32_e32 v1, vcc, 0, v4, vcc
	s_or_b64 s[0:1], s[0:1], exec
	global_store_dword v[0:1], v6, off
.LBB58_45:
	s_and_saveexec_b64 s[2:3], s[0:1]
	s_cbranch_execnz .LBB58_47
; %bb.46:
	s_endpgm
.LBB58_47:
	v_add_co_u32_e32 v0, vcc, 0x4000, v3
	s_waitcnt lgkmcnt(0)
	v_addc_co_u32_e32 v1, vcc, 0, v4, vcc
	global_store_dword v[0:1], v2, off
	s_endpgm
	.section	.rodata,"a",@progbits
	.p2align	6, 0x0
	.amdhsa_kernel _ZN7rocprim17ROCPRIM_400000_NS6detail17trampoline_kernelINS0_14default_configENS1_35adjacent_difference_config_selectorILb0EfEEZNS1_24adjacent_difference_implIS3_Lb0ELb0EPfS7_N6thrust23THRUST_200600_302600_NS5minusIfEEEE10hipError_tPvRmT2_T3_mT4_P12ihipStream_tbEUlT_E_NS1_11comp_targetILNS1_3genE2ELNS1_11target_archE906ELNS1_3gpuE6ELNS1_3repE0EEENS1_30default_config_static_selectorELNS0_4arch9wavefront6targetE1EEEvT1_
		.amdhsa_group_segment_fixed_size 20480
		.amdhsa_private_segment_fixed_size 0
		.amdhsa_kernarg_size 56
		.amdhsa_user_sgpr_count 6
		.amdhsa_user_sgpr_private_segment_buffer 1
		.amdhsa_user_sgpr_dispatch_ptr 0
		.amdhsa_user_sgpr_queue_ptr 0
		.amdhsa_user_sgpr_kernarg_segment_ptr 1
		.amdhsa_user_sgpr_dispatch_id 0
		.amdhsa_user_sgpr_flat_scratch_init 0
		.amdhsa_user_sgpr_private_segment_size 0
		.amdhsa_uses_dynamic_stack 0
		.amdhsa_system_sgpr_private_segment_wavefront_offset 0
		.amdhsa_system_sgpr_workgroup_id_x 1
		.amdhsa_system_sgpr_workgroup_id_y 0
		.amdhsa_system_sgpr_workgroup_id_z 0
		.amdhsa_system_sgpr_workgroup_info 0
		.amdhsa_system_vgpr_workitem_id 0
		.amdhsa_next_free_vgpr 29
		.amdhsa_next_free_sgpr 61
		.amdhsa_reserve_vcc 1
		.amdhsa_reserve_flat_scratch 0
		.amdhsa_float_round_mode_32 0
		.amdhsa_float_round_mode_16_64 0
		.amdhsa_float_denorm_mode_32 3
		.amdhsa_float_denorm_mode_16_64 3
		.amdhsa_dx10_clamp 1
		.amdhsa_ieee_mode 1
		.amdhsa_fp16_overflow 0
		.amdhsa_exception_fp_ieee_invalid_op 0
		.amdhsa_exception_fp_denorm_src 0
		.amdhsa_exception_fp_ieee_div_zero 0
		.amdhsa_exception_fp_ieee_overflow 0
		.amdhsa_exception_fp_ieee_underflow 0
		.amdhsa_exception_fp_ieee_inexact 0
		.amdhsa_exception_int_div_zero 0
	.end_amdhsa_kernel
	.section	.text._ZN7rocprim17ROCPRIM_400000_NS6detail17trampoline_kernelINS0_14default_configENS1_35adjacent_difference_config_selectorILb0EfEEZNS1_24adjacent_difference_implIS3_Lb0ELb0EPfS7_N6thrust23THRUST_200600_302600_NS5minusIfEEEE10hipError_tPvRmT2_T3_mT4_P12ihipStream_tbEUlT_E_NS1_11comp_targetILNS1_3genE2ELNS1_11target_archE906ELNS1_3gpuE6ELNS1_3repE0EEENS1_30default_config_static_selectorELNS0_4arch9wavefront6targetE1EEEvT1_,"axG",@progbits,_ZN7rocprim17ROCPRIM_400000_NS6detail17trampoline_kernelINS0_14default_configENS1_35adjacent_difference_config_selectorILb0EfEEZNS1_24adjacent_difference_implIS3_Lb0ELb0EPfS7_N6thrust23THRUST_200600_302600_NS5minusIfEEEE10hipError_tPvRmT2_T3_mT4_P12ihipStream_tbEUlT_E_NS1_11comp_targetILNS1_3genE2ELNS1_11target_archE906ELNS1_3gpuE6ELNS1_3repE0EEENS1_30default_config_static_selectorELNS0_4arch9wavefront6targetE1EEEvT1_,comdat
.Lfunc_end58:
	.size	_ZN7rocprim17ROCPRIM_400000_NS6detail17trampoline_kernelINS0_14default_configENS1_35adjacent_difference_config_selectorILb0EfEEZNS1_24adjacent_difference_implIS3_Lb0ELb0EPfS7_N6thrust23THRUST_200600_302600_NS5minusIfEEEE10hipError_tPvRmT2_T3_mT4_P12ihipStream_tbEUlT_E_NS1_11comp_targetILNS1_3genE2ELNS1_11target_archE906ELNS1_3gpuE6ELNS1_3repE0EEENS1_30default_config_static_selectorELNS0_4arch9wavefront6targetE1EEEvT1_, .Lfunc_end58-_ZN7rocprim17ROCPRIM_400000_NS6detail17trampoline_kernelINS0_14default_configENS1_35adjacent_difference_config_selectorILb0EfEEZNS1_24adjacent_difference_implIS3_Lb0ELb0EPfS7_N6thrust23THRUST_200600_302600_NS5minusIfEEEE10hipError_tPvRmT2_T3_mT4_P12ihipStream_tbEUlT_E_NS1_11comp_targetILNS1_3genE2ELNS1_11target_archE906ELNS1_3gpuE6ELNS1_3repE0EEENS1_30default_config_static_selectorELNS0_4arch9wavefront6targetE1EEEvT1_
                                        ; -- End function
	.set _ZN7rocprim17ROCPRIM_400000_NS6detail17trampoline_kernelINS0_14default_configENS1_35adjacent_difference_config_selectorILb0EfEEZNS1_24adjacent_difference_implIS3_Lb0ELb0EPfS7_N6thrust23THRUST_200600_302600_NS5minusIfEEEE10hipError_tPvRmT2_T3_mT4_P12ihipStream_tbEUlT_E_NS1_11comp_targetILNS1_3genE2ELNS1_11target_archE906ELNS1_3gpuE6ELNS1_3repE0EEENS1_30default_config_static_selectorELNS0_4arch9wavefront6targetE1EEEvT1_.num_vgpr, 17
	.set _ZN7rocprim17ROCPRIM_400000_NS6detail17trampoline_kernelINS0_14default_configENS1_35adjacent_difference_config_selectorILb0EfEEZNS1_24adjacent_difference_implIS3_Lb0ELb0EPfS7_N6thrust23THRUST_200600_302600_NS5minusIfEEEE10hipError_tPvRmT2_T3_mT4_P12ihipStream_tbEUlT_E_NS1_11comp_targetILNS1_3genE2ELNS1_11target_archE906ELNS1_3gpuE6ELNS1_3repE0EEENS1_30default_config_static_selectorELNS0_4arch9wavefront6targetE1EEEvT1_.num_agpr, 0
	.set _ZN7rocprim17ROCPRIM_400000_NS6detail17trampoline_kernelINS0_14default_configENS1_35adjacent_difference_config_selectorILb0EfEEZNS1_24adjacent_difference_implIS3_Lb0ELb0EPfS7_N6thrust23THRUST_200600_302600_NS5minusIfEEEE10hipError_tPvRmT2_T3_mT4_P12ihipStream_tbEUlT_E_NS1_11comp_targetILNS1_3genE2ELNS1_11target_archE906ELNS1_3gpuE6ELNS1_3repE0EEENS1_30default_config_static_selectorELNS0_4arch9wavefront6targetE1EEEvT1_.numbered_sgpr, 23
	.set _ZN7rocprim17ROCPRIM_400000_NS6detail17trampoline_kernelINS0_14default_configENS1_35adjacent_difference_config_selectorILb0EfEEZNS1_24adjacent_difference_implIS3_Lb0ELb0EPfS7_N6thrust23THRUST_200600_302600_NS5minusIfEEEE10hipError_tPvRmT2_T3_mT4_P12ihipStream_tbEUlT_E_NS1_11comp_targetILNS1_3genE2ELNS1_11target_archE906ELNS1_3gpuE6ELNS1_3repE0EEENS1_30default_config_static_selectorELNS0_4arch9wavefront6targetE1EEEvT1_.num_named_barrier, 0
	.set _ZN7rocprim17ROCPRIM_400000_NS6detail17trampoline_kernelINS0_14default_configENS1_35adjacent_difference_config_selectorILb0EfEEZNS1_24adjacent_difference_implIS3_Lb0ELb0EPfS7_N6thrust23THRUST_200600_302600_NS5minusIfEEEE10hipError_tPvRmT2_T3_mT4_P12ihipStream_tbEUlT_E_NS1_11comp_targetILNS1_3genE2ELNS1_11target_archE906ELNS1_3gpuE6ELNS1_3repE0EEENS1_30default_config_static_selectorELNS0_4arch9wavefront6targetE1EEEvT1_.private_seg_size, 0
	.set _ZN7rocprim17ROCPRIM_400000_NS6detail17trampoline_kernelINS0_14default_configENS1_35adjacent_difference_config_selectorILb0EfEEZNS1_24adjacent_difference_implIS3_Lb0ELb0EPfS7_N6thrust23THRUST_200600_302600_NS5minusIfEEEE10hipError_tPvRmT2_T3_mT4_P12ihipStream_tbEUlT_E_NS1_11comp_targetILNS1_3genE2ELNS1_11target_archE906ELNS1_3gpuE6ELNS1_3repE0EEENS1_30default_config_static_selectorELNS0_4arch9wavefront6targetE1EEEvT1_.uses_vcc, 1
	.set _ZN7rocprim17ROCPRIM_400000_NS6detail17trampoline_kernelINS0_14default_configENS1_35adjacent_difference_config_selectorILb0EfEEZNS1_24adjacent_difference_implIS3_Lb0ELb0EPfS7_N6thrust23THRUST_200600_302600_NS5minusIfEEEE10hipError_tPvRmT2_T3_mT4_P12ihipStream_tbEUlT_E_NS1_11comp_targetILNS1_3genE2ELNS1_11target_archE906ELNS1_3gpuE6ELNS1_3repE0EEENS1_30default_config_static_selectorELNS0_4arch9wavefront6targetE1EEEvT1_.uses_flat_scratch, 0
	.set _ZN7rocprim17ROCPRIM_400000_NS6detail17trampoline_kernelINS0_14default_configENS1_35adjacent_difference_config_selectorILb0EfEEZNS1_24adjacent_difference_implIS3_Lb0ELb0EPfS7_N6thrust23THRUST_200600_302600_NS5minusIfEEEE10hipError_tPvRmT2_T3_mT4_P12ihipStream_tbEUlT_E_NS1_11comp_targetILNS1_3genE2ELNS1_11target_archE906ELNS1_3gpuE6ELNS1_3repE0EEENS1_30default_config_static_selectorELNS0_4arch9wavefront6targetE1EEEvT1_.has_dyn_sized_stack, 0
	.set _ZN7rocprim17ROCPRIM_400000_NS6detail17trampoline_kernelINS0_14default_configENS1_35adjacent_difference_config_selectorILb0EfEEZNS1_24adjacent_difference_implIS3_Lb0ELb0EPfS7_N6thrust23THRUST_200600_302600_NS5minusIfEEEE10hipError_tPvRmT2_T3_mT4_P12ihipStream_tbEUlT_E_NS1_11comp_targetILNS1_3genE2ELNS1_11target_archE906ELNS1_3gpuE6ELNS1_3repE0EEENS1_30default_config_static_selectorELNS0_4arch9wavefront6targetE1EEEvT1_.has_recursion, 0
	.set _ZN7rocprim17ROCPRIM_400000_NS6detail17trampoline_kernelINS0_14default_configENS1_35adjacent_difference_config_selectorILb0EfEEZNS1_24adjacent_difference_implIS3_Lb0ELb0EPfS7_N6thrust23THRUST_200600_302600_NS5minusIfEEEE10hipError_tPvRmT2_T3_mT4_P12ihipStream_tbEUlT_E_NS1_11comp_targetILNS1_3genE2ELNS1_11target_archE906ELNS1_3gpuE6ELNS1_3repE0EEENS1_30default_config_static_selectorELNS0_4arch9wavefront6targetE1EEEvT1_.has_indirect_call, 0
	.section	.AMDGPU.csdata,"",@progbits
; Kernel info:
; codeLenInByte = 1808
; TotalNumSgprs: 27
; NumVgprs: 17
; ScratchSize: 0
; MemoryBound: 0
; FloatMode: 240
; IeeeMode: 1
; LDSByteSize: 20480 bytes/workgroup (compile time only)
; SGPRBlocks: 8
; VGPRBlocks: 7
; NumSGPRsForWavesPerEU: 65
; NumVGPRsForWavesPerEU: 29
; Occupancy: 8
; WaveLimiterHint : 1
; COMPUTE_PGM_RSRC2:SCRATCH_EN: 0
; COMPUTE_PGM_RSRC2:USER_SGPR: 6
; COMPUTE_PGM_RSRC2:TRAP_HANDLER: 0
; COMPUTE_PGM_RSRC2:TGID_X_EN: 1
; COMPUTE_PGM_RSRC2:TGID_Y_EN: 0
; COMPUTE_PGM_RSRC2:TGID_Z_EN: 0
; COMPUTE_PGM_RSRC2:TIDIG_COMP_CNT: 0
	.section	.text._ZN7rocprim17ROCPRIM_400000_NS6detail17trampoline_kernelINS0_14default_configENS1_35adjacent_difference_config_selectorILb0EfEEZNS1_24adjacent_difference_implIS3_Lb0ELb0EPfS7_N6thrust23THRUST_200600_302600_NS5minusIfEEEE10hipError_tPvRmT2_T3_mT4_P12ihipStream_tbEUlT_E_NS1_11comp_targetILNS1_3genE9ELNS1_11target_archE1100ELNS1_3gpuE3ELNS1_3repE0EEENS1_30default_config_static_selectorELNS0_4arch9wavefront6targetE1EEEvT1_,"axG",@progbits,_ZN7rocprim17ROCPRIM_400000_NS6detail17trampoline_kernelINS0_14default_configENS1_35adjacent_difference_config_selectorILb0EfEEZNS1_24adjacent_difference_implIS3_Lb0ELb0EPfS7_N6thrust23THRUST_200600_302600_NS5minusIfEEEE10hipError_tPvRmT2_T3_mT4_P12ihipStream_tbEUlT_E_NS1_11comp_targetILNS1_3genE9ELNS1_11target_archE1100ELNS1_3gpuE3ELNS1_3repE0EEENS1_30default_config_static_selectorELNS0_4arch9wavefront6targetE1EEEvT1_,comdat
	.protected	_ZN7rocprim17ROCPRIM_400000_NS6detail17trampoline_kernelINS0_14default_configENS1_35adjacent_difference_config_selectorILb0EfEEZNS1_24adjacent_difference_implIS3_Lb0ELb0EPfS7_N6thrust23THRUST_200600_302600_NS5minusIfEEEE10hipError_tPvRmT2_T3_mT4_P12ihipStream_tbEUlT_E_NS1_11comp_targetILNS1_3genE9ELNS1_11target_archE1100ELNS1_3gpuE3ELNS1_3repE0EEENS1_30default_config_static_selectorELNS0_4arch9wavefront6targetE1EEEvT1_ ; -- Begin function _ZN7rocprim17ROCPRIM_400000_NS6detail17trampoline_kernelINS0_14default_configENS1_35adjacent_difference_config_selectorILb0EfEEZNS1_24adjacent_difference_implIS3_Lb0ELb0EPfS7_N6thrust23THRUST_200600_302600_NS5minusIfEEEE10hipError_tPvRmT2_T3_mT4_P12ihipStream_tbEUlT_E_NS1_11comp_targetILNS1_3genE9ELNS1_11target_archE1100ELNS1_3gpuE3ELNS1_3repE0EEENS1_30default_config_static_selectorELNS0_4arch9wavefront6targetE1EEEvT1_
	.globl	_ZN7rocprim17ROCPRIM_400000_NS6detail17trampoline_kernelINS0_14default_configENS1_35adjacent_difference_config_selectorILb0EfEEZNS1_24adjacent_difference_implIS3_Lb0ELb0EPfS7_N6thrust23THRUST_200600_302600_NS5minusIfEEEE10hipError_tPvRmT2_T3_mT4_P12ihipStream_tbEUlT_E_NS1_11comp_targetILNS1_3genE9ELNS1_11target_archE1100ELNS1_3gpuE3ELNS1_3repE0EEENS1_30default_config_static_selectorELNS0_4arch9wavefront6targetE1EEEvT1_
	.p2align	8
	.type	_ZN7rocprim17ROCPRIM_400000_NS6detail17trampoline_kernelINS0_14default_configENS1_35adjacent_difference_config_selectorILb0EfEEZNS1_24adjacent_difference_implIS3_Lb0ELb0EPfS7_N6thrust23THRUST_200600_302600_NS5minusIfEEEE10hipError_tPvRmT2_T3_mT4_P12ihipStream_tbEUlT_E_NS1_11comp_targetILNS1_3genE9ELNS1_11target_archE1100ELNS1_3gpuE3ELNS1_3repE0EEENS1_30default_config_static_selectorELNS0_4arch9wavefront6targetE1EEEvT1_,@function
_ZN7rocprim17ROCPRIM_400000_NS6detail17trampoline_kernelINS0_14default_configENS1_35adjacent_difference_config_selectorILb0EfEEZNS1_24adjacent_difference_implIS3_Lb0ELb0EPfS7_N6thrust23THRUST_200600_302600_NS5minusIfEEEE10hipError_tPvRmT2_T3_mT4_P12ihipStream_tbEUlT_E_NS1_11comp_targetILNS1_3genE9ELNS1_11target_archE1100ELNS1_3gpuE3ELNS1_3repE0EEENS1_30default_config_static_selectorELNS0_4arch9wavefront6targetE1EEEvT1_: ; @_ZN7rocprim17ROCPRIM_400000_NS6detail17trampoline_kernelINS0_14default_configENS1_35adjacent_difference_config_selectorILb0EfEEZNS1_24adjacent_difference_implIS3_Lb0ELb0EPfS7_N6thrust23THRUST_200600_302600_NS5minusIfEEEE10hipError_tPvRmT2_T3_mT4_P12ihipStream_tbEUlT_E_NS1_11comp_targetILNS1_3genE9ELNS1_11target_archE1100ELNS1_3gpuE3ELNS1_3repE0EEENS1_30default_config_static_selectorELNS0_4arch9wavefront6targetE1EEEvT1_
; %bb.0:
	.section	.rodata,"a",@progbits
	.p2align	6, 0x0
	.amdhsa_kernel _ZN7rocprim17ROCPRIM_400000_NS6detail17trampoline_kernelINS0_14default_configENS1_35adjacent_difference_config_selectorILb0EfEEZNS1_24adjacent_difference_implIS3_Lb0ELb0EPfS7_N6thrust23THRUST_200600_302600_NS5minusIfEEEE10hipError_tPvRmT2_T3_mT4_P12ihipStream_tbEUlT_E_NS1_11comp_targetILNS1_3genE9ELNS1_11target_archE1100ELNS1_3gpuE3ELNS1_3repE0EEENS1_30default_config_static_selectorELNS0_4arch9wavefront6targetE1EEEvT1_
		.amdhsa_group_segment_fixed_size 0
		.amdhsa_private_segment_fixed_size 0
		.amdhsa_kernarg_size 56
		.amdhsa_user_sgpr_count 6
		.amdhsa_user_sgpr_private_segment_buffer 1
		.amdhsa_user_sgpr_dispatch_ptr 0
		.amdhsa_user_sgpr_queue_ptr 0
		.amdhsa_user_sgpr_kernarg_segment_ptr 1
		.amdhsa_user_sgpr_dispatch_id 0
		.amdhsa_user_sgpr_flat_scratch_init 0
		.amdhsa_user_sgpr_private_segment_size 0
		.amdhsa_uses_dynamic_stack 0
		.amdhsa_system_sgpr_private_segment_wavefront_offset 0
		.amdhsa_system_sgpr_workgroup_id_x 1
		.amdhsa_system_sgpr_workgroup_id_y 0
		.amdhsa_system_sgpr_workgroup_id_z 0
		.amdhsa_system_sgpr_workgroup_info 0
		.amdhsa_system_vgpr_workitem_id 0
		.amdhsa_next_free_vgpr 1
		.amdhsa_next_free_sgpr 0
		.amdhsa_reserve_vcc 0
		.amdhsa_reserve_flat_scratch 0
		.amdhsa_float_round_mode_32 0
		.amdhsa_float_round_mode_16_64 0
		.amdhsa_float_denorm_mode_32 3
		.amdhsa_float_denorm_mode_16_64 3
		.amdhsa_dx10_clamp 1
		.amdhsa_ieee_mode 1
		.amdhsa_fp16_overflow 0
		.amdhsa_exception_fp_ieee_invalid_op 0
		.amdhsa_exception_fp_denorm_src 0
		.amdhsa_exception_fp_ieee_div_zero 0
		.amdhsa_exception_fp_ieee_overflow 0
		.amdhsa_exception_fp_ieee_underflow 0
		.amdhsa_exception_fp_ieee_inexact 0
		.amdhsa_exception_int_div_zero 0
	.end_amdhsa_kernel
	.section	.text._ZN7rocprim17ROCPRIM_400000_NS6detail17trampoline_kernelINS0_14default_configENS1_35adjacent_difference_config_selectorILb0EfEEZNS1_24adjacent_difference_implIS3_Lb0ELb0EPfS7_N6thrust23THRUST_200600_302600_NS5minusIfEEEE10hipError_tPvRmT2_T3_mT4_P12ihipStream_tbEUlT_E_NS1_11comp_targetILNS1_3genE9ELNS1_11target_archE1100ELNS1_3gpuE3ELNS1_3repE0EEENS1_30default_config_static_selectorELNS0_4arch9wavefront6targetE1EEEvT1_,"axG",@progbits,_ZN7rocprim17ROCPRIM_400000_NS6detail17trampoline_kernelINS0_14default_configENS1_35adjacent_difference_config_selectorILb0EfEEZNS1_24adjacent_difference_implIS3_Lb0ELb0EPfS7_N6thrust23THRUST_200600_302600_NS5minusIfEEEE10hipError_tPvRmT2_T3_mT4_P12ihipStream_tbEUlT_E_NS1_11comp_targetILNS1_3genE9ELNS1_11target_archE1100ELNS1_3gpuE3ELNS1_3repE0EEENS1_30default_config_static_selectorELNS0_4arch9wavefront6targetE1EEEvT1_,comdat
.Lfunc_end59:
	.size	_ZN7rocprim17ROCPRIM_400000_NS6detail17trampoline_kernelINS0_14default_configENS1_35adjacent_difference_config_selectorILb0EfEEZNS1_24adjacent_difference_implIS3_Lb0ELb0EPfS7_N6thrust23THRUST_200600_302600_NS5minusIfEEEE10hipError_tPvRmT2_T3_mT4_P12ihipStream_tbEUlT_E_NS1_11comp_targetILNS1_3genE9ELNS1_11target_archE1100ELNS1_3gpuE3ELNS1_3repE0EEENS1_30default_config_static_selectorELNS0_4arch9wavefront6targetE1EEEvT1_, .Lfunc_end59-_ZN7rocprim17ROCPRIM_400000_NS6detail17trampoline_kernelINS0_14default_configENS1_35adjacent_difference_config_selectorILb0EfEEZNS1_24adjacent_difference_implIS3_Lb0ELb0EPfS7_N6thrust23THRUST_200600_302600_NS5minusIfEEEE10hipError_tPvRmT2_T3_mT4_P12ihipStream_tbEUlT_E_NS1_11comp_targetILNS1_3genE9ELNS1_11target_archE1100ELNS1_3gpuE3ELNS1_3repE0EEENS1_30default_config_static_selectorELNS0_4arch9wavefront6targetE1EEEvT1_
                                        ; -- End function
	.set _ZN7rocprim17ROCPRIM_400000_NS6detail17trampoline_kernelINS0_14default_configENS1_35adjacent_difference_config_selectorILb0EfEEZNS1_24adjacent_difference_implIS3_Lb0ELb0EPfS7_N6thrust23THRUST_200600_302600_NS5minusIfEEEE10hipError_tPvRmT2_T3_mT4_P12ihipStream_tbEUlT_E_NS1_11comp_targetILNS1_3genE9ELNS1_11target_archE1100ELNS1_3gpuE3ELNS1_3repE0EEENS1_30default_config_static_selectorELNS0_4arch9wavefront6targetE1EEEvT1_.num_vgpr, 0
	.set _ZN7rocprim17ROCPRIM_400000_NS6detail17trampoline_kernelINS0_14default_configENS1_35adjacent_difference_config_selectorILb0EfEEZNS1_24adjacent_difference_implIS3_Lb0ELb0EPfS7_N6thrust23THRUST_200600_302600_NS5minusIfEEEE10hipError_tPvRmT2_T3_mT4_P12ihipStream_tbEUlT_E_NS1_11comp_targetILNS1_3genE9ELNS1_11target_archE1100ELNS1_3gpuE3ELNS1_3repE0EEENS1_30default_config_static_selectorELNS0_4arch9wavefront6targetE1EEEvT1_.num_agpr, 0
	.set _ZN7rocprim17ROCPRIM_400000_NS6detail17trampoline_kernelINS0_14default_configENS1_35adjacent_difference_config_selectorILb0EfEEZNS1_24adjacent_difference_implIS3_Lb0ELb0EPfS7_N6thrust23THRUST_200600_302600_NS5minusIfEEEE10hipError_tPvRmT2_T3_mT4_P12ihipStream_tbEUlT_E_NS1_11comp_targetILNS1_3genE9ELNS1_11target_archE1100ELNS1_3gpuE3ELNS1_3repE0EEENS1_30default_config_static_selectorELNS0_4arch9wavefront6targetE1EEEvT1_.numbered_sgpr, 0
	.set _ZN7rocprim17ROCPRIM_400000_NS6detail17trampoline_kernelINS0_14default_configENS1_35adjacent_difference_config_selectorILb0EfEEZNS1_24adjacent_difference_implIS3_Lb0ELb0EPfS7_N6thrust23THRUST_200600_302600_NS5minusIfEEEE10hipError_tPvRmT2_T3_mT4_P12ihipStream_tbEUlT_E_NS1_11comp_targetILNS1_3genE9ELNS1_11target_archE1100ELNS1_3gpuE3ELNS1_3repE0EEENS1_30default_config_static_selectorELNS0_4arch9wavefront6targetE1EEEvT1_.num_named_barrier, 0
	.set _ZN7rocprim17ROCPRIM_400000_NS6detail17trampoline_kernelINS0_14default_configENS1_35adjacent_difference_config_selectorILb0EfEEZNS1_24adjacent_difference_implIS3_Lb0ELb0EPfS7_N6thrust23THRUST_200600_302600_NS5minusIfEEEE10hipError_tPvRmT2_T3_mT4_P12ihipStream_tbEUlT_E_NS1_11comp_targetILNS1_3genE9ELNS1_11target_archE1100ELNS1_3gpuE3ELNS1_3repE0EEENS1_30default_config_static_selectorELNS0_4arch9wavefront6targetE1EEEvT1_.private_seg_size, 0
	.set _ZN7rocprim17ROCPRIM_400000_NS6detail17trampoline_kernelINS0_14default_configENS1_35adjacent_difference_config_selectorILb0EfEEZNS1_24adjacent_difference_implIS3_Lb0ELb0EPfS7_N6thrust23THRUST_200600_302600_NS5minusIfEEEE10hipError_tPvRmT2_T3_mT4_P12ihipStream_tbEUlT_E_NS1_11comp_targetILNS1_3genE9ELNS1_11target_archE1100ELNS1_3gpuE3ELNS1_3repE0EEENS1_30default_config_static_selectorELNS0_4arch9wavefront6targetE1EEEvT1_.uses_vcc, 0
	.set _ZN7rocprim17ROCPRIM_400000_NS6detail17trampoline_kernelINS0_14default_configENS1_35adjacent_difference_config_selectorILb0EfEEZNS1_24adjacent_difference_implIS3_Lb0ELb0EPfS7_N6thrust23THRUST_200600_302600_NS5minusIfEEEE10hipError_tPvRmT2_T3_mT4_P12ihipStream_tbEUlT_E_NS1_11comp_targetILNS1_3genE9ELNS1_11target_archE1100ELNS1_3gpuE3ELNS1_3repE0EEENS1_30default_config_static_selectorELNS0_4arch9wavefront6targetE1EEEvT1_.uses_flat_scratch, 0
	.set _ZN7rocprim17ROCPRIM_400000_NS6detail17trampoline_kernelINS0_14default_configENS1_35adjacent_difference_config_selectorILb0EfEEZNS1_24adjacent_difference_implIS3_Lb0ELb0EPfS7_N6thrust23THRUST_200600_302600_NS5minusIfEEEE10hipError_tPvRmT2_T3_mT4_P12ihipStream_tbEUlT_E_NS1_11comp_targetILNS1_3genE9ELNS1_11target_archE1100ELNS1_3gpuE3ELNS1_3repE0EEENS1_30default_config_static_selectorELNS0_4arch9wavefront6targetE1EEEvT1_.has_dyn_sized_stack, 0
	.set _ZN7rocprim17ROCPRIM_400000_NS6detail17trampoline_kernelINS0_14default_configENS1_35adjacent_difference_config_selectorILb0EfEEZNS1_24adjacent_difference_implIS3_Lb0ELb0EPfS7_N6thrust23THRUST_200600_302600_NS5minusIfEEEE10hipError_tPvRmT2_T3_mT4_P12ihipStream_tbEUlT_E_NS1_11comp_targetILNS1_3genE9ELNS1_11target_archE1100ELNS1_3gpuE3ELNS1_3repE0EEENS1_30default_config_static_selectorELNS0_4arch9wavefront6targetE1EEEvT1_.has_recursion, 0
	.set _ZN7rocprim17ROCPRIM_400000_NS6detail17trampoline_kernelINS0_14default_configENS1_35adjacent_difference_config_selectorILb0EfEEZNS1_24adjacent_difference_implIS3_Lb0ELb0EPfS7_N6thrust23THRUST_200600_302600_NS5minusIfEEEE10hipError_tPvRmT2_T3_mT4_P12ihipStream_tbEUlT_E_NS1_11comp_targetILNS1_3genE9ELNS1_11target_archE1100ELNS1_3gpuE3ELNS1_3repE0EEENS1_30default_config_static_selectorELNS0_4arch9wavefront6targetE1EEEvT1_.has_indirect_call, 0
	.section	.AMDGPU.csdata,"",@progbits
; Kernel info:
; codeLenInByte = 0
; TotalNumSgprs: 4
; NumVgprs: 0
; ScratchSize: 0
; MemoryBound: 0
; FloatMode: 240
; IeeeMode: 1
; LDSByteSize: 0 bytes/workgroup (compile time only)
; SGPRBlocks: 0
; VGPRBlocks: 0
; NumSGPRsForWavesPerEU: 4
; NumVGPRsForWavesPerEU: 1
; Occupancy: 10
; WaveLimiterHint : 0
; COMPUTE_PGM_RSRC2:SCRATCH_EN: 0
; COMPUTE_PGM_RSRC2:USER_SGPR: 6
; COMPUTE_PGM_RSRC2:TRAP_HANDLER: 0
; COMPUTE_PGM_RSRC2:TGID_X_EN: 1
; COMPUTE_PGM_RSRC2:TGID_Y_EN: 0
; COMPUTE_PGM_RSRC2:TGID_Z_EN: 0
; COMPUTE_PGM_RSRC2:TIDIG_COMP_CNT: 0
	.section	.text._ZN7rocprim17ROCPRIM_400000_NS6detail17trampoline_kernelINS0_14default_configENS1_35adjacent_difference_config_selectorILb0EfEEZNS1_24adjacent_difference_implIS3_Lb0ELb0EPfS7_N6thrust23THRUST_200600_302600_NS5minusIfEEEE10hipError_tPvRmT2_T3_mT4_P12ihipStream_tbEUlT_E_NS1_11comp_targetILNS1_3genE8ELNS1_11target_archE1030ELNS1_3gpuE2ELNS1_3repE0EEENS1_30default_config_static_selectorELNS0_4arch9wavefront6targetE1EEEvT1_,"axG",@progbits,_ZN7rocprim17ROCPRIM_400000_NS6detail17trampoline_kernelINS0_14default_configENS1_35adjacent_difference_config_selectorILb0EfEEZNS1_24adjacent_difference_implIS3_Lb0ELb0EPfS7_N6thrust23THRUST_200600_302600_NS5minusIfEEEE10hipError_tPvRmT2_T3_mT4_P12ihipStream_tbEUlT_E_NS1_11comp_targetILNS1_3genE8ELNS1_11target_archE1030ELNS1_3gpuE2ELNS1_3repE0EEENS1_30default_config_static_selectorELNS0_4arch9wavefront6targetE1EEEvT1_,comdat
	.protected	_ZN7rocprim17ROCPRIM_400000_NS6detail17trampoline_kernelINS0_14default_configENS1_35adjacent_difference_config_selectorILb0EfEEZNS1_24adjacent_difference_implIS3_Lb0ELb0EPfS7_N6thrust23THRUST_200600_302600_NS5minusIfEEEE10hipError_tPvRmT2_T3_mT4_P12ihipStream_tbEUlT_E_NS1_11comp_targetILNS1_3genE8ELNS1_11target_archE1030ELNS1_3gpuE2ELNS1_3repE0EEENS1_30default_config_static_selectorELNS0_4arch9wavefront6targetE1EEEvT1_ ; -- Begin function _ZN7rocprim17ROCPRIM_400000_NS6detail17trampoline_kernelINS0_14default_configENS1_35adjacent_difference_config_selectorILb0EfEEZNS1_24adjacent_difference_implIS3_Lb0ELb0EPfS7_N6thrust23THRUST_200600_302600_NS5minusIfEEEE10hipError_tPvRmT2_T3_mT4_P12ihipStream_tbEUlT_E_NS1_11comp_targetILNS1_3genE8ELNS1_11target_archE1030ELNS1_3gpuE2ELNS1_3repE0EEENS1_30default_config_static_selectorELNS0_4arch9wavefront6targetE1EEEvT1_
	.globl	_ZN7rocprim17ROCPRIM_400000_NS6detail17trampoline_kernelINS0_14default_configENS1_35adjacent_difference_config_selectorILb0EfEEZNS1_24adjacent_difference_implIS3_Lb0ELb0EPfS7_N6thrust23THRUST_200600_302600_NS5minusIfEEEE10hipError_tPvRmT2_T3_mT4_P12ihipStream_tbEUlT_E_NS1_11comp_targetILNS1_3genE8ELNS1_11target_archE1030ELNS1_3gpuE2ELNS1_3repE0EEENS1_30default_config_static_selectorELNS0_4arch9wavefront6targetE1EEEvT1_
	.p2align	8
	.type	_ZN7rocprim17ROCPRIM_400000_NS6detail17trampoline_kernelINS0_14default_configENS1_35adjacent_difference_config_selectorILb0EfEEZNS1_24adjacent_difference_implIS3_Lb0ELb0EPfS7_N6thrust23THRUST_200600_302600_NS5minusIfEEEE10hipError_tPvRmT2_T3_mT4_P12ihipStream_tbEUlT_E_NS1_11comp_targetILNS1_3genE8ELNS1_11target_archE1030ELNS1_3gpuE2ELNS1_3repE0EEENS1_30default_config_static_selectorELNS0_4arch9wavefront6targetE1EEEvT1_,@function
_ZN7rocprim17ROCPRIM_400000_NS6detail17trampoline_kernelINS0_14default_configENS1_35adjacent_difference_config_selectorILb0EfEEZNS1_24adjacent_difference_implIS3_Lb0ELb0EPfS7_N6thrust23THRUST_200600_302600_NS5minusIfEEEE10hipError_tPvRmT2_T3_mT4_P12ihipStream_tbEUlT_E_NS1_11comp_targetILNS1_3genE8ELNS1_11target_archE1030ELNS1_3gpuE2ELNS1_3repE0EEENS1_30default_config_static_selectorELNS0_4arch9wavefront6targetE1EEEvT1_: ; @_ZN7rocprim17ROCPRIM_400000_NS6detail17trampoline_kernelINS0_14default_configENS1_35adjacent_difference_config_selectorILb0EfEEZNS1_24adjacent_difference_implIS3_Lb0ELb0EPfS7_N6thrust23THRUST_200600_302600_NS5minusIfEEEE10hipError_tPvRmT2_T3_mT4_P12ihipStream_tbEUlT_E_NS1_11comp_targetILNS1_3genE8ELNS1_11target_archE1030ELNS1_3gpuE2ELNS1_3repE0EEENS1_30default_config_static_selectorELNS0_4arch9wavefront6targetE1EEEvT1_
; %bb.0:
	.section	.rodata,"a",@progbits
	.p2align	6, 0x0
	.amdhsa_kernel _ZN7rocprim17ROCPRIM_400000_NS6detail17trampoline_kernelINS0_14default_configENS1_35adjacent_difference_config_selectorILb0EfEEZNS1_24adjacent_difference_implIS3_Lb0ELb0EPfS7_N6thrust23THRUST_200600_302600_NS5minusIfEEEE10hipError_tPvRmT2_T3_mT4_P12ihipStream_tbEUlT_E_NS1_11comp_targetILNS1_3genE8ELNS1_11target_archE1030ELNS1_3gpuE2ELNS1_3repE0EEENS1_30default_config_static_selectorELNS0_4arch9wavefront6targetE1EEEvT1_
		.amdhsa_group_segment_fixed_size 0
		.amdhsa_private_segment_fixed_size 0
		.amdhsa_kernarg_size 56
		.amdhsa_user_sgpr_count 6
		.amdhsa_user_sgpr_private_segment_buffer 1
		.amdhsa_user_sgpr_dispatch_ptr 0
		.amdhsa_user_sgpr_queue_ptr 0
		.amdhsa_user_sgpr_kernarg_segment_ptr 1
		.amdhsa_user_sgpr_dispatch_id 0
		.amdhsa_user_sgpr_flat_scratch_init 0
		.amdhsa_user_sgpr_private_segment_size 0
		.amdhsa_uses_dynamic_stack 0
		.amdhsa_system_sgpr_private_segment_wavefront_offset 0
		.amdhsa_system_sgpr_workgroup_id_x 1
		.amdhsa_system_sgpr_workgroup_id_y 0
		.amdhsa_system_sgpr_workgroup_id_z 0
		.amdhsa_system_sgpr_workgroup_info 0
		.amdhsa_system_vgpr_workitem_id 0
		.amdhsa_next_free_vgpr 1
		.amdhsa_next_free_sgpr 0
		.amdhsa_reserve_vcc 0
		.amdhsa_reserve_flat_scratch 0
		.amdhsa_float_round_mode_32 0
		.amdhsa_float_round_mode_16_64 0
		.amdhsa_float_denorm_mode_32 3
		.amdhsa_float_denorm_mode_16_64 3
		.amdhsa_dx10_clamp 1
		.amdhsa_ieee_mode 1
		.amdhsa_fp16_overflow 0
		.amdhsa_exception_fp_ieee_invalid_op 0
		.amdhsa_exception_fp_denorm_src 0
		.amdhsa_exception_fp_ieee_div_zero 0
		.amdhsa_exception_fp_ieee_overflow 0
		.amdhsa_exception_fp_ieee_underflow 0
		.amdhsa_exception_fp_ieee_inexact 0
		.amdhsa_exception_int_div_zero 0
	.end_amdhsa_kernel
	.section	.text._ZN7rocprim17ROCPRIM_400000_NS6detail17trampoline_kernelINS0_14default_configENS1_35adjacent_difference_config_selectorILb0EfEEZNS1_24adjacent_difference_implIS3_Lb0ELb0EPfS7_N6thrust23THRUST_200600_302600_NS5minusIfEEEE10hipError_tPvRmT2_T3_mT4_P12ihipStream_tbEUlT_E_NS1_11comp_targetILNS1_3genE8ELNS1_11target_archE1030ELNS1_3gpuE2ELNS1_3repE0EEENS1_30default_config_static_selectorELNS0_4arch9wavefront6targetE1EEEvT1_,"axG",@progbits,_ZN7rocprim17ROCPRIM_400000_NS6detail17trampoline_kernelINS0_14default_configENS1_35adjacent_difference_config_selectorILb0EfEEZNS1_24adjacent_difference_implIS3_Lb0ELb0EPfS7_N6thrust23THRUST_200600_302600_NS5minusIfEEEE10hipError_tPvRmT2_T3_mT4_P12ihipStream_tbEUlT_E_NS1_11comp_targetILNS1_3genE8ELNS1_11target_archE1030ELNS1_3gpuE2ELNS1_3repE0EEENS1_30default_config_static_selectorELNS0_4arch9wavefront6targetE1EEEvT1_,comdat
.Lfunc_end60:
	.size	_ZN7rocprim17ROCPRIM_400000_NS6detail17trampoline_kernelINS0_14default_configENS1_35adjacent_difference_config_selectorILb0EfEEZNS1_24adjacent_difference_implIS3_Lb0ELb0EPfS7_N6thrust23THRUST_200600_302600_NS5minusIfEEEE10hipError_tPvRmT2_T3_mT4_P12ihipStream_tbEUlT_E_NS1_11comp_targetILNS1_3genE8ELNS1_11target_archE1030ELNS1_3gpuE2ELNS1_3repE0EEENS1_30default_config_static_selectorELNS0_4arch9wavefront6targetE1EEEvT1_, .Lfunc_end60-_ZN7rocprim17ROCPRIM_400000_NS6detail17trampoline_kernelINS0_14default_configENS1_35adjacent_difference_config_selectorILb0EfEEZNS1_24adjacent_difference_implIS3_Lb0ELb0EPfS7_N6thrust23THRUST_200600_302600_NS5minusIfEEEE10hipError_tPvRmT2_T3_mT4_P12ihipStream_tbEUlT_E_NS1_11comp_targetILNS1_3genE8ELNS1_11target_archE1030ELNS1_3gpuE2ELNS1_3repE0EEENS1_30default_config_static_selectorELNS0_4arch9wavefront6targetE1EEEvT1_
                                        ; -- End function
	.set _ZN7rocprim17ROCPRIM_400000_NS6detail17trampoline_kernelINS0_14default_configENS1_35adjacent_difference_config_selectorILb0EfEEZNS1_24adjacent_difference_implIS3_Lb0ELb0EPfS7_N6thrust23THRUST_200600_302600_NS5minusIfEEEE10hipError_tPvRmT2_T3_mT4_P12ihipStream_tbEUlT_E_NS1_11comp_targetILNS1_3genE8ELNS1_11target_archE1030ELNS1_3gpuE2ELNS1_3repE0EEENS1_30default_config_static_selectorELNS0_4arch9wavefront6targetE1EEEvT1_.num_vgpr, 0
	.set _ZN7rocprim17ROCPRIM_400000_NS6detail17trampoline_kernelINS0_14default_configENS1_35adjacent_difference_config_selectorILb0EfEEZNS1_24adjacent_difference_implIS3_Lb0ELb0EPfS7_N6thrust23THRUST_200600_302600_NS5minusIfEEEE10hipError_tPvRmT2_T3_mT4_P12ihipStream_tbEUlT_E_NS1_11comp_targetILNS1_3genE8ELNS1_11target_archE1030ELNS1_3gpuE2ELNS1_3repE0EEENS1_30default_config_static_selectorELNS0_4arch9wavefront6targetE1EEEvT1_.num_agpr, 0
	.set _ZN7rocprim17ROCPRIM_400000_NS6detail17trampoline_kernelINS0_14default_configENS1_35adjacent_difference_config_selectorILb0EfEEZNS1_24adjacent_difference_implIS3_Lb0ELb0EPfS7_N6thrust23THRUST_200600_302600_NS5minusIfEEEE10hipError_tPvRmT2_T3_mT4_P12ihipStream_tbEUlT_E_NS1_11comp_targetILNS1_3genE8ELNS1_11target_archE1030ELNS1_3gpuE2ELNS1_3repE0EEENS1_30default_config_static_selectorELNS0_4arch9wavefront6targetE1EEEvT1_.numbered_sgpr, 0
	.set _ZN7rocprim17ROCPRIM_400000_NS6detail17trampoline_kernelINS0_14default_configENS1_35adjacent_difference_config_selectorILb0EfEEZNS1_24adjacent_difference_implIS3_Lb0ELb0EPfS7_N6thrust23THRUST_200600_302600_NS5minusIfEEEE10hipError_tPvRmT2_T3_mT4_P12ihipStream_tbEUlT_E_NS1_11comp_targetILNS1_3genE8ELNS1_11target_archE1030ELNS1_3gpuE2ELNS1_3repE0EEENS1_30default_config_static_selectorELNS0_4arch9wavefront6targetE1EEEvT1_.num_named_barrier, 0
	.set _ZN7rocprim17ROCPRIM_400000_NS6detail17trampoline_kernelINS0_14default_configENS1_35adjacent_difference_config_selectorILb0EfEEZNS1_24adjacent_difference_implIS3_Lb0ELb0EPfS7_N6thrust23THRUST_200600_302600_NS5minusIfEEEE10hipError_tPvRmT2_T3_mT4_P12ihipStream_tbEUlT_E_NS1_11comp_targetILNS1_3genE8ELNS1_11target_archE1030ELNS1_3gpuE2ELNS1_3repE0EEENS1_30default_config_static_selectorELNS0_4arch9wavefront6targetE1EEEvT1_.private_seg_size, 0
	.set _ZN7rocprim17ROCPRIM_400000_NS6detail17trampoline_kernelINS0_14default_configENS1_35adjacent_difference_config_selectorILb0EfEEZNS1_24adjacent_difference_implIS3_Lb0ELb0EPfS7_N6thrust23THRUST_200600_302600_NS5minusIfEEEE10hipError_tPvRmT2_T3_mT4_P12ihipStream_tbEUlT_E_NS1_11comp_targetILNS1_3genE8ELNS1_11target_archE1030ELNS1_3gpuE2ELNS1_3repE0EEENS1_30default_config_static_selectorELNS0_4arch9wavefront6targetE1EEEvT1_.uses_vcc, 0
	.set _ZN7rocprim17ROCPRIM_400000_NS6detail17trampoline_kernelINS0_14default_configENS1_35adjacent_difference_config_selectorILb0EfEEZNS1_24adjacent_difference_implIS3_Lb0ELb0EPfS7_N6thrust23THRUST_200600_302600_NS5minusIfEEEE10hipError_tPvRmT2_T3_mT4_P12ihipStream_tbEUlT_E_NS1_11comp_targetILNS1_3genE8ELNS1_11target_archE1030ELNS1_3gpuE2ELNS1_3repE0EEENS1_30default_config_static_selectorELNS0_4arch9wavefront6targetE1EEEvT1_.uses_flat_scratch, 0
	.set _ZN7rocprim17ROCPRIM_400000_NS6detail17trampoline_kernelINS0_14default_configENS1_35adjacent_difference_config_selectorILb0EfEEZNS1_24adjacent_difference_implIS3_Lb0ELb0EPfS7_N6thrust23THRUST_200600_302600_NS5minusIfEEEE10hipError_tPvRmT2_T3_mT4_P12ihipStream_tbEUlT_E_NS1_11comp_targetILNS1_3genE8ELNS1_11target_archE1030ELNS1_3gpuE2ELNS1_3repE0EEENS1_30default_config_static_selectorELNS0_4arch9wavefront6targetE1EEEvT1_.has_dyn_sized_stack, 0
	.set _ZN7rocprim17ROCPRIM_400000_NS6detail17trampoline_kernelINS0_14default_configENS1_35adjacent_difference_config_selectorILb0EfEEZNS1_24adjacent_difference_implIS3_Lb0ELb0EPfS7_N6thrust23THRUST_200600_302600_NS5minusIfEEEE10hipError_tPvRmT2_T3_mT4_P12ihipStream_tbEUlT_E_NS1_11comp_targetILNS1_3genE8ELNS1_11target_archE1030ELNS1_3gpuE2ELNS1_3repE0EEENS1_30default_config_static_selectorELNS0_4arch9wavefront6targetE1EEEvT1_.has_recursion, 0
	.set _ZN7rocprim17ROCPRIM_400000_NS6detail17trampoline_kernelINS0_14default_configENS1_35adjacent_difference_config_selectorILb0EfEEZNS1_24adjacent_difference_implIS3_Lb0ELb0EPfS7_N6thrust23THRUST_200600_302600_NS5minusIfEEEE10hipError_tPvRmT2_T3_mT4_P12ihipStream_tbEUlT_E_NS1_11comp_targetILNS1_3genE8ELNS1_11target_archE1030ELNS1_3gpuE2ELNS1_3repE0EEENS1_30default_config_static_selectorELNS0_4arch9wavefront6targetE1EEEvT1_.has_indirect_call, 0
	.section	.AMDGPU.csdata,"",@progbits
; Kernel info:
; codeLenInByte = 0
; TotalNumSgprs: 4
; NumVgprs: 0
; ScratchSize: 0
; MemoryBound: 0
; FloatMode: 240
; IeeeMode: 1
; LDSByteSize: 0 bytes/workgroup (compile time only)
; SGPRBlocks: 0
; VGPRBlocks: 0
; NumSGPRsForWavesPerEU: 4
; NumVGPRsForWavesPerEU: 1
; Occupancy: 10
; WaveLimiterHint : 0
; COMPUTE_PGM_RSRC2:SCRATCH_EN: 0
; COMPUTE_PGM_RSRC2:USER_SGPR: 6
; COMPUTE_PGM_RSRC2:TRAP_HANDLER: 0
; COMPUTE_PGM_RSRC2:TGID_X_EN: 1
; COMPUTE_PGM_RSRC2:TGID_Y_EN: 0
; COMPUTE_PGM_RSRC2:TGID_Z_EN: 0
; COMPUTE_PGM_RSRC2:TIDIG_COMP_CNT: 0
	.section	.text._ZN7rocprim17ROCPRIM_400000_NS6detail17trampoline_kernelINS0_14default_configENS1_25transform_config_selectorIfLb0EEEZNS1_14transform_implILb0ES3_S5_NS0_18transform_iteratorINS0_17counting_iteratorImlEEZNS1_24adjacent_difference_implIS3_Lb1ELb0EPfSB_N6thrust23THRUST_200600_302600_NS5minusIfEEEE10hipError_tPvRmT2_T3_mT4_P12ihipStream_tbEUlmE_fEESB_NS0_8identityIvEEEESG_SJ_SK_mSL_SN_bEUlT_E_NS1_11comp_targetILNS1_3genE0ELNS1_11target_archE4294967295ELNS1_3gpuE0ELNS1_3repE0EEENS1_30default_config_static_selectorELNS0_4arch9wavefront6targetE1EEEvT1_,"axG",@progbits,_ZN7rocprim17ROCPRIM_400000_NS6detail17trampoline_kernelINS0_14default_configENS1_25transform_config_selectorIfLb0EEEZNS1_14transform_implILb0ES3_S5_NS0_18transform_iteratorINS0_17counting_iteratorImlEEZNS1_24adjacent_difference_implIS3_Lb1ELb0EPfSB_N6thrust23THRUST_200600_302600_NS5minusIfEEEE10hipError_tPvRmT2_T3_mT4_P12ihipStream_tbEUlmE_fEESB_NS0_8identityIvEEEESG_SJ_SK_mSL_SN_bEUlT_E_NS1_11comp_targetILNS1_3genE0ELNS1_11target_archE4294967295ELNS1_3gpuE0ELNS1_3repE0EEENS1_30default_config_static_selectorELNS0_4arch9wavefront6targetE1EEEvT1_,comdat
	.protected	_ZN7rocprim17ROCPRIM_400000_NS6detail17trampoline_kernelINS0_14default_configENS1_25transform_config_selectorIfLb0EEEZNS1_14transform_implILb0ES3_S5_NS0_18transform_iteratorINS0_17counting_iteratorImlEEZNS1_24adjacent_difference_implIS3_Lb1ELb0EPfSB_N6thrust23THRUST_200600_302600_NS5minusIfEEEE10hipError_tPvRmT2_T3_mT4_P12ihipStream_tbEUlmE_fEESB_NS0_8identityIvEEEESG_SJ_SK_mSL_SN_bEUlT_E_NS1_11comp_targetILNS1_3genE0ELNS1_11target_archE4294967295ELNS1_3gpuE0ELNS1_3repE0EEENS1_30default_config_static_selectorELNS0_4arch9wavefront6targetE1EEEvT1_ ; -- Begin function _ZN7rocprim17ROCPRIM_400000_NS6detail17trampoline_kernelINS0_14default_configENS1_25transform_config_selectorIfLb0EEEZNS1_14transform_implILb0ES3_S5_NS0_18transform_iteratorINS0_17counting_iteratorImlEEZNS1_24adjacent_difference_implIS3_Lb1ELb0EPfSB_N6thrust23THRUST_200600_302600_NS5minusIfEEEE10hipError_tPvRmT2_T3_mT4_P12ihipStream_tbEUlmE_fEESB_NS0_8identityIvEEEESG_SJ_SK_mSL_SN_bEUlT_E_NS1_11comp_targetILNS1_3genE0ELNS1_11target_archE4294967295ELNS1_3gpuE0ELNS1_3repE0EEENS1_30default_config_static_selectorELNS0_4arch9wavefront6targetE1EEEvT1_
	.globl	_ZN7rocprim17ROCPRIM_400000_NS6detail17trampoline_kernelINS0_14default_configENS1_25transform_config_selectorIfLb0EEEZNS1_14transform_implILb0ES3_S5_NS0_18transform_iteratorINS0_17counting_iteratorImlEEZNS1_24adjacent_difference_implIS3_Lb1ELb0EPfSB_N6thrust23THRUST_200600_302600_NS5minusIfEEEE10hipError_tPvRmT2_T3_mT4_P12ihipStream_tbEUlmE_fEESB_NS0_8identityIvEEEESG_SJ_SK_mSL_SN_bEUlT_E_NS1_11comp_targetILNS1_3genE0ELNS1_11target_archE4294967295ELNS1_3gpuE0ELNS1_3repE0EEENS1_30default_config_static_selectorELNS0_4arch9wavefront6targetE1EEEvT1_
	.p2align	8
	.type	_ZN7rocprim17ROCPRIM_400000_NS6detail17trampoline_kernelINS0_14default_configENS1_25transform_config_selectorIfLb0EEEZNS1_14transform_implILb0ES3_S5_NS0_18transform_iteratorINS0_17counting_iteratorImlEEZNS1_24adjacent_difference_implIS3_Lb1ELb0EPfSB_N6thrust23THRUST_200600_302600_NS5minusIfEEEE10hipError_tPvRmT2_T3_mT4_P12ihipStream_tbEUlmE_fEESB_NS0_8identityIvEEEESG_SJ_SK_mSL_SN_bEUlT_E_NS1_11comp_targetILNS1_3genE0ELNS1_11target_archE4294967295ELNS1_3gpuE0ELNS1_3repE0EEENS1_30default_config_static_selectorELNS0_4arch9wavefront6targetE1EEEvT1_,@function
_ZN7rocprim17ROCPRIM_400000_NS6detail17trampoline_kernelINS0_14default_configENS1_25transform_config_selectorIfLb0EEEZNS1_14transform_implILb0ES3_S5_NS0_18transform_iteratorINS0_17counting_iteratorImlEEZNS1_24adjacent_difference_implIS3_Lb1ELb0EPfSB_N6thrust23THRUST_200600_302600_NS5minusIfEEEE10hipError_tPvRmT2_T3_mT4_P12ihipStream_tbEUlmE_fEESB_NS0_8identityIvEEEESG_SJ_SK_mSL_SN_bEUlT_E_NS1_11comp_targetILNS1_3genE0ELNS1_11target_archE4294967295ELNS1_3gpuE0ELNS1_3repE0EEENS1_30default_config_static_selectorELNS0_4arch9wavefront6targetE1EEEvT1_: ; @_ZN7rocprim17ROCPRIM_400000_NS6detail17trampoline_kernelINS0_14default_configENS1_25transform_config_selectorIfLb0EEEZNS1_14transform_implILb0ES3_S5_NS0_18transform_iteratorINS0_17counting_iteratorImlEEZNS1_24adjacent_difference_implIS3_Lb1ELb0EPfSB_N6thrust23THRUST_200600_302600_NS5minusIfEEEE10hipError_tPvRmT2_T3_mT4_P12ihipStream_tbEUlmE_fEESB_NS0_8identityIvEEEESG_SJ_SK_mSL_SN_bEUlT_E_NS1_11comp_targetILNS1_3genE0ELNS1_11target_archE4294967295ELNS1_3gpuE0ELNS1_3repE0EEENS1_30default_config_static_selectorELNS0_4arch9wavefront6targetE1EEEvT1_
; %bb.0:
	.section	.rodata,"a",@progbits
	.p2align	6, 0x0
	.amdhsa_kernel _ZN7rocprim17ROCPRIM_400000_NS6detail17trampoline_kernelINS0_14default_configENS1_25transform_config_selectorIfLb0EEEZNS1_14transform_implILb0ES3_S5_NS0_18transform_iteratorINS0_17counting_iteratorImlEEZNS1_24adjacent_difference_implIS3_Lb1ELb0EPfSB_N6thrust23THRUST_200600_302600_NS5minusIfEEEE10hipError_tPvRmT2_T3_mT4_P12ihipStream_tbEUlmE_fEESB_NS0_8identityIvEEEESG_SJ_SK_mSL_SN_bEUlT_E_NS1_11comp_targetILNS1_3genE0ELNS1_11target_archE4294967295ELNS1_3gpuE0ELNS1_3repE0EEENS1_30default_config_static_selectorELNS0_4arch9wavefront6targetE1EEEvT1_
		.amdhsa_group_segment_fixed_size 0
		.amdhsa_private_segment_fixed_size 0
		.amdhsa_kernarg_size 56
		.amdhsa_user_sgpr_count 6
		.amdhsa_user_sgpr_private_segment_buffer 1
		.amdhsa_user_sgpr_dispatch_ptr 0
		.amdhsa_user_sgpr_queue_ptr 0
		.amdhsa_user_sgpr_kernarg_segment_ptr 1
		.amdhsa_user_sgpr_dispatch_id 0
		.amdhsa_user_sgpr_flat_scratch_init 0
		.amdhsa_user_sgpr_private_segment_size 0
		.amdhsa_uses_dynamic_stack 0
		.amdhsa_system_sgpr_private_segment_wavefront_offset 0
		.amdhsa_system_sgpr_workgroup_id_x 1
		.amdhsa_system_sgpr_workgroup_id_y 0
		.amdhsa_system_sgpr_workgroup_id_z 0
		.amdhsa_system_sgpr_workgroup_info 0
		.amdhsa_system_vgpr_workitem_id 0
		.amdhsa_next_free_vgpr 1
		.amdhsa_next_free_sgpr 0
		.amdhsa_reserve_vcc 0
		.amdhsa_reserve_flat_scratch 0
		.amdhsa_float_round_mode_32 0
		.amdhsa_float_round_mode_16_64 0
		.amdhsa_float_denorm_mode_32 3
		.amdhsa_float_denorm_mode_16_64 3
		.amdhsa_dx10_clamp 1
		.amdhsa_ieee_mode 1
		.amdhsa_fp16_overflow 0
		.amdhsa_exception_fp_ieee_invalid_op 0
		.amdhsa_exception_fp_denorm_src 0
		.amdhsa_exception_fp_ieee_div_zero 0
		.amdhsa_exception_fp_ieee_overflow 0
		.amdhsa_exception_fp_ieee_underflow 0
		.amdhsa_exception_fp_ieee_inexact 0
		.amdhsa_exception_int_div_zero 0
	.end_amdhsa_kernel
	.section	.text._ZN7rocprim17ROCPRIM_400000_NS6detail17trampoline_kernelINS0_14default_configENS1_25transform_config_selectorIfLb0EEEZNS1_14transform_implILb0ES3_S5_NS0_18transform_iteratorINS0_17counting_iteratorImlEEZNS1_24adjacent_difference_implIS3_Lb1ELb0EPfSB_N6thrust23THRUST_200600_302600_NS5minusIfEEEE10hipError_tPvRmT2_T3_mT4_P12ihipStream_tbEUlmE_fEESB_NS0_8identityIvEEEESG_SJ_SK_mSL_SN_bEUlT_E_NS1_11comp_targetILNS1_3genE0ELNS1_11target_archE4294967295ELNS1_3gpuE0ELNS1_3repE0EEENS1_30default_config_static_selectorELNS0_4arch9wavefront6targetE1EEEvT1_,"axG",@progbits,_ZN7rocprim17ROCPRIM_400000_NS6detail17trampoline_kernelINS0_14default_configENS1_25transform_config_selectorIfLb0EEEZNS1_14transform_implILb0ES3_S5_NS0_18transform_iteratorINS0_17counting_iteratorImlEEZNS1_24adjacent_difference_implIS3_Lb1ELb0EPfSB_N6thrust23THRUST_200600_302600_NS5minusIfEEEE10hipError_tPvRmT2_T3_mT4_P12ihipStream_tbEUlmE_fEESB_NS0_8identityIvEEEESG_SJ_SK_mSL_SN_bEUlT_E_NS1_11comp_targetILNS1_3genE0ELNS1_11target_archE4294967295ELNS1_3gpuE0ELNS1_3repE0EEENS1_30default_config_static_selectorELNS0_4arch9wavefront6targetE1EEEvT1_,comdat
.Lfunc_end61:
	.size	_ZN7rocprim17ROCPRIM_400000_NS6detail17trampoline_kernelINS0_14default_configENS1_25transform_config_selectorIfLb0EEEZNS1_14transform_implILb0ES3_S5_NS0_18transform_iteratorINS0_17counting_iteratorImlEEZNS1_24adjacent_difference_implIS3_Lb1ELb0EPfSB_N6thrust23THRUST_200600_302600_NS5minusIfEEEE10hipError_tPvRmT2_T3_mT4_P12ihipStream_tbEUlmE_fEESB_NS0_8identityIvEEEESG_SJ_SK_mSL_SN_bEUlT_E_NS1_11comp_targetILNS1_3genE0ELNS1_11target_archE4294967295ELNS1_3gpuE0ELNS1_3repE0EEENS1_30default_config_static_selectorELNS0_4arch9wavefront6targetE1EEEvT1_, .Lfunc_end61-_ZN7rocprim17ROCPRIM_400000_NS6detail17trampoline_kernelINS0_14default_configENS1_25transform_config_selectorIfLb0EEEZNS1_14transform_implILb0ES3_S5_NS0_18transform_iteratorINS0_17counting_iteratorImlEEZNS1_24adjacent_difference_implIS3_Lb1ELb0EPfSB_N6thrust23THRUST_200600_302600_NS5minusIfEEEE10hipError_tPvRmT2_T3_mT4_P12ihipStream_tbEUlmE_fEESB_NS0_8identityIvEEEESG_SJ_SK_mSL_SN_bEUlT_E_NS1_11comp_targetILNS1_3genE0ELNS1_11target_archE4294967295ELNS1_3gpuE0ELNS1_3repE0EEENS1_30default_config_static_selectorELNS0_4arch9wavefront6targetE1EEEvT1_
                                        ; -- End function
	.set _ZN7rocprim17ROCPRIM_400000_NS6detail17trampoline_kernelINS0_14default_configENS1_25transform_config_selectorIfLb0EEEZNS1_14transform_implILb0ES3_S5_NS0_18transform_iteratorINS0_17counting_iteratorImlEEZNS1_24adjacent_difference_implIS3_Lb1ELb0EPfSB_N6thrust23THRUST_200600_302600_NS5minusIfEEEE10hipError_tPvRmT2_T3_mT4_P12ihipStream_tbEUlmE_fEESB_NS0_8identityIvEEEESG_SJ_SK_mSL_SN_bEUlT_E_NS1_11comp_targetILNS1_3genE0ELNS1_11target_archE4294967295ELNS1_3gpuE0ELNS1_3repE0EEENS1_30default_config_static_selectorELNS0_4arch9wavefront6targetE1EEEvT1_.num_vgpr, 0
	.set _ZN7rocprim17ROCPRIM_400000_NS6detail17trampoline_kernelINS0_14default_configENS1_25transform_config_selectorIfLb0EEEZNS1_14transform_implILb0ES3_S5_NS0_18transform_iteratorINS0_17counting_iteratorImlEEZNS1_24adjacent_difference_implIS3_Lb1ELb0EPfSB_N6thrust23THRUST_200600_302600_NS5minusIfEEEE10hipError_tPvRmT2_T3_mT4_P12ihipStream_tbEUlmE_fEESB_NS0_8identityIvEEEESG_SJ_SK_mSL_SN_bEUlT_E_NS1_11comp_targetILNS1_3genE0ELNS1_11target_archE4294967295ELNS1_3gpuE0ELNS1_3repE0EEENS1_30default_config_static_selectorELNS0_4arch9wavefront6targetE1EEEvT1_.num_agpr, 0
	.set _ZN7rocprim17ROCPRIM_400000_NS6detail17trampoline_kernelINS0_14default_configENS1_25transform_config_selectorIfLb0EEEZNS1_14transform_implILb0ES3_S5_NS0_18transform_iteratorINS0_17counting_iteratorImlEEZNS1_24adjacent_difference_implIS3_Lb1ELb0EPfSB_N6thrust23THRUST_200600_302600_NS5minusIfEEEE10hipError_tPvRmT2_T3_mT4_P12ihipStream_tbEUlmE_fEESB_NS0_8identityIvEEEESG_SJ_SK_mSL_SN_bEUlT_E_NS1_11comp_targetILNS1_3genE0ELNS1_11target_archE4294967295ELNS1_3gpuE0ELNS1_3repE0EEENS1_30default_config_static_selectorELNS0_4arch9wavefront6targetE1EEEvT1_.numbered_sgpr, 0
	.set _ZN7rocprim17ROCPRIM_400000_NS6detail17trampoline_kernelINS0_14default_configENS1_25transform_config_selectorIfLb0EEEZNS1_14transform_implILb0ES3_S5_NS0_18transform_iteratorINS0_17counting_iteratorImlEEZNS1_24adjacent_difference_implIS3_Lb1ELb0EPfSB_N6thrust23THRUST_200600_302600_NS5minusIfEEEE10hipError_tPvRmT2_T3_mT4_P12ihipStream_tbEUlmE_fEESB_NS0_8identityIvEEEESG_SJ_SK_mSL_SN_bEUlT_E_NS1_11comp_targetILNS1_3genE0ELNS1_11target_archE4294967295ELNS1_3gpuE0ELNS1_3repE0EEENS1_30default_config_static_selectorELNS0_4arch9wavefront6targetE1EEEvT1_.num_named_barrier, 0
	.set _ZN7rocprim17ROCPRIM_400000_NS6detail17trampoline_kernelINS0_14default_configENS1_25transform_config_selectorIfLb0EEEZNS1_14transform_implILb0ES3_S5_NS0_18transform_iteratorINS0_17counting_iteratorImlEEZNS1_24adjacent_difference_implIS3_Lb1ELb0EPfSB_N6thrust23THRUST_200600_302600_NS5minusIfEEEE10hipError_tPvRmT2_T3_mT4_P12ihipStream_tbEUlmE_fEESB_NS0_8identityIvEEEESG_SJ_SK_mSL_SN_bEUlT_E_NS1_11comp_targetILNS1_3genE0ELNS1_11target_archE4294967295ELNS1_3gpuE0ELNS1_3repE0EEENS1_30default_config_static_selectorELNS0_4arch9wavefront6targetE1EEEvT1_.private_seg_size, 0
	.set _ZN7rocprim17ROCPRIM_400000_NS6detail17trampoline_kernelINS0_14default_configENS1_25transform_config_selectorIfLb0EEEZNS1_14transform_implILb0ES3_S5_NS0_18transform_iteratorINS0_17counting_iteratorImlEEZNS1_24adjacent_difference_implIS3_Lb1ELb0EPfSB_N6thrust23THRUST_200600_302600_NS5minusIfEEEE10hipError_tPvRmT2_T3_mT4_P12ihipStream_tbEUlmE_fEESB_NS0_8identityIvEEEESG_SJ_SK_mSL_SN_bEUlT_E_NS1_11comp_targetILNS1_3genE0ELNS1_11target_archE4294967295ELNS1_3gpuE0ELNS1_3repE0EEENS1_30default_config_static_selectorELNS0_4arch9wavefront6targetE1EEEvT1_.uses_vcc, 0
	.set _ZN7rocprim17ROCPRIM_400000_NS6detail17trampoline_kernelINS0_14default_configENS1_25transform_config_selectorIfLb0EEEZNS1_14transform_implILb0ES3_S5_NS0_18transform_iteratorINS0_17counting_iteratorImlEEZNS1_24adjacent_difference_implIS3_Lb1ELb0EPfSB_N6thrust23THRUST_200600_302600_NS5minusIfEEEE10hipError_tPvRmT2_T3_mT4_P12ihipStream_tbEUlmE_fEESB_NS0_8identityIvEEEESG_SJ_SK_mSL_SN_bEUlT_E_NS1_11comp_targetILNS1_3genE0ELNS1_11target_archE4294967295ELNS1_3gpuE0ELNS1_3repE0EEENS1_30default_config_static_selectorELNS0_4arch9wavefront6targetE1EEEvT1_.uses_flat_scratch, 0
	.set _ZN7rocprim17ROCPRIM_400000_NS6detail17trampoline_kernelINS0_14default_configENS1_25transform_config_selectorIfLb0EEEZNS1_14transform_implILb0ES3_S5_NS0_18transform_iteratorINS0_17counting_iteratorImlEEZNS1_24adjacent_difference_implIS3_Lb1ELb0EPfSB_N6thrust23THRUST_200600_302600_NS5minusIfEEEE10hipError_tPvRmT2_T3_mT4_P12ihipStream_tbEUlmE_fEESB_NS0_8identityIvEEEESG_SJ_SK_mSL_SN_bEUlT_E_NS1_11comp_targetILNS1_3genE0ELNS1_11target_archE4294967295ELNS1_3gpuE0ELNS1_3repE0EEENS1_30default_config_static_selectorELNS0_4arch9wavefront6targetE1EEEvT1_.has_dyn_sized_stack, 0
	.set _ZN7rocprim17ROCPRIM_400000_NS6detail17trampoline_kernelINS0_14default_configENS1_25transform_config_selectorIfLb0EEEZNS1_14transform_implILb0ES3_S5_NS0_18transform_iteratorINS0_17counting_iteratorImlEEZNS1_24adjacent_difference_implIS3_Lb1ELb0EPfSB_N6thrust23THRUST_200600_302600_NS5minusIfEEEE10hipError_tPvRmT2_T3_mT4_P12ihipStream_tbEUlmE_fEESB_NS0_8identityIvEEEESG_SJ_SK_mSL_SN_bEUlT_E_NS1_11comp_targetILNS1_3genE0ELNS1_11target_archE4294967295ELNS1_3gpuE0ELNS1_3repE0EEENS1_30default_config_static_selectorELNS0_4arch9wavefront6targetE1EEEvT1_.has_recursion, 0
	.set _ZN7rocprim17ROCPRIM_400000_NS6detail17trampoline_kernelINS0_14default_configENS1_25transform_config_selectorIfLb0EEEZNS1_14transform_implILb0ES3_S5_NS0_18transform_iteratorINS0_17counting_iteratorImlEEZNS1_24adjacent_difference_implIS3_Lb1ELb0EPfSB_N6thrust23THRUST_200600_302600_NS5minusIfEEEE10hipError_tPvRmT2_T3_mT4_P12ihipStream_tbEUlmE_fEESB_NS0_8identityIvEEEESG_SJ_SK_mSL_SN_bEUlT_E_NS1_11comp_targetILNS1_3genE0ELNS1_11target_archE4294967295ELNS1_3gpuE0ELNS1_3repE0EEENS1_30default_config_static_selectorELNS0_4arch9wavefront6targetE1EEEvT1_.has_indirect_call, 0
	.section	.AMDGPU.csdata,"",@progbits
; Kernel info:
; codeLenInByte = 0
; TotalNumSgprs: 4
; NumVgprs: 0
; ScratchSize: 0
; MemoryBound: 0
; FloatMode: 240
; IeeeMode: 1
; LDSByteSize: 0 bytes/workgroup (compile time only)
; SGPRBlocks: 0
; VGPRBlocks: 0
; NumSGPRsForWavesPerEU: 4
; NumVGPRsForWavesPerEU: 1
; Occupancy: 10
; WaveLimiterHint : 0
; COMPUTE_PGM_RSRC2:SCRATCH_EN: 0
; COMPUTE_PGM_RSRC2:USER_SGPR: 6
; COMPUTE_PGM_RSRC2:TRAP_HANDLER: 0
; COMPUTE_PGM_RSRC2:TGID_X_EN: 1
; COMPUTE_PGM_RSRC2:TGID_Y_EN: 0
; COMPUTE_PGM_RSRC2:TGID_Z_EN: 0
; COMPUTE_PGM_RSRC2:TIDIG_COMP_CNT: 0
	.section	.text._ZN7rocprim17ROCPRIM_400000_NS6detail17trampoline_kernelINS0_14default_configENS1_25transform_config_selectorIfLb0EEEZNS1_14transform_implILb0ES3_S5_NS0_18transform_iteratorINS0_17counting_iteratorImlEEZNS1_24adjacent_difference_implIS3_Lb1ELb0EPfSB_N6thrust23THRUST_200600_302600_NS5minusIfEEEE10hipError_tPvRmT2_T3_mT4_P12ihipStream_tbEUlmE_fEESB_NS0_8identityIvEEEESG_SJ_SK_mSL_SN_bEUlT_E_NS1_11comp_targetILNS1_3genE5ELNS1_11target_archE942ELNS1_3gpuE9ELNS1_3repE0EEENS1_30default_config_static_selectorELNS0_4arch9wavefront6targetE1EEEvT1_,"axG",@progbits,_ZN7rocprim17ROCPRIM_400000_NS6detail17trampoline_kernelINS0_14default_configENS1_25transform_config_selectorIfLb0EEEZNS1_14transform_implILb0ES3_S5_NS0_18transform_iteratorINS0_17counting_iteratorImlEEZNS1_24adjacent_difference_implIS3_Lb1ELb0EPfSB_N6thrust23THRUST_200600_302600_NS5minusIfEEEE10hipError_tPvRmT2_T3_mT4_P12ihipStream_tbEUlmE_fEESB_NS0_8identityIvEEEESG_SJ_SK_mSL_SN_bEUlT_E_NS1_11comp_targetILNS1_3genE5ELNS1_11target_archE942ELNS1_3gpuE9ELNS1_3repE0EEENS1_30default_config_static_selectorELNS0_4arch9wavefront6targetE1EEEvT1_,comdat
	.protected	_ZN7rocprim17ROCPRIM_400000_NS6detail17trampoline_kernelINS0_14default_configENS1_25transform_config_selectorIfLb0EEEZNS1_14transform_implILb0ES3_S5_NS0_18transform_iteratorINS0_17counting_iteratorImlEEZNS1_24adjacent_difference_implIS3_Lb1ELb0EPfSB_N6thrust23THRUST_200600_302600_NS5minusIfEEEE10hipError_tPvRmT2_T3_mT4_P12ihipStream_tbEUlmE_fEESB_NS0_8identityIvEEEESG_SJ_SK_mSL_SN_bEUlT_E_NS1_11comp_targetILNS1_3genE5ELNS1_11target_archE942ELNS1_3gpuE9ELNS1_3repE0EEENS1_30default_config_static_selectorELNS0_4arch9wavefront6targetE1EEEvT1_ ; -- Begin function _ZN7rocprim17ROCPRIM_400000_NS6detail17trampoline_kernelINS0_14default_configENS1_25transform_config_selectorIfLb0EEEZNS1_14transform_implILb0ES3_S5_NS0_18transform_iteratorINS0_17counting_iteratorImlEEZNS1_24adjacent_difference_implIS3_Lb1ELb0EPfSB_N6thrust23THRUST_200600_302600_NS5minusIfEEEE10hipError_tPvRmT2_T3_mT4_P12ihipStream_tbEUlmE_fEESB_NS0_8identityIvEEEESG_SJ_SK_mSL_SN_bEUlT_E_NS1_11comp_targetILNS1_3genE5ELNS1_11target_archE942ELNS1_3gpuE9ELNS1_3repE0EEENS1_30default_config_static_selectorELNS0_4arch9wavefront6targetE1EEEvT1_
	.globl	_ZN7rocprim17ROCPRIM_400000_NS6detail17trampoline_kernelINS0_14default_configENS1_25transform_config_selectorIfLb0EEEZNS1_14transform_implILb0ES3_S5_NS0_18transform_iteratorINS0_17counting_iteratorImlEEZNS1_24adjacent_difference_implIS3_Lb1ELb0EPfSB_N6thrust23THRUST_200600_302600_NS5minusIfEEEE10hipError_tPvRmT2_T3_mT4_P12ihipStream_tbEUlmE_fEESB_NS0_8identityIvEEEESG_SJ_SK_mSL_SN_bEUlT_E_NS1_11comp_targetILNS1_3genE5ELNS1_11target_archE942ELNS1_3gpuE9ELNS1_3repE0EEENS1_30default_config_static_selectorELNS0_4arch9wavefront6targetE1EEEvT1_
	.p2align	8
	.type	_ZN7rocprim17ROCPRIM_400000_NS6detail17trampoline_kernelINS0_14default_configENS1_25transform_config_selectorIfLb0EEEZNS1_14transform_implILb0ES3_S5_NS0_18transform_iteratorINS0_17counting_iteratorImlEEZNS1_24adjacent_difference_implIS3_Lb1ELb0EPfSB_N6thrust23THRUST_200600_302600_NS5minusIfEEEE10hipError_tPvRmT2_T3_mT4_P12ihipStream_tbEUlmE_fEESB_NS0_8identityIvEEEESG_SJ_SK_mSL_SN_bEUlT_E_NS1_11comp_targetILNS1_3genE5ELNS1_11target_archE942ELNS1_3gpuE9ELNS1_3repE0EEENS1_30default_config_static_selectorELNS0_4arch9wavefront6targetE1EEEvT1_,@function
_ZN7rocprim17ROCPRIM_400000_NS6detail17trampoline_kernelINS0_14default_configENS1_25transform_config_selectorIfLb0EEEZNS1_14transform_implILb0ES3_S5_NS0_18transform_iteratorINS0_17counting_iteratorImlEEZNS1_24adjacent_difference_implIS3_Lb1ELb0EPfSB_N6thrust23THRUST_200600_302600_NS5minusIfEEEE10hipError_tPvRmT2_T3_mT4_P12ihipStream_tbEUlmE_fEESB_NS0_8identityIvEEEESG_SJ_SK_mSL_SN_bEUlT_E_NS1_11comp_targetILNS1_3genE5ELNS1_11target_archE942ELNS1_3gpuE9ELNS1_3repE0EEENS1_30default_config_static_selectorELNS0_4arch9wavefront6targetE1EEEvT1_: ; @_ZN7rocprim17ROCPRIM_400000_NS6detail17trampoline_kernelINS0_14default_configENS1_25transform_config_selectorIfLb0EEEZNS1_14transform_implILb0ES3_S5_NS0_18transform_iteratorINS0_17counting_iteratorImlEEZNS1_24adjacent_difference_implIS3_Lb1ELb0EPfSB_N6thrust23THRUST_200600_302600_NS5minusIfEEEE10hipError_tPvRmT2_T3_mT4_P12ihipStream_tbEUlmE_fEESB_NS0_8identityIvEEEESG_SJ_SK_mSL_SN_bEUlT_E_NS1_11comp_targetILNS1_3genE5ELNS1_11target_archE942ELNS1_3gpuE9ELNS1_3repE0EEENS1_30default_config_static_selectorELNS0_4arch9wavefront6targetE1EEEvT1_
; %bb.0:
	.section	.rodata,"a",@progbits
	.p2align	6, 0x0
	.amdhsa_kernel _ZN7rocprim17ROCPRIM_400000_NS6detail17trampoline_kernelINS0_14default_configENS1_25transform_config_selectorIfLb0EEEZNS1_14transform_implILb0ES3_S5_NS0_18transform_iteratorINS0_17counting_iteratorImlEEZNS1_24adjacent_difference_implIS3_Lb1ELb0EPfSB_N6thrust23THRUST_200600_302600_NS5minusIfEEEE10hipError_tPvRmT2_T3_mT4_P12ihipStream_tbEUlmE_fEESB_NS0_8identityIvEEEESG_SJ_SK_mSL_SN_bEUlT_E_NS1_11comp_targetILNS1_3genE5ELNS1_11target_archE942ELNS1_3gpuE9ELNS1_3repE0EEENS1_30default_config_static_selectorELNS0_4arch9wavefront6targetE1EEEvT1_
		.amdhsa_group_segment_fixed_size 0
		.amdhsa_private_segment_fixed_size 0
		.amdhsa_kernarg_size 56
		.amdhsa_user_sgpr_count 6
		.amdhsa_user_sgpr_private_segment_buffer 1
		.amdhsa_user_sgpr_dispatch_ptr 0
		.amdhsa_user_sgpr_queue_ptr 0
		.amdhsa_user_sgpr_kernarg_segment_ptr 1
		.amdhsa_user_sgpr_dispatch_id 0
		.amdhsa_user_sgpr_flat_scratch_init 0
		.amdhsa_user_sgpr_private_segment_size 0
		.amdhsa_uses_dynamic_stack 0
		.amdhsa_system_sgpr_private_segment_wavefront_offset 0
		.amdhsa_system_sgpr_workgroup_id_x 1
		.amdhsa_system_sgpr_workgroup_id_y 0
		.amdhsa_system_sgpr_workgroup_id_z 0
		.amdhsa_system_sgpr_workgroup_info 0
		.amdhsa_system_vgpr_workitem_id 0
		.amdhsa_next_free_vgpr 1
		.amdhsa_next_free_sgpr 0
		.amdhsa_reserve_vcc 0
		.amdhsa_reserve_flat_scratch 0
		.amdhsa_float_round_mode_32 0
		.amdhsa_float_round_mode_16_64 0
		.amdhsa_float_denorm_mode_32 3
		.amdhsa_float_denorm_mode_16_64 3
		.amdhsa_dx10_clamp 1
		.amdhsa_ieee_mode 1
		.amdhsa_fp16_overflow 0
		.amdhsa_exception_fp_ieee_invalid_op 0
		.amdhsa_exception_fp_denorm_src 0
		.amdhsa_exception_fp_ieee_div_zero 0
		.amdhsa_exception_fp_ieee_overflow 0
		.amdhsa_exception_fp_ieee_underflow 0
		.amdhsa_exception_fp_ieee_inexact 0
		.amdhsa_exception_int_div_zero 0
	.end_amdhsa_kernel
	.section	.text._ZN7rocprim17ROCPRIM_400000_NS6detail17trampoline_kernelINS0_14default_configENS1_25transform_config_selectorIfLb0EEEZNS1_14transform_implILb0ES3_S5_NS0_18transform_iteratorINS0_17counting_iteratorImlEEZNS1_24adjacent_difference_implIS3_Lb1ELb0EPfSB_N6thrust23THRUST_200600_302600_NS5minusIfEEEE10hipError_tPvRmT2_T3_mT4_P12ihipStream_tbEUlmE_fEESB_NS0_8identityIvEEEESG_SJ_SK_mSL_SN_bEUlT_E_NS1_11comp_targetILNS1_3genE5ELNS1_11target_archE942ELNS1_3gpuE9ELNS1_3repE0EEENS1_30default_config_static_selectorELNS0_4arch9wavefront6targetE1EEEvT1_,"axG",@progbits,_ZN7rocprim17ROCPRIM_400000_NS6detail17trampoline_kernelINS0_14default_configENS1_25transform_config_selectorIfLb0EEEZNS1_14transform_implILb0ES3_S5_NS0_18transform_iteratorINS0_17counting_iteratorImlEEZNS1_24adjacent_difference_implIS3_Lb1ELb0EPfSB_N6thrust23THRUST_200600_302600_NS5minusIfEEEE10hipError_tPvRmT2_T3_mT4_P12ihipStream_tbEUlmE_fEESB_NS0_8identityIvEEEESG_SJ_SK_mSL_SN_bEUlT_E_NS1_11comp_targetILNS1_3genE5ELNS1_11target_archE942ELNS1_3gpuE9ELNS1_3repE0EEENS1_30default_config_static_selectorELNS0_4arch9wavefront6targetE1EEEvT1_,comdat
.Lfunc_end62:
	.size	_ZN7rocprim17ROCPRIM_400000_NS6detail17trampoline_kernelINS0_14default_configENS1_25transform_config_selectorIfLb0EEEZNS1_14transform_implILb0ES3_S5_NS0_18transform_iteratorINS0_17counting_iteratorImlEEZNS1_24adjacent_difference_implIS3_Lb1ELb0EPfSB_N6thrust23THRUST_200600_302600_NS5minusIfEEEE10hipError_tPvRmT2_T3_mT4_P12ihipStream_tbEUlmE_fEESB_NS0_8identityIvEEEESG_SJ_SK_mSL_SN_bEUlT_E_NS1_11comp_targetILNS1_3genE5ELNS1_11target_archE942ELNS1_3gpuE9ELNS1_3repE0EEENS1_30default_config_static_selectorELNS0_4arch9wavefront6targetE1EEEvT1_, .Lfunc_end62-_ZN7rocprim17ROCPRIM_400000_NS6detail17trampoline_kernelINS0_14default_configENS1_25transform_config_selectorIfLb0EEEZNS1_14transform_implILb0ES3_S5_NS0_18transform_iteratorINS0_17counting_iteratorImlEEZNS1_24adjacent_difference_implIS3_Lb1ELb0EPfSB_N6thrust23THRUST_200600_302600_NS5minusIfEEEE10hipError_tPvRmT2_T3_mT4_P12ihipStream_tbEUlmE_fEESB_NS0_8identityIvEEEESG_SJ_SK_mSL_SN_bEUlT_E_NS1_11comp_targetILNS1_3genE5ELNS1_11target_archE942ELNS1_3gpuE9ELNS1_3repE0EEENS1_30default_config_static_selectorELNS0_4arch9wavefront6targetE1EEEvT1_
                                        ; -- End function
	.set _ZN7rocprim17ROCPRIM_400000_NS6detail17trampoline_kernelINS0_14default_configENS1_25transform_config_selectorIfLb0EEEZNS1_14transform_implILb0ES3_S5_NS0_18transform_iteratorINS0_17counting_iteratorImlEEZNS1_24adjacent_difference_implIS3_Lb1ELb0EPfSB_N6thrust23THRUST_200600_302600_NS5minusIfEEEE10hipError_tPvRmT2_T3_mT4_P12ihipStream_tbEUlmE_fEESB_NS0_8identityIvEEEESG_SJ_SK_mSL_SN_bEUlT_E_NS1_11comp_targetILNS1_3genE5ELNS1_11target_archE942ELNS1_3gpuE9ELNS1_3repE0EEENS1_30default_config_static_selectorELNS0_4arch9wavefront6targetE1EEEvT1_.num_vgpr, 0
	.set _ZN7rocprim17ROCPRIM_400000_NS6detail17trampoline_kernelINS0_14default_configENS1_25transform_config_selectorIfLb0EEEZNS1_14transform_implILb0ES3_S5_NS0_18transform_iteratorINS0_17counting_iteratorImlEEZNS1_24adjacent_difference_implIS3_Lb1ELb0EPfSB_N6thrust23THRUST_200600_302600_NS5minusIfEEEE10hipError_tPvRmT2_T3_mT4_P12ihipStream_tbEUlmE_fEESB_NS0_8identityIvEEEESG_SJ_SK_mSL_SN_bEUlT_E_NS1_11comp_targetILNS1_3genE5ELNS1_11target_archE942ELNS1_3gpuE9ELNS1_3repE0EEENS1_30default_config_static_selectorELNS0_4arch9wavefront6targetE1EEEvT1_.num_agpr, 0
	.set _ZN7rocprim17ROCPRIM_400000_NS6detail17trampoline_kernelINS0_14default_configENS1_25transform_config_selectorIfLb0EEEZNS1_14transform_implILb0ES3_S5_NS0_18transform_iteratorINS0_17counting_iteratorImlEEZNS1_24adjacent_difference_implIS3_Lb1ELb0EPfSB_N6thrust23THRUST_200600_302600_NS5minusIfEEEE10hipError_tPvRmT2_T3_mT4_P12ihipStream_tbEUlmE_fEESB_NS0_8identityIvEEEESG_SJ_SK_mSL_SN_bEUlT_E_NS1_11comp_targetILNS1_3genE5ELNS1_11target_archE942ELNS1_3gpuE9ELNS1_3repE0EEENS1_30default_config_static_selectorELNS0_4arch9wavefront6targetE1EEEvT1_.numbered_sgpr, 0
	.set _ZN7rocprim17ROCPRIM_400000_NS6detail17trampoline_kernelINS0_14default_configENS1_25transform_config_selectorIfLb0EEEZNS1_14transform_implILb0ES3_S5_NS0_18transform_iteratorINS0_17counting_iteratorImlEEZNS1_24adjacent_difference_implIS3_Lb1ELb0EPfSB_N6thrust23THRUST_200600_302600_NS5minusIfEEEE10hipError_tPvRmT2_T3_mT4_P12ihipStream_tbEUlmE_fEESB_NS0_8identityIvEEEESG_SJ_SK_mSL_SN_bEUlT_E_NS1_11comp_targetILNS1_3genE5ELNS1_11target_archE942ELNS1_3gpuE9ELNS1_3repE0EEENS1_30default_config_static_selectorELNS0_4arch9wavefront6targetE1EEEvT1_.num_named_barrier, 0
	.set _ZN7rocprim17ROCPRIM_400000_NS6detail17trampoline_kernelINS0_14default_configENS1_25transform_config_selectorIfLb0EEEZNS1_14transform_implILb0ES3_S5_NS0_18transform_iteratorINS0_17counting_iteratorImlEEZNS1_24adjacent_difference_implIS3_Lb1ELb0EPfSB_N6thrust23THRUST_200600_302600_NS5minusIfEEEE10hipError_tPvRmT2_T3_mT4_P12ihipStream_tbEUlmE_fEESB_NS0_8identityIvEEEESG_SJ_SK_mSL_SN_bEUlT_E_NS1_11comp_targetILNS1_3genE5ELNS1_11target_archE942ELNS1_3gpuE9ELNS1_3repE0EEENS1_30default_config_static_selectorELNS0_4arch9wavefront6targetE1EEEvT1_.private_seg_size, 0
	.set _ZN7rocprim17ROCPRIM_400000_NS6detail17trampoline_kernelINS0_14default_configENS1_25transform_config_selectorIfLb0EEEZNS1_14transform_implILb0ES3_S5_NS0_18transform_iteratorINS0_17counting_iteratorImlEEZNS1_24adjacent_difference_implIS3_Lb1ELb0EPfSB_N6thrust23THRUST_200600_302600_NS5minusIfEEEE10hipError_tPvRmT2_T3_mT4_P12ihipStream_tbEUlmE_fEESB_NS0_8identityIvEEEESG_SJ_SK_mSL_SN_bEUlT_E_NS1_11comp_targetILNS1_3genE5ELNS1_11target_archE942ELNS1_3gpuE9ELNS1_3repE0EEENS1_30default_config_static_selectorELNS0_4arch9wavefront6targetE1EEEvT1_.uses_vcc, 0
	.set _ZN7rocprim17ROCPRIM_400000_NS6detail17trampoline_kernelINS0_14default_configENS1_25transform_config_selectorIfLb0EEEZNS1_14transform_implILb0ES3_S5_NS0_18transform_iteratorINS0_17counting_iteratorImlEEZNS1_24adjacent_difference_implIS3_Lb1ELb0EPfSB_N6thrust23THRUST_200600_302600_NS5minusIfEEEE10hipError_tPvRmT2_T3_mT4_P12ihipStream_tbEUlmE_fEESB_NS0_8identityIvEEEESG_SJ_SK_mSL_SN_bEUlT_E_NS1_11comp_targetILNS1_3genE5ELNS1_11target_archE942ELNS1_3gpuE9ELNS1_3repE0EEENS1_30default_config_static_selectorELNS0_4arch9wavefront6targetE1EEEvT1_.uses_flat_scratch, 0
	.set _ZN7rocprim17ROCPRIM_400000_NS6detail17trampoline_kernelINS0_14default_configENS1_25transform_config_selectorIfLb0EEEZNS1_14transform_implILb0ES3_S5_NS0_18transform_iteratorINS0_17counting_iteratorImlEEZNS1_24adjacent_difference_implIS3_Lb1ELb0EPfSB_N6thrust23THRUST_200600_302600_NS5minusIfEEEE10hipError_tPvRmT2_T3_mT4_P12ihipStream_tbEUlmE_fEESB_NS0_8identityIvEEEESG_SJ_SK_mSL_SN_bEUlT_E_NS1_11comp_targetILNS1_3genE5ELNS1_11target_archE942ELNS1_3gpuE9ELNS1_3repE0EEENS1_30default_config_static_selectorELNS0_4arch9wavefront6targetE1EEEvT1_.has_dyn_sized_stack, 0
	.set _ZN7rocprim17ROCPRIM_400000_NS6detail17trampoline_kernelINS0_14default_configENS1_25transform_config_selectorIfLb0EEEZNS1_14transform_implILb0ES3_S5_NS0_18transform_iteratorINS0_17counting_iteratorImlEEZNS1_24adjacent_difference_implIS3_Lb1ELb0EPfSB_N6thrust23THRUST_200600_302600_NS5minusIfEEEE10hipError_tPvRmT2_T3_mT4_P12ihipStream_tbEUlmE_fEESB_NS0_8identityIvEEEESG_SJ_SK_mSL_SN_bEUlT_E_NS1_11comp_targetILNS1_3genE5ELNS1_11target_archE942ELNS1_3gpuE9ELNS1_3repE0EEENS1_30default_config_static_selectorELNS0_4arch9wavefront6targetE1EEEvT1_.has_recursion, 0
	.set _ZN7rocprim17ROCPRIM_400000_NS6detail17trampoline_kernelINS0_14default_configENS1_25transform_config_selectorIfLb0EEEZNS1_14transform_implILb0ES3_S5_NS0_18transform_iteratorINS0_17counting_iteratorImlEEZNS1_24adjacent_difference_implIS3_Lb1ELb0EPfSB_N6thrust23THRUST_200600_302600_NS5minusIfEEEE10hipError_tPvRmT2_T3_mT4_P12ihipStream_tbEUlmE_fEESB_NS0_8identityIvEEEESG_SJ_SK_mSL_SN_bEUlT_E_NS1_11comp_targetILNS1_3genE5ELNS1_11target_archE942ELNS1_3gpuE9ELNS1_3repE0EEENS1_30default_config_static_selectorELNS0_4arch9wavefront6targetE1EEEvT1_.has_indirect_call, 0
	.section	.AMDGPU.csdata,"",@progbits
; Kernel info:
; codeLenInByte = 0
; TotalNumSgprs: 4
; NumVgprs: 0
; ScratchSize: 0
; MemoryBound: 0
; FloatMode: 240
; IeeeMode: 1
; LDSByteSize: 0 bytes/workgroup (compile time only)
; SGPRBlocks: 0
; VGPRBlocks: 0
; NumSGPRsForWavesPerEU: 4
; NumVGPRsForWavesPerEU: 1
; Occupancy: 10
; WaveLimiterHint : 0
; COMPUTE_PGM_RSRC2:SCRATCH_EN: 0
; COMPUTE_PGM_RSRC2:USER_SGPR: 6
; COMPUTE_PGM_RSRC2:TRAP_HANDLER: 0
; COMPUTE_PGM_RSRC2:TGID_X_EN: 1
; COMPUTE_PGM_RSRC2:TGID_Y_EN: 0
; COMPUTE_PGM_RSRC2:TGID_Z_EN: 0
; COMPUTE_PGM_RSRC2:TIDIG_COMP_CNT: 0
	.section	.text._ZN7rocprim17ROCPRIM_400000_NS6detail17trampoline_kernelINS0_14default_configENS1_25transform_config_selectorIfLb0EEEZNS1_14transform_implILb0ES3_S5_NS0_18transform_iteratorINS0_17counting_iteratorImlEEZNS1_24adjacent_difference_implIS3_Lb1ELb0EPfSB_N6thrust23THRUST_200600_302600_NS5minusIfEEEE10hipError_tPvRmT2_T3_mT4_P12ihipStream_tbEUlmE_fEESB_NS0_8identityIvEEEESG_SJ_SK_mSL_SN_bEUlT_E_NS1_11comp_targetILNS1_3genE4ELNS1_11target_archE910ELNS1_3gpuE8ELNS1_3repE0EEENS1_30default_config_static_selectorELNS0_4arch9wavefront6targetE1EEEvT1_,"axG",@progbits,_ZN7rocprim17ROCPRIM_400000_NS6detail17trampoline_kernelINS0_14default_configENS1_25transform_config_selectorIfLb0EEEZNS1_14transform_implILb0ES3_S5_NS0_18transform_iteratorINS0_17counting_iteratorImlEEZNS1_24adjacent_difference_implIS3_Lb1ELb0EPfSB_N6thrust23THRUST_200600_302600_NS5minusIfEEEE10hipError_tPvRmT2_T3_mT4_P12ihipStream_tbEUlmE_fEESB_NS0_8identityIvEEEESG_SJ_SK_mSL_SN_bEUlT_E_NS1_11comp_targetILNS1_3genE4ELNS1_11target_archE910ELNS1_3gpuE8ELNS1_3repE0EEENS1_30default_config_static_selectorELNS0_4arch9wavefront6targetE1EEEvT1_,comdat
	.protected	_ZN7rocprim17ROCPRIM_400000_NS6detail17trampoline_kernelINS0_14default_configENS1_25transform_config_selectorIfLb0EEEZNS1_14transform_implILb0ES3_S5_NS0_18transform_iteratorINS0_17counting_iteratorImlEEZNS1_24adjacent_difference_implIS3_Lb1ELb0EPfSB_N6thrust23THRUST_200600_302600_NS5minusIfEEEE10hipError_tPvRmT2_T3_mT4_P12ihipStream_tbEUlmE_fEESB_NS0_8identityIvEEEESG_SJ_SK_mSL_SN_bEUlT_E_NS1_11comp_targetILNS1_3genE4ELNS1_11target_archE910ELNS1_3gpuE8ELNS1_3repE0EEENS1_30default_config_static_selectorELNS0_4arch9wavefront6targetE1EEEvT1_ ; -- Begin function _ZN7rocprim17ROCPRIM_400000_NS6detail17trampoline_kernelINS0_14default_configENS1_25transform_config_selectorIfLb0EEEZNS1_14transform_implILb0ES3_S5_NS0_18transform_iteratorINS0_17counting_iteratorImlEEZNS1_24adjacent_difference_implIS3_Lb1ELb0EPfSB_N6thrust23THRUST_200600_302600_NS5minusIfEEEE10hipError_tPvRmT2_T3_mT4_P12ihipStream_tbEUlmE_fEESB_NS0_8identityIvEEEESG_SJ_SK_mSL_SN_bEUlT_E_NS1_11comp_targetILNS1_3genE4ELNS1_11target_archE910ELNS1_3gpuE8ELNS1_3repE0EEENS1_30default_config_static_selectorELNS0_4arch9wavefront6targetE1EEEvT1_
	.globl	_ZN7rocprim17ROCPRIM_400000_NS6detail17trampoline_kernelINS0_14default_configENS1_25transform_config_selectorIfLb0EEEZNS1_14transform_implILb0ES3_S5_NS0_18transform_iteratorINS0_17counting_iteratorImlEEZNS1_24adjacent_difference_implIS3_Lb1ELb0EPfSB_N6thrust23THRUST_200600_302600_NS5minusIfEEEE10hipError_tPvRmT2_T3_mT4_P12ihipStream_tbEUlmE_fEESB_NS0_8identityIvEEEESG_SJ_SK_mSL_SN_bEUlT_E_NS1_11comp_targetILNS1_3genE4ELNS1_11target_archE910ELNS1_3gpuE8ELNS1_3repE0EEENS1_30default_config_static_selectorELNS0_4arch9wavefront6targetE1EEEvT1_
	.p2align	8
	.type	_ZN7rocprim17ROCPRIM_400000_NS6detail17trampoline_kernelINS0_14default_configENS1_25transform_config_selectorIfLb0EEEZNS1_14transform_implILb0ES3_S5_NS0_18transform_iteratorINS0_17counting_iteratorImlEEZNS1_24adjacent_difference_implIS3_Lb1ELb0EPfSB_N6thrust23THRUST_200600_302600_NS5minusIfEEEE10hipError_tPvRmT2_T3_mT4_P12ihipStream_tbEUlmE_fEESB_NS0_8identityIvEEEESG_SJ_SK_mSL_SN_bEUlT_E_NS1_11comp_targetILNS1_3genE4ELNS1_11target_archE910ELNS1_3gpuE8ELNS1_3repE0EEENS1_30default_config_static_selectorELNS0_4arch9wavefront6targetE1EEEvT1_,@function
_ZN7rocprim17ROCPRIM_400000_NS6detail17trampoline_kernelINS0_14default_configENS1_25transform_config_selectorIfLb0EEEZNS1_14transform_implILb0ES3_S5_NS0_18transform_iteratorINS0_17counting_iteratorImlEEZNS1_24adjacent_difference_implIS3_Lb1ELb0EPfSB_N6thrust23THRUST_200600_302600_NS5minusIfEEEE10hipError_tPvRmT2_T3_mT4_P12ihipStream_tbEUlmE_fEESB_NS0_8identityIvEEEESG_SJ_SK_mSL_SN_bEUlT_E_NS1_11comp_targetILNS1_3genE4ELNS1_11target_archE910ELNS1_3gpuE8ELNS1_3repE0EEENS1_30default_config_static_selectorELNS0_4arch9wavefront6targetE1EEEvT1_: ; @_ZN7rocprim17ROCPRIM_400000_NS6detail17trampoline_kernelINS0_14default_configENS1_25transform_config_selectorIfLb0EEEZNS1_14transform_implILb0ES3_S5_NS0_18transform_iteratorINS0_17counting_iteratorImlEEZNS1_24adjacent_difference_implIS3_Lb1ELb0EPfSB_N6thrust23THRUST_200600_302600_NS5minusIfEEEE10hipError_tPvRmT2_T3_mT4_P12ihipStream_tbEUlmE_fEESB_NS0_8identityIvEEEESG_SJ_SK_mSL_SN_bEUlT_E_NS1_11comp_targetILNS1_3genE4ELNS1_11target_archE910ELNS1_3gpuE8ELNS1_3repE0EEENS1_30default_config_static_selectorELNS0_4arch9wavefront6targetE1EEEvT1_
; %bb.0:
	.section	.rodata,"a",@progbits
	.p2align	6, 0x0
	.amdhsa_kernel _ZN7rocprim17ROCPRIM_400000_NS6detail17trampoline_kernelINS0_14default_configENS1_25transform_config_selectorIfLb0EEEZNS1_14transform_implILb0ES3_S5_NS0_18transform_iteratorINS0_17counting_iteratorImlEEZNS1_24adjacent_difference_implIS3_Lb1ELb0EPfSB_N6thrust23THRUST_200600_302600_NS5minusIfEEEE10hipError_tPvRmT2_T3_mT4_P12ihipStream_tbEUlmE_fEESB_NS0_8identityIvEEEESG_SJ_SK_mSL_SN_bEUlT_E_NS1_11comp_targetILNS1_3genE4ELNS1_11target_archE910ELNS1_3gpuE8ELNS1_3repE0EEENS1_30default_config_static_selectorELNS0_4arch9wavefront6targetE1EEEvT1_
		.amdhsa_group_segment_fixed_size 0
		.amdhsa_private_segment_fixed_size 0
		.amdhsa_kernarg_size 56
		.amdhsa_user_sgpr_count 6
		.amdhsa_user_sgpr_private_segment_buffer 1
		.amdhsa_user_sgpr_dispatch_ptr 0
		.amdhsa_user_sgpr_queue_ptr 0
		.amdhsa_user_sgpr_kernarg_segment_ptr 1
		.amdhsa_user_sgpr_dispatch_id 0
		.amdhsa_user_sgpr_flat_scratch_init 0
		.amdhsa_user_sgpr_private_segment_size 0
		.amdhsa_uses_dynamic_stack 0
		.amdhsa_system_sgpr_private_segment_wavefront_offset 0
		.amdhsa_system_sgpr_workgroup_id_x 1
		.amdhsa_system_sgpr_workgroup_id_y 0
		.amdhsa_system_sgpr_workgroup_id_z 0
		.amdhsa_system_sgpr_workgroup_info 0
		.amdhsa_system_vgpr_workitem_id 0
		.amdhsa_next_free_vgpr 1
		.amdhsa_next_free_sgpr 0
		.amdhsa_reserve_vcc 0
		.amdhsa_reserve_flat_scratch 0
		.amdhsa_float_round_mode_32 0
		.amdhsa_float_round_mode_16_64 0
		.amdhsa_float_denorm_mode_32 3
		.amdhsa_float_denorm_mode_16_64 3
		.amdhsa_dx10_clamp 1
		.amdhsa_ieee_mode 1
		.amdhsa_fp16_overflow 0
		.amdhsa_exception_fp_ieee_invalid_op 0
		.amdhsa_exception_fp_denorm_src 0
		.amdhsa_exception_fp_ieee_div_zero 0
		.amdhsa_exception_fp_ieee_overflow 0
		.amdhsa_exception_fp_ieee_underflow 0
		.amdhsa_exception_fp_ieee_inexact 0
		.amdhsa_exception_int_div_zero 0
	.end_amdhsa_kernel
	.section	.text._ZN7rocprim17ROCPRIM_400000_NS6detail17trampoline_kernelINS0_14default_configENS1_25transform_config_selectorIfLb0EEEZNS1_14transform_implILb0ES3_S5_NS0_18transform_iteratorINS0_17counting_iteratorImlEEZNS1_24adjacent_difference_implIS3_Lb1ELb0EPfSB_N6thrust23THRUST_200600_302600_NS5minusIfEEEE10hipError_tPvRmT2_T3_mT4_P12ihipStream_tbEUlmE_fEESB_NS0_8identityIvEEEESG_SJ_SK_mSL_SN_bEUlT_E_NS1_11comp_targetILNS1_3genE4ELNS1_11target_archE910ELNS1_3gpuE8ELNS1_3repE0EEENS1_30default_config_static_selectorELNS0_4arch9wavefront6targetE1EEEvT1_,"axG",@progbits,_ZN7rocprim17ROCPRIM_400000_NS6detail17trampoline_kernelINS0_14default_configENS1_25transform_config_selectorIfLb0EEEZNS1_14transform_implILb0ES3_S5_NS0_18transform_iteratorINS0_17counting_iteratorImlEEZNS1_24adjacent_difference_implIS3_Lb1ELb0EPfSB_N6thrust23THRUST_200600_302600_NS5minusIfEEEE10hipError_tPvRmT2_T3_mT4_P12ihipStream_tbEUlmE_fEESB_NS0_8identityIvEEEESG_SJ_SK_mSL_SN_bEUlT_E_NS1_11comp_targetILNS1_3genE4ELNS1_11target_archE910ELNS1_3gpuE8ELNS1_3repE0EEENS1_30default_config_static_selectorELNS0_4arch9wavefront6targetE1EEEvT1_,comdat
.Lfunc_end63:
	.size	_ZN7rocprim17ROCPRIM_400000_NS6detail17trampoline_kernelINS0_14default_configENS1_25transform_config_selectorIfLb0EEEZNS1_14transform_implILb0ES3_S5_NS0_18transform_iteratorINS0_17counting_iteratorImlEEZNS1_24adjacent_difference_implIS3_Lb1ELb0EPfSB_N6thrust23THRUST_200600_302600_NS5minusIfEEEE10hipError_tPvRmT2_T3_mT4_P12ihipStream_tbEUlmE_fEESB_NS0_8identityIvEEEESG_SJ_SK_mSL_SN_bEUlT_E_NS1_11comp_targetILNS1_3genE4ELNS1_11target_archE910ELNS1_3gpuE8ELNS1_3repE0EEENS1_30default_config_static_selectorELNS0_4arch9wavefront6targetE1EEEvT1_, .Lfunc_end63-_ZN7rocprim17ROCPRIM_400000_NS6detail17trampoline_kernelINS0_14default_configENS1_25transform_config_selectorIfLb0EEEZNS1_14transform_implILb0ES3_S5_NS0_18transform_iteratorINS0_17counting_iteratorImlEEZNS1_24adjacent_difference_implIS3_Lb1ELb0EPfSB_N6thrust23THRUST_200600_302600_NS5minusIfEEEE10hipError_tPvRmT2_T3_mT4_P12ihipStream_tbEUlmE_fEESB_NS0_8identityIvEEEESG_SJ_SK_mSL_SN_bEUlT_E_NS1_11comp_targetILNS1_3genE4ELNS1_11target_archE910ELNS1_3gpuE8ELNS1_3repE0EEENS1_30default_config_static_selectorELNS0_4arch9wavefront6targetE1EEEvT1_
                                        ; -- End function
	.set _ZN7rocprim17ROCPRIM_400000_NS6detail17trampoline_kernelINS0_14default_configENS1_25transform_config_selectorIfLb0EEEZNS1_14transform_implILb0ES3_S5_NS0_18transform_iteratorINS0_17counting_iteratorImlEEZNS1_24adjacent_difference_implIS3_Lb1ELb0EPfSB_N6thrust23THRUST_200600_302600_NS5minusIfEEEE10hipError_tPvRmT2_T3_mT4_P12ihipStream_tbEUlmE_fEESB_NS0_8identityIvEEEESG_SJ_SK_mSL_SN_bEUlT_E_NS1_11comp_targetILNS1_3genE4ELNS1_11target_archE910ELNS1_3gpuE8ELNS1_3repE0EEENS1_30default_config_static_selectorELNS0_4arch9wavefront6targetE1EEEvT1_.num_vgpr, 0
	.set _ZN7rocprim17ROCPRIM_400000_NS6detail17trampoline_kernelINS0_14default_configENS1_25transform_config_selectorIfLb0EEEZNS1_14transform_implILb0ES3_S5_NS0_18transform_iteratorINS0_17counting_iteratorImlEEZNS1_24adjacent_difference_implIS3_Lb1ELb0EPfSB_N6thrust23THRUST_200600_302600_NS5minusIfEEEE10hipError_tPvRmT2_T3_mT4_P12ihipStream_tbEUlmE_fEESB_NS0_8identityIvEEEESG_SJ_SK_mSL_SN_bEUlT_E_NS1_11comp_targetILNS1_3genE4ELNS1_11target_archE910ELNS1_3gpuE8ELNS1_3repE0EEENS1_30default_config_static_selectorELNS0_4arch9wavefront6targetE1EEEvT1_.num_agpr, 0
	.set _ZN7rocprim17ROCPRIM_400000_NS6detail17trampoline_kernelINS0_14default_configENS1_25transform_config_selectorIfLb0EEEZNS1_14transform_implILb0ES3_S5_NS0_18transform_iteratorINS0_17counting_iteratorImlEEZNS1_24adjacent_difference_implIS3_Lb1ELb0EPfSB_N6thrust23THRUST_200600_302600_NS5minusIfEEEE10hipError_tPvRmT2_T3_mT4_P12ihipStream_tbEUlmE_fEESB_NS0_8identityIvEEEESG_SJ_SK_mSL_SN_bEUlT_E_NS1_11comp_targetILNS1_3genE4ELNS1_11target_archE910ELNS1_3gpuE8ELNS1_3repE0EEENS1_30default_config_static_selectorELNS0_4arch9wavefront6targetE1EEEvT1_.numbered_sgpr, 0
	.set _ZN7rocprim17ROCPRIM_400000_NS6detail17trampoline_kernelINS0_14default_configENS1_25transform_config_selectorIfLb0EEEZNS1_14transform_implILb0ES3_S5_NS0_18transform_iteratorINS0_17counting_iteratorImlEEZNS1_24adjacent_difference_implIS3_Lb1ELb0EPfSB_N6thrust23THRUST_200600_302600_NS5minusIfEEEE10hipError_tPvRmT2_T3_mT4_P12ihipStream_tbEUlmE_fEESB_NS0_8identityIvEEEESG_SJ_SK_mSL_SN_bEUlT_E_NS1_11comp_targetILNS1_3genE4ELNS1_11target_archE910ELNS1_3gpuE8ELNS1_3repE0EEENS1_30default_config_static_selectorELNS0_4arch9wavefront6targetE1EEEvT1_.num_named_barrier, 0
	.set _ZN7rocprim17ROCPRIM_400000_NS6detail17trampoline_kernelINS0_14default_configENS1_25transform_config_selectorIfLb0EEEZNS1_14transform_implILb0ES3_S5_NS0_18transform_iteratorINS0_17counting_iteratorImlEEZNS1_24adjacent_difference_implIS3_Lb1ELb0EPfSB_N6thrust23THRUST_200600_302600_NS5minusIfEEEE10hipError_tPvRmT2_T3_mT4_P12ihipStream_tbEUlmE_fEESB_NS0_8identityIvEEEESG_SJ_SK_mSL_SN_bEUlT_E_NS1_11comp_targetILNS1_3genE4ELNS1_11target_archE910ELNS1_3gpuE8ELNS1_3repE0EEENS1_30default_config_static_selectorELNS0_4arch9wavefront6targetE1EEEvT1_.private_seg_size, 0
	.set _ZN7rocprim17ROCPRIM_400000_NS6detail17trampoline_kernelINS0_14default_configENS1_25transform_config_selectorIfLb0EEEZNS1_14transform_implILb0ES3_S5_NS0_18transform_iteratorINS0_17counting_iteratorImlEEZNS1_24adjacent_difference_implIS3_Lb1ELb0EPfSB_N6thrust23THRUST_200600_302600_NS5minusIfEEEE10hipError_tPvRmT2_T3_mT4_P12ihipStream_tbEUlmE_fEESB_NS0_8identityIvEEEESG_SJ_SK_mSL_SN_bEUlT_E_NS1_11comp_targetILNS1_3genE4ELNS1_11target_archE910ELNS1_3gpuE8ELNS1_3repE0EEENS1_30default_config_static_selectorELNS0_4arch9wavefront6targetE1EEEvT1_.uses_vcc, 0
	.set _ZN7rocprim17ROCPRIM_400000_NS6detail17trampoline_kernelINS0_14default_configENS1_25transform_config_selectorIfLb0EEEZNS1_14transform_implILb0ES3_S5_NS0_18transform_iteratorINS0_17counting_iteratorImlEEZNS1_24adjacent_difference_implIS3_Lb1ELb0EPfSB_N6thrust23THRUST_200600_302600_NS5minusIfEEEE10hipError_tPvRmT2_T3_mT4_P12ihipStream_tbEUlmE_fEESB_NS0_8identityIvEEEESG_SJ_SK_mSL_SN_bEUlT_E_NS1_11comp_targetILNS1_3genE4ELNS1_11target_archE910ELNS1_3gpuE8ELNS1_3repE0EEENS1_30default_config_static_selectorELNS0_4arch9wavefront6targetE1EEEvT1_.uses_flat_scratch, 0
	.set _ZN7rocprim17ROCPRIM_400000_NS6detail17trampoline_kernelINS0_14default_configENS1_25transform_config_selectorIfLb0EEEZNS1_14transform_implILb0ES3_S5_NS0_18transform_iteratorINS0_17counting_iteratorImlEEZNS1_24adjacent_difference_implIS3_Lb1ELb0EPfSB_N6thrust23THRUST_200600_302600_NS5minusIfEEEE10hipError_tPvRmT2_T3_mT4_P12ihipStream_tbEUlmE_fEESB_NS0_8identityIvEEEESG_SJ_SK_mSL_SN_bEUlT_E_NS1_11comp_targetILNS1_3genE4ELNS1_11target_archE910ELNS1_3gpuE8ELNS1_3repE0EEENS1_30default_config_static_selectorELNS0_4arch9wavefront6targetE1EEEvT1_.has_dyn_sized_stack, 0
	.set _ZN7rocprim17ROCPRIM_400000_NS6detail17trampoline_kernelINS0_14default_configENS1_25transform_config_selectorIfLb0EEEZNS1_14transform_implILb0ES3_S5_NS0_18transform_iteratorINS0_17counting_iteratorImlEEZNS1_24adjacent_difference_implIS3_Lb1ELb0EPfSB_N6thrust23THRUST_200600_302600_NS5minusIfEEEE10hipError_tPvRmT2_T3_mT4_P12ihipStream_tbEUlmE_fEESB_NS0_8identityIvEEEESG_SJ_SK_mSL_SN_bEUlT_E_NS1_11comp_targetILNS1_3genE4ELNS1_11target_archE910ELNS1_3gpuE8ELNS1_3repE0EEENS1_30default_config_static_selectorELNS0_4arch9wavefront6targetE1EEEvT1_.has_recursion, 0
	.set _ZN7rocprim17ROCPRIM_400000_NS6detail17trampoline_kernelINS0_14default_configENS1_25transform_config_selectorIfLb0EEEZNS1_14transform_implILb0ES3_S5_NS0_18transform_iteratorINS0_17counting_iteratorImlEEZNS1_24adjacent_difference_implIS3_Lb1ELb0EPfSB_N6thrust23THRUST_200600_302600_NS5minusIfEEEE10hipError_tPvRmT2_T3_mT4_P12ihipStream_tbEUlmE_fEESB_NS0_8identityIvEEEESG_SJ_SK_mSL_SN_bEUlT_E_NS1_11comp_targetILNS1_3genE4ELNS1_11target_archE910ELNS1_3gpuE8ELNS1_3repE0EEENS1_30default_config_static_selectorELNS0_4arch9wavefront6targetE1EEEvT1_.has_indirect_call, 0
	.section	.AMDGPU.csdata,"",@progbits
; Kernel info:
; codeLenInByte = 0
; TotalNumSgprs: 4
; NumVgprs: 0
; ScratchSize: 0
; MemoryBound: 0
; FloatMode: 240
; IeeeMode: 1
; LDSByteSize: 0 bytes/workgroup (compile time only)
; SGPRBlocks: 0
; VGPRBlocks: 0
; NumSGPRsForWavesPerEU: 4
; NumVGPRsForWavesPerEU: 1
; Occupancy: 10
; WaveLimiterHint : 0
; COMPUTE_PGM_RSRC2:SCRATCH_EN: 0
; COMPUTE_PGM_RSRC2:USER_SGPR: 6
; COMPUTE_PGM_RSRC2:TRAP_HANDLER: 0
; COMPUTE_PGM_RSRC2:TGID_X_EN: 1
; COMPUTE_PGM_RSRC2:TGID_Y_EN: 0
; COMPUTE_PGM_RSRC2:TGID_Z_EN: 0
; COMPUTE_PGM_RSRC2:TIDIG_COMP_CNT: 0
	.section	.text._ZN7rocprim17ROCPRIM_400000_NS6detail17trampoline_kernelINS0_14default_configENS1_25transform_config_selectorIfLb0EEEZNS1_14transform_implILb0ES3_S5_NS0_18transform_iteratorINS0_17counting_iteratorImlEEZNS1_24adjacent_difference_implIS3_Lb1ELb0EPfSB_N6thrust23THRUST_200600_302600_NS5minusIfEEEE10hipError_tPvRmT2_T3_mT4_P12ihipStream_tbEUlmE_fEESB_NS0_8identityIvEEEESG_SJ_SK_mSL_SN_bEUlT_E_NS1_11comp_targetILNS1_3genE3ELNS1_11target_archE908ELNS1_3gpuE7ELNS1_3repE0EEENS1_30default_config_static_selectorELNS0_4arch9wavefront6targetE1EEEvT1_,"axG",@progbits,_ZN7rocprim17ROCPRIM_400000_NS6detail17trampoline_kernelINS0_14default_configENS1_25transform_config_selectorIfLb0EEEZNS1_14transform_implILb0ES3_S5_NS0_18transform_iteratorINS0_17counting_iteratorImlEEZNS1_24adjacent_difference_implIS3_Lb1ELb0EPfSB_N6thrust23THRUST_200600_302600_NS5minusIfEEEE10hipError_tPvRmT2_T3_mT4_P12ihipStream_tbEUlmE_fEESB_NS0_8identityIvEEEESG_SJ_SK_mSL_SN_bEUlT_E_NS1_11comp_targetILNS1_3genE3ELNS1_11target_archE908ELNS1_3gpuE7ELNS1_3repE0EEENS1_30default_config_static_selectorELNS0_4arch9wavefront6targetE1EEEvT1_,comdat
	.protected	_ZN7rocprim17ROCPRIM_400000_NS6detail17trampoline_kernelINS0_14default_configENS1_25transform_config_selectorIfLb0EEEZNS1_14transform_implILb0ES3_S5_NS0_18transform_iteratorINS0_17counting_iteratorImlEEZNS1_24adjacent_difference_implIS3_Lb1ELb0EPfSB_N6thrust23THRUST_200600_302600_NS5minusIfEEEE10hipError_tPvRmT2_T3_mT4_P12ihipStream_tbEUlmE_fEESB_NS0_8identityIvEEEESG_SJ_SK_mSL_SN_bEUlT_E_NS1_11comp_targetILNS1_3genE3ELNS1_11target_archE908ELNS1_3gpuE7ELNS1_3repE0EEENS1_30default_config_static_selectorELNS0_4arch9wavefront6targetE1EEEvT1_ ; -- Begin function _ZN7rocprim17ROCPRIM_400000_NS6detail17trampoline_kernelINS0_14default_configENS1_25transform_config_selectorIfLb0EEEZNS1_14transform_implILb0ES3_S5_NS0_18transform_iteratorINS0_17counting_iteratorImlEEZNS1_24adjacent_difference_implIS3_Lb1ELb0EPfSB_N6thrust23THRUST_200600_302600_NS5minusIfEEEE10hipError_tPvRmT2_T3_mT4_P12ihipStream_tbEUlmE_fEESB_NS0_8identityIvEEEESG_SJ_SK_mSL_SN_bEUlT_E_NS1_11comp_targetILNS1_3genE3ELNS1_11target_archE908ELNS1_3gpuE7ELNS1_3repE0EEENS1_30default_config_static_selectorELNS0_4arch9wavefront6targetE1EEEvT1_
	.globl	_ZN7rocprim17ROCPRIM_400000_NS6detail17trampoline_kernelINS0_14default_configENS1_25transform_config_selectorIfLb0EEEZNS1_14transform_implILb0ES3_S5_NS0_18transform_iteratorINS0_17counting_iteratorImlEEZNS1_24adjacent_difference_implIS3_Lb1ELb0EPfSB_N6thrust23THRUST_200600_302600_NS5minusIfEEEE10hipError_tPvRmT2_T3_mT4_P12ihipStream_tbEUlmE_fEESB_NS0_8identityIvEEEESG_SJ_SK_mSL_SN_bEUlT_E_NS1_11comp_targetILNS1_3genE3ELNS1_11target_archE908ELNS1_3gpuE7ELNS1_3repE0EEENS1_30default_config_static_selectorELNS0_4arch9wavefront6targetE1EEEvT1_
	.p2align	8
	.type	_ZN7rocprim17ROCPRIM_400000_NS6detail17trampoline_kernelINS0_14default_configENS1_25transform_config_selectorIfLb0EEEZNS1_14transform_implILb0ES3_S5_NS0_18transform_iteratorINS0_17counting_iteratorImlEEZNS1_24adjacent_difference_implIS3_Lb1ELb0EPfSB_N6thrust23THRUST_200600_302600_NS5minusIfEEEE10hipError_tPvRmT2_T3_mT4_P12ihipStream_tbEUlmE_fEESB_NS0_8identityIvEEEESG_SJ_SK_mSL_SN_bEUlT_E_NS1_11comp_targetILNS1_3genE3ELNS1_11target_archE908ELNS1_3gpuE7ELNS1_3repE0EEENS1_30default_config_static_selectorELNS0_4arch9wavefront6targetE1EEEvT1_,@function
_ZN7rocprim17ROCPRIM_400000_NS6detail17trampoline_kernelINS0_14default_configENS1_25transform_config_selectorIfLb0EEEZNS1_14transform_implILb0ES3_S5_NS0_18transform_iteratorINS0_17counting_iteratorImlEEZNS1_24adjacent_difference_implIS3_Lb1ELb0EPfSB_N6thrust23THRUST_200600_302600_NS5minusIfEEEE10hipError_tPvRmT2_T3_mT4_P12ihipStream_tbEUlmE_fEESB_NS0_8identityIvEEEESG_SJ_SK_mSL_SN_bEUlT_E_NS1_11comp_targetILNS1_3genE3ELNS1_11target_archE908ELNS1_3gpuE7ELNS1_3repE0EEENS1_30default_config_static_selectorELNS0_4arch9wavefront6targetE1EEEvT1_: ; @_ZN7rocprim17ROCPRIM_400000_NS6detail17trampoline_kernelINS0_14default_configENS1_25transform_config_selectorIfLb0EEEZNS1_14transform_implILb0ES3_S5_NS0_18transform_iteratorINS0_17counting_iteratorImlEEZNS1_24adjacent_difference_implIS3_Lb1ELb0EPfSB_N6thrust23THRUST_200600_302600_NS5minusIfEEEE10hipError_tPvRmT2_T3_mT4_P12ihipStream_tbEUlmE_fEESB_NS0_8identityIvEEEESG_SJ_SK_mSL_SN_bEUlT_E_NS1_11comp_targetILNS1_3genE3ELNS1_11target_archE908ELNS1_3gpuE7ELNS1_3repE0EEENS1_30default_config_static_selectorELNS0_4arch9wavefront6targetE1EEEvT1_
; %bb.0:
	.section	.rodata,"a",@progbits
	.p2align	6, 0x0
	.amdhsa_kernel _ZN7rocprim17ROCPRIM_400000_NS6detail17trampoline_kernelINS0_14default_configENS1_25transform_config_selectorIfLb0EEEZNS1_14transform_implILb0ES3_S5_NS0_18transform_iteratorINS0_17counting_iteratorImlEEZNS1_24adjacent_difference_implIS3_Lb1ELb0EPfSB_N6thrust23THRUST_200600_302600_NS5minusIfEEEE10hipError_tPvRmT2_T3_mT4_P12ihipStream_tbEUlmE_fEESB_NS0_8identityIvEEEESG_SJ_SK_mSL_SN_bEUlT_E_NS1_11comp_targetILNS1_3genE3ELNS1_11target_archE908ELNS1_3gpuE7ELNS1_3repE0EEENS1_30default_config_static_selectorELNS0_4arch9wavefront6targetE1EEEvT1_
		.amdhsa_group_segment_fixed_size 0
		.amdhsa_private_segment_fixed_size 0
		.amdhsa_kernarg_size 56
		.amdhsa_user_sgpr_count 6
		.amdhsa_user_sgpr_private_segment_buffer 1
		.amdhsa_user_sgpr_dispatch_ptr 0
		.amdhsa_user_sgpr_queue_ptr 0
		.amdhsa_user_sgpr_kernarg_segment_ptr 1
		.amdhsa_user_sgpr_dispatch_id 0
		.amdhsa_user_sgpr_flat_scratch_init 0
		.amdhsa_user_sgpr_private_segment_size 0
		.amdhsa_uses_dynamic_stack 0
		.amdhsa_system_sgpr_private_segment_wavefront_offset 0
		.amdhsa_system_sgpr_workgroup_id_x 1
		.amdhsa_system_sgpr_workgroup_id_y 0
		.amdhsa_system_sgpr_workgroup_id_z 0
		.amdhsa_system_sgpr_workgroup_info 0
		.amdhsa_system_vgpr_workitem_id 0
		.amdhsa_next_free_vgpr 1
		.amdhsa_next_free_sgpr 0
		.amdhsa_reserve_vcc 0
		.amdhsa_reserve_flat_scratch 0
		.amdhsa_float_round_mode_32 0
		.amdhsa_float_round_mode_16_64 0
		.amdhsa_float_denorm_mode_32 3
		.amdhsa_float_denorm_mode_16_64 3
		.amdhsa_dx10_clamp 1
		.amdhsa_ieee_mode 1
		.amdhsa_fp16_overflow 0
		.amdhsa_exception_fp_ieee_invalid_op 0
		.amdhsa_exception_fp_denorm_src 0
		.amdhsa_exception_fp_ieee_div_zero 0
		.amdhsa_exception_fp_ieee_overflow 0
		.amdhsa_exception_fp_ieee_underflow 0
		.amdhsa_exception_fp_ieee_inexact 0
		.amdhsa_exception_int_div_zero 0
	.end_amdhsa_kernel
	.section	.text._ZN7rocprim17ROCPRIM_400000_NS6detail17trampoline_kernelINS0_14default_configENS1_25transform_config_selectorIfLb0EEEZNS1_14transform_implILb0ES3_S5_NS0_18transform_iteratorINS0_17counting_iteratorImlEEZNS1_24adjacent_difference_implIS3_Lb1ELb0EPfSB_N6thrust23THRUST_200600_302600_NS5minusIfEEEE10hipError_tPvRmT2_T3_mT4_P12ihipStream_tbEUlmE_fEESB_NS0_8identityIvEEEESG_SJ_SK_mSL_SN_bEUlT_E_NS1_11comp_targetILNS1_3genE3ELNS1_11target_archE908ELNS1_3gpuE7ELNS1_3repE0EEENS1_30default_config_static_selectorELNS0_4arch9wavefront6targetE1EEEvT1_,"axG",@progbits,_ZN7rocprim17ROCPRIM_400000_NS6detail17trampoline_kernelINS0_14default_configENS1_25transform_config_selectorIfLb0EEEZNS1_14transform_implILb0ES3_S5_NS0_18transform_iteratorINS0_17counting_iteratorImlEEZNS1_24adjacent_difference_implIS3_Lb1ELb0EPfSB_N6thrust23THRUST_200600_302600_NS5minusIfEEEE10hipError_tPvRmT2_T3_mT4_P12ihipStream_tbEUlmE_fEESB_NS0_8identityIvEEEESG_SJ_SK_mSL_SN_bEUlT_E_NS1_11comp_targetILNS1_3genE3ELNS1_11target_archE908ELNS1_3gpuE7ELNS1_3repE0EEENS1_30default_config_static_selectorELNS0_4arch9wavefront6targetE1EEEvT1_,comdat
.Lfunc_end64:
	.size	_ZN7rocprim17ROCPRIM_400000_NS6detail17trampoline_kernelINS0_14default_configENS1_25transform_config_selectorIfLb0EEEZNS1_14transform_implILb0ES3_S5_NS0_18transform_iteratorINS0_17counting_iteratorImlEEZNS1_24adjacent_difference_implIS3_Lb1ELb0EPfSB_N6thrust23THRUST_200600_302600_NS5minusIfEEEE10hipError_tPvRmT2_T3_mT4_P12ihipStream_tbEUlmE_fEESB_NS0_8identityIvEEEESG_SJ_SK_mSL_SN_bEUlT_E_NS1_11comp_targetILNS1_3genE3ELNS1_11target_archE908ELNS1_3gpuE7ELNS1_3repE0EEENS1_30default_config_static_selectorELNS0_4arch9wavefront6targetE1EEEvT1_, .Lfunc_end64-_ZN7rocprim17ROCPRIM_400000_NS6detail17trampoline_kernelINS0_14default_configENS1_25transform_config_selectorIfLb0EEEZNS1_14transform_implILb0ES3_S5_NS0_18transform_iteratorINS0_17counting_iteratorImlEEZNS1_24adjacent_difference_implIS3_Lb1ELb0EPfSB_N6thrust23THRUST_200600_302600_NS5minusIfEEEE10hipError_tPvRmT2_T3_mT4_P12ihipStream_tbEUlmE_fEESB_NS0_8identityIvEEEESG_SJ_SK_mSL_SN_bEUlT_E_NS1_11comp_targetILNS1_3genE3ELNS1_11target_archE908ELNS1_3gpuE7ELNS1_3repE0EEENS1_30default_config_static_selectorELNS0_4arch9wavefront6targetE1EEEvT1_
                                        ; -- End function
	.set _ZN7rocprim17ROCPRIM_400000_NS6detail17trampoline_kernelINS0_14default_configENS1_25transform_config_selectorIfLb0EEEZNS1_14transform_implILb0ES3_S5_NS0_18transform_iteratorINS0_17counting_iteratorImlEEZNS1_24adjacent_difference_implIS3_Lb1ELb0EPfSB_N6thrust23THRUST_200600_302600_NS5minusIfEEEE10hipError_tPvRmT2_T3_mT4_P12ihipStream_tbEUlmE_fEESB_NS0_8identityIvEEEESG_SJ_SK_mSL_SN_bEUlT_E_NS1_11comp_targetILNS1_3genE3ELNS1_11target_archE908ELNS1_3gpuE7ELNS1_3repE0EEENS1_30default_config_static_selectorELNS0_4arch9wavefront6targetE1EEEvT1_.num_vgpr, 0
	.set _ZN7rocprim17ROCPRIM_400000_NS6detail17trampoline_kernelINS0_14default_configENS1_25transform_config_selectorIfLb0EEEZNS1_14transform_implILb0ES3_S5_NS0_18transform_iteratorINS0_17counting_iteratorImlEEZNS1_24adjacent_difference_implIS3_Lb1ELb0EPfSB_N6thrust23THRUST_200600_302600_NS5minusIfEEEE10hipError_tPvRmT2_T3_mT4_P12ihipStream_tbEUlmE_fEESB_NS0_8identityIvEEEESG_SJ_SK_mSL_SN_bEUlT_E_NS1_11comp_targetILNS1_3genE3ELNS1_11target_archE908ELNS1_3gpuE7ELNS1_3repE0EEENS1_30default_config_static_selectorELNS0_4arch9wavefront6targetE1EEEvT1_.num_agpr, 0
	.set _ZN7rocprim17ROCPRIM_400000_NS6detail17trampoline_kernelINS0_14default_configENS1_25transform_config_selectorIfLb0EEEZNS1_14transform_implILb0ES3_S5_NS0_18transform_iteratorINS0_17counting_iteratorImlEEZNS1_24adjacent_difference_implIS3_Lb1ELb0EPfSB_N6thrust23THRUST_200600_302600_NS5minusIfEEEE10hipError_tPvRmT2_T3_mT4_P12ihipStream_tbEUlmE_fEESB_NS0_8identityIvEEEESG_SJ_SK_mSL_SN_bEUlT_E_NS1_11comp_targetILNS1_3genE3ELNS1_11target_archE908ELNS1_3gpuE7ELNS1_3repE0EEENS1_30default_config_static_selectorELNS0_4arch9wavefront6targetE1EEEvT1_.numbered_sgpr, 0
	.set _ZN7rocprim17ROCPRIM_400000_NS6detail17trampoline_kernelINS0_14default_configENS1_25transform_config_selectorIfLb0EEEZNS1_14transform_implILb0ES3_S5_NS0_18transform_iteratorINS0_17counting_iteratorImlEEZNS1_24adjacent_difference_implIS3_Lb1ELb0EPfSB_N6thrust23THRUST_200600_302600_NS5minusIfEEEE10hipError_tPvRmT2_T3_mT4_P12ihipStream_tbEUlmE_fEESB_NS0_8identityIvEEEESG_SJ_SK_mSL_SN_bEUlT_E_NS1_11comp_targetILNS1_3genE3ELNS1_11target_archE908ELNS1_3gpuE7ELNS1_3repE0EEENS1_30default_config_static_selectorELNS0_4arch9wavefront6targetE1EEEvT1_.num_named_barrier, 0
	.set _ZN7rocprim17ROCPRIM_400000_NS6detail17trampoline_kernelINS0_14default_configENS1_25transform_config_selectorIfLb0EEEZNS1_14transform_implILb0ES3_S5_NS0_18transform_iteratorINS0_17counting_iteratorImlEEZNS1_24adjacent_difference_implIS3_Lb1ELb0EPfSB_N6thrust23THRUST_200600_302600_NS5minusIfEEEE10hipError_tPvRmT2_T3_mT4_P12ihipStream_tbEUlmE_fEESB_NS0_8identityIvEEEESG_SJ_SK_mSL_SN_bEUlT_E_NS1_11comp_targetILNS1_3genE3ELNS1_11target_archE908ELNS1_3gpuE7ELNS1_3repE0EEENS1_30default_config_static_selectorELNS0_4arch9wavefront6targetE1EEEvT1_.private_seg_size, 0
	.set _ZN7rocprim17ROCPRIM_400000_NS6detail17trampoline_kernelINS0_14default_configENS1_25transform_config_selectorIfLb0EEEZNS1_14transform_implILb0ES3_S5_NS0_18transform_iteratorINS0_17counting_iteratorImlEEZNS1_24adjacent_difference_implIS3_Lb1ELb0EPfSB_N6thrust23THRUST_200600_302600_NS5minusIfEEEE10hipError_tPvRmT2_T3_mT4_P12ihipStream_tbEUlmE_fEESB_NS0_8identityIvEEEESG_SJ_SK_mSL_SN_bEUlT_E_NS1_11comp_targetILNS1_3genE3ELNS1_11target_archE908ELNS1_3gpuE7ELNS1_3repE0EEENS1_30default_config_static_selectorELNS0_4arch9wavefront6targetE1EEEvT1_.uses_vcc, 0
	.set _ZN7rocprim17ROCPRIM_400000_NS6detail17trampoline_kernelINS0_14default_configENS1_25transform_config_selectorIfLb0EEEZNS1_14transform_implILb0ES3_S5_NS0_18transform_iteratorINS0_17counting_iteratorImlEEZNS1_24adjacent_difference_implIS3_Lb1ELb0EPfSB_N6thrust23THRUST_200600_302600_NS5minusIfEEEE10hipError_tPvRmT2_T3_mT4_P12ihipStream_tbEUlmE_fEESB_NS0_8identityIvEEEESG_SJ_SK_mSL_SN_bEUlT_E_NS1_11comp_targetILNS1_3genE3ELNS1_11target_archE908ELNS1_3gpuE7ELNS1_3repE0EEENS1_30default_config_static_selectorELNS0_4arch9wavefront6targetE1EEEvT1_.uses_flat_scratch, 0
	.set _ZN7rocprim17ROCPRIM_400000_NS6detail17trampoline_kernelINS0_14default_configENS1_25transform_config_selectorIfLb0EEEZNS1_14transform_implILb0ES3_S5_NS0_18transform_iteratorINS0_17counting_iteratorImlEEZNS1_24adjacent_difference_implIS3_Lb1ELb0EPfSB_N6thrust23THRUST_200600_302600_NS5minusIfEEEE10hipError_tPvRmT2_T3_mT4_P12ihipStream_tbEUlmE_fEESB_NS0_8identityIvEEEESG_SJ_SK_mSL_SN_bEUlT_E_NS1_11comp_targetILNS1_3genE3ELNS1_11target_archE908ELNS1_3gpuE7ELNS1_3repE0EEENS1_30default_config_static_selectorELNS0_4arch9wavefront6targetE1EEEvT1_.has_dyn_sized_stack, 0
	.set _ZN7rocprim17ROCPRIM_400000_NS6detail17trampoline_kernelINS0_14default_configENS1_25transform_config_selectorIfLb0EEEZNS1_14transform_implILb0ES3_S5_NS0_18transform_iteratorINS0_17counting_iteratorImlEEZNS1_24adjacent_difference_implIS3_Lb1ELb0EPfSB_N6thrust23THRUST_200600_302600_NS5minusIfEEEE10hipError_tPvRmT2_T3_mT4_P12ihipStream_tbEUlmE_fEESB_NS0_8identityIvEEEESG_SJ_SK_mSL_SN_bEUlT_E_NS1_11comp_targetILNS1_3genE3ELNS1_11target_archE908ELNS1_3gpuE7ELNS1_3repE0EEENS1_30default_config_static_selectorELNS0_4arch9wavefront6targetE1EEEvT1_.has_recursion, 0
	.set _ZN7rocprim17ROCPRIM_400000_NS6detail17trampoline_kernelINS0_14default_configENS1_25transform_config_selectorIfLb0EEEZNS1_14transform_implILb0ES3_S5_NS0_18transform_iteratorINS0_17counting_iteratorImlEEZNS1_24adjacent_difference_implIS3_Lb1ELb0EPfSB_N6thrust23THRUST_200600_302600_NS5minusIfEEEE10hipError_tPvRmT2_T3_mT4_P12ihipStream_tbEUlmE_fEESB_NS0_8identityIvEEEESG_SJ_SK_mSL_SN_bEUlT_E_NS1_11comp_targetILNS1_3genE3ELNS1_11target_archE908ELNS1_3gpuE7ELNS1_3repE0EEENS1_30default_config_static_selectorELNS0_4arch9wavefront6targetE1EEEvT1_.has_indirect_call, 0
	.section	.AMDGPU.csdata,"",@progbits
; Kernel info:
; codeLenInByte = 0
; TotalNumSgprs: 4
; NumVgprs: 0
; ScratchSize: 0
; MemoryBound: 0
; FloatMode: 240
; IeeeMode: 1
; LDSByteSize: 0 bytes/workgroup (compile time only)
; SGPRBlocks: 0
; VGPRBlocks: 0
; NumSGPRsForWavesPerEU: 4
; NumVGPRsForWavesPerEU: 1
; Occupancy: 10
; WaveLimiterHint : 0
; COMPUTE_PGM_RSRC2:SCRATCH_EN: 0
; COMPUTE_PGM_RSRC2:USER_SGPR: 6
; COMPUTE_PGM_RSRC2:TRAP_HANDLER: 0
; COMPUTE_PGM_RSRC2:TGID_X_EN: 1
; COMPUTE_PGM_RSRC2:TGID_Y_EN: 0
; COMPUTE_PGM_RSRC2:TGID_Z_EN: 0
; COMPUTE_PGM_RSRC2:TIDIG_COMP_CNT: 0
	.section	.text._ZN7rocprim17ROCPRIM_400000_NS6detail17trampoline_kernelINS0_14default_configENS1_25transform_config_selectorIfLb0EEEZNS1_14transform_implILb0ES3_S5_NS0_18transform_iteratorINS0_17counting_iteratorImlEEZNS1_24adjacent_difference_implIS3_Lb1ELb0EPfSB_N6thrust23THRUST_200600_302600_NS5minusIfEEEE10hipError_tPvRmT2_T3_mT4_P12ihipStream_tbEUlmE_fEESB_NS0_8identityIvEEEESG_SJ_SK_mSL_SN_bEUlT_E_NS1_11comp_targetILNS1_3genE2ELNS1_11target_archE906ELNS1_3gpuE6ELNS1_3repE0EEENS1_30default_config_static_selectorELNS0_4arch9wavefront6targetE1EEEvT1_,"axG",@progbits,_ZN7rocprim17ROCPRIM_400000_NS6detail17trampoline_kernelINS0_14default_configENS1_25transform_config_selectorIfLb0EEEZNS1_14transform_implILb0ES3_S5_NS0_18transform_iteratorINS0_17counting_iteratorImlEEZNS1_24adjacent_difference_implIS3_Lb1ELb0EPfSB_N6thrust23THRUST_200600_302600_NS5minusIfEEEE10hipError_tPvRmT2_T3_mT4_P12ihipStream_tbEUlmE_fEESB_NS0_8identityIvEEEESG_SJ_SK_mSL_SN_bEUlT_E_NS1_11comp_targetILNS1_3genE2ELNS1_11target_archE906ELNS1_3gpuE6ELNS1_3repE0EEENS1_30default_config_static_selectorELNS0_4arch9wavefront6targetE1EEEvT1_,comdat
	.protected	_ZN7rocprim17ROCPRIM_400000_NS6detail17trampoline_kernelINS0_14default_configENS1_25transform_config_selectorIfLb0EEEZNS1_14transform_implILb0ES3_S5_NS0_18transform_iteratorINS0_17counting_iteratorImlEEZNS1_24adjacent_difference_implIS3_Lb1ELb0EPfSB_N6thrust23THRUST_200600_302600_NS5minusIfEEEE10hipError_tPvRmT2_T3_mT4_P12ihipStream_tbEUlmE_fEESB_NS0_8identityIvEEEESG_SJ_SK_mSL_SN_bEUlT_E_NS1_11comp_targetILNS1_3genE2ELNS1_11target_archE906ELNS1_3gpuE6ELNS1_3repE0EEENS1_30default_config_static_selectorELNS0_4arch9wavefront6targetE1EEEvT1_ ; -- Begin function _ZN7rocprim17ROCPRIM_400000_NS6detail17trampoline_kernelINS0_14default_configENS1_25transform_config_selectorIfLb0EEEZNS1_14transform_implILb0ES3_S5_NS0_18transform_iteratorINS0_17counting_iteratorImlEEZNS1_24adjacent_difference_implIS3_Lb1ELb0EPfSB_N6thrust23THRUST_200600_302600_NS5minusIfEEEE10hipError_tPvRmT2_T3_mT4_P12ihipStream_tbEUlmE_fEESB_NS0_8identityIvEEEESG_SJ_SK_mSL_SN_bEUlT_E_NS1_11comp_targetILNS1_3genE2ELNS1_11target_archE906ELNS1_3gpuE6ELNS1_3repE0EEENS1_30default_config_static_selectorELNS0_4arch9wavefront6targetE1EEEvT1_
	.globl	_ZN7rocprim17ROCPRIM_400000_NS6detail17trampoline_kernelINS0_14default_configENS1_25transform_config_selectorIfLb0EEEZNS1_14transform_implILb0ES3_S5_NS0_18transform_iteratorINS0_17counting_iteratorImlEEZNS1_24adjacent_difference_implIS3_Lb1ELb0EPfSB_N6thrust23THRUST_200600_302600_NS5minusIfEEEE10hipError_tPvRmT2_T3_mT4_P12ihipStream_tbEUlmE_fEESB_NS0_8identityIvEEEESG_SJ_SK_mSL_SN_bEUlT_E_NS1_11comp_targetILNS1_3genE2ELNS1_11target_archE906ELNS1_3gpuE6ELNS1_3repE0EEENS1_30default_config_static_selectorELNS0_4arch9wavefront6targetE1EEEvT1_
	.p2align	8
	.type	_ZN7rocprim17ROCPRIM_400000_NS6detail17trampoline_kernelINS0_14default_configENS1_25transform_config_selectorIfLb0EEEZNS1_14transform_implILb0ES3_S5_NS0_18transform_iteratorINS0_17counting_iteratorImlEEZNS1_24adjacent_difference_implIS3_Lb1ELb0EPfSB_N6thrust23THRUST_200600_302600_NS5minusIfEEEE10hipError_tPvRmT2_T3_mT4_P12ihipStream_tbEUlmE_fEESB_NS0_8identityIvEEEESG_SJ_SK_mSL_SN_bEUlT_E_NS1_11comp_targetILNS1_3genE2ELNS1_11target_archE906ELNS1_3gpuE6ELNS1_3repE0EEENS1_30default_config_static_selectorELNS0_4arch9wavefront6targetE1EEEvT1_,@function
_ZN7rocprim17ROCPRIM_400000_NS6detail17trampoline_kernelINS0_14default_configENS1_25transform_config_selectorIfLb0EEEZNS1_14transform_implILb0ES3_S5_NS0_18transform_iteratorINS0_17counting_iteratorImlEEZNS1_24adjacent_difference_implIS3_Lb1ELb0EPfSB_N6thrust23THRUST_200600_302600_NS5minusIfEEEE10hipError_tPvRmT2_T3_mT4_P12ihipStream_tbEUlmE_fEESB_NS0_8identityIvEEEESG_SJ_SK_mSL_SN_bEUlT_E_NS1_11comp_targetILNS1_3genE2ELNS1_11target_archE906ELNS1_3gpuE6ELNS1_3repE0EEENS1_30default_config_static_selectorELNS0_4arch9wavefront6targetE1EEEvT1_: ; @_ZN7rocprim17ROCPRIM_400000_NS6detail17trampoline_kernelINS0_14default_configENS1_25transform_config_selectorIfLb0EEEZNS1_14transform_implILb0ES3_S5_NS0_18transform_iteratorINS0_17counting_iteratorImlEEZNS1_24adjacent_difference_implIS3_Lb1ELb0EPfSB_N6thrust23THRUST_200600_302600_NS5minusIfEEEE10hipError_tPvRmT2_T3_mT4_P12ihipStream_tbEUlmE_fEESB_NS0_8identityIvEEEESG_SJ_SK_mSL_SN_bEUlT_E_NS1_11comp_targetILNS1_3genE2ELNS1_11target_archE906ELNS1_3gpuE6ELNS1_3repE0EEENS1_30default_config_static_selectorELNS0_4arch9wavefront6targetE1EEEvT1_
; %bb.0:
	s_load_dwordx4 s[0:3], s[4:5], 0x18
	s_load_dwordx2 s[14:15], s[4:5], 0x28
	s_load_dwordx4 s[8:11], s[4:5], 0x0
	s_load_dword s12, s[4:5], 0x10
	s_waitcnt lgkmcnt(0)
	s_load_dword s3, s[4:5], 0x38
                                        ; kill: killed $sgpr4_sgpr5
	s_lshl_b64 s[4:5], s[0:1], 2
	s_add_u32 s14, s14, s4
	s_addc_u32 s15, s15, s5
	s_lshl_b32 s4, s6, 11
	s_waitcnt lgkmcnt(0)
	s_add_i32 s3, s3, -1
	s_add_u32 s7, s8, s4
	s_addc_u32 s8, s9, 0
	s_add_u32 s16, s7, s0
	s_addc_u32 s17, s8, s1
	s_mov_b32 s5, 0
	s_cmp_lg_u32 s6, s3
	v_lshlrev_b32_e32 v5, 2, v0
	s_cbranch_scc0 .LBB65_2
; %bb.1:
	v_mov_b32_e32 v1, s17
	v_add_co_u32_e32 v2, vcc, s16, v0
	v_addc_co_u32_e32 v3, vcc, 0, v1, vcc
	v_mad_u64_u32 v[1:2], s[0:1], v2, s12, 0
	s_mov_b32 s13, s5
	s_lshl_b64 s[6:7], s[4:5], 2
	v_mad_u64_u32 v[2:3], s[0:1], v3, s12, v[2:3]
	v_mov_b32_e32 v3, s11
	s_lshl_b64 s[0:1], s[12:13], 12
	v_lshlrev_b64 v[1:2], 2, v[1:2]
	s_add_u32 s6, s14, s6
	v_add_co_u32_e32 v1, vcc, s10, v1
	v_addc_co_u32_e32 v2, vcc, v3, v2, vcc
	global_load_dword v6, v[1:2], off
	v_mov_b32_e32 v3, s1
	v_add_co_u32_e32 v1, vcc, s0, v1
	v_addc_co_u32_e32 v2, vcc, v2, v3, vcc
	global_load_dword v1, v[1:2], off
	s_addc_u32 s7, s15, s7
	v_mov_b32_e32 v2, s7
	v_add_co_u32_e32 v3, vcc, s6, v5
	v_addc_co_u32_e32 v4, vcc, 0, v2, vcc
	s_waitcnt vmcnt(1)
	global_store_dword v5, v6, s[6:7]
	s_mov_b64 s[6:7], -1
	s_cbranch_execz .LBB65_3
	s_branch .LBB65_12
.LBB65_2:
	s_mov_b64 s[6:7], 0
                                        ; implicit-def: $vgpr1
                                        ; implicit-def: $vgpr3_vgpr4
.LBB65_3:
	s_sub_i32 s8, s2, s4
	s_waitcnt vmcnt(1)
	v_mov_b32_e32 v1, 0
	v_cmp_gt_u32_e32 vcc, s8, v0
	v_mov_b32_e32 v2, v1
	s_and_saveexec_b64 s[2:3], vcc
	s_cbranch_execz .LBB65_5
; %bb.4:
	v_mov_b32_e32 v2, s17
	v_add_co_u32_e64 v3, s[0:1], s16, v0
	v_addc_co_u32_e64 v4, s[0:1], 0, v2, s[0:1]
	v_mad_u64_u32 v[2:3], s[0:1], v3, s12, 0
	v_mad_u64_u32 v[3:4], s[0:1], v4, s12, v[3:4]
	v_mov_b32_e32 v4, s11
	v_lshlrev_b64 v[2:3], 2, v[2:3]
	v_add_co_u32_e64 v2, s[0:1], s10, v2
	v_addc_co_u32_e64 v3, s[0:1], v4, v3, s[0:1]
	global_load_dword v2, v[2:3], off
	v_mov_b32_e32 v3, v1
	s_waitcnt vmcnt(0)
	v_mov_b32_e32 v1, v2
	v_mov_b32_e32 v2, v3
.LBB65_5:
	s_or_b64 exec, exec, s[2:3]
	v_or_b32_e32 v0, 0x400, v0
	v_cmp_gt_u32_e64 s[0:1], s8, v0
	s_and_saveexec_b64 s[8:9], s[0:1]
	s_cbranch_execz .LBB65_7
; %bb.6:
	v_mov_b32_e32 v2, s17
	v_add_co_u32_e64 v0, s[2:3], s16, v0
	v_addc_co_u32_e64 v4, s[2:3], 0, v2, s[2:3]
	v_mad_u64_u32 v[2:3], s[2:3], v0, s12, 0
	v_mov_b32_e32 v0, v3
	v_mad_u64_u32 v[3:4], s[2:3], v4, s12, v[0:1]
	v_mov_b32_e32 v0, s11
	v_lshlrev_b64 v[2:3], 2, v[2:3]
	v_add_co_u32_e64 v2, s[2:3], s10, v2
	v_addc_co_u32_e64 v3, s[2:3], v0, v3, s[2:3]
	global_load_dword v2, v[2:3], off
.LBB65_7:
	s_or_b64 exec, exec, s[8:9]
	s_lshl_b64 s[2:3], s[4:5], 2
	s_add_u32 s2, s14, s2
	s_addc_u32 s3, s15, s3
	v_cndmask_b32_e32 v0, 0, v1, vcc
	v_mov_b32_e32 v1, s3
	v_add_co_u32_e64 v3, s[2:3], s2, v5
	v_addc_co_u32_e64 v4, s[2:3], 0, v1, s[2:3]
	s_and_saveexec_b64 s[2:3], vcc
	s_cbranch_execz .LBB65_9
; %bb.8:
	global_store_dword v[3:4], v0, off
.LBB65_9:
	s_or_b64 exec, exec, s[2:3]
                                        ; implicit-def: $vgpr1
	s_and_saveexec_b64 s[2:3], s[0:1]
	s_cbranch_execz .LBB65_11
; %bb.10:
	s_waitcnt vmcnt(0)
	v_cndmask_b32_e64 v1, 0, v2, s[0:1]
	s_or_b64 s[6:7], s[6:7], exec
.LBB65_11:
	s_or_b64 exec, exec, s[2:3]
.LBB65_12:
	s_and_saveexec_b64 s[0:1], s[6:7]
	s_cbranch_execnz .LBB65_14
; %bb.13:
	s_endpgm
.LBB65_14:
	s_waitcnt vmcnt(0)
	v_add_co_u32_e32 v2, vcc, 0x1000, v3
	v_addc_co_u32_e32 v3, vcc, 0, v4, vcc
	global_store_dword v[2:3], v1, off
	s_endpgm
	.section	.rodata,"a",@progbits
	.p2align	6, 0x0
	.amdhsa_kernel _ZN7rocprim17ROCPRIM_400000_NS6detail17trampoline_kernelINS0_14default_configENS1_25transform_config_selectorIfLb0EEEZNS1_14transform_implILb0ES3_S5_NS0_18transform_iteratorINS0_17counting_iteratorImlEEZNS1_24adjacent_difference_implIS3_Lb1ELb0EPfSB_N6thrust23THRUST_200600_302600_NS5minusIfEEEE10hipError_tPvRmT2_T3_mT4_P12ihipStream_tbEUlmE_fEESB_NS0_8identityIvEEEESG_SJ_SK_mSL_SN_bEUlT_E_NS1_11comp_targetILNS1_3genE2ELNS1_11target_archE906ELNS1_3gpuE6ELNS1_3repE0EEENS1_30default_config_static_selectorELNS0_4arch9wavefront6targetE1EEEvT1_
		.amdhsa_group_segment_fixed_size 0
		.amdhsa_private_segment_fixed_size 0
		.amdhsa_kernarg_size 312
		.amdhsa_user_sgpr_count 6
		.amdhsa_user_sgpr_private_segment_buffer 1
		.amdhsa_user_sgpr_dispatch_ptr 0
		.amdhsa_user_sgpr_queue_ptr 0
		.amdhsa_user_sgpr_kernarg_segment_ptr 1
		.amdhsa_user_sgpr_dispatch_id 0
		.amdhsa_user_sgpr_flat_scratch_init 0
		.amdhsa_user_sgpr_private_segment_size 0
		.amdhsa_uses_dynamic_stack 0
		.amdhsa_system_sgpr_private_segment_wavefront_offset 0
		.amdhsa_system_sgpr_workgroup_id_x 1
		.amdhsa_system_sgpr_workgroup_id_y 0
		.amdhsa_system_sgpr_workgroup_id_z 0
		.amdhsa_system_sgpr_workgroup_info 0
		.amdhsa_system_vgpr_workitem_id 0
		.amdhsa_next_free_vgpr 7
		.amdhsa_next_free_sgpr 18
		.amdhsa_reserve_vcc 1
		.amdhsa_reserve_flat_scratch 0
		.amdhsa_float_round_mode_32 0
		.amdhsa_float_round_mode_16_64 0
		.amdhsa_float_denorm_mode_32 3
		.amdhsa_float_denorm_mode_16_64 3
		.amdhsa_dx10_clamp 1
		.amdhsa_ieee_mode 1
		.amdhsa_fp16_overflow 0
		.amdhsa_exception_fp_ieee_invalid_op 0
		.amdhsa_exception_fp_denorm_src 0
		.amdhsa_exception_fp_ieee_div_zero 0
		.amdhsa_exception_fp_ieee_overflow 0
		.amdhsa_exception_fp_ieee_underflow 0
		.amdhsa_exception_fp_ieee_inexact 0
		.amdhsa_exception_int_div_zero 0
	.end_amdhsa_kernel
	.section	.text._ZN7rocprim17ROCPRIM_400000_NS6detail17trampoline_kernelINS0_14default_configENS1_25transform_config_selectorIfLb0EEEZNS1_14transform_implILb0ES3_S5_NS0_18transform_iteratorINS0_17counting_iteratorImlEEZNS1_24adjacent_difference_implIS3_Lb1ELb0EPfSB_N6thrust23THRUST_200600_302600_NS5minusIfEEEE10hipError_tPvRmT2_T3_mT4_P12ihipStream_tbEUlmE_fEESB_NS0_8identityIvEEEESG_SJ_SK_mSL_SN_bEUlT_E_NS1_11comp_targetILNS1_3genE2ELNS1_11target_archE906ELNS1_3gpuE6ELNS1_3repE0EEENS1_30default_config_static_selectorELNS0_4arch9wavefront6targetE1EEEvT1_,"axG",@progbits,_ZN7rocprim17ROCPRIM_400000_NS6detail17trampoline_kernelINS0_14default_configENS1_25transform_config_selectorIfLb0EEEZNS1_14transform_implILb0ES3_S5_NS0_18transform_iteratorINS0_17counting_iteratorImlEEZNS1_24adjacent_difference_implIS3_Lb1ELb0EPfSB_N6thrust23THRUST_200600_302600_NS5minusIfEEEE10hipError_tPvRmT2_T3_mT4_P12ihipStream_tbEUlmE_fEESB_NS0_8identityIvEEEESG_SJ_SK_mSL_SN_bEUlT_E_NS1_11comp_targetILNS1_3genE2ELNS1_11target_archE906ELNS1_3gpuE6ELNS1_3repE0EEENS1_30default_config_static_selectorELNS0_4arch9wavefront6targetE1EEEvT1_,comdat
.Lfunc_end65:
	.size	_ZN7rocprim17ROCPRIM_400000_NS6detail17trampoline_kernelINS0_14default_configENS1_25transform_config_selectorIfLb0EEEZNS1_14transform_implILb0ES3_S5_NS0_18transform_iteratorINS0_17counting_iteratorImlEEZNS1_24adjacent_difference_implIS3_Lb1ELb0EPfSB_N6thrust23THRUST_200600_302600_NS5minusIfEEEE10hipError_tPvRmT2_T3_mT4_P12ihipStream_tbEUlmE_fEESB_NS0_8identityIvEEEESG_SJ_SK_mSL_SN_bEUlT_E_NS1_11comp_targetILNS1_3genE2ELNS1_11target_archE906ELNS1_3gpuE6ELNS1_3repE0EEENS1_30default_config_static_selectorELNS0_4arch9wavefront6targetE1EEEvT1_, .Lfunc_end65-_ZN7rocprim17ROCPRIM_400000_NS6detail17trampoline_kernelINS0_14default_configENS1_25transform_config_selectorIfLb0EEEZNS1_14transform_implILb0ES3_S5_NS0_18transform_iteratorINS0_17counting_iteratorImlEEZNS1_24adjacent_difference_implIS3_Lb1ELb0EPfSB_N6thrust23THRUST_200600_302600_NS5minusIfEEEE10hipError_tPvRmT2_T3_mT4_P12ihipStream_tbEUlmE_fEESB_NS0_8identityIvEEEESG_SJ_SK_mSL_SN_bEUlT_E_NS1_11comp_targetILNS1_3genE2ELNS1_11target_archE906ELNS1_3gpuE6ELNS1_3repE0EEENS1_30default_config_static_selectorELNS0_4arch9wavefront6targetE1EEEvT1_
                                        ; -- End function
	.set _ZN7rocprim17ROCPRIM_400000_NS6detail17trampoline_kernelINS0_14default_configENS1_25transform_config_selectorIfLb0EEEZNS1_14transform_implILb0ES3_S5_NS0_18transform_iteratorINS0_17counting_iteratorImlEEZNS1_24adjacent_difference_implIS3_Lb1ELb0EPfSB_N6thrust23THRUST_200600_302600_NS5minusIfEEEE10hipError_tPvRmT2_T3_mT4_P12ihipStream_tbEUlmE_fEESB_NS0_8identityIvEEEESG_SJ_SK_mSL_SN_bEUlT_E_NS1_11comp_targetILNS1_3genE2ELNS1_11target_archE906ELNS1_3gpuE6ELNS1_3repE0EEENS1_30default_config_static_selectorELNS0_4arch9wavefront6targetE1EEEvT1_.num_vgpr, 7
	.set _ZN7rocprim17ROCPRIM_400000_NS6detail17trampoline_kernelINS0_14default_configENS1_25transform_config_selectorIfLb0EEEZNS1_14transform_implILb0ES3_S5_NS0_18transform_iteratorINS0_17counting_iteratorImlEEZNS1_24adjacent_difference_implIS3_Lb1ELb0EPfSB_N6thrust23THRUST_200600_302600_NS5minusIfEEEE10hipError_tPvRmT2_T3_mT4_P12ihipStream_tbEUlmE_fEESB_NS0_8identityIvEEEESG_SJ_SK_mSL_SN_bEUlT_E_NS1_11comp_targetILNS1_3genE2ELNS1_11target_archE906ELNS1_3gpuE6ELNS1_3repE0EEENS1_30default_config_static_selectorELNS0_4arch9wavefront6targetE1EEEvT1_.num_agpr, 0
	.set _ZN7rocprim17ROCPRIM_400000_NS6detail17trampoline_kernelINS0_14default_configENS1_25transform_config_selectorIfLb0EEEZNS1_14transform_implILb0ES3_S5_NS0_18transform_iteratorINS0_17counting_iteratorImlEEZNS1_24adjacent_difference_implIS3_Lb1ELb0EPfSB_N6thrust23THRUST_200600_302600_NS5minusIfEEEE10hipError_tPvRmT2_T3_mT4_P12ihipStream_tbEUlmE_fEESB_NS0_8identityIvEEEESG_SJ_SK_mSL_SN_bEUlT_E_NS1_11comp_targetILNS1_3genE2ELNS1_11target_archE906ELNS1_3gpuE6ELNS1_3repE0EEENS1_30default_config_static_selectorELNS0_4arch9wavefront6targetE1EEEvT1_.numbered_sgpr, 18
	.set _ZN7rocprim17ROCPRIM_400000_NS6detail17trampoline_kernelINS0_14default_configENS1_25transform_config_selectorIfLb0EEEZNS1_14transform_implILb0ES3_S5_NS0_18transform_iteratorINS0_17counting_iteratorImlEEZNS1_24adjacent_difference_implIS3_Lb1ELb0EPfSB_N6thrust23THRUST_200600_302600_NS5minusIfEEEE10hipError_tPvRmT2_T3_mT4_P12ihipStream_tbEUlmE_fEESB_NS0_8identityIvEEEESG_SJ_SK_mSL_SN_bEUlT_E_NS1_11comp_targetILNS1_3genE2ELNS1_11target_archE906ELNS1_3gpuE6ELNS1_3repE0EEENS1_30default_config_static_selectorELNS0_4arch9wavefront6targetE1EEEvT1_.num_named_barrier, 0
	.set _ZN7rocprim17ROCPRIM_400000_NS6detail17trampoline_kernelINS0_14default_configENS1_25transform_config_selectorIfLb0EEEZNS1_14transform_implILb0ES3_S5_NS0_18transform_iteratorINS0_17counting_iteratorImlEEZNS1_24adjacent_difference_implIS3_Lb1ELb0EPfSB_N6thrust23THRUST_200600_302600_NS5minusIfEEEE10hipError_tPvRmT2_T3_mT4_P12ihipStream_tbEUlmE_fEESB_NS0_8identityIvEEEESG_SJ_SK_mSL_SN_bEUlT_E_NS1_11comp_targetILNS1_3genE2ELNS1_11target_archE906ELNS1_3gpuE6ELNS1_3repE0EEENS1_30default_config_static_selectorELNS0_4arch9wavefront6targetE1EEEvT1_.private_seg_size, 0
	.set _ZN7rocprim17ROCPRIM_400000_NS6detail17trampoline_kernelINS0_14default_configENS1_25transform_config_selectorIfLb0EEEZNS1_14transform_implILb0ES3_S5_NS0_18transform_iteratorINS0_17counting_iteratorImlEEZNS1_24adjacent_difference_implIS3_Lb1ELb0EPfSB_N6thrust23THRUST_200600_302600_NS5minusIfEEEE10hipError_tPvRmT2_T3_mT4_P12ihipStream_tbEUlmE_fEESB_NS0_8identityIvEEEESG_SJ_SK_mSL_SN_bEUlT_E_NS1_11comp_targetILNS1_3genE2ELNS1_11target_archE906ELNS1_3gpuE6ELNS1_3repE0EEENS1_30default_config_static_selectorELNS0_4arch9wavefront6targetE1EEEvT1_.uses_vcc, 1
	.set _ZN7rocprim17ROCPRIM_400000_NS6detail17trampoline_kernelINS0_14default_configENS1_25transform_config_selectorIfLb0EEEZNS1_14transform_implILb0ES3_S5_NS0_18transform_iteratorINS0_17counting_iteratorImlEEZNS1_24adjacent_difference_implIS3_Lb1ELb0EPfSB_N6thrust23THRUST_200600_302600_NS5minusIfEEEE10hipError_tPvRmT2_T3_mT4_P12ihipStream_tbEUlmE_fEESB_NS0_8identityIvEEEESG_SJ_SK_mSL_SN_bEUlT_E_NS1_11comp_targetILNS1_3genE2ELNS1_11target_archE906ELNS1_3gpuE6ELNS1_3repE0EEENS1_30default_config_static_selectorELNS0_4arch9wavefront6targetE1EEEvT1_.uses_flat_scratch, 0
	.set _ZN7rocprim17ROCPRIM_400000_NS6detail17trampoline_kernelINS0_14default_configENS1_25transform_config_selectorIfLb0EEEZNS1_14transform_implILb0ES3_S5_NS0_18transform_iteratorINS0_17counting_iteratorImlEEZNS1_24adjacent_difference_implIS3_Lb1ELb0EPfSB_N6thrust23THRUST_200600_302600_NS5minusIfEEEE10hipError_tPvRmT2_T3_mT4_P12ihipStream_tbEUlmE_fEESB_NS0_8identityIvEEEESG_SJ_SK_mSL_SN_bEUlT_E_NS1_11comp_targetILNS1_3genE2ELNS1_11target_archE906ELNS1_3gpuE6ELNS1_3repE0EEENS1_30default_config_static_selectorELNS0_4arch9wavefront6targetE1EEEvT1_.has_dyn_sized_stack, 0
	.set _ZN7rocprim17ROCPRIM_400000_NS6detail17trampoline_kernelINS0_14default_configENS1_25transform_config_selectorIfLb0EEEZNS1_14transform_implILb0ES3_S5_NS0_18transform_iteratorINS0_17counting_iteratorImlEEZNS1_24adjacent_difference_implIS3_Lb1ELb0EPfSB_N6thrust23THRUST_200600_302600_NS5minusIfEEEE10hipError_tPvRmT2_T3_mT4_P12ihipStream_tbEUlmE_fEESB_NS0_8identityIvEEEESG_SJ_SK_mSL_SN_bEUlT_E_NS1_11comp_targetILNS1_3genE2ELNS1_11target_archE906ELNS1_3gpuE6ELNS1_3repE0EEENS1_30default_config_static_selectorELNS0_4arch9wavefront6targetE1EEEvT1_.has_recursion, 0
	.set _ZN7rocprim17ROCPRIM_400000_NS6detail17trampoline_kernelINS0_14default_configENS1_25transform_config_selectorIfLb0EEEZNS1_14transform_implILb0ES3_S5_NS0_18transform_iteratorINS0_17counting_iteratorImlEEZNS1_24adjacent_difference_implIS3_Lb1ELb0EPfSB_N6thrust23THRUST_200600_302600_NS5minusIfEEEE10hipError_tPvRmT2_T3_mT4_P12ihipStream_tbEUlmE_fEESB_NS0_8identityIvEEEESG_SJ_SK_mSL_SN_bEUlT_E_NS1_11comp_targetILNS1_3genE2ELNS1_11target_archE906ELNS1_3gpuE6ELNS1_3repE0EEENS1_30default_config_static_selectorELNS0_4arch9wavefront6targetE1EEEvT1_.has_indirect_call, 0
	.section	.AMDGPU.csdata,"",@progbits
; Kernel info:
; codeLenInByte = 584
; TotalNumSgprs: 22
; NumVgprs: 7
; ScratchSize: 0
; MemoryBound: 0
; FloatMode: 240
; IeeeMode: 1
; LDSByteSize: 0 bytes/workgroup (compile time only)
; SGPRBlocks: 2
; VGPRBlocks: 1
; NumSGPRsForWavesPerEU: 22
; NumVGPRsForWavesPerEU: 7
; Occupancy: 10
; WaveLimiterHint : 0
; COMPUTE_PGM_RSRC2:SCRATCH_EN: 0
; COMPUTE_PGM_RSRC2:USER_SGPR: 6
; COMPUTE_PGM_RSRC2:TRAP_HANDLER: 0
; COMPUTE_PGM_RSRC2:TGID_X_EN: 1
; COMPUTE_PGM_RSRC2:TGID_Y_EN: 0
; COMPUTE_PGM_RSRC2:TGID_Z_EN: 0
; COMPUTE_PGM_RSRC2:TIDIG_COMP_CNT: 0
	.section	.text._ZN7rocprim17ROCPRIM_400000_NS6detail17trampoline_kernelINS0_14default_configENS1_25transform_config_selectorIfLb0EEEZNS1_14transform_implILb0ES3_S5_NS0_18transform_iteratorINS0_17counting_iteratorImlEEZNS1_24adjacent_difference_implIS3_Lb1ELb0EPfSB_N6thrust23THRUST_200600_302600_NS5minusIfEEEE10hipError_tPvRmT2_T3_mT4_P12ihipStream_tbEUlmE_fEESB_NS0_8identityIvEEEESG_SJ_SK_mSL_SN_bEUlT_E_NS1_11comp_targetILNS1_3genE10ELNS1_11target_archE1201ELNS1_3gpuE5ELNS1_3repE0EEENS1_30default_config_static_selectorELNS0_4arch9wavefront6targetE1EEEvT1_,"axG",@progbits,_ZN7rocprim17ROCPRIM_400000_NS6detail17trampoline_kernelINS0_14default_configENS1_25transform_config_selectorIfLb0EEEZNS1_14transform_implILb0ES3_S5_NS0_18transform_iteratorINS0_17counting_iteratorImlEEZNS1_24adjacent_difference_implIS3_Lb1ELb0EPfSB_N6thrust23THRUST_200600_302600_NS5minusIfEEEE10hipError_tPvRmT2_T3_mT4_P12ihipStream_tbEUlmE_fEESB_NS0_8identityIvEEEESG_SJ_SK_mSL_SN_bEUlT_E_NS1_11comp_targetILNS1_3genE10ELNS1_11target_archE1201ELNS1_3gpuE5ELNS1_3repE0EEENS1_30default_config_static_selectorELNS0_4arch9wavefront6targetE1EEEvT1_,comdat
	.protected	_ZN7rocprim17ROCPRIM_400000_NS6detail17trampoline_kernelINS0_14default_configENS1_25transform_config_selectorIfLb0EEEZNS1_14transform_implILb0ES3_S5_NS0_18transform_iteratorINS0_17counting_iteratorImlEEZNS1_24adjacent_difference_implIS3_Lb1ELb0EPfSB_N6thrust23THRUST_200600_302600_NS5minusIfEEEE10hipError_tPvRmT2_T3_mT4_P12ihipStream_tbEUlmE_fEESB_NS0_8identityIvEEEESG_SJ_SK_mSL_SN_bEUlT_E_NS1_11comp_targetILNS1_3genE10ELNS1_11target_archE1201ELNS1_3gpuE5ELNS1_3repE0EEENS1_30default_config_static_selectorELNS0_4arch9wavefront6targetE1EEEvT1_ ; -- Begin function _ZN7rocprim17ROCPRIM_400000_NS6detail17trampoline_kernelINS0_14default_configENS1_25transform_config_selectorIfLb0EEEZNS1_14transform_implILb0ES3_S5_NS0_18transform_iteratorINS0_17counting_iteratorImlEEZNS1_24adjacent_difference_implIS3_Lb1ELb0EPfSB_N6thrust23THRUST_200600_302600_NS5minusIfEEEE10hipError_tPvRmT2_T3_mT4_P12ihipStream_tbEUlmE_fEESB_NS0_8identityIvEEEESG_SJ_SK_mSL_SN_bEUlT_E_NS1_11comp_targetILNS1_3genE10ELNS1_11target_archE1201ELNS1_3gpuE5ELNS1_3repE0EEENS1_30default_config_static_selectorELNS0_4arch9wavefront6targetE1EEEvT1_
	.globl	_ZN7rocprim17ROCPRIM_400000_NS6detail17trampoline_kernelINS0_14default_configENS1_25transform_config_selectorIfLb0EEEZNS1_14transform_implILb0ES3_S5_NS0_18transform_iteratorINS0_17counting_iteratorImlEEZNS1_24adjacent_difference_implIS3_Lb1ELb0EPfSB_N6thrust23THRUST_200600_302600_NS5minusIfEEEE10hipError_tPvRmT2_T3_mT4_P12ihipStream_tbEUlmE_fEESB_NS0_8identityIvEEEESG_SJ_SK_mSL_SN_bEUlT_E_NS1_11comp_targetILNS1_3genE10ELNS1_11target_archE1201ELNS1_3gpuE5ELNS1_3repE0EEENS1_30default_config_static_selectorELNS0_4arch9wavefront6targetE1EEEvT1_
	.p2align	8
	.type	_ZN7rocprim17ROCPRIM_400000_NS6detail17trampoline_kernelINS0_14default_configENS1_25transform_config_selectorIfLb0EEEZNS1_14transform_implILb0ES3_S5_NS0_18transform_iteratorINS0_17counting_iteratorImlEEZNS1_24adjacent_difference_implIS3_Lb1ELb0EPfSB_N6thrust23THRUST_200600_302600_NS5minusIfEEEE10hipError_tPvRmT2_T3_mT4_P12ihipStream_tbEUlmE_fEESB_NS0_8identityIvEEEESG_SJ_SK_mSL_SN_bEUlT_E_NS1_11comp_targetILNS1_3genE10ELNS1_11target_archE1201ELNS1_3gpuE5ELNS1_3repE0EEENS1_30default_config_static_selectorELNS0_4arch9wavefront6targetE1EEEvT1_,@function
_ZN7rocprim17ROCPRIM_400000_NS6detail17trampoline_kernelINS0_14default_configENS1_25transform_config_selectorIfLb0EEEZNS1_14transform_implILb0ES3_S5_NS0_18transform_iteratorINS0_17counting_iteratorImlEEZNS1_24adjacent_difference_implIS3_Lb1ELb0EPfSB_N6thrust23THRUST_200600_302600_NS5minusIfEEEE10hipError_tPvRmT2_T3_mT4_P12ihipStream_tbEUlmE_fEESB_NS0_8identityIvEEEESG_SJ_SK_mSL_SN_bEUlT_E_NS1_11comp_targetILNS1_3genE10ELNS1_11target_archE1201ELNS1_3gpuE5ELNS1_3repE0EEENS1_30default_config_static_selectorELNS0_4arch9wavefront6targetE1EEEvT1_: ; @_ZN7rocprim17ROCPRIM_400000_NS6detail17trampoline_kernelINS0_14default_configENS1_25transform_config_selectorIfLb0EEEZNS1_14transform_implILb0ES3_S5_NS0_18transform_iteratorINS0_17counting_iteratorImlEEZNS1_24adjacent_difference_implIS3_Lb1ELb0EPfSB_N6thrust23THRUST_200600_302600_NS5minusIfEEEE10hipError_tPvRmT2_T3_mT4_P12ihipStream_tbEUlmE_fEESB_NS0_8identityIvEEEESG_SJ_SK_mSL_SN_bEUlT_E_NS1_11comp_targetILNS1_3genE10ELNS1_11target_archE1201ELNS1_3gpuE5ELNS1_3repE0EEENS1_30default_config_static_selectorELNS0_4arch9wavefront6targetE1EEEvT1_
; %bb.0:
	.section	.rodata,"a",@progbits
	.p2align	6, 0x0
	.amdhsa_kernel _ZN7rocprim17ROCPRIM_400000_NS6detail17trampoline_kernelINS0_14default_configENS1_25transform_config_selectorIfLb0EEEZNS1_14transform_implILb0ES3_S5_NS0_18transform_iteratorINS0_17counting_iteratorImlEEZNS1_24adjacent_difference_implIS3_Lb1ELb0EPfSB_N6thrust23THRUST_200600_302600_NS5minusIfEEEE10hipError_tPvRmT2_T3_mT4_P12ihipStream_tbEUlmE_fEESB_NS0_8identityIvEEEESG_SJ_SK_mSL_SN_bEUlT_E_NS1_11comp_targetILNS1_3genE10ELNS1_11target_archE1201ELNS1_3gpuE5ELNS1_3repE0EEENS1_30default_config_static_selectorELNS0_4arch9wavefront6targetE1EEEvT1_
		.amdhsa_group_segment_fixed_size 0
		.amdhsa_private_segment_fixed_size 0
		.amdhsa_kernarg_size 56
		.amdhsa_user_sgpr_count 6
		.amdhsa_user_sgpr_private_segment_buffer 1
		.amdhsa_user_sgpr_dispatch_ptr 0
		.amdhsa_user_sgpr_queue_ptr 0
		.amdhsa_user_sgpr_kernarg_segment_ptr 1
		.amdhsa_user_sgpr_dispatch_id 0
		.amdhsa_user_sgpr_flat_scratch_init 0
		.amdhsa_user_sgpr_private_segment_size 0
		.amdhsa_uses_dynamic_stack 0
		.amdhsa_system_sgpr_private_segment_wavefront_offset 0
		.amdhsa_system_sgpr_workgroup_id_x 1
		.amdhsa_system_sgpr_workgroup_id_y 0
		.amdhsa_system_sgpr_workgroup_id_z 0
		.amdhsa_system_sgpr_workgroup_info 0
		.amdhsa_system_vgpr_workitem_id 0
		.amdhsa_next_free_vgpr 1
		.amdhsa_next_free_sgpr 0
		.amdhsa_reserve_vcc 0
		.amdhsa_reserve_flat_scratch 0
		.amdhsa_float_round_mode_32 0
		.amdhsa_float_round_mode_16_64 0
		.amdhsa_float_denorm_mode_32 3
		.amdhsa_float_denorm_mode_16_64 3
		.amdhsa_dx10_clamp 1
		.amdhsa_ieee_mode 1
		.amdhsa_fp16_overflow 0
		.amdhsa_exception_fp_ieee_invalid_op 0
		.amdhsa_exception_fp_denorm_src 0
		.amdhsa_exception_fp_ieee_div_zero 0
		.amdhsa_exception_fp_ieee_overflow 0
		.amdhsa_exception_fp_ieee_underflow 0
		.amdhsa_exception_fp_ieee_inexact 0
		.amdhsa_exception_int_div_zero 0
	.end_amdhsa_kernel
	.section	.text._ZN7rocprim17ROCPRIM_400000_NS6detail17trampoline_kernelINS0_14default_configENS1_25transform_config_selectorIfLb0EEEZNS1_14transform_implILb0ES3_S5_NS0_18transform_iteratorINS0_17counting_iteratorImlEEZNS1_24adjacent_difference_implIS3_Lb1ELb0EPfSB_N6thrust23THRUST_200600_302600_NS5minusIfEEEE10hipError_tPvRmT2_T3_mT4_P12ihipStream_tbEUlmE_fEESB_NS0_8identityIvEEEESG_SJ_SK_mSL_SN_bEUlT_E_NS1_11comp_targetILNS1_3genE10ELNS1_11target_archE1201ELNS1_3gpuE5ELNS1_3repE0EEENS1_30default_config_static_selectorELNS0_4arch9wavefront6targetE1EEEvT1_,"axG",@progbits,_ZN7rocprim17ROCPRIM_400000_NS6detail17trampoline_kernelINS0_14default_configENS1_25transform_config_selectorIfLb0EEEZNS1_14transform_implILb0ES3_S5_NS0_18transform_iteratorINS0_17counting_iteratorImlEEZNS1_24adjacent_difference_implIS3_Lb1ELb0EPfSB_N6thrust23THRUST_200600_302600_NS5minusIfEEEE10hipError_tPvRmT2_T3_mT4_P12ihipStream_tbEUlmE_fEESB_NS0_8identityIvEEEESG_SJ_SK_mSL_SN_bEUlT_E_NS1_11comp_targetILNS1_3genE10ELNS1_11target_archE1201ELNS1_3gpuE5ELNS1_3repE0EEENS1_30default_config_static_selectorELNS0_4arch9wavefront6targetE1EEEvT1_,comdat
.Lfunc_end66:
	.size	_ZN7rocprim17ROCPRIM_400000_NS6detail17trampoline_kernelINS0_14default_configENS1_25transform_config_selectorIfLb0EEEZNS1_14transform_implILb0ES3_S5_NS0_18transform_iteratorINS0_17counting_iteratorImlEEZNS1_24adjacent_difference_implIS3_Lb1ELb0EPfSB_N6thrust23THRUST_200600_302600_NS5minusIfEEEE10hipError_tPvRmT2_T3_mT4_P12ihipStream_tbEUlmE_fEESB_NS0_8identityIvEEEESG_SJ_SK_mSL_SN_bEUlT_E_NS1_11comp_targetILNS1_3genE10ELNS1_11target_archE1201ELNS1_3gpuE5ELNS1_3repE0EEENS1_30default_config_static_selectorELNS0_4arch9wavefront6targetE1EEEvT1_, .Lfunc_end66-_ZN7rocprim17ROCPRIM_400000_NS6detail17trampoline_kernelINS0_14default_configENS1_25transform_config_selectorIfLb0EEEZNS1_14transform_implILb0ES3_S5_NS0_18transform_iteratorINS0_17counting_iteratorImlEEZNS1_24adjacent_difference_implIS3_Lb1ELb0EPfSB_N6thrust23THRUST_200600_302600_NS5minusIfEEEE10hipError_tPvRmT2_T3_mT4_P12ihipStream_tbEUlmE_fEESB_NS0_8identityIvEEEESG_SJ_SK_mSL_SN_bEUlT_E_NS1_11comp_targetILNS1_3genE10ELNS1_11target_archE1201ELNS1_3gpuE5ELNS1_3repE0EEENS1_30default_config_static_selectorELNS0_4arch9wavefront6targetE1EEEvT1_
                                        ; -- End function
	.set _ZN7rocprim17ROCPRIM_400000_NS6detail17trampoline_kernelINS0_14default_configENS1_25transform_config_selectorIfLb0EEEZNS1_14transform_implILb0ES3_S5_NS0_18transform_iteratorINS0_17counting_iteratorImlEEZNS1_24adjacent_difference_implIS3_Lb1ELb0EPfSB_N6thrust23THRUST_200600_302600_NS5minusIfEEEE10hipError_tPvRmT2_T3_mT4_P12ihipStream_tbEUlmE_fEESB_NS0_8identityIvEEEESG_SJ_SK_mSL_SN_bEUlT_E_NS1_11comp_targetILNS1_3genE10ELNS1_11target_archE1201ELNS1_3gpuE5ELNS1_3repE0EEENS1_30default_config_static_selectorELNS0_4arch9wavefront6targetE1EEEvT1_.num_vgpr, 0
	.set _ZN7rocprim17ROCPRIM_400000_NS6detail17trampoline_kernelINS0_14default_configENS1_25transform_config_selectorIfLb0EEEZNS1_14transform_implILb0ES3_S5_NS0_18transform_iteratorINS0_17counting_iteratorImlEEZNS1_24adjacent_difference_implIS3_Lb1ELb0EPfSB_N6thrust23THRUST_200600_302600_NS5minusIfEEEE10hipError_tPvRmT2_T3_mT4_P12ihipStream_tbEUlmE_fEESB_NS0_8identityIvEEEESG_SJ_SK_mSL_SN_bEUlT_E_NS1_11comp_targetILNS1_3genE10ELNS1_11target_archE1201ELNS1_3gpuE5ELNS1_3repE0EEENS1_30default_config_static_selectorELNS0_4arch9wavefront6targetE1EEEvT1_.num_agpr, 0
	.set _ZN7rocprim17ROCPRIM_400000_NS6detail17trampoline_kernelINS0_14default_configENS1_25transform_config_selectorIfLb0EEEZNS1_14transform_implILb0ES3_S5_NS0_18transform_iteratorINS0_17counting_iteratorImlEEZNS1_24adjacent_difference_implIS3_Lb1ELb0EPfSB_N6thrust23THRUST_200600_302600_NS5minusIfEEEE10hipError_tPvRmT2_T3_mT4_P12ihipStream_tbEUlmE_fEESB_NS0_8identityIvEEEESG_SJ_SK_mSL_SN_bEUlT_E_NS1_11comp_targetILNS1_3genE10ELNS1_11target_archE1201ELNS1_3gpuE5ELNS1_3repE0EEENS1_30default_config_static_selectorELNS0_4arch9wavefront6targetE1EEEvT1_.numbered_sgpr, 0
	.set _ZN7rocprim17ROCPRIM_400000_NS6detail17trampoline_kernelINS0_14default_configENS1_25transform_config_selectorIfLb0EEEZNS1_14transform_implILb0ES3_S5_NS0_18transform_iteratorINS0_17counting_iteratorImlEEZNS1_24adjacent_difference_implIS3_Lb1ELb0EPfSB_N6thrust23THRUST_200600_302600_NS5minusIfEEEE10hipError_tPvRmT2_T3_mT4_P12ihipStream_tbEUlmE_fEESB_NS0_8identityIvEEEESG_SJ_SK_mSL_SN_bEUlT_E_NS1_11comp_targetILNS1_3genE10ELNS1_11target_archE1201ELNS1_3gpuE5ELNS1_3repE0EEENS1_30default_config_static_selectorELNS0_4arch9wavefront6targetE1EEEvT1_.num_named_barrier, 0
	.set _ZN7rocprim17ROCPRIM_400000_NS6detail17trampoline_kernelINS0_14default_configENS1_25transform_config_selectorIfLb0EEEZNS1_14transform_implILb0ES3_S5_NS0_18transform_iteratorINS0_17counting_iteratorImlEEZNS1_24adjacent_difference_implIS3_Lb1ELb0EPfSB_N6thrust23THRUST_200600_302600_NS5minusIfEEEE10hipError_tPvRmT2_T3_mT4_P12ihipStream_tbEUlmE_fEESB_NS0_8identityIvEEEESG_SJ_SK_mSL_SN_bEUlT_E_NS1_11comp_targetILNS1_3genE10ELNS1_11target_archE1201ELNS1_3gpuE5ELNS1_3repE0EEENS1_30default_config_static_selectorELNS0_4arch9wavefront6targetE1EEEvT1_.private_seg_size, 0
	.set _ZN7rocprim17ROCPRIM_400000_NS6detail17trampoline_kernelINS0_14default_configENS1_25transform_config_selectorIfLb0EEEZNS1_14transform_implILb0ES3_S5_NS0_18transform_iteratorINS0_17counting_iteratorImlEEZNS1_24adjacent_difference_implIS3_Lb1ELb0EPfSB_N6thrust23THRUST_200600_302600_NS5minusIfEEEE10hipError_tPvRmT2_T3_mT4_P12ihipStream_tbEUlmE_fEESB_NS0_8identityIvEEEESG_SJ_SK_mSL_SN_bEUlT_E_NS1_11comp_targetILNS1_3genE10ELNS1_11target_archE1201ELNS1_3gpuE5ELNS1_3repE0EEENS1_30default_config_static_selectorELNS0_4arch9wavefront6targetE1EEEvT1_.uses_vcc, 0
	.set _ZN7rocprim17ROCPRIM_400000_NS6detail17trampoline_kernelINS0_14default_configENS1_25transform_config_selectorIfLb0EEEZNS1_14transform_implILb0ES3_S5_NS0_18transform_iteratorINS0_17counting_iteratorImlEEZNS1_24adjacent_difference_implIS3_Lb1ELb0EPfSB_N6thrust23THRUST_200600_302600_NS5minusIfEEEE10hipError_tPvRmT2_T3_mT4_P12ihipStream_tbEUlmE_fEESB_NS0_8identityIvEEEESG_SJ_SK_mSL_SN_bEUlT_E_NS1_11comp_targetILNS1_3genE10ELNS1_11target_archE1201ELNS1_3gpuE5ELNS1_3repE0EEENS1_30default_config_static_selectorELNS0_4arch9wavefront6targetE1EEEvT1_.uses_flat_scratch, 0
	.set _ZN7rocprim17ROCPRIM_400000_NS6detail17trampoline_kernelINS0_14default_configENS1_25transform_config_selectorIfLb0EEEZNS1_14transform_implILb0ES3_S5_NS0_18transform_iteratorINS0_17counting_iteratorImlEEZNS1_24adjacent_difference_implIS3_Lb1ELb0EPfSB_N6thrust23THRUST_200600_302600_NS5minusIfEEEE10hipError_tPvRmT2_T3_mT4_P12ihipStream_tbEUlmE_fEESB_NS0_8identityIvEEEESG_SJ_SK_mSL_SN_bEUlT_E_NS1_11comp_targetILNS1_3genE10ELNS1_11target_archE1201ELNS1_3gpuE5ELNS1_3repE0EEENS1_30default_config_static_selectorELNS0_4arch9wavefront6targetE1EEEvT1_.has_dyn_sized_stack, 0
	.set _ZN7rocprim17ROCPRIM_400000_NS6detail17trampoline_kernelINS0_14default_configENS1_25transform_config_selectorIfLb0EEEZNS1_14transform_implILb0ES3_S5_NS0_18transform_iteratorINS0_17counting_iteratorImlEEZNS1_24adjacent_difference_implIS3_Lb1ELb0EPfSB_N6thrust23THRUST_200600_302600_NS5minusIfEEEE10hipError_tPvRmT2_T3_mT4_P12ihipStream_tbEUlmE_fEESB_NS0_8identityIvEEEESG_SJ_SK_mSL_SN_bEUlT_E_NS1_11comp_targetILNS1_3genE10ELNS1_11target_archE1201ELNS1_3gpuE5ELNS1_3repE0EEENS1_30default_config_static_selectorELNS0_4arch9wavefront6targetE1EEEvT1_.has_recursion, 0
	.set _ZN7rocprim17ROCPRIM_400000_NS6detail17trampoline_kernelINS0_14default_configENS1_25transform_config_selectorIfLb0EEEZNS1_14transform_implILb0ES3_S5_NS0_18transform_iteratorINS0_17counting_iteratorImlEEZNS1_24adjacent_difference_implIS3_Lb1ELb0EPfSB_N6thrust23THRUST_200600_302600_NS5minusIfEEEE10hipError_tPvRmT2_T3_mT4_P12ihipStream_tbEUlmE_fEESB_NS0_8identityIvEEEESG_SJ_SK_mSL_SN_bEUlT_E_NS1_11comp_targetILNS1_3genE10ELNS1_11target_archE1201ELNS1_3gpuE5ELNS1_3repE0EEENS1_30default_config_static_selectorELNS0_4arch9wavefront6targetE1EEEvT1_.has_indirect_call, 0
	.section	.AMDGPU.csdata,"",@progbits
; Kernel info:
; codeLenInByte = 0
; TotalNumSgprs: 4
; NumVgprs: 0
; ScratchSize: 0
; MemoryBound: 0
; FloatMode: 240
; IeeeMode: 1
; LDSByteSize: 0 bytes/workgroup (compile time only)
; SGPRBlocks: 0
; VGPRBlocks: 0
; NumSGPRsForWavesPerEU: 4
; NumVGPRsForWavesPerEU: 1
; Occupancy: 10
; WaveLimiterHint : 0
; COMPUTE_PGM_RSRC2:SCRATCH_EN: 0
; COMPUTE_PGM_RSRC2:USER_SGPR: 6
; COMPUTE_PGM_RSRC2:TRAP_HANDLER: 0
; COMPUTE_PGM_RSRC2:TGID_X_EN: 1
; COMPUTE_PGM_RSRC2:TGID_Y_EN: 0
; COMPUTE_PGM_RSRC2:TGID_Z_EN: 0
; COMPUTE_PGM_RSRC2:TIDIG_COMP_CNT: 0
	.section	.text._ZN7rocprim17ROCPRIM_400000_NS6detail17trampoline_kernelINS0_14default_configENS1_25transform_config_selectorIfLb0EEEZNS1_14transform_implILb0ES3_S5_NS0_18transform_iteratorINS0_17counting_iteratorImlEEZNS1_24adjacent_difference_implIS3_Lb1ELb0EPfSB_N6thrust23THRUST_200600_302600_NS5minusIfEEEE10hipError_tPvRmT2_T3_mT4_P12ihipStream_tbEUlmE_fEESB_NS0_8identityIvEEEESG_SJ_SK_mSL_SN_bEUlT_E_NS1_11comp_targetILNS1_3genE10ELNS1_11target_archE1200ELNS1_3gpuE4ELNS1_3repE0EEENS1_30default_config_static_selectorELNS0_4arch9wavefront6targetE1EEEvT1_,"axG",@progbits,_ZN7rocprim17ROCPRIM_400000_NS6detail17trampoline_kernelINS0_14default_configENS1_25transform_config_selectorIfLb0EEEZNS1_14transform_implILb0ES3_S5_NS0_18transform_iteratorINS0_17counting_iteratorImlEEZNS1_24adjacent_difference_implIS3_Lb1ELb0EPfSB_N6thrust23THRUST_200600_302600_NS5minusIfEEEE10hipError_tPvRmT2_T3_mT4_P12ihipStream_tbEUlmE_fEESB_NS0_8identityIvEEEESG_SJ_SK_mSL_SN_bEUlT_E_NS1_11comp_targetILNS1_3genE10ELNS1_11target_archE1200ELNS1_3gpuE4ELNS1_3repE0EEENS1_30default_config_static_selectorELNS0_4arch9wavefront6targetE1EEEvT1_,comdat
	.protected	_ZN7rocprim17ROCPRIM_400000_NS6detail17trampoline_kernelINS0_14default_configENS1_25transform_config_selectorIfLb0EEEZNS1_14transform_implILb0ES3_S5_NS0_18transform_iteratorINS0_17counting_iteratorImlEEZNS1_24adjacent_difference_implIS3_Lb1ELb0EPfSB_N6thrust23THRUST_200600_302600_NS5minusIfEEEE10hipError_tPvRmT2_T3_mT4_P12ihipStream_tbEUlmE_fEESB_NS0_8identityIvEEEESG_SJ_SK_mSL_SN_bEUlT_E_NS1_11comp_targetILNS1_3genE10ELNS1_11target_archE1200ELNS1_3gpuE4ELNS1_3repE0EEENS1_30default_config_static_selectorELNS0_4arch9wavefront6targetE1EEEvT1_ ; -- Begin function _ZN7rocprim17ROCPRIM_400000_NS6detail17trampoline_kernelINS0_14default_configENS1_25transform_config_selectorIfLb0EEEZNS1_14transform_implILb0ES3_S5_NS0_18transform_iteratorINS0_17counting_iteratorImlEEZNS1_24adjacent_difference_implIS3_Lb1ELb0EPfSB_N6thrust23THRUST_200600_302600_NS5minusIfEEEE10hipError_tPvRmT2_T3_mT4_P12ihipStream_tbEUlmE_fEESB_NS0_8identityIvEEEESG_SJ_SK_mSL_SN_bEUlT_E_NS1_11comp_targetILNS1_3genE10ELNS1_11target_archE1200ELNS1_3gpuE4ELNS1_3repE0EEENS1_30default_config_static_selectorELNS0_4arch9wavefront6targetE1EEEvT1_
	.globl	_ZN7rocprim17ROCPRIM_400000_NS6detail17trampoline_kernelINS0_14default_configENS1_25transform_config_selectorIfLb0EEEZNS1_14transform_implILb0ES3_S5_NS0_18transform_iteratorINS0_17counting_iteratorImlEEZNS1_24adjacent_difference_implIS3_Lb1ELb0EPfSB_N6thrust23THRUST_200600_302600_NS5minusIfEEEE10hipError_tPvRmT2_T3_mT4_P12ihipStream_tbEUlmE_fEESB_NS0_8identityIvEEEESG_SJ_SK_mSL_SN_bEUlT_E_NS1_11comp_targetILNS1_3genE10ELNS1_11target_archE1200ELNS1_3gpuE4ELNS1_3repE0EEENS1_30default_config_static_selectorELNS0_4arch9wavefront6targetE1EEEvT1_
	.p2align	8
	.type	_ZN7rocprim17ROCPRIM_400000_NS6detail17trampoline_kernelINS0_14default_configENS1_25transform_config_selectorIfLb0EEEZNS1_14transform_implILb0ES3_S5_NS0_18transform_iteratorINS0_17counting_iteratorImlEEZNS1_24adjacent_difference_implIS3_Lb1ELb0EPfSB_N6thrust23THRUST_200600_302600_NS5minusIfEEEE10hipError_tPvRmT2_T3_mT4_P12ihipStream_tbEUlmE_fEESB_NS0_8identityIvEEEESG_SJ_SK_mSL_SN_bEUlT_E_NS1_11comp_targetILNS1_3genE10ELNS1_11target_archE1200ELNS1_3gpuE4ELNS1_3repE0EEENS1_30default_config_static_selectorELNS0_4arch9wavefront6targetE1EEEvT1_,@function
_ZN7rocprim17ROCPRIM_400000_NS6detail17trampoline_kernelINS0_14default_configENS1_25transform_config_selectorIfLb0EEEZNS1_14transform_implILb0ES3_S5_NS0_18transform_iteratorINS0_17counting_iteratorImlEEZNS1_24adjacent_difference_implIS3_Lb1ELb0EPfSB_N6thrust23THRUST_200600_302600_NS5minusIfEEEE10hipError_tPvRmT2_T3_mT4_P12ihipStream_tbEUlmE_fEESB_NS0_8identityIvEEEESG_SJ_SK_mSL_SN_bEUlT_E_NS1_11comp_targetILNS1_3genE10ELNS1_11target_archE1200ELNS1_3gpuE4ELNS1_3repE0EEENS1_30default_config_static_selectorELNS0_4arch9wavefront6targetE1EEEvT1_: ; @_ZN7rocprim17ROCPRIM_400000_NS6detail17trampoline_kernelINS0_14default_configENS1_25transform_config_selectorIfLb0EEEZNS1_14transform_implILb0ES3_S5_NS0_18transform_iteratorINS0_17counting_iteratorImlEEZNS1_24adjacent_difference_implIS3_Lb1ELb0EPfSB_N6thrust23THRUST_200600_302600_NS5minusIfEEEE10hipError_tPvRmT2_T3_mT4_P12ihipStream_tbEUlmE_fEESB_NS0_8identityIvEEEESG_SJ_SK_mSL_SN_bEUlT_E_NS1_11comp_targetILNS1_3genE10ELNS1_11target_archE1200ELNS1_3gpuE4ELNS1_3repE0EEENS1_30default_config_static_selectorELNS0_4arch9wavefront6targetE1EEEvT1_
; %bb.0:
	.section	.rodata,"a",@progbits
	.p2align	6, 0x0
	.amdhsa_kernel _ZN7rocprim17ROCPRIM_400000_NS6detail17trampoline_kernelINS0_14default_configENS1_25transform_config_selectorIfLb0EEEZNS1_14transform_implILb0ES3_S5_NS0_18transform_iteratorINS0_17counting_iteratorImlEEZNS1_24adjacent_difference_implIS3_Lb1ELb0EPfSB_N6thrust23THRUST_200600_302600_NS5minusIfEEEE10hipError_tPvRmT2_T3_mT4_P12ihipStream_tbEUlmE_fEESB_NS0_8identityIvEEEESG_SJ_SK_mSL_SN_bEUlT_E_NS1_11comp_targetILNS1_3genE10ELNS1_11target_archE1200ELNS1_3gpuE4ELNS1_3repE0EEENS1_30default_config_static_selectorELNS0_4arch9wavefront6targetE1EEEvT1_
		.amdhsa_group_segment_fixed_size 0
		.amdhsa_private_segment_fixed_size 0
		.amdhsa_kernarg_size 56
		.amdhsa_user_sgpr_count 6
		.amdhsa_user_sgpr_private_segment_buffer 1
		.amdhsa_user_sgpr_dispatch_ptr 0
		.amdhsa_user_sgpr_queue_ptr 0
		.amdhsa_user_sgpr_kernarg_segment_ptr 1
		.amdhsa_user_sgpr_dispatch_id 0
		.amdhsa_user_sgpr_flat_scratch_init 0
		.amdhsa_user_sgpr_private_segment_size 0
		.amdhsa_uses_dynamic_stack 0
		.amdhsa_system_sgpr_private_segment_wavefront_offset 0
		.amdhsa_system_sgpr_workgroup_id_x 1
		.amdhsa_system_sgpr_workgroup_id_y 0
		.amdhsa_system_sgpr_workgroup_id_z 0
		.amdhsa_system_sgpr_workgroup_info 0
		.amdhsa_system_vgpr_workitem_id 0
		.amdhsa_next_free_vgpr 1
		.amdhsa_next_free_sgpr 0
		.amdhsa_reserve_vcc 0
		.amdhsa_reserve_flat_scratch 0
		.amdhsa_float_round_mode_32 0
		.amdhsa_float_round_mode_16_64 0
		.amdhsa_float_denorm_mode_32 3
		.amdhsa_float_denorm_mode_16_64 3
		.amdhsa_dx10_clamp 1
		.amdhsa_ieee_mode 1
		.amdhsa_fp16_overflow 0
		.amdhsa_exception_fp_ieee_invalid_op 0
		.amdhsa_exception_fp_denorm_src 0
		.amdhsa_exception_fp_ieee_div_zero 0
		.amdhsa_exception_fp_ieee_overflow 0
		.amdhsa_exception_fp_ieee_underflow 0
		.amdhsa_exception_fp_ieee_inexact 0
		.amdhsa_exception_int_div_zero 0
	.end_amdhsa_kernel
	.section	.text._ZN7rocprim17ROCPRIM_400000_NS6detail17trampoline_kernelINS0_14default_configENS1_25transform_config_selectorIfLb0EEEZNS1_14transform_implILb0ES3_S5_NS0_18transform_iteratorINS0_17counting_iteratorImlEEZNS1_24adjacent_difference_implIS3_Lb1ELb0EPfSB_N6thrust23THRUST_200600_302600_NS5minusIfEEEE10hipError_tPvRmT2_T3_mT4_P12ihipStream_tbEUlmE_fEESB_NS0_8identityIvEEEESG_SJ_SK_mSL_SN_bEUlT_E_NS1_11comp_targetILNS1_3genE10ELNS1_11target_archE1200ELNS1_3gpuE4ELNS1_3repE0EEENS1_30default_config_static_selectorELNS0_4arch9wavefront6targetE1EEEvT1_,"axG",@progbits,_ZN7rocprim17ROCPRIM_400000_NS6detail17trampoline_kernelINS0_14default_configENS1_25transform_config_selectorIfLb0EEEZNS1_14transform_implILb0ES3_S5_NS0_18transform_iteratorINS0_17counting_iteratorImlEEZNS1_24adjacent_difference_implIS3_Lb1ELb0EPfSB_N6thrust23THRUST_200600_302600_NS5minusIfEEEE10hipError_tPvRmT2_T3_mT4_P12ihipStream_tbEUlmE_fEESB_NS0_8identityIvEEEESG_SJ_SK_mSL_SN_bEUlT_E_NS1_11comp_targetILNS1_3genE10ELNS1_11target_archE1200ELNS1_3gpuE4ELNS1_3repE0EEENS1_30default_config_static_selectorELNS0_4arch9wavefront6targetE1EEEvT1_,comdat
.Lfunc_end67:
	.size	_ZN7rocprim17ROCPRIM_400000_NS6detail17trampoline_kernelINS0_14default_configENS1_25transform_config_selectorIfLb0EEEZNS1_14transform_implILb0ES3_S5_NS0_18transform_iteratorINS0_17counting_iteratorImlEEZNS1_24adjacent_difference_implIS3_Lb1ELb0EPfSB_N6thrust23THRUST_200600_302600_NS5minusIfEEEE10hipError_tPvRmT2_T3_mT4_P12ihipStream_tbEUlmE_fEESB_NS0_8identityIvEEEESG_SJ_SK_mSL_SN_bEUlT_E_NS1_11comp_targetILNS1_3genE10ELNS1_11target_archE1200ELNS1_3gpuE4ELNS1_3repE0EEENS1_30default_config_static_selectorELNS0_4arch9wavefront6targetE1EEEvT1_, .Lfunc_end67-_ZN7rocprim17ROCPRIM_400000_NS6detail17trampoline_kernelINS0_14default_configENS1_25transform_config_selectorIfLb0EEEZNS1_14transform_implILb0ES3_S5_NS0_18transform_iteratorINS0_17counting_iteratorImlEEZNS1_24adjacent_difference_implIS3_Lb1ELb0EPfSB_N6thrust23THRUST_200600_302600_NS5minusIfEEEE10hipError_tPvRmT2_T3_mT4_P12ihipStream_tbEUlmE_fEESB_NS0_8identityIvEEEESG_SJ_SK_mSL_SN_bEUlT_E_NS1_11comp_targetILNS1_3genE10ELNS1_11target_archE1200ELNS1_3gpuE4ELNS1_3repE0EEENS1_30default_config_static_selectorELNS0_4arch9wavefront6targetE1EEEvT1_
                                        ; -- End function
	.set _ZN7rocprim17ROCPRIM_400000_NS6detail17trampoline_kernelINS0_14default_configENS1_25transform_config_selectorIfLb0EEEZNS1_14transform_implILb0ES3_S5_NS0_18transform_iteratorINS0_17counting_iteratorImlEEZNS1_24adjacent_difference_implIS3_Lb1ELb0EPfSB_N6thrust23THRUST_200600_302600_NS5minusIfEEEE10hipError_tPvRmT2_T3_mT4_P12ihipStream_tbEUlmE_fEESB_NS0_8identityIvEEEESG_SJ_SK_mSL_SN_bEUlT_E_NS1_11comp_targetILNS1_3genE10ELNS1_11target_archE1200ELNS1_3gpuE4ELNS1_3repE0EEENS1_30default_config_static_selectorELNS0_4arch9wavefront6targetE1EEEvT1_.num_vgpr, 0
	.set _ZN7rocprim17ROCPRIM_400000_NS6detail17trampoline_kernelINS0_14default_configENS1_25transform_config_selectorIfLb0EEEZNS1_14transform_implILb0ES3_S5_NS0_18transform_iteratorINS0_17counting_iteratorImlEEZNS1_24adjacent_difference_implIS3_Lb1ELb0EPfSB_N6thrust23THRUST_200600_302600_NS5minusIfEEEE10hipError_tPvRmT2_T3_mT4_P12ihipStream_tbEUlmE_fEESB_NS0_8identityIvEEEESG_SJ_SK_mSL_SN_bEUlT_E_NS1_11comp_targetILNS1_3genE10ELNS1_11target_archE1200ELNS1_3gpuE4ELNS1_3repE0EEENS1_30default_config_static_selectorELNS0_4arch9wavefront6targetE1EEEvT1_.num_agpr, 0
	.set _ZN7rocprim17ROCPRIM_400000_NS6detail17trampoline_kernelINS0_14default_configENS1_25transform_config_selectorIfLb0EEEZNS1_14transform_implILb0ES3_S5_NS0_18transform_iteratorINS0_17counting_iteratorImlEEZNS1_24adjacent_difference_implIS3_Lb1ELb0EPfSB_N6thrust23THRUST_200600_302600_NS5minusIfEEEE10hipError_tPvRmT2_T3_mT4_P12ihipStream_tbEUlmE_fEESB_NS0_8identityIvEEEESG_SJ_SK_mSL_SN_bEUlT_E_NS1_11comp_targetILNS1_3genE10ELNS1_11target_archE1200ELNS1_3gpuE4ELNS1_3repE0EEENS1_30default_config_static_selectorELNS0_4arch9wavefront6targetE1EEEvT1_.numbered_sgpr, 0
	.set _ZN7rocprim17ROCPRIM_400000_NS6detail17trampoline_kernelINS0_14default_configENS1_25transform_config_selectorIfLb0EEEZNS1_14transform_implILb0ES3_S5_NS0_18transform_iteratorINS0_17counting_iteratorImlEEZNS1_24adjacent_difference_implIS3_Lb1ELb0EPfSB_N6thrust23THRUST_200600_302600_NS5minusIfEEEE10hipError_tPvRmT2_T3_mT4_P12ihipStream_tbEUlmE_fEESB_NS0_8identityIvEEEESG_SJ_SK_mSL_SN_bEUlT_E_NS1_11comp_targetILNS1_3genE10ELNS1_11target_archE1200ELNS1_3gpuE4ELNS1_3repE0EEENS1_30default_config_static_selectorELNS0_4arch9wavefront6targetE1EEEvT1_.num_named_barrier, 0
	.set _ZN7rocprim17ROCPRIM_400000_NS6detail17trampoline_kernelINS0_14default_configENS1_25transform_config_selectorIfLb0EEEZNS1_14transform_implILb0ES3_S5_NS0_18transform_iteratorINS0_17counting_iteratorImlEEZNS1_24adjacent_difference_implIS3_Lb1ELb0EPfSB_N6thrust23THRUST_200600_302600_NS5minusIfEEEE10hipError_tPvRmT2_T3_mT4_P12ihipStream_tbEUlmE_fEESB_NS0_8identityIvEEEESG_SJ_SK_mSL_SN_bEUlT_E_NS1_11comp_targetILNS1_3genE10ELNS1_11target_archE1200ELNS1_3gpuE4ELNS1_3repE0EEENS1_30default_config_static_selectorELNS0_4arch9wavefront6targetE1EEEvT1_.private_seg_size, 0
	.set _ZN7rocprim17ROCPRIM_400000_NS6detail17trampoline_kernelINS0_14default_configENS1_25transform_config_selectorIfLb0EEEZNS1_14transform_implILb0ES3_S5_NS0_18transform_iteratorINS0_17counting_iteratorImlEEZNS1_24adjacent_difference_implIS3_Lb1ELb0EPfSB_N6thrust23THRUST_200600_302600_NS5minusIfEEEE10hipError_tPvRmT2_T3_mT4_P12ihipStream_tbEUlmE_fEESB_NS0_8identityIvEEEESG_SJ_SK_mSL_SN_bEUlT_E_NS1_11comp_targetILNS1_3genE10ELNS1_11target_archE1200ELNS1_3gpuE4ELNS1_3repE0EEENS1_30default_config_static_selectorELNS0_4arch9wavefront6targetE1EEEvT1_.uses_vcc, 0
	.set _ZN7rocprim17ROCPRIM_400000_NS6detail17trampoline_kernelINS0_14default_configENS1_25transform_config_selectorIfLb0EEEZNS1_14transform_implILb0ES3_S5_NS0_18transform_iteratorINS0_17counting_iteratorImlEEZNS1_24adjacent_difference_implIS3_Lb1ELb0EPfSB_N6thrust23THRUST_200600_302600_NS5minusIfEEEE10hipError_tPvRmT2_T3_mT4_P12ihipStream_tbEUlmE_fEESB_NS0_8identityIvEEEESG_SJ_SK_mSL_SN_bEUlT_E_NS1_11comp_targetILNS1_3genE10ELNS1_11target_archE1200ELNS1_3gpuE4ELNS1_3repE0EEENS1_30default_config_static_selectorELNS0_4arch9wavefront6targetE1EEEvT1_.uses_flat_scratch, 0
	.set _ZN7rocprim17ROCPRIM_400000_NS6detail17trampoline_kernelINS0_14default_configENS1_25transform_config_selectorIfLb0EEEZNS1_14transform_implILb0ES3_S5_NS0_18transform_iteratorINS0_17counting_iteratorImlEEZNS1_24adjacent_difference_implIS3_Lb1ELb0EPfSB_N6thrust23THRUST_200600_302600_NS5minusIfEEEE10hipError_tPvRmT2_T3_mT4_P12ihipStream_tbEUlmE_fEESB_NS0_8identityIvEEEESG_SJ_SK_mSL_SN_bEUlT_E_NS1_11comp_targetILNS1_3genE10ELNS1_11target_archE1200ELNS1_3gpuE4ELNS1_3repE0EEENS1_30default_config_static_selectorELNS0_4arch9wavefront6targetE1EEEvT1_.has_dyn_sized_stack, 0
	.set _ZN7rocprim17ROCPRIM_400000_NS6detail17trampoline_kernelINS0_14default_configENS1_25transform_config_selectorIfLb0EEEZNS1_14transform_implILb0ES3_S5_NS0_18transform_iteratorINS0_17counting_iteratorImlEEZNS1_24adjacent_difference_implIS3_Lb1ELb0EPfSB_N6thrust23THRUST_200600_302600_NS5minusIfEEEE10hipError_tPvRmT2_T3_mT4_P12ihipStream_tbEUlmE_fEESB_NS0_8identityIvEEEESG_SJ_SK_mSL_SN_bEUlT_E_NS1_11comp_targetILNS1_3genE10ELNS1_11target_archE1200ELNS1_3gpuE4ELNS1_3repE0EEENS1_30default_config_static_selectorELNS0_4arch9wavefront6targetE1EEEvT1_.has_recursion, 0
	.set _ZN7rocprim17ROCPRIM_400000_NS6detail17trampoline_kernelINS0_14default_configENS1_25transform_config_selectorIfLb0EEEZNS1_14transform_implILb0ES3_S5_NS0_18transform_iteratorINS0_17counting_iteratorImlEEZNS1_24adjacent_difference_implIS3_Lb1ELb0EPfSB_N6thrust23THRUST_200600_302600_NS5minusIfEEEE10hipError_tPvRmT2_T3_mT4_P12ihipStream_tbEUlmE_fEESB_NS0_8identityIvEEEESG_SJ_SK_mSL_SN_bEUlT_E_NS1_11comp_targetILNS1_3genE10ELNS1_11target_archE1200ELNS1_3gpuE4ELNS1_3repE0EEENS1_30default_config_static_selectorELNS0_4arch9wavefront6targetE1EEEvT1_.has_indirect_call, 0
	.section	.AMDGPU.csdata,"",@progbits
; Kernel info:
; codeLenInByte = 0
; TotalNumSgprs: 4
; NumVgprs: 0
; ScratchSize: 0
; MemoryBound: 0
; FloatMode: 240
; IeeeMode: 1
; LDSByteSize: 0 bytes/workgroup (compile time only)
; SGPRBlocks: 0
; VGPRBlocks: 0
; NumSGPRsForWavesPerEU: 4
; NumVGPRsForWavesPerEU: 1
; Occupancy: 10
; WaveLimiterHint : 0
; COMPUTE_PGM_RSRC2:SCRATCH_EN: 0
; COMPUTE_PGM_RSRC2:USER_SGPR: 6
; COMPUTE_PGM_RSRC2:TRAP_HANDLER: 0
; COMPUTE_PGM_RSRC2:TGID_X_EN: 1
; COMPUTE_PGM_RSRC2:TGID_Y_EN: 0
; COMPUTE_PGM_RSRC2:TGID_Z_EN: 0
; COMPUTE_PGM_RSRC2:TIDIG_COMP_CNT: 0
	.section	.text._ZN7rocprim17ROCPRIM_400000_NS6detail17trampoline_kernelINS0_14default_configENS1_25transform_config_selectorIfLb0EEEZNS1_14transform_implILb0ES3_S5_NS0_18transform_iteratorINS0_17counting_iteratorImlEEZNS1_24adjacent_difference_implIS3_Lb1ELb0EPfSB_N6thrust23THRUST_200600_302600_NS5minusIfEEEE10hipError_tPvRmT2_T3_mT4_P12ihipStream_tbEUlmE_fEESB_NS0_8identityIvEEEESG_SJ_SK_mSL_SN_bEUlT_E_NS1_11comp_targetILNS1_3genE9ELNS1_11target_archE1100ELNS1_3gpuE3ELNS1_3repE0EEENS1_30default_config_static_selectorELNS0_4arch9wavefront6targetE1EEEvT1_,"axG",@progbits,_ZN7rocprim17ROCPRIM_400000_NS6detail17trampoline_kernelINS0_14default_configENS1_25transform_config_selectorIfLb0EEEZNS1_14transform_implILb0ES3_S5_NS0_18transform_iteratorINS0_17counting_iteratorImlEEZNS1_24adjacent_difference_implIS3_Lb1ELb0EPfSB_N6thrust23THRUST_200600_302600_NS5minusIfEEEE10hipError_tPvRmT2_T3_mT4_P12ihipStream_tbEUlmE_fEESB_NS0_8identityIvEEEESG_SJ_SK_mSL_SN_bEUlT_E_NS1_11comp_targetILNS1_3genE9ELNS1_11target_archE1100ELNS1_3gpuE3ELNS1_3repE0EEENS1_30default_config_static_selectorELNS0_4arch9wavefront6targetE1EEEvT1_,comdat
	.protected	_ZN7rocprim17ROCPRIM_400000_NS6detail17trampoline_kernelINS0_14default_configENS1_25transform_config_selectorIfLb0EEEZNS1_14transform_implILb0ES3_S5_NS0_18transform_iteratorINS0_17counting_iteratorImlEEZNS1_24adjacent_difference_implIS3_Lb1ELb0EPfSB_N6thrust23THRUST_200600_302600_NS5minusIfEEEE10hipError_tPvRmT2_T3_mT4_P12ihipStream_tbEUlmE_fEESB_NS0_8identityIvEEEESG_SJ_SK_mSL_SN_bEUlT_E_NS1_11comp_targetILNS1_3genE9ELNS1_11target_archE1100ELNS1_3gpuE3ELNS1_3repE0EEENS1_30default_config_static_selectorELNS0_4arch9wavefront6targetE1EEEvT1_ ; -- Begin function _ZN7rocprim17ROCPRIM_400000_NS6detail17trampoline_kernelINS0_14default_configENS1_25transform_config_selectorIfLb0EEEZNS1_14transform_implILb0ES3_S5_NS0_18transform_iteratorINS0_17counting_iteratorImlEEZNS1_24adjacent_difference_implIS3_Lb1ELb0EPfSB_N6thrust23THRUST_200600_302600_NS5minusIfEEEE10hipError_tPvRmT2_T3_mT4_P12ihipStream_tbEUlmE_fEESB_NS0_8identityIvEEEESG_SJ_SK_mSL_SN_bEUlT_E_NS1_11comp_targetILNS1_3genE9ELNS1_11target_archE1100ELNS1_3gpuE3ELNS1_3repE0EEENS1_30default_config_static_selectorELNS0_4arch9wavefront6targetE1EEEvT1_
	.globl	_ZN7rocprim17ROCPRIM_400000_NS6detail17trampoline_kernelINS0_14default_configENS1_25transform_config_selectorIfLb0EEEZNS1_14transform_implILb0ES3_S5_NS0_18transform_iteratorINS0_17counting_iteratorImlEEZNS1_24adjacent_difference_implIS3_Lb1ELb0EPfSB_N6thrust23THRUST_200600_302600_NS5minusIfEEEE10hipError_tPvRmT2_T3_mT4_P12ihipStream_tbEUlmE_fEESB_NS0_8identityIvEEEESG_SJ_SK_mSL_SN_bEUlT_E_NS1_11comp_targetILNS1_3genE9ELNS1_11target_archE1100ELNS1_3gpuE3ELNS1_3repE0EEENS1_30default_config_static_selectorELNS0_4arch9wavefront6targetE1EEEvT1_
	.p2align	8
	.type	_ZN7rocprim17ROCPRIM_400000_NS6detail17trampoline_kernelINS0_14default_configENS1_25transform_config_selectorIfLb0EEEZNS1_14transform_implILb0ES3_S5_NS0_18transform_iteratorINS0_17counting_iteratorImlEEZNS1_24adjacent_difference_implIS3_Lb1ELb0EPfSB_N6thrust23THRUST_200600_302600_NS5minusIfEEEE10hipError_tPvRmT2_T3_mT4_P12ihipStream_tbEUlmE_fEESB_NS0_8identityIvEEEESG_SJ_SK_mSL_SN_bEUlT_E_NS1_11comp_targetILNS1_3genE9ELNS1_11target_archE1100ELNS1_3gpuE3ELNS1_3repE0EEENS1_30default_config_static_selectorELNS0_4arch9wavefront6targetE1EEEvT1_,@function
_ZN7rocprim17ROCPRIM_400000_NS6detail17trampoline_kernelINS0_14default_configENS1_25transform_config_selectorIfLb0EEEZNS1_14transform_implILb0ES3_S5_NS0_18transform_iteratorINS0_17counting_iteratorImlEEZNS1_24adjacent_difference_implIS3_Lb1ELb0EPfSB_N6thrust23THRUST_200600_302600_NS5minusIfEEEE10hipError_tPvRmT2_T3_mT4_P12ihipStream_tbEUlmE_fEESB_NS0_8identityIvEEEESG_SJ_SK_mSL_SN_bEUlT_E_NS1_11comp_targetILNS1_3genE9ELNS1_11target_archE1100ELNS1_3gpuE3ELNS1_3repE0EEENS1_30default_config_static_selectorELNS0_4arch9wavefront6targetE1EEEvT1_: ; @_ZN7rocprim17ROCPRIM_400000_NS6detail17trampoline_kernelINS0_14default_configENS1_25transform_config_selectorIfLb0EEEZNS1_14transform_implILb0ES3_S5_NS0_18transform_iteratorINS0_17counting_iteratorImlEEZNS1_24adjacent_difference_implIS3_Lb1ELb0EPfSB_N6thrust23THRUST_200600_302600_NS5minusIfEEEE10hipError_tPvRmT2_T3_mT4_P12ihipStream_tbEUlmE_fEESB_NS0_8identityIvEEEESG_SJ_SK_mSL_SN_bEUlT_E_NS1_11comp_targetILNS1_3genE9ELNS1_11target_archE1100ELNS1_3gpuE3ELNS1_3repE0EEENS1_30default_config_static_selectorELNS0_4arch9wavefront6targetE1EEEvT1_
; %bb.0:
	.section	.rodata,"a",@progbits
	.p2align	6, 0x0
	.amdhsa_kernel _ZN7rocprim17ROCPRIM_400000_NS6detail17trampoline_kernelINS0_14default_configENS1_25transform_config_selectorIfLb0EEEZNS1_14transform_implILb0ES3_S5_NS0_18transform_iteratorINS0_17counting_iteratorImlEEZNS1_24adjacent_difference_implIS3_Lb1ELb0EPfSB_N6thrust23THRUST_200600_302600_NS5minusIfEEEE10hipError_tPvRmT2_T3_mT4_P12ihipStream_tbEUlmE_fEESB_NS0_8identityIvEEEESG_SJ_SK_mSL_SN_bEUlT_E_NS1_11comp_targetILNS1_3genE9ELNS1_11target_archE1100ELNS1_3gpuE3ELNS1_3repE0EEENS1_30default_config_static_selectorELNS0_4arch9wavefront6targetE1EEEvT1_
		.amdhsa_group_segment_fixed_size 0
		.amdhsa_private_segment_fixed_size 0
		.amdhsa_kernarg_size 56
		.amdhsa_user_sgpr_count 6
		.amdhsa_user_sgpr_private_segment_buffer 1
		.amdhsa_user_sgpr_dispatch_ptr 0
		.amdhsa_user_sgpr_queue_ptr 0
		.amdhsa_user_sgpr_kernarg_segment_ptr 1
		.amdhsa_user_sgpr_dispatch_id 0
		.amdhsa_user_sgpr_flat_scratch_init 0
		.amdhsa_user_sgpr_private_segment_size 0
		.amdhsa_uses_dynamic_stack 0
		.amdhsa_system_sgpr_private_segment_wavefront_offset 0
		.amdhsa_system_sgpr_workgroup_id_x 1
		.amdhsa_system_sgpr_workgroup_id_y 0
		.amdhsa_system_sgpr_workgroup_id_z 0
		.amdhsa_system_sgpr_workgroup_info 0
		.amdhsa_system_vgpr_workitem_id 0
		.amdhsa_next_free_vgpr 1
		.amdhsa_next_free_sgpr 0
		.amdhsa_reserve_vcc 0
		.amdhsa_reserve_flat_scratch 0
		.amdhsa_float_round_mode_32 0
		.amdhsa_float_round_mode_16_64 0
		.amdhsa_float_denorm_mode_32 3
		.amdhsa_float_denorm_mode_16_64 3
		.amdhsa_dx10_clamp 1
		.amdhsa_ieee_mode 1
		.amdhsa_fp16_overflow 0
		.amdhsa_exception_fp_ieee_invalid_op 0
		.amdhsa_exception_fp_denorm_src 0
		.amdhsa_exception_fp_ieee_div_zero 0
		.amdhsa_exception_fp_ieee_overflow 0
		.amdhsa_exception_fp_ieee_underflow 0
		.amdhsa_exception_fp_ieee_inexact 0
		.amdhsa_exception_int_div_zero 0
	.end_amdhsa_kernel
	.section	.text._ZN7rocprim17ROCPRIM_400000_NS6detail17trampoline_kernelINS0_14default_configENS1_25transform_config_selectorIfLb0EEEZNS1_14transform_implILb0ES3_S5_NS0_18transform_iteratorINS0_17counting_iteratorImlEEZNS1_24adjacent_difference_implIS3_Lb1ELb0EPfSB_N6thrust23THRUST_200600_302600_NS5minusIfEEEE10hipError_tPvRmT2_T3_mT4_P12ihipStream_tbEUlmE_fEESB_NS0_8identityIvEEEESG_SJ_SK_mSL_SN_bEUlT_E_NS1_11comp_targetILNS1_3genE9ELNS1_11target_archE1100ELNS1_3gpuE3ELNS1_3repE0EEENS1_30default_config_static_selectorELNS0_4arch9wavefront6targetE1EEEvT1_,"axG",@progbits,_ZN7rocprim17ROCPRIM_400000_NS6detail17trampoline_kernelINS0_14default_configENS1_25transform_config_selectorIfLb0EEEZNS1_14transform_implILb0ES3_S5_NS0_18transform_iteratorINS0_17counting_iteratorImlEEZNS1_24adjacent_difference_implIS3_Lb1ELb0EPfSB_N6thrust23THRUST_200600_302600_NS5minusIfEEEE10hipError_tPvRmT2_T3_mT4_P12ihipStream_tbEUlmE_fEESB_NS0_8identityIvEEEESG_SJ_SK_mSL_SN_bEUlT_E_NS1_11comp_targetILNS1_3genE9ELNS1_11target_archE1100ELNS1_3gpuE3ELNS1_3repE0EEENS1_30default_config_static_selectorELNS0_4arch9wavefront6targetE1EEEvT1_,comdat
.Lfunc_end68:
	.size	_ZN7rocprim17ROCPRIM_400000_NS6detail17trampoline_kernelINS0_14default_configENS1_25transform_config_selectorIfLb0EEEZNS1_14transform_implILb0ES3_S5_NS0_18transform_iteratorINS0_17counting_iteratorImlEEZNS1_24adjacent_difference_implIS3_Lb1ELb0EPfSB_N6thrust23THRUST_200600_302600_NS5minusIfEEEE10hipError_tPvRmT2_T3_mT4_P12ihipStream_tbEUlmE_fEESB_NS0_8identityIvEEEESG_SJ_SK_mSL_SN_bEUlT_E_NS1_11comp_targetILNS1_3genE9ELNS1_11target_archE1100ELNS1_3gpuE3ELNS1_3repE0EEENS1_30default_config_static_selectorELNS0_4arch9wavefront6targetE1EEEvT1_, .Lfunc_end68-_ZN7rocprim17ROCPRIM_400000_NS6detail17trampoline_kernelINS0_14default_configENS1_25transform_config_selectorIfLb0EEEZNS1_14transform_implILb0ES3_S5_NS0_18transform_iteratorINS0_17counting_iteratorImlEEZNS1_24adjacent_difference_implIS3_Lb1ELb0EPfSB_N6thrust23THRUST_200600_302600_NS5minusIfEEEE10hipError_tPvRmT2_T3_mT4_P12ihipStream_tbEUlmE_fEESB_NS0_8identityIvEEEESG_SJ_SK_mSL_SN_bEUlT_E_NS1_11comp_targetILNS1_3genE9ELNS1_11target_archE1100ELNS1_3gpuE3ELNS1_3repE0EEENS1_30default_config_static_selectorELNS0_4arch9wavefront6targetE1EEEvT1_
                                        ; -- End function
	.set _ZN7rocprim17ROCPRIM_400000_NS6detail17trampoline_kernelINS0_14default_configENS1_25transform_config_selectorIfLb0EEEZNS1_14transform_implILb0ES3_S5_NS0_18transform_iteratorINS0_17counting_iteratorImlEEZNS1_24adjacent_difference_implIS3_Lb1ELb0EPfSB_N6thrust23THRUST_200600_302600_NS5minusIfEEEE10hipError_tPvRmT2_T3_mT4_P12ihipStream_tbEUlmE_fEESB_NS0_8identityIvEEEESG_SJ_SK_mSL_SN_bEUlT_E_NS1_11comp_targetILNS1_3genE9ELNS1_11target_archE1100ELNS1_3gpuE3ELNS1_3repE0EEENS1_30default_config_static_selectorELNS0_4arch9wavefront6targetE1EEEvT1_.num_vgpr, 0
	.set _ZN7rocprim17ROCPRIM_400000_NS6detail17trampoline_kernelINS0_14default_configENS1_25transform_config_selectorIfLb0EEEZNS1_14transform_implILb0ES3_S5_NS0_18transform_iteratorINS0_17counting_iteratorImlEEZNS1_24adjacent_difference_implIS3_Lb1ELb0EPfSB_N6thrust23THRUST_200600_302600_NS5minusIfEEEE10hipError_tPvRmT2_T3_mT4_P12ihipStream_tbEUlmE_fEESB_NS0_8identityIvEEEESG_SJ_SK_mSL_SN_bEUlT_E_NS1_11comp_targetILNS1_3genE9ELNS1_11target_archE1100ELNS1_3gpuE3ELNS1_3repE0EEENS1_30default_config_static_selectorELNS0_4arch9wavefront6targetE1EEEvT1_.num_agpr, 0
	.set _ZN7rocprim17ROCPRIM_400000_NS6detail17trampoline_kernelINS0_14default_configENS1_25transform_config_selectorIfLb0EEEZNS1_14transform_implILb0ES3_S5_NS0_18transform_iteratorINS0_17counting_iteratorImlEEZNS1_24adjacent_difference_implIS3_Lb1ELb0EPfSB_N6thrust23THRUST_200600_302600_NS5minusIfEEEE10hipError_tPvRmT2_T3_mT4_P12ihipStream_tbEUlmE_fEESB_NS0_8identityIvEEEESG_SJ_SK_mSL_SN_bEUlT_E_NS1_11comp_targetILNS1_3genE9ELNS1_11target_archE1100ELNS1_3gpuE3ELNS1_3repE0EEENS1_30default_config_static_selectorELNS0_4arch9wavefront6targetE1EEEvT1_.numbered_sgpr, 0
	.set _ZN7rocprim17ROCPRIM_400000_NS6detail17trampoline_kernelINS0_14default_configENS1_25transform_config_selectorIfLb0EEEZNS1_14transform_implILb0ES3_S5_NS0_18transform_iteratorINS0_17counting_iteratorImlEEZNS1_24adjacent_difference_implIS3_Lb1ELb0EPfSB_N6thrust23THRUST_200600_302600_NS5minusIfEEEE10hipError_tPvRmT2_T3_mT4_P12ihipStream_tbEUlmE_fEESB_NS0_8identityIvEEEESG_SJ_SK_mSL_SN_bEUlT_E_NS1_11comp_targetILNS1_3genE9ELNS1_11target_archE1100ELNS1_3gpuE3ELNS1_3repE0EEENS1_30default_config_static_selectorELNS0_4arch9wavefront6targetE1EEEvT1_.num_named_barrier, 0
	.set _ZN7rocprim17ROCPRIM_400000_NS6detail17trampoline_kernelINS0_14default_configENS1_25transform_config_selectorIfLb0EEEZNS1_14transform_implILb0ES3_S5_NS0_18transform_iteratorINS0_17counting_iteratorImlEEZNS1_24adjacent_difference_implIS3_Lb1ELb0EPfSB_N6thrust23THRUST_200600_302600_NS5minusIfEEEE10hipError_tPvRmT2_T3_mT4_P12ihipStream_tbEUlmE_fEESB_NS0_8identityIvEEEESG_SJ_SK_mSL_SN_bEUlT_E_NS1_11comp_targetILNS1_3genE9ELNS1_11target_archE1100ELNS1_3gpuE3ELNS1_3repE0EEENS1_30default_config_static_selectorELNS0_4arch9wavefront6targetE1EEEvT1_.private_seg_size, 0
	.set _ZN7rocprim17ROCPRIM_400000_NS6detail17trampoline_kernelINS0_14default_configENS1_25transform_config_selectorIfLb0EEEZNS1_14transform_implILb0ES3_S5_NS0_18transform_iteratorINS0_17counting_iteratorImlEEZNS1_24adjacent_difference_implIS3_Lb1ELb0EPfSB_N6thrust23THRUST_200600_302600_NS5minusIfEEEE10hipError_tPvRmT2_T3_mT4_P12ihipStream_tbEUlmE_fEESB_NS0_8identityIvEEEESG_SJ_SK_mSL_SN_bEUlT_E_NS1_11comp_targetILNS1_3genE9ELNS1_11target_archE1100ELNS1_3gpuE3ELNS1_3repE0EEENS1_30default_config_static_selectorELNS0_4arch9wavefront6targetE1EEEvT1_.uses_vcc, 0
	.set _ZN7rocprim17ROCPRIM_400000_NS6detail17trampoline_kernelINS0_14default_configENS1_25transform_config_selectorIfLb0EEEZNS1_14transform_implILb0ES3_S5_NS0_18transform_iteratorINS0_17counting_iteratorImlEEZNS1_24adjacent_difference_implIS3_Lb1ELb0EPfSB_N6thrust23THRUST_200600_302600_NS5minusIfEEEE10hipError_tPvRmT2_T3_mT4_P12ihipStream_tbEUlmE_fEESB_NS0_8identityIvEEEESG_SJ_SK_mSL_SN_bEUlT_E_NS1_11comp_targetILNS1_3genE9ELNS1_11target_archE1100ELNS1_3gpuE3ELNS1_3repE0EEENS1_30default_config_static_selectorELNS0_4arch9wavefront6targetE1EEEvT1_.uses_flat_scratch, 0
	.set _ZN7rocprim17ROCPRIM_400000_NS6detail17trampoline_kernelINS0_14default_configENS1_25transform_config_selectorIfLb0EEEZNS1_14transform_implILb0ES3_S5_NS0_18transform_iteratorINS0_17counting_iteratorImlEEZNS1_24adjacent_difference_implIS3_Lb1ELb0EPfSB_N6thrust23THRUST_200600_302600_NS5minusIfEEEE10hipError_tPvRmT2_T3_mT4_P12ihipStream_tbEUlmE_fEESB_NS0_8identityIvEEEESG_SJ_SK_mSL_SN_bEUlT_E_NS1_11comp_targetILNS1_3genE9ELNS1_11target_archE1100ELNS1_3gpuE3ELNS1_3repE0EEENS1_30default_config_static_selectorELNS0_4arch9wavefront6targetE1EEEvT1_.has_dyn_sized_stack, 0
	.set _ZN7rocprim17ROCPRIM_400000_NS6detail17trampoline_kernelINS0_14default_configENS1_25transform_config_selectorIfLb0EEEZNS1_14transform_implILb0ES3_S5_NS0_18transform_iteratorINS0_17counting_iteratorImlEEZNS1_24adjacent_difference_implIS3_Lb1ELb0EPfSB_N6thrust23THRUST_200600_302600_NS5minusIfEEEE10hipError_tPvRmT2_T3_mT4_P12ihipStream_tbEUlmE_fEESB_NS0_8identityIvEEEESG_SJ_SK_mSL_SN_bEUlT_E_NS1_11comp_targetILNS1_3genE9ELNS1_11target_archE1100ELNS1_3gpuE3ELNS1_3repE0EEENS1_30default_config_static_selectorELNS0_4arch9wavefront6targetE1EEEvT1_.has_recursion, 0
	.set _ZN7rocprim17ROCPRIM_400000_NS6detail17trampoline_kernelINS0_14default_configENS1_25transform_config_selectorIfLb0EEEZNS1_14transform_implILb0ES3_S5_NS0_18transform_iteratorINS0_17counting_iteratorImlEEZNS1_24adjacent_difference_implIS3_Lb1ELb0EPfSB_N6thrust23THRUST_200600_302600_NS5minusIfEEEE10hipError_tPvRmT2_T3_mT4_P12ihipStream_tbEUlmE_fEESB_NS0_8identityIvEEEESG_SJ_SK_mSL_SN_bEUlT_E_NS1_11comp_targetILNS1_3genE9ELNS1_11target_archE1100ELNS1_3gpuE3ELNS1_3repE0EEENS1_30default_config_static_selectorELNS0_4arch9wavefront6targetE1EEEvT1_.has_indirect_call, 0
	.section	.AMDGPU.csdata,"",@progbits
; Kernel info:
; codeLenInByte = 0
; TotalNumSgprs: 4
; NumVgprs: 0
; ScratchSize: 0
; MemoryBound: 0
; FloatMode: 240
; IeeeMode: 1
; LDSByteSize: 0 bytes/workgroup (compile time only)
; SGPRBlocks: 0
; VGPRBlocks: 0
; NumSGPRsForWavesPerEU: 4
; NumVGPRsForWavesPerEU: 1
; Occupancy: 10
; WaveLimiterHint : 0
; COMPUTE_PGM_RSRC2:SCRATCH_EN: 0
; COMPUTE_PGM_RSRC2:USER_SGPR: 6
; COMPUTE_PGM_RSRC2:TRAP_HANDLER: 0
; COMPUTE_PGM_RSRC2:TGID_X_EN: 1
; COMPUTE_PGM_RSRC2:TGID_Y_EN: 0
; COMPUTE_PGM_RSRC2:TGID_Z_EN: 0
; COMPUTE_PGM_RSRC2:TIDIG_COMP_CNT: 0
	.section	.text._ZN7rocprim17ROCPRIM_400000_NS6detail17trampoline_kernelINS0_14default_configENS1_25transform_config_selectorIfLb0EEEZNS1_14transform_implILb0ES3_S5_NS0_18transform_iteratorINS0_17counting_iteratorImlEEZNS1_24adjacent_difference_implIS3_Lb1ELb0EPfSB_N6thrust23THRUST_200600_302600_NS5minusIfEEEE10hipError_tPvRmT2_T3_mT4_P12ihipStream_tbEUlmE_fEESB_NS0_8identityIvEEEESG_SJ_SK_mSL_SN_bEUlT_E_NS1_11comp_targetILNS1_3genE8ELNS1_11target_archE1030ELNS1_3gpuE2ELNS1_3repE0EEENS1_30default_config_static_selectorELNS0_4arch9wavefront6targetE1EEEvT1_,"axG",@progbits,_ZN7rocprim17ROCPRIM_400000_NS6detail17trampoline_kernelINS0_14default_configENS1_25transform_config_selectorIfLb0EEEZNS1_14transform_implILb0ES3_S5_NS0_18transform_iteratorINS0_17counting_iteratorImlEEZNS1_24adjacent_difference_implIS3_Lb1ELb0EPfSB_N6thrust23THRUST_200600_302600_NS5minusIfEEEE10hipError_tPvRmT2_T3_mT4_P12ihipStream_tbEUlmE_fEESB_NS0_8identityIvEEEESG_SJ_SK_mSL_SN_bEUlT_E_NS1_11comp_targetILNS1_3genE8ELNS1_11target_archE1030ELNS1_3gpuE2ELNS1_3repE0EEENS1_30default_config_static_selectorELNS0_4arch9wavefront6targetE1EEEvT1_,comdat
	.protected	_ZN7rocprim17ROCPRIM_400000_NS6detail17trampoline_kernelINS0_14default_configENS1_25transform_config_selectorIfLb0EEEZNS1_14transform_implILb0ES3_S5_NS0_18transform_iteratorINS0_17counting_iteratorImlEEZNS1_24adjacent_difference_implIS3_Lb1ELb0EPfSB_N6thrust23THRUST_200600_302600_NS5minusIfEEEE10hipError_tPvRmT2_T3_mT4_P12ihipStream_tbEUlmE_fEESB_NS0_8identityIvEEEESG_SJ_SK_mSL_SN_bEUlT_E_NS1_11comp_targetILNS1_3genE8ELNS1_11target_archE1030ELNS1_3gpuE2ELNS1_3repE0EEENS1_30default_config_static_selectorELNS0_4arch9wavefront6targetE1EEEvT1_ ; -- Begin function _ZN7rocprim17ROCPRIM_400000_NS6detail17trampoline_kernelINS0_14default_configENS1_25transform_config_selectorIfLb0EEEZNS1_14transform_implILb0ES3_S5_NS0_18transform_iteratorINS0_17counting_iteratorImlEEZNS1_24adjacent_difference_implIS3_Lb1ELb0EPfSB_N6thrust23THRUST_200600_302600_NS5minusIfEEEE10hipError_tPvRmT2_T3_mT4_P12ihipStream_tbEUlmE_fEESB_NS0_8identityIvEEEESG_SJ_SK_mSL_SN_bEUlT_E_NS1_11comp_targetILNS1_3genE8ELNS1_11target_archE1030ELNS1_3gpuE2ELNS1_3repE0EEENS1_30default_config_static_selectorELNS0_4arch9wavefront6targetE1EEEvT1_
	.globl	_ZN7rocprim17ROCPRIM_400000_NS6detail17trampoline_kernelINS0_14default_configENS1_25transform_config_selectorIfLb0EEEZNS1_14transform_implILb0ES3_S5_NS0_18transform_iteratorINS0_17counting_iteratorImlEEZNS1_24adjacent_difference_implIS3_Lb1ELb0EPfSB_N6thrust23THRUST_200600_302600_NS5minusIfEEEE10hipError_tPvRmT2_T3_mT4_P12ihipStream_tbEUlmE_fEESB_NS0_8identityIvEEEESG_SJ_SK_mSL_SN_bEUlT_E_NS1_11comp_targetILNS1_3genE8ELNS1_11target_archE1030ELNS1_3gpuE2ELNS1_3repE0EEENS1_30default_config_static_selectorELNS0_4arch9wavefront6targetE1EEEvT1_
	.p2align	8
	.type	_ZN7rocprim17ROCPRIM_400000_NS6detail17trampoline_kernelINS0_14default_configENS1_25transform_config_selectorIfLb0EEEZNS1_14transform_implILb0ES3_S5_NS0_18transform_iteratorINS0_17counting_iteratorImlEEZNS1_24adjacent_difference_implIS3_Lb1ELb0EPfSB_N6thrust23THRUST_200600_302600_NS5minusIfEEEE10hipError_tPvRmT2_T3_mT4_P12ihipStream_tbEUlmE_fEESB_NS0_8identityIvEEEESG_SJ_SK_mSL_SN_bEUlT_E_NS1_11comp_targetILNS1_3genE8ELNS1_11target_archE1030ELNS1_3gpuE2ELNS1_3repE0EEENS1_30default_config_static_selectorELNS0_4arch9wavefront6targetE1EEEvT1_,@function
_ZN7rocprim17ROCPRIM_400000_NS6detail17trampoline_kernelINS0_14default_configENS1_25transform_config_selectorIfLb0EEEZNS1_14transform_implILb0ES3_S5_NS0_18transform_iteratorINS0_17counting_iteratorImlEEZNS1_24adjacent_difference_implIS3_Lb1ELb0EPfSB_N6thrust23THRUST_200600_302600_NS5minusIfEEEE10hipError_tPvRmT2_T3_mT4_P12ihipStream_tbEUlmE_fEESB_NS0_8identityIvEEEESG_SJ_SK_mSL_SN_bEUlT_E_NS1_11comp_targetILNS1_3genE8ELNS1_11target_archE1030ELNS1_3gpuE2ELNS1_3repE0EEENS1_30default_config_static_selectorELNS0_4arch9wavefront6targetE1EEEvT1_: ; @_ZN7rocprim17ROCPRIM_400000_NS6detail17trampoline_kernelINS0_14default_configENS1_25transform_config_selectorIfLb0EEEZNS1_14transform_implILb0ES3_S5_NS0_18transform_iteratorINS0_17counting_iteratorImlEEZNS1_24adjacent_difference_implIS3_Lb1ELb0EPfSB_N6thrust23THRUST_200600_302600_NS5minusIfEEEE10hipError_tPvRmT2_T3_mT4_P12ihipStream_tbEUlmE_fEESB_NS0_8identityIvEEEESG_SJ_SK_mSL_SN_bEUlT_E_NS1_11comp_targetILNS1_3genE8ELNS1_11target_archE1030ELNS1_3gpuE2ELNS1_3repE0EEENS1_30default_config_static_selectorELNS0_4arch9wavefront6targetE1EEEvT1_
; %bb.0:
	.section	.rodata,"a",@progbits
	.p2align	6, 0x0
	.amdhsa_kernel _ZN7rocprim17ROCPRIM_400000_NS6detail17trampoline_kernelINS0_14default_configENS1_25transform_config_selectorIfLb0EEEZNS1_14transform_implILb0ES3_S5_NS0_18transform_iteratorINS0_17counting_iteratorImlEEZNS1_24adjacent_difference_implIS3_Lb1ELb0EPfSB_N6thrust23THRUST_200600_302600_NS5minusIfEEEE10hipError_tPvRmT2_T3_mT4_P12ihipStream_tbEUlmE_fEESB_NS0_8identityIvEEEESG_SJ_SK_mSL_SN_bEUlT_E_NS1_11comp_targetILNS1_3genE8ELNS1_11target_archE1030ELNS1_3gpuE2ELNS1_3repE0EEENS1_30default_config_static_selectorELNS0_4arch9wavefront6targetE1EEEvT1_
		.amdhsa_group_segment_fixed_size 0
		.amdhsa_private_segment_fixed_size 0
		.amdhsa_kernarg_size 56
		.amdhsa_user_sgpr_count 6
		.amdhsa_user_sgpr_private_segment_buffer 1
		.amdhsa_user_sgpr_dispatch_ptr 0
		.amdhsa_user_sgpr_queue_ptr 0
		.amdhsa_user_sgpr_kernarg_segment_ptr 1
		.amdhsa_user_sgpr_dispatch_id 0
		.amdhsa_user_sgpr_flat_scratch_init 0
		.amdhsa_user_sgpr_private_segment_size 0
		.amdhsa_uses_dynamic_stack 0
		.amdhsa_system_sgpr_private_segment_wavefront_offset 0
		.amdhsa_system_sgpr_workgroup_id_x 1
		.amdhsa_system_sgpr_workgroup_id_y 0
		.amdhsa_system_sgpr_workgroup_id_z 0
		.amdhsa_system_sgpr_workgroup_info 0
		.amdhsa_system_vgpr_workitem_id 0
		.amdhsa_next_free_vgpr 1
		.amdhsa_next_free_sgpr 0
		.amdhsa_reserve_vcc 0
		.amdhsa_reserve_flat_scratch 0
		.amdhsa_float_round_mode_32 0
		.amdhsa_float_round_mode_16_64 0
		.amdhsa_float_denorm_mode_32 3
		.amdhsa_float_denorm_mode_16_64 3
		.amdhsa_dx10_clamp 1
		.amdhsa_ieee_mode 1
		.amdhsa_fp16_overflow 0
		.amdhsa_exception_fp_ieee_invalid_op 0
		.amdhsa_exception_fp_denorm_src 0
		.amdhsa_exception_fp_ieee_div_zero 0
		.amdhsa_exception_fp_ieee_overflow 0
		.amdhsa_exception_fp_ieee_underflow 0
		.amdhsa_exception_fp_ieee_inexact 0
		.amdhsa_exception_int_div_zero 0
	.end_amdhsa_kernel
	.section	.text._ZN7rocprim17ROCPRIM_400000_NS6detail17trampoline_kernelINS0_14default_configENS1_25transform_config_selectorIfLb0EEEZNS1_14transform_implILb0ES3_S5_NS0_18transform_iteratorINS0_17counting_iteratorImlEEZNS1_24adjacent_difference_implIS3_Lb1ELb0EPfSB_N6thrust23THRUST_200600_302600_NS5minusIfEEEE10hipError_tPvRmT2_T3_mT4_P12ihipStream_tbEUlmE_fEESB_NS0_8identityIvEEEESG_SJ_SK_mSL_SN_bEUlT_E_NS1_11comp_targetILNS1_3genE8ELNS1_11target_archE1030ELNS1_3gpuE2ELNS1_3repE0EEENS1_30default_config_static_selectorELNS0_4arch9wavefront6targetE1EEEvT1_,"axG",@progbits,_ZN7rocprim17ROCPRIM_400000_NS6detail17trampoline_kernelINS0_14default_configENS1_25transform_config_selectorIfLb0EEEZNS1_14transform_implILb0ES3_S5_NS0_18transform_iteratorINS0_17counting_iteratorImlEEZNS1_24adjacent_difference_implIS3_Lb1ELb0EPfSB_N6thrust23THRUST_200600_302600_NS5minusIfEEEE10hipError_tPvRmT2_T3_mT4_P12ihipStream_tbEUlmE_fEESB_NS0_8identityIvEEEESG_SJ_SK_mSL_SN_bEUlT_E_NS1_11comp_targetILNS1_3genE8ELNS1_11target_archE1030ELNS1_3gpuE2ELNS1_3repE0EEENS1_30default_config_static_selectorELNS0_4arch9wavefront6targetE1EEEvT1_,comdat
.Lfunc_end69:
	.size	_ZN7rocprim17ROCPRIM_400000_NS6detail17trampoline_kernelINS0_14default_configENS1_25transform_config_selectorIfLb0EEEZNS1_14transform_implILb0ES3_S5_NS0_18transform_iteratorINS0_17counting_iteratorImlEEZNS1_24adjacent_difference_implIS3_Lb1ELb0EPfSB_N6thrust23THRUST_200600_302600_NS5minusIfEEEE10hipError_tPvRmT2_T3_mT4_P12ihipStream_tbEUlmE_fEESB_NS0_8identityIvEEEESG_SJ_SK_mSL_SN_bEUlT_E_NS1_11comp_targetILNS1_3genE8ELNS1_11target_archE1030ELNS1_3gpuE2ELNS1_3repE0EEENS1_30default_config_static_selectorELNS0_4arch9wavefront6targetE1EEEvT1_, .Lfunc_end69-_ZN7rocprim17ROCPRIM_400000_NS6detail17trampoline_kernelINS0_14default_configENS1_25transform_config_selectorIfLb0EEEZNS1_14transform_implILb0ES3_S5_NS0_18transform_iteratorINS0_17counting_iteratorImlEEZNS1_24adjacent_difference_implIS3_Lb1ELb0EPfSB_N6thrust23THRUST_200600_302600_NS5minusIfEEEE10hipError_tPvRmT2_T3_mT4_P12ihipStream_tbEUlmE_fEESB_NS0_8identityIvEEEESG_SJ_SK_mSL_SN_bEUlT_E_NS1_11comp_targetILNS1_3genE8ELNS1_11target_archE1030ELNS1_3gpuE2ELNS1_3repE0EEENS1_30default_config_static_selectorELNS0_4arch9wavefront6targetE1EEEvT1_
                                        ; -- End function
	.set _ZN7rocprim17ROCPRIM_400000_NS6detail17trampoline_kernelINS0_14default_configENS1_25transform_config_selectorIfLb0EEEZNS1_14transform_implILb0ES3_S5_NS0_18transform_iteratorINS0_17counting_iteratorImlEEZNS1_24adjacent_difference_implIS3_Lb1ELb0EPfSB_N6thrust23THRUST_200600_302600_NS5minusIfEEEE10hipError_tPvRmT2_T3_mT4_P12ihipStream_tbEUlmE_fEESB_NS0_8identityIvEEEESG_SJ_SK_mSL_SN_bEUlT_E_NS1_11comp_targetILNS1_3genE8ELNS1_11target_archE1030ELNS1_3gpuE2ELNS1_3repE0EEENS1_30default_config_static_selectorELNS0_4arch9wavefront6targetE1EEEvT1_.num_vgpr, 0
	.set _ZN7rocprim17ROCPRIM_400000_NS6detail17trampoline_kernelINS0_14default_configENS1_25transform_config_selectorIfLb0EEEZNS1_14transform_implILb0ES3_S5_NS0_18transform_iteratorINS0_17counting_iteratorImlEEZNS1_24adjacent_difference_implIS3_Lb1ELb0EPfSB_N6thrust23THRUST_200600_302600_NS5minusIfEEEE10hipError_tPvRmT2_T3_mT4_P12ihipStream_tbEUlmE_fEESB_NS0_8identityIvEEEESG_SJ_SK_mSL_SN_bEUlT_E_NS1_11comp_targetILNS1_3genE8ELNS1_11target_archE1030ELNS1_3gpuE2ELNS1_3repE0EEENS1_30default_config_static_selectorELNS0_4arch9wavefront6targetE1EEEvT1_.num_agpr, 0
	.set _ZN7rocprim17ROCPRIM_400000_NS6detail17trampoline_kernelINS0_14default_configENS1_25transform_config_selectorIfLb0EEEZNS1_14transform_implILb0ES3_S5_NS0_18transform_iteratorINS0_17counting_iteratorImlEEZNS1_24adjacent_difference_implIS3_Lb1ELb0EPfSB_N6thrust23THRUST_200600_302600_NS5minusIfEEEE10hipError_tPvRmT2_T3_mT4_P12ihipStream_tbEUlmE_fEESB_NS0_8identityIvEEEESG_SJ_SK_mSL_SN_bEUlT_E_NS1_11comp_targetILNS1_3genE8ELNS1_11target_archE1030ELNS1_3gpuE2ELNS1_3repE0EEENS1_30default_config_static_selectorELNS0_4arch9wavefront6targetE1EEEvT1_.numbered_sgpr, 0
	.set _ZN7rocprim17ROCPRIM_400000_NS6detail17trampoline_kernelINS0_14default_configENS1_25transform_config_selectorIfLb0EEEZNS1_14transform_implILb0ES3_S5_NS0_18transform_iteratorINS0_17counting_iteratorImlEEZNS1_24adjacent_difference_implIS3_Lb1ELb0EPfSB_N6thrust23THRUST_200600_302600_NS5minusIfEEEE10hipError_tPvRmT2_T3_mT4_P12ihipStream_tbEUlmE_fEESB_NS0_8identityIvEEEESG_SJ_SK_mSL_SN_bEUlT_E_NS1_11comp_targetILNS1_3genE8ELNS1_11target_archE1030ELNS1_3gpuE2ELNS1_3repE0EEENS1_30default_config_static_selectorELNS0_4arch9wavefront6targetE1EEEvT1_.num_named_barrier, 0
	.set _ZN7rocprim17ROCPRIM_400000_NS6detail17trampoline_kernelINS0_14default_configENS1_25transform_config_selectorIfLb0EEEZNS1_14transform_implILb0ES3_S5_NS0_18transform_iteratorINS0_17counting_iteratorImlEEZNS1_24adjacent_difference_implIS3_Lb1ELb0EPfSB_N6thrust23THRUST_200600_302600_NS5minusIfEEEE10hipError_tPvRmT2_T3_mT4_P12ihipStream_tbEUlmE_fEESB_NS0_8identityIvEEEESG_SJ_SK_mSL_SN_bEUlT_E_NS1_11comp_targetILNS1_3genE8ELNS1_11target_archE1030ELNS1_3gpuE2ELNS1_3repE0EEENS1_30default_config_static_selectorELNS0_4arch9wavefront6targetE1EEEvT1_.private_seg_size, 0
	.set _ZN7rocprim17ROCPRIM_400000_NS6detail17trampoline_kernelINS0_14default_configENS1_25transform_config_selectorIfLb0EEEZNS1_14transform_implILb0ES3_S5_NS0_18transform_iteratorINS0_17counting_iteratorImlEEZNS1_24adjacent_difference_implIS3_Lb1ELb0EPfSB_N6thrust23THRUST_200600_302600_NS5minusIfEEEE10hipError_tPvRmT2_T3_mT4_P12ihipStream_tbEUlmE_fEESB_NS0_8identityIvEEEESG_SJ_SK_mSL_SN_bEUlT_E_NS1_11comp_targetILNS1_3genE8ELNS1_11target_archE1030ELNS1_3gpuE2ELNS1_3repE0EEENS1_30default_config_static_selectorELNS0_4arch9wavefront6targetE1EEEvT1_.uses_vcc, 0
	.set _ZN7rocprim17ROCPRIM_400000_NS6detail17trampoline_kernelINS0_14default_configENS1_25transform_config_selectorIfLb0EEEZNS1_14transform_implILb0ES3_S5_NS0_18transform_iteratorINS0_17counting_iteratorImlEEZNS1_24adjacent_difference_implIS3_Lb1ELb0EPfSB_N6thrust23THRUST_200600_302600_NS5minusIfEEEE10hipError_tPvRmT2_T3_mT4_P12ihipStream_tbEUlmE_fEESB_NS0_8identityIvEEEESG_SJ_SK_mSL_SN_bEUlT_E_NS1_11comp_targetILNS1_3genE8ELNS1_11target_archE1030ELNS1_3gpuE2ELNS1_3repE0EEENS1_30default_config_static_selectorELNS0_4arch9wavefront6targetE1EEEvT1_.uses_flat_scratch, 0
	.set _ZN7rocprim17ROCPRIM_400000_NS6detail17trampoline_kernelINS0_14default_configENS1_25transform_config_selectorIfLb0EEEZNS1_14transform_implILb0ES3_S5_NS0_18transform_iteratorINS0_17counting_iteratorImlEEZNS1_24adjacent_difference_implIS3_Lb1ELb0EPfSB_N6thrust23THRUST_200600_302600_NS5minusIfEEEE10hipError_tPvRmT2_T3_mT4_P12ihipStream_tbEUlmE_fEESB_NS0_8identityIvEEEESG_SJ_SK_mSL_SN_bEUlT_E_NS1_11comp_targetILNS1_3genE8ELNS1_11target_archE1030ELNS1_3gpuE2ELNS1_3repE0EEENS1_30default_config_static_selectorELNS0_4arch9wavefront6targetE1EEEvT1_.has_dyn_sized_stack, 0
	.set _ZN7rocprim17ROCPRIM_400000_NS6detail17trampoline_kernelINS0_14default_configENS1_25transform_config_selectorIfLb0EEEZNS1_14transform_implILb0ES3_S5_NS0_18transform_iteratorINS0_17counting_iteratorImlEEZNS1_24adjacent_difference_implIS3_Lb1ELb0EPfSB_N6thrust23THRUST_200600_302600_NS5minusIfEEEE10hipError_tPvRmT2_T3_mT4_P12ihipStream_tbEUlmE_fEESB_NS0_8identityIvEEEESG_SJ_SK_mSL_SN_bEUlT_E_NS1_11comp_targetILNS1_3genE8ELNS1_11target_archE1030ELNS1_3gpuE2ELNS1_3repE0EEENS1_30default_config_static_selectorELNS0_4arch9wavefront6targetE1EEEvT1_.has_recursion, 0
	.set _ZN7rocprim17ROCPRIM_400000_NS6detail17trampoline_kernelINS0_14default_configENS1_25transform_config_selectorIfLb0EEEZNS1_14transform_implILb0ES3_S5_NS0_18transform_iteratorINS0_17counting_iteratorImlEEZNS1_24adjacent_difference_implIS3_Lb1ELb0EPfSB_N6thrust23THRUST_200600_302600_NS5minusIfEEEE10hipError_tPvRmT2_T3_mT4_P12ihipStream_tbEUlmE_fEESB_NS0_8identityIvEEEESG_SJ_SK_mSL_SN_bEUlT_E_NS1_11comp_targetILNS1_3genE8ELNS1_11target_archE1030ELNS1_3gpuE2ELNS1_3repE0EEENS1_30default_config_static_selectorELNS0_4arch9wavefront6targetE1EEEvT1_.has_indirect_call, 0
	.section	.AMDGPU.csdata,"",@progbits
; Kernel info:
; codeLenInByte = 0
; TotalNumSgprs: 4
; NumVgprs: 0
; ScratchSize: 0
; MemoryBound: 0
; FloatMode: 240
; IeeeMode: 1
; LDSByteSize: 0 bytes/workgroup (compile time only)
; SGPRBlocks: 0
; VGPRBlocks: 0
; NumSGPRsForWavesPerEU: 4
; NumVGPRsForWavesPerEU: 1
; Occupancy: 10
; WaveLimiterHint : 0
; COMPUTE_PGM_RSRC2:SCRATCH_EN: 0
; COMPUTE_PGM_RSRC2:USER_SGPR: 6
; COMPUTE_PGM_RSRC2:TRAP_HANDLER: 0
; COMPUTE_PGM_RSRC2:TGID_X_EN: 1
; COMPUTE_PGM_RSRC2:TGID_Y_EN: 0
; COMPUTE_PGM_RSRC2:TGID_Z_EN: 0
; COMPUTE_PGM_RSRC2:TIDIG_COMP_CNT: 0
	.section	.text._ZN7rocprim17ROCPRIM_400000_NS6detail17trampoline_kernelINS0_14default_configENS1_35adjacent_difference_config_selectorILb1EfEEZNS1_24adjacent_difference_implIS3_Lb1ELb0EPfS7_N6thrust23THRUST_200600_302600_NS5minusIfEEEE10hipError_tPvRmT2_T3_mT4_P12ihipStream_tbEUlT_E_NS1_11comp_targetILNS1_3genE0ELNS1_11target_archE4294967295ELNS1_3gpuE0ELNS1_3repE0EEENS1_30default_config_static_selectorELNS0_4arch9wavefront6targetE1EEEvT1_,"axG",@progbits,_ZN7rocprim17ROCPRIM_400000_NS6detail17trampoline_kernelINS0_14default_configENS1_35adjacent_difference_config_selectorILb1EfEEZNS1_24adjacent_difference_implIS3_Lb1ELb0EPfS7_N6thrust23THRUST_200600_302600_NS5minusIfEEEE10hipError_tPvRmT2_T3_mT4_P12ihipStream_tbEUlT_E_NS1_11comp_targetILNS1_3genE0ELNS1_11target_archE4294967295ELNS1_3gpuE0ELNS1_3repE0EEENS1_30default_config_static_selectorELNS0_4arch9wavefront6targetE1EEEvT1_,comdat
	.protected	_ZN7rocprim17ROCPRIM_400000_NS6detail17trampoline_kernelINS0_14default_configENS1_35adjacent_difference_config_selectorILb1EfEEZNS1_24adjacent_difference_implIS3_Lb1ELb0EPfS7_N6thrust23THRUST_200600_302600_NS5minusIfEEEE10hipError_tPvRmT2_T3_mT4_P12ihipStream_tbEUlT_E_NS1_11comp_targetILNS1_3genE0ELNS1_11target_archE4294967295ELNS1_3gpuE0ELNS1_3repE0EEENS1_30default_config_static_selectorELNS0_4arch9wavefront6targetE1EEEvT1_ ; -- Begin function _ZN7rocprim17ROCPRIM_400000_NS6detail17trampoline_kernelINS0_14default_configENS1_35adjacent_difference_config_selectorILb1EfEEZNS1_24adjacent_difference_implIS3_Lb1ELb0EPfS7_N6thrust23THRUST_200600_302600_NS5minusIfEEEE10hipError_tPvRmT2_T3_mT4_P12ihipStream_tbEUlT_E_NS1_11comp_targetILNS1_3genE0ELNS1_11target_archE4294967295ELNS1_3gpuE0ELNS1_3repE0EEENS1_30default_config_static_selectorELNS0_4arch9wavefront6targetE1EEEvT1_
	.globl	_ZN7rocprim17ROCPRIM_400000_NS6detail17trampoline_kernelINS0_14default_configENS1_35adjacent_difference_config_selectorILb1EfEEZNS1_24adjacent_difference_implIS3_Lb1ELb0EPfS7_N6thrust23THRUST_200600_302600_NS5minusIfEEEE10hipError_tPvRmT2_T3_mT4_P12ihipStream_tbEUlT_E_NS1_11comp_targetILNS1_3genE0ELNS1_11target_archE4294967295ELNS1_3gpuE0ELNS1_3repE0EEENS1_30default_config_static_selectorELNS0_4arch9wavefront6targetE1EEEvT1_
	.p2align	8
	.type	_ZN7rocprim17ROCPRIM_400000_NS6detail17trampoline_kernelINS0_14default_configENS1_35adjacent_difference_config_selectorILb1EfEEZNS1_24adjacent_difference_implIS3_Lb1ELb0EPfS7_N6thrust23THRUST_200600_302600_NS5minusIfEEEE10hipError_tPvRmT2_T3_mT4_P12ihipStream_tbEUlT_E_NS1_11comp_targetILNS1_3genE0ELNS1_11target_archE4294967295ELNS1_3gpuE0ELNS1_3repE0EEENS1_30default_config_static_selectorELNS0_4arch9wavefront6targetE1EEEvT1_,@function
_ZN7rocprim17ROCPRIM_400000_NS6detail17trampoline_kernelINS0_14default_configENS1_35adjacent_difference_config_selectorILb1EfEEZNS1_24adjacent_difference_implIS3_Lb1ELb0EPfS7_N6thrust23THRUST_200600_302600_NS5minusIfEEEE10hipError_tPvRmT2_T3_mT4_P12ihipStream_tbEUlT_E_NS1_11comp_targetILNS1_3genE0ELNS1_11target_archE4294967295ELNS1_3gpuE0ELNS1_3repE0EEENS1_30default_config_static_selectorELNS0_4arch9wavefront6targetE1EEEvT1_: ; @_ZN7rocprim17ROCPRIM_400000_NS6detail17trampoline_kernelINS0_14default_configENS1_35adjacent_difference_config_selectorILb1EfEEZNS1_24adjacent_difference_implIS3_Lb1ELb0EPfS7_N6thrust23THRUST_200600_302600_NS5minusIfEEEE10hipError_tPvRmT2_T3_mT4_P12ihipStream_tbEUlT_E_NS1_11comp_targetILNS1_3genE0ELNS1_11target_archE4294967295ELNS1_3gpuE0ELNS1_3repE0EEENS1_30default_config_static_selectorELNS0_4arch9wavefront6targetE1EEEvT1_
; %bb.0:
	.section	.rodata,"a",@progbits
	.p2align	6, 0x0
	.amdhsa_kernel _ZN7rocprim17ROCPRIM_400000_NS6detail17trampoline_kernelINS0_14default_configENS1_35adjacent_difference_config_selectorILb1EfEEZNS1_24adjacent_difference_implIS3_Lb1ELb0EPfS7_N6thrust23THRUST_200600_302600_NS5minusIfEEEE10hipError_tPvRmT2_T3_mT4_P12ihipStream_tbEUlT_E_NS1_11comp_targetILNS1_3genE0ELNS1_11target_archE4294967295ELNS1_3gpuE0ELNS1_3repE0EEENS1_30default_config_static_selectorELNS0_4arch9wavefront6targetE1EEEvT1_
		.amdhsa_group_segment_fixed_size 0
		.amdhsa_private_segment_fixed_size 0
		.amdhsa_kernarg_size 56
		.amdhsa_user_sgpr_count 6
		.amdhsa_user_sgpr_private_segment_buffer 1
		.amdhsa_user_sgpr_dispatch_ptr 0
		.amdhsa_user_sgpr_queue_ptr 0
		.amdhsa_user_sgpr_kernarg_segment_ptr 1
		.amdhsa_user_sgpr_dispatch_id 0
		.amdhsa_user_sgpr_flat_scratch_init 0
		.amdhsa_user_sgpr_private_segment_size 0
		.amdhsa_uses_dynamic_stack 0
		.amdhsa_system_sgpr_private_segment_wavefront_offset 0
		.amdhsa_system_sgpr_workgroup_id_x 1
		.amdhsa_system_sgpr_workgroup_id_y 0
		.amdhsa_system_sgpr_workgroup_id_z 0
		.amdhsa_system_sgpr_workgroup_info 0
		.amdhsa_system_vgpr_workitem_id 0
		.amdhsa_next_free_vgpr 1
		.amdhsa_next_free_sgpr 0
		.amdhsa_reserve_vcc 0
		.amdhsa_reserve_flat_scratch 0
		.amdhsa_float_round_mode_32 0
		.amdhsa_float_round_mode_16_64 0
		.amdhsa_float_denorm_mode_32 3
		.amdhsa_float_denorm_mode_16_64 3
		.amdhsa_dx10_clamp 1
		.amdhsa_ieee_mode 1
		.amdhsa_fp16_overflow 0
		.amdhsa_exception_fp_ieee_invalid_op 0
		.amdhsa_exception_fp_denorm_src 0
		.amdhsa_exception_fp_ieee_div_zero 0
		.amdhsa_exception_fp_ieee_overflow 0
		.amdhsa_exception_fp_ieee_underflow 0
		.amdhsa_exception_fp_ieee_inexact 0
		.amdhsa_exception_int_div_zero 0
	.end_amdhsa_kernel
	.section	.text._ZN7rocprim17ROCPRIM_400000_NS6detail17trampoline_kernelINS0_14default_configENS1_35adjacent_difference_config_selectorILb1EfEEZNS1_24adjacent_difference_implIS3_Lb1ELb0EPfS7_N6thrust23THRUST_200600_302600_NS5minusIfEEEE10hipError_tPvRmT2_T3_mT4_P12ihipStream_tbEUlT_E_NS1_11comp_targetILNS1_3genE0ELNS1_11target_archE4294967295ELNS1_3gpuE0ELNS1_3repE0EEENS1_30default_config_static_selectorELNS0_4arch9wavefront6targetE1EEEvT1_,"axG",@progbits,_ZN7rocprim17ROCPRIM_400000_NS6detail17trampoline_kernelINS0_14default_configENS1_35adjacent_difference_config_selectorILb1EfEEZNS1_24adjacent_difference_implIS3_Lb1ELb0EPfS7_N6thrust23THRUST_200600_302600_NS5minusIfEEEE10hipError_tPvRmT2_T3_mT4_P12ihipStream_tbEUlT_E_NS1_11comp_targetILNS1_3genE0ELNS1_11target_archE4294967295ELNS1_3gpuE0ELNS1_3repE0EEENS1_30default_config_static_selectorELNS0_4arch9wavefront6targetE1EEEvT1_,comdat
.Lfunc_end70:
	.size	_ZN7rocprim17ROCPRIM_400000_NS6detail17trampoline_kernelINS0_14default_configENS1_35adjacent_difference_config_selectorILb1EfEEZNS1_24adjacent_difference_implIS3_Lb1ELb0EPfS7_N6thrust23THRUST_200600_302600_NS5minusIfEEEE10hipError_tPvRmT2_T3_mT4_P12ihipStream_tbEUlT_E_NS1_11comp_targetILNS1_3genE0ELNS1_11target_archE4294967295ELNS1_3gpuE0ELNS1_3repE0EEENS1_30default_config_static_selectorELNS0_4arch9wavefront6targetE1EEEvT1_, .Lfunc_end70-_ZN7rocprim17ROCPRIM_400000_NS6detail17trampoline_kernelINS0_14default_configENS1_35adjacent_difference_config_selectorILb1EfEEZNS1_24adjacent_difference_implIS3_Lb1ELb0EPfS7_N6thrust23THRUST_200600_302600_NS5minusIfEEEE10hipError_tPvRmT2_T3_mT4_P12ihipStream_tbEUlT_E_NS1_11comp_targetILNS1_3genE0ELNS1_11target_archE4294967295ELNS1_3gpuE0ELNS1_3repE0EEENS1_30default_config_static_selectorELNS0_4arch9wavefront6targetE1EEEvT1_
                                        ; -- End function
	.set _ZN7rocprim17ROCPRIM_400000_NS6detail17trampoline_kernelINS0_14default_configENS1_35adjacent_difference_config_selectorILb1EfEEZNS1_24adjacent_difference_implIS3_Lb1ELb0EPfS7_N6thrust23THRUST_200600_302600_NS5minusIfEEEE10hipError_tPvRmT2_T3_mT4_P12ihipStream_tbEUlT_E_NS1_11comp_targetILNS1_3genE0ELNS1_11target_archE4294967295ELNS1_3gpuE0ELNS1_3repE0EEENS1_30default_config_static_selectorELNS0_4arch9wavefront6targetE1EEEvT1_.num_vgpr, 0
	.set _ZN7rocprim17ROCPRIM_400000_NS6detail17trampoline_kernelINS0_14default_configENS1_35adjacent_difference_config_selectorILb1EfEEZNS1_24adjacent_difference_implIS3_Lb1ELb0EPfS7_N6thrust23THRUST_200600_302600_NS5minusIfEEEE10hipError_tPvRmT2_T3_mT4_P12ihipStream_tbEUlT_E_NS1_11comp_targetILNS1_3genE0ELNS1_11target_archE4294967295ELNS1_3gpuE0ELNS1_3repE0EEENS1_30default_config_static_selectorELNS0_4arch9wavefront6targetE1EEEvT1_.num_agpr, 0
	.set _ZN7rocprim17ROCPRIM_400000_NS6detail17trampoline_kernelINS0_14default_configENS1_35adjacent_difference_config_selectorILb1EfEEZNS1_24adjacent_difference_implIS3_Lb1ELb0EPfS7_N6thrust23THRUST_200600_302600_NS5minusIfEEEE10hipError_tPvRmT2_T3_mT4_P12ihipStream_tbEUlT_E_NS1_11comp_targetILNS1_3genE0ELNS1_11target_archE4294967295ELNS1_3gpuE0ELNS1_3repE0EEENS1_30default_config_static_selectorELNS0_4arch9wavefront6targetE1EEEvT1_.numbered_sgpr, 0
	.set _ZN7rocprim17ROCPRIM_400000_NS6detail17trampoline_kernelINS0_14default_configENS1_35adjacent_difference_config_selectorILb1EfEEZNS1_24adjacent_difference_implIS3_Lb1ELb0EPfS7_N6thrust23THRUST_200600_302600_NS5minusIfEEEE10hipError_tPvRmT2_T3_mT4_P12ihipStream_tbEUlT_E_NS1_11comp_targetILNS1_3genE0ELNS1_11target_archE4294967295ELNS1_3gpuE0ELNS1_3repE0EEENS1_30default_config_static_selectorELNS0_4arch9wavefront6targetE1EEEvT1_.num_named_barrier, 0
	.set _ZN7rocprim17ROCPRIM_400000_NS6detail17trampoline_kernelINS0_14default_configENS1_35adjacent_difference_config_selectorILb1EfEEZNS1_24adjacent_difference_implIS3_Lb1ELb0EPfS7_N6thrust23THRUST_200600_302600_NS5minusIfEEEE10hipError_tPvRmT2_T3_mT4_P12ihipStream_tbEUlT_E_NS1_11comp_targetILNS1_3genE0ELNS1_11target_archE4294967295ELNS1_3gpuE0ELNS1_3repE0EEENS1_30default_config_static_selectorELNS0_4arch9wavefront6targetE1EEEvT1_.private_seg_size, 0
	.set _ZN7rocprim17ROCPRIM_400000_NS6detail17trampoline_kernelINS0_14default_configENS1_35adjacent_difference_config_selectorILb1EfEEZNS1_24adjacent_difference_implIS3_Lb1ELb0EPfS7_N6thrust23THRUST_200600_302600_NS5minusIfEEEE10hipError_tPvRmT2_T3_mT4_P12ihipStream_tbEUlT_E_NS1_11comp_targetILNS1_3genE0ELNS1_11target_archE4294967295ELNS1_3gpuE0ELNS1_3repE0EEENS1_30default_config_static_selectorELNS0_4arch9wavefront6targetE1EEEvT1_.uses_vcc, 0
	.set _ZN7rocprim17ROCPRIM_400000_NS6detail17trampoline_kernelINS0_14default_configENS1_35adjacent_difference_config_selectorILb1EfEEZNS1_24adjacent_difference_implIS3_Lb1ELb0EPfS7_N6thrust23THRUST_200600_302600_NS5minusIfEEEE10hipError_tPvRmT2_T3_mT4_P12ihipStream_tbEUlT_E_NS1_11comp_targetILNS1_3genE0ELNS1_11target_archE4294967295ELNS1_3gpuE0ELNS1_3repE0EEENS1_30default_config_static_selectorELNS0_4arch9wavefront6targetE1EEEvT1_.uses_flat_scratch, 0
	.set _ZN7rocprim17ROCPRIM_400000_NS6detail17trampoline_kernelINS0_14default_configENS1_35adjacent_difference_config_selectorILb1EfEEZNS1_24adjacent_difference_implIS3_Lb1ELb0EPfS7_N6thrust23THRUST_200600_302600_NS5minusIfEEEE10hipError_tPvRmT2_T3_mT4_P12ihipStream_tbEUlT_E_NS1_11comp_targetILNS1_3genE0ELNS1_11target_archE4294967295ELNS1_3gpuE0ELNS1_3repE0EEENS1_30default_config_static_selectorELNS0_4arch9wavefront6targetE1EEEvT1_.has_dyn_sized_stack, 0
	.set _ZN7rocprim17ROCPRIM_400000_NS6detail17trampoline_kernelINS0_14default_configENS1_35adjacent_difference_config_selectorILb1EfEEZNS1_24adjacent_difference_implIS3_Lb1ELb0EPfS7_N6thrust23THRUST_200600_302600_NS5minusIfEEEE10hipError_tPvRmT2_T3_mT4_P12ihipStream_tbEUlT_E_NS1_11comp_targetILNS1_3genE0ELNS1_11target_archE4294967295ELNS1_3gpuE0ELNS1_3repE0EEENS1_30default_config_static_selectorELNS0_4arch9wavefront6targetE1EEEvT1_.has_recursion, 0
	.set _ZN7rocprim17ROCPRIM_400000_NS6detail17trampoline_kernelINS0_14default_configENS1_35adjacent_difference_config_selectorILb1EfEEZNS1_24adjacent_difference_implIS3_Lb1ELb0EPfS7_N6thrust23THRUST_200600_302600_NS5minusIfEEEE10hipError_tPvRmT2_T3_mT4_P12ihipStream_tbEUlT_E_NS1_11comp_targetILNS1_3genE0ELNS1_11target_archE4294967295ELNS1_3gpuE0ELNS1_3repE0EEENS1_30default_config_static_selectorELNS0_4arch9wavefront6targetE1EEEvT1_.has_indirect_call, 0
	.section	.AMDGPU.csdata,"",@progbits
; Kernel info:
; codeLenInByte = 0
; TotalNumSgprs: 4
; NumVgprs: 0
; ScratchSize: 0
; MemoryBound: 0
; FloatMode: 240
; IeeeMode: 1
; LDSByteSize: 0 bytes/workgroup (compile time only)
; SGPRBlocks: 0
; VGPRBlocks: 0
; NumSGPRsForWavesPerEU: 4
; NumVGPRsForWavesPerEU: 1
; Occupancy: 10
; WaveLimiterHint : 0
; COMPUTE_PGM_RSRC2:SCRATCH_EN: 0
; COMPUTE_PGM_RSRC2:USER_SGPR: 6
; COMPUTE_PGM_RSRC2:TRAP_HANDLER: 0
; COMPUTE_PGM_RSRC2:TGID_X_EN: 1
; COMPUTE_PGM_RSRC2:TGID_Y_EN: 0
; COMPUTE_PGM_RSRC2:TGID_Z_EN: 0
; COMPUTE_PGM_RSRC2:TIDIG_COMP_CNT: 0
	.section	.text._ZN7rocprim17ROCPRIM_400000_NS6detail17trampoline_kernelINS0_14default_configENS1_35adjacent_difference_config_selectorILb1EfEEZNS1_24adjacent_difference_implIS3_Lb1ELb0EPfS7_N6thrust23THRUST_200600_302600_NS5minusIfEEEE10hipError_tPvRmT2_T3_mT4_P12ihipStream_tbEUlT_E_NS1_11comp_targetILNS1_3genE10ELNS1_11target_archE1201ELNS1_3gpuE5ELNS1_3repE0EEENS1_30default_config_static_selectorELNS0_4arch9wavefront6targetE1EEEvT1_,"axG",@progbits,_ZN7rocprim17ROCPRIM_400000_NS6detail17trampoline_kernelINS0_14default_configENS1_35adjacent_difference_config_selectorILb1EfEEZNS1_24adjacent_difference_implIS3_Lb1ELb0EPfS7_N6thrust23THRUST_200600_302600_NS5minusIfEEEE10hipError_tPvRmT2_T3_mT4_P12ihipStream_tbEUlT_E_NS1_11comp_targetILNS1_3genE10ELNS1_11target_archE1201ELNS1_3gpuE5ELNS1_3repE0EEENS1_30default_config_static_selectorELNS0_4arch9wavefront6targetE1EEEvT1_,comdat
	.protected	_ZN7rocprim17ROCPRIM_400000_NS6detail17trampoline_kernelINS0_14default_configENS1_35adjacent_difference_config_selectorILb1EfEEZNS1_24adjacent_difference_implIS3_Lb1ELb0EPfS7_N6thrust23THRUST_200600_302600_NS5minusIfEEEE10hipError_tPvRmT2_T3_mT4_P12ihipStream_tbEUlT_E_NS1_11comp_targetILNS1_3genE10ELNS1_11target_archE1201ELNS1_3gpuE5ELNS1_3repE0EEENS1_30default_config_static_selectorELNS0_4arch9wavefront6targetE1EEEvT1_ ; -- Begin function _ZN7rocprim17ROCPRIM_400000_NS6detail17trampoline_kernelINS0_14default_configENS1_35adjacent_difference_config_selectorILb1EfEEZNS1_24adjacent_difference_implIS3_Lb1ELb0EPfS7_N6thrust23THRUST_200600_302600_NS5minusIfEEEE10hipError_tPvRmT2_T3_mT4_P12ihipStream_tbEUlT_E_NS1_11comp_targetILNS1_3genE10ELNS1_11target_archE1201ELNS1_3gpuE5ELNS1_3repE0EEENS1_30default_config_static_selectorELNS0_4arch9wavefront6targetE1EEEvT1_
	.globl	_ZN7rocprim17ROCPRIM_400000_NS6detail17trampoline_kernelINS0_14default_configENS1_35adjacent_difference_config_selectorILb1EfEEZNS1_24adjacent_difference_implIS3_Lb1ELb0EPfS7_N6thrust23THRUST_200600_302600_NS5minusIfEEEE10hipError_tPvRmT2_T3_mT4_P12ihipStream_tbEUlT_E_NS1_11comp_targetILNS1_3genE10ELNS1_11target_archE1201ELNS1_3gpuE5ELNS1_3repE0EEENS1_30default_config_static_selectorELNS0_4arch9wavefront6targetE1EEEvT1_
	.p2align	8
	.type	_ZN7rocprim17ROCPRIM_400000_NS6detail17trampoline_kernelINS0_14default_configENS1_35adjacent_difference_config_selectorILb1EfEEZNS1_24adjacent_difference_implIS3_Lb1ELb0EPfS7_N6thrust23THRUST_200600_302600_NS5minusIfEEEE10hipError_tPvRmT2_T3_mT4_P12ihipStream_tbEUlT_E_NS1_11comp_targetILNS1_3genE10ELNS1_11target_archE1201ELNS1_3gpuE5ELNS1_3repE0EEENS1_30default_config_static_selectorELNS0_4arch9wavefront6targetE1EEEvT1_,@function
_ZN7rocprim17ROCPRIM_400000_NS6detail17trampoline_kernelINS0_14default_configENS1_35adjacent_difference_config_selectorILb1EfEEZNS1_24adjacent_difference_implIS3_Lb1ELb0EPfS7_N6thrust23THRUST_200600_302600_NS5minusIfEEEE10hipError_tPvRmT2_T3_mT4_P12ihipStream_tbEUlT_E_NS1_11comp_targetILNS1_3genE10ELNS1_11target_archE1201ELNS1_3gpuE5ELNS1_3repE0EEENS1_30default_config_static_selectorELNS0_4arch9wavefront6targetE1EEEvT1_: ; @_ZN7rocprim17ROCPRIM_400000_NS6detail17trampoline_kernelINS0_14default_configENS1_35adjacent_difference_config_selectorILb1EfEEZNS1_24adjacent_difference_implIS3_Lb1ELb0EPfS7_N6thrust23THRUST_200600_302600_NS5minusIfEEEE10hipError_tPvRmT2_T3_mT4_P12ihipStream_tbEUlT_E_NS1_11comp_targetILNS1_3genE10ELNS1_11target_archE1201ELNS1_3gpuE5ELNS1_3repE0EEENS1_30default_config_static_selectorELNS0_4arch9wavefront6targetE1EEEvT1_
; %bb.0:
	.section	.rodata,"a",@progbits
	.p2align	6, 0x0
	.amdhsa_kernel _ZN7rocprim17ROCPRIM_400000_NS6detail17trampoline_kernelINS0_14default_configENS1_35adjacent_difference_config_selectorILb1EfEEZNS1_24adjacent_difference_implIS3_Lb1ELb0EPfS7_N6thrust23THRUST_200600_302600_NS5minusIfEEEE10hipError_tPvRmT2_T3_mT4_P12ihipStream_tbEUlT_E_NS1_11comp_targetILNS1_3genE10ELNS1_11target_archE1201ELNS1_3gpuE5ELNS1_3repE0EEENS1_30default_config_static_selectorELNS0_4arch9wavefront6targetE1EEEvT1_
		.amdhsa_group_segment_fixed_size 0
		.amdhsa_private_segment_fixed_size 0
		.amdhsa_kernarg_size 56
		.amdhsa_user_sgpr_count 6
		.amdhsa_user_sgpr_private_segment_buffer 1
		.amdhsa_user_sgpr_dispatch_ptr 0
		.amdhsa_user_sgpr_queue_ptr 0
		.amdhsa_user_sgpr_kernarg_segment_ptr 1
		.amdhsa_user_sgpr_dispatch_id 0
		.amdhsa_user_sgpr_flat_scratch_init 0
		.amdhsa_user_sgpr_private_segment_size 0
		.amdhsa_uses_dynamic_stack 0
		.amdhsa_system_sgpr_private_segment_wavefront_offset 0
		.amdhsa_system_sgpr_workgroup_id_x 1
		.amdhsa_system_sgpr_workgroup_id_y 0
		.amdhsa_system_sgpr_workgroup_id_z 0
		.amdhsa_system_sgpr_workgroup_info 0
		.amdhsa_system_vgpr_workitem_id 0
		.amdhsa_next_free_vgpr 1
		.amdhsa_next_free_sgpr 0
		.amdhsa_reserve_vcc 0
		.amdhsa_reserve_flat_scratch 0
		.amdhsa_float_round_mode_32 0
		.amdhsa_float_round_mode_16_64 0
		.amdhsa_float_denorm_mode_32 3
		.amdhsa_float_denorm_mode_16_64 3
		.amdhsa_dx10_clamp 1
		.amdhsa_ieee_mode 1
		.amdhsa_fp16_overflow 0
		.amdhsa_exception_fp_ieee_invalid_op 0
		.amdhsa_exception_fp_denorm_src 0
		.amdhsa_exception_fp_ieee_div_zero 0
		.amdhsa_exception_fp_ieee_overflow 0
		.amdhsa_exception_fp_ieee_underflow 0
		.amdhsa_exception_fp_ieee_inexact 0
		.amdhsa_exception_int_div_zero 0
	.end_amdhsa_kernel
	.section	.text._ZN7rocprim17ROCPRIM_400000_NS6detail17trampoline_kernelINS0_14default_configENS1_35adjacent_difference_config_selectorILb1EfEEZNS1_24adjacent_difference_implIS3_Lb1ELb0EPfS7_N6thrust23THRUST_200600_302600_NS5minusIfEEEE10hipError_tPvRmT2_T3_mT4_P12ihipStream_tbEUlT_E_NS1_11comp_targetILNS1_3genE10ELNS1_11target_archE1201ELNS1_3gpuE5ELNS1_3repE0EEENS1_30default_config_static_selectorELNS0_4arch9wavefront6targetE1EEEvT1_,"axG",@progbits,_ZN7rocprim17ROCPRIM_400000_NS6detail17trampoline_kernelINS0_14default_configENS1_35adjacent_difference_config_selectorILb1EfEEZNS1_24adjacent_difference_implIS3_Lb1ELb0EPfS7_N6thrust23THRUST_200600_302600_NS5minusIfEEEE10hipError_tPvRmT2_T3_mT4_P12ihipStream_tbEUlT_E_NS1_11comp_targetILNS1_3genE10ELNS1_11target_archE1201ELNS1_3gpuE5ELNS1_3repE0EEENS1_30default_config_static_selectorELNS0_4arch9wavefront6targetE1EEEvT1_,comdat
.Lfunc_end71:
	.size	_ZN7rocprim17ROCPRIM_400000_NS6detail17trampoline_kernelINS0_14default_configENS1_35adjacent_difference_config_selectorILb1EfEEZNS1_24adjacent_difference_implIS3_Lb1ELb0EPfS7_N6thrust23THRUST_200600_302600_NS5minusIfEEEE10hipError_tPvRmT2_T3_mT4_P12ihipStream_tbEUlT_E_NS1_11comp_targetILNS1_3genE10ELNS1_11target_archE1201ELNS1_3gpuE5ELNS1_3repE0EEENS1_30default_config_static_selectorELNS0_4arch9wavefront6targetE1EEEvT1_, .Lfunc_end71-_ZN7rocprim17ROCPRIM_400000_NS6detail17trampoline_kernelINS0_14default_configENS1_35adjacent_difference_config_selectorILb1EfEEZNS1_24adjacent_difference_implIS3_Lb1ELb0EPfS7_N6thrust23THRUST_200600_302600_NS5minusIfEEEE10hipError_tPvRmT2_T3_mT4_P12ihipStream_tbEUlT_E_NS1_11comp_targetILNS1_3genE10ELNS1_11target_archE1201ELNS1_3gpuE5ELNS1_3repE0EEENS1_30default_config_static_selectorELNS0_4arch9wavefront6targetE1EEEvT1_
                                        ; -- End function
	.set _ZN7rocprim17ROCPRIM_400000_NS6detail17trampoline_kernelINS0_14default_configENS1_35adjacent_difference_config_selectorILb1EfEEZNS1_24adjacent_difference_implIS3_Lb1ELb0EPfS7_N6thrust23THRUST_200600_302600_NS5minusIfEEEE10hipError_tPvRmT2_T3_mT4_P12ihipStream_tbEUlT_E_NS1_11comp_targetILNS1_3genE10ELNS1_11target_archE1201ELNS1_3gpuE5ELNS1_3repE0EEENS1_30default_config_static_selectorELNS0_4arch9wavefront6targetE1EEEvT1_.num_vgpr, 0
	.set _ZN7rocprim17ROCPRIM_400000_NS6detail17trampoline_kernelINS0_14default_configENS1_35adjacent_difference_config_selectorILb1EfEEZNS1_24adjacent_difference_implIS3_Lb1ELb0EPfS7_N6thrust23THRUST_200600_302600_NS5minusIfEEEE10hipError_tPvRmT2_T3_mT4_P12ihipStream_tbEUlT_E_NS1_11comp_targetILNS1_3genE10ELNS1_11target_archE1201ELNS1_3gpuE5ELNS1_3repE0EEENS1_30default_config_static_selectorELNS0_4arch9wavefront6targetE1EEEvT1_.num_agpr, 0
	.set _ZN7rocprim17ROCPRIM_400000_NS6detail17trampoline_kernelINS0_14default_configENS1_35adjacent_difference_config_selectorILb1EfEEZNS1_24adjacent_difference_implIS3_Lb1ELb0EPfS7_N6thrust23THRUST_200600_302600_NS5minusIfEEEE10hipError_tPvRmT2_T3_mT4_P12ihipStream_tbEUlT_E_NS1_11comp_targetILNS1_3genE10ELNS1_11target_archE1201ELNS1_3gpuE5ELNS1_3repE0EEENS1_30default_config_static_selectorELNS0_4arch9wavefront6targetE1EEEvT1_.numbered_sgpr, 0
	.set _ZN7rocprim17ROCPRIM_400000_NS6detail17trampoline_kernelINS0_14default_configENS1_35adjacent_difference_config_selectorILb1EfEEZNS1_24adjacent_difference_implIS3_Lb1ELb0EPfS7_N6thrust23THRUST_200600_302600_NS5minusIfEEEE10hipError_tPvRmT2_T3_mT4_P12ihipStream_tbEUlT_E_NS1_11comp_targetILNS1_3genE10ELNS1_11target_archE1201ELNS1_3gpuE5ELNS1_3repE0EEENS1_30default_config_static_selectorELNS0_4arch9wavefront6targetE1EEEvT1_.num_named_barrier, 0
	.set _ZN7rocprim17ROCPRIM_400000_NS6detail17trampoline_kernelINS0_14default_configENS1_35adjacent_difference_config_selectorILb1EfEEZNS1_24adjacent_difference_implIS3_Lb1ELb0EPfS7_N6thrust23THRUST_200600_302600_NS5minusIfEEEE10hipError_tPvRmT2_T3_mT4_P12ihipStream_tbEUlT_E_NS1_11comp_targetILNS1_3genE10ELNS1_11target_archE1201ELNS1_3gpuE5ELNS1_3repE0EEENS1_30default_config_static_selectorELNS0_4arch9wavefront6targetE1EEEvT1_.private_seg_size, 0
	.set _ZN7rocprim17ROCPRIM_400000_NS6detail17trampoline_kernelINS0_14default_configENS1_35adjacent_difference_config_selectorILb1EfEEZNS1_24adjacent_difference_implIS3_Lb1ELb0EPfS7_N6thrust23THRUST_200600_302600_NS5minusIfEEEE10hipError_tPvRmT2_T3_mT4_P12ihipStream_tbEUlT_E_NS1_11comp_targetILNS1_3genE10ELNS1_11target_archE1201ELNS1_3gpuE5ELNS1_3repE0EEENS1_30default_config_static_selectorELNS0_4arch9wavefront6targetE1EEEvT1_.uses_vcc, 0
	.set _ZN7rocprim17ROCPRIM_400000_NS6detail17trampoline_kernelINS0_14default_configENS1_35adjacent_difference_config_selectorILb1EfEEZNS1_24adjacent_difference_implIS3_Lb1ELb0EPfS7_N6thrust23THRUST_200600_302600_NS5minusIfEEEE10hipError_tPvRmT2_T3_mT4_P12ihipStream_tbEUlT_E_NS1_11comp_targetILNS1_3genE10ELNS1_11target_archE1201ELNS1_3gpuE5ELNS1_3repE0EEENS1_30default_config_static_selectorELNS0_4arch9wavefront6targetE1EEEvT1_.uses_flat_scratch, 0
	.set _ZN7rocprim17ROCPRIM_400000_NS6detail17trampoline_kernelINS0_14default_configENS1_35adjacent_difference_config_selectorILb1EfEEZNS1_24adjacent_difference_implIS3_Lb1ELb0EPfS7_N6thrust23THRUST_200600_302600_NS5minusIfEEEE10hipError_tPvRmT2_T3_mT4_P12ihipStream_tbEUlT_E_NS1_11comp_targetILNS1_3genE10ELNS1_11target_archE1201ELNS1_3gpuE5ELNS1_3repE0EEENS1_30default_config_static_selectorELNS0_4arch9wavefront6targetE1EEEvT1_.has_dyn_sized_stack, 0
	.set _ZN7rocprim17ROCPRIM_400000_NS6detail17trampoline_kernelINS0_14default_configENS1_35adjacent_difference_config_selectorILb1EfEEZNS1_24adjacent_difference_implIS3_Lb1ELb0EPfS7_N6thrust23THRUST_200600_302600_NS5minusIfEEEE10hipError_tPvRmT2_T3_mT4_P12ihipStream_tbEUlT_E_NS1_11comp_targetILNS1_3genE10ELNS1_11target_archE1201ELNS1_3gpuE5ELNS1_3repE0EEENS1_30default_config_static_selectorELNS0_4arch9wavefront6targetE1EEEvT1_.has_recursion, 0
	.set _ZN7rocprim17ROCPRIM_400000_NS6detail17trampoline_kernelINS0_14default_configENS1_35adjacent_difference_config_selectorILb1EfEEZNS1_24adjacent_difference_implIS3_Lb1ELb0EPfS7_N6thrust23THRUST_200600_302600_NS5minusIfEEEE10hipError_tPvRmT2_T3_mT4_P12ihipStream_tbEUlT_E_NS1_11comp_targetILNS1_3genE10ELNS1_11target_archE1201ELNS1_3gpuE5ELNS1_3repE0EEENS1_30default_config_static_selectorELNS0_4arch9wavefront6targetE1EEEvT1_.has_indirect_call, 0
	.section	.AMDGPU.csdata,"",@progbits
; Kernel info:
; codeLenInByte = 0
; TotalNumSgprs: 4
; NumVgprs: 0
; ScratchSize: 0
; MemoryBound: 0
; FloatMode: 240
; IeeeMode: 1
; LDSByteSize: 0 bytes/workgroup (compile time only)
; SGPRBlocks: 0
; VGPRBlocks: 0
; NumSGPRsForWavesPerEU: 4
; NumVGPRsForWavesPerEU: 1
; Occupancy: 10
; WaveLimiterHint : 0
; COMPUTE_PGM_RSRC2:SCRATCH_EN: 0
; COMPUTE_PGM_RSRC2:USER_SGPR: 6
; COMPUTE_PGM_RSRC2:TRAP_HANDLER: 0
; COMPUTE_PGM_RSRC2:TGID_X_EN: 1
; COMPUTE_PGM_RSRC2:TGID_Y_EN: 0
; COMPUTE_PGM_RSRC2:TGID_Z_EN: 0
; COMPUTE_PGM_RSRC2:TIDIG_COMP_CNT: 0
	.section	.text._ZN7rocprim17ROCPRIM_400000_NS6detail17trampoline_kernelINS0_14default_configENS1_35adjacent_difference_config_selectorILb1EfEEZNS1_24adjacent_difference_implIS3_Lb1ELb0EPfS7_N6thrust23THRUST_200600_302600_NS5minusIfEEEE10hipError_tPvRmT2_T3_mT4_P12ihipStream_tbEUlT_E_NS1_11comp_targetILNS1_3genE5ELNS1_11target_archE942ELNS1_3gpuE9ELNS1_3repE0EEENS1_30default_config_static_selectorELNS0_4arch9wavefront6targetE1EEEvT1_,"axG",@progbits,_ZN7rocprim17ROCPRIM_400000_NS6detail17trampoline_kernelINS0_14default_configENS1_35adjacent_difference_config_selectorILb1EfEEZNS1_24adjacent_difference_implIS3_Lb1ELb0EPfS7_N6thrust23THRUST_200600_302600_NS5minusIfEEEE10hipError_tPvRmT2_T3_mT4_P12ihipStream_tbEUlT_E_NS1_11comp_targetILNS1_3genE5ELNS1_11target_archE942ELNS1_3gpuE9ELNS1_3repE0EEENS1_30default_config_static_selectorELNS0_4arch9wavefront6targetE1EEEvT1_,comdat
	.protected	_ZN7rocprim17ROCPRIM_400000_NS6detail17trampoline_kernelINS0_14default_configENS1_35adjacent_difference_config_selectorILb1EfEEZNS1_24adjacent_difference_implIS3_Lb1ELb0EPfS7_N6thrust23THRUST_200600_302600_NS5minusIfEEEE10hipError_tPvRmT2_T3_mT4_P12ihipStream_tbEUlT_E_NS1_11comp_targetILNS1_3genE5ELNS1_11target_archE942ELNS1_3gpuE9ELNS1_3repE0EEENS1_30default_config_static_selectorELNS0_4arch9wavefront6targetE1EEEvT1_ ; -- Begin function _ZN7rocprim17ROCPRIM_400000_NS6detail17trampoline_kernelINS0_14default_configENS1_35adjacent_difference_config_selectorILb1EfEEZNS1_24adjacent_difference_implIS3_Lb1ELb0EPfS7_N6thrust23THRUST_200600_302600_NS5minusIfEEEE10hipError_tPvRmT2_T3_mT4_P12ihipStream_tbEUlT_E_NS1_11comp_targetILNS1_3genE5ELNS1_11target_archE942ELNS1_3gpuE9ELNS1_3repE0EEENS1_30default_config_static_selectorELNS0_4arch9wavefront6targetE1EEEvT1_
	.globl	_ZN7rocprim17ROCPRIM_400000_NS6detail17trampoline_kernelINS0_14default_configENS1_35adjacent_difference_config_selectorILb1EfEEZNS1_24adjacent_difference_implIS3_Lb1ELb0EPfS7_N6thrust23THRUST_200600_302600_NS5minusIfEEEE10hipError_tPvRmT2_T3_mT4_P12ihipStream_tbEUlT_E_NS1_11comp_targetILNS1_3genE5ELNS1_11target_archE942ELNS1_3gpuE9ELNS1_3repE0EEENS1_30default_config_static_selectorELNS0_4arch9wavefront6targetE1EEEvT1_
	.p2align	8
	.type	_ZN7rocprim17ROCPRIM_400000_NS6detail17trampoline_kernelINS0_14default_configENS1_35adjacent_difference_config_selectorILb1EfEEZNS1_24adjacent_difference_implIS3_Lb1ELb0EPfS7_N6thrust23THRUST_200600_302600_NS5minusIfEEEE10hipError_tPvRmT2_T3_mT4_P12ihipStream_tbEUlT_E_NS1_11comp_targetILNS1_3genE5ELNS1_11target_archE942ELNS1_3gpuE9ELNS1_3repE0EEENS1_30default_config_static_selectorELNS0_4arch9wavefront6targetE1EEEvT1_,@function
_ZN7rocprim17ROCPRIM_400000_NS6detail17trampoline_kernelINS0_14default_configENS1_35adjacent_difference_config_selectorILb1EfEEZNS1_24adjacent_difference_implIS3_Lb1ELb0EPfS7_N6thrust23THRUST_200600_302600_NS5minusIfEEEE10hipError_tPvRmT2_T3_mT4_P12ihipStream_tbEUlT_E_NS1_11comp_targetILNS1_3genE5ELNS1_11target_archE942ELNS1_3gpuE9ELNS1_3repE0EEENS1_30default_config_static_selectorELNS0_4arch9wavefront6targetE1EEEvT1_: ; @_ZN7rocprim17ROCPRIM_400000_NS6detail17trampoline_kernelINS0_14default_configENS1_35adjacent_difference_config_selectorILb1EfEEZNS1_24adjacent_difference_implIS3_Lb1ELb0EPfS7_N6thrust23THRUST_200600_302600_NS5minusIfEEEE10hipError_tPvRmT2_T3_mT4_P12ihipStream_tbEUlT_E_NS1_11comp_targetILNS1_3genE5ELNS1_11target_archE942ELNS1_3gpuE9ELNS1_3repE0EEENS1_30default_config_static_selectorELNS0_4arch9wavefront6targetE1EEEvT1_
; %bb.0:
	.section	.rodata,"a",@progbits
	.p2align	6, 0x0
	.amdhsa_kernel _ZN7rocprim17ROCPRIM_400000_NS6detail17trampoline_kernelINS0_14default_configENS1_35adjacent_difference_config_selectorILb1EfEEZNS1_24adjacent_difference_implIS3_Lb1ELb0EPfS7_N6thrust23THRUST_200600_302600_NS5minusIfEEEE10hipError_tPvRmT2_T3_mT4_P12ihipStream_tbEUlT_E_NS1_11comp_targetILNS1_3genE5ELNS1_11target_archE942ELNS1_3gpuE9ELNS1_3repE0EEENS1_30default_config_static_selectorELNS0_4arch9wavefront6targetE1EEEvT1_
		.amdhsa_group_segment_fixed_size 0
		.amdhsa_private_segment_fixed_size 0
		.amdhsa_kernarg_size 56
		.amdhsa_user_sgpr_count 6
		.amdhsa_user_sgpr_private_segment_buffer 1
		.amdhsa_user_sgpr_dispatch_ptr 0
		.amdhsa_user_sgpr_queue_ptr 0
		.amdhsa_user_sgpr_kernarg_segment_ptr 1
		.amdhsa_user_sgpr_dispatch_id 0
		.amdhsa_user_sgpr_flat_scratch_init 0
		.amdhsa_user_sgpr_private_segment_size 0
		.amdhsa_uses_dynamic_stack 0
		.amdhsa_system_sgpr_private_segment_wavefront_offset 0
		.amdhsa_system_sgpr_workgroup_id_x 1
		.amdhsa_system_sgpr_workgroup_id_y 0
		.amdhsa_system_sgpr_workgroup_id_z 0
		.amdhsa_system_sgpr_workgroup_info 0
		.amdhsa_system_vgpr_workitem_id 0
		.amdhsa_next_free_vgpr 1
		.amdhsa_next_free_sgpr 0
		.amdhsa_reserve_vcc 0
		.amdhsa_reserve_flat_scratch 0
		.amdhsa_float_round_mode_32 0
		.amdhsa_float_round_mode_16_64 0
		.amdhsa_float_denorm_mode_32 3
		.amdhsa_float_denorm_mode_16_64 3
		.amdhsa_dx10_clamp 1
		.amdhsa_ieee_mode 1
		.amdhsa_fp16_overflow 0
		.amdhsa_exception_fp_ieee_invalid_op 0
		.amdhsa_exception_fp_denorm_src 0
		.amdhsa_exception_fp_ieee_div_zero 0
		.amdhsa_exception_fp_ieee_overflow 0
		.amdhsa_exception_fp_ieee_underflow 0
		.amdhsa_exception_fp_ieee_inexact 0
		.amdhsa_exception_int_div_zero 0
	.end_amdhsa_kernel
	.section	.text._ZN7rocprim17ROCPRIM_400000_NS6detail17trampoline_kernelINS0_14default_configENS1_35adjacent_difference_config_selectorILb1EfEEZNS1_24adjacent_difference_implIS3_Lb1ELb0EPfS7_N6thrust23THRUST_200600_302600_NS5minusIfEEEE10hipError_tPvRmT2_T3_mT4_P12ihipStream_tbEUlT_E_NS1_11comp_targetILNS1_3genE5ELNS1_11target_archE942ELNS1_3gpuE9ELNS1_3repE0EEENS1_30default_config_static_selectorELNS0_4arch9wavefront6targetE1EEEvT1_,"axG",@progbits,_ZN7rocprim17ROCPRIM_400000_NS6detail17trampoline_kernelINS0_14default_configENS1_35adjacent_difference_config_selectorILb1EfEEZNS1_24adjacent_difference_implIS3_Lb1ELb0EPfS7_N6thrust23THRUST_200600_302600_NS5minusIfEEEE10hipError_tPvRmT2_T3_mT4_P12ihipStream_tbEUlT_E_NS1_11comp_targetILNS1_3genE5ELNS1_11target_archE942ELNS1_3gpuE9ELNS1_3repE0EEENS1_30default_config_static_selectorELNS0_4arch9wavefront6targetE1EEEvT1_,comdat
.Lfunc_end72:
	.size	_ZN7rocprim17ROCPRIM_400000_NS6detail17trampoline_kernelINS0_14default_configENS1_35adjacent_difference_config_selectorILb1EfEEZNS1_24adjacent_difference_implIS3_Lb1ELb0EPfS7_N6thrust23THRUST_200600_302600_NS5minusIfEEEE10hipError_tPvRmT2_T3_mT4_P12ihipStream_tbEUlT_E_NS1_11comp_targetILNS1_3genE5ELNS1_11target_archE942ELNS1_3gpuE9ELNS1_3repE0EEENS1_30default_config_static_selectorELNS0_4arch9wavefront6targetE1EEEvT1_, .Lfunc_end72-_ZN7rocprim17ROCPRIM_400000_NS6detail17trampoline_kernelINS0_14default_configENS1_35adjacent_difference_config_selectorILb1EfEEZNS1_24adjacent_difference_implIS3_Lb1ELb0EPfS7_N6thrust23THRUST_200600_302600_NS5minusIfEEEE10hipError_tPvRmT2_T3_mT4_P12ihipStream_tbEUlT_E_NS1_11comp_targetILNS1_3genE5ELNS1_11target_archE942ELNS1_3gpuE9ELNS1_3repE0EEENS1_30default_config_static_selectorELNS0_4arch9wavefront6targetE1EEEvT1_
                                        ; -- End function
	.set _ZN7rocprim17ROCPRIM_400000_NS6detail17trampoline_kernelINS0_14default_configENS1_35adjacent_difference_config_selectorILb1EfEEZNS1_24adjacent_difference_implIS3_Lb1ELb0EPfS7_N6thrust23THRUST_200600_302600_NS5minusIfEEEE10hipError_tPvRmT2_T3_mT4_P12ihipStream_tbEUlT_E_NS1_11comp_targetILNS1_3genE5ELNS1_11target_archE942ELNS1_3gpuE9ELNS1_3repE0EEENS1_30default_config_static_selectorELNS0_4arch9wavefront6targetE1EEEvT1_.num_vgpr, 0
	.set _ZN7rocprim17ROCPRIM_400000_NS6detail17trampoline_kernelINS0_14default_configENS1_35adjacent_difference_config_selectorILb1EfEEZNS1_24adjacent_difference_implIS3_Lb1ELb0EPfS7_N6thrust23THRUST_200600_302600_NS5minusIfEEEE10hipError_tPvRmT2_T3_mT4_P12ihipStream_tbEUlT_E_NS1_11comp_targetILNS1_3genE5ELNS1_11target_archE942ELNS1_3gpuE9ELNS1_3repE0EEENS1_30default_config_static_selectorELNS0_4arch9wavefront6targetE1EEEvT1_.num_agpr, 0
	.set _ZN7rocprim17ROCPRIM_400000_NS6detail17trampoline_kernelINS0_14default_configENS1_35adjacent_difference_config_selectorILb1EfEEZNS1_24adjacent_difference_implIS3_Lb1ELb0EPfS7_N6thrust23THRUST_200600_302600_NS5minusIfEEEE10hipError_tPvRmT2_T3_mT4_P12ihipStream_tbEUlT_E_NS1_11comp_targetILNS1_3genE5ELNS1_11target_archE942ELNS1_3gpuE9ELNS1_3repE0EEENS1_30default_config_static_selectorELNS0_4arch9wavefront6targetE1EEEvT1_.numbered_sgpr, 0
	.set _ZN7rocprim17ROCPRIM_400000_NS6detail17trampoline_kernelINS0_14default_configENS1_35adjacent_difference_config_selectorILb1EfEEZNS1_24adjacent_difference_implIS3_Lb1ELb0EPfS7_N6thrust23THRUST_200600_302600_NS5minusIfEEEE10hipError_tPvRmT2_T3_mT4_P12ihipStream_tbEUlT_E_NS1_11comp_targetILNS1_3genE5ELNS1_11target_archE942ELNS1_3gpuE9ELNS1_3repE0EEENS1_30default_config_static_selectorELNS0_4arch9wavefront6targetE1EEEvT1_.num_named_barrier, 0
	.set _ZN7rocprim17ROCPRIM_400000_NS6detail17trampoline_kernelINS0_14default_configENS1_35adjacent_difference_config_selectorILb1EfEEZNS1_24adjacent_difference_implIS3_Lb1ELb0EPfS7_N6thrust23THRUST_200600_302600_NS5minusIfEEEE10hipError_tPvRmT2_T3_mT4_P12ihipStream_tbEUlT_E_NS1_11comp_targetILNS1_3genE5ELNS1_11target_archE942ELNS1_3gpuE9ELNS1_3repE0EEENS1_30default_config_static_selectorELNS0_4arch9wavefront6targetE1EEEvT1_.private_seg_size, 0
	.set _ZN7rocprim17ROCPRIM_400000_NS6detail17trampoline_kernelINS0_14default_configENS1_35adjacent_difference_config_selectorILb1EfEEZNS1_24adjacent_difference_implIS3_Lb1ELb0EPfS7_N6thrust23THRUST_200600_302600_NS5minusIfEEEE10hipError_tPvRmT2_T3_mT4_P12ihipStream_tbEUlT_E_NS1_11comp_targetILNS1_3genE5ELNS1_11target_archE942ELNS1_3gpuE9ELNS1_3repE0EEENS1_30default_config_static_selectorELNS0_4arch9wavefront6targetE1EEEvT1_.uses_vcc, 0
	.set _ZN7rocprim17ROCPRIM_400000_NS6detail17trampoline_kernelINS0_14default_configENS1_35adjacent_difference_config_selectorILb1EfEEZNS1_24adjacent_difference_implIS3_Lb1ELb0EPfS7_N6thrust23THRUST_200600_302600_NS5minusIfEEEE10hipError_tPvRmT2_T3_mT4_P12ihipStream_tbEUlT_E_NS1_11comp_targetILNS1_3genE5ELNS1_11target_archE942ELNS1_3gpuE9ELNS1_3repE0EEENS1_30default_config_static_selectorELNS0_4arch9wavefront6targetE1EEEvT1_.uses_flat_scratch, 0
	.set _ZN7rocprim17ROCPRIM_400000_NS6detail17trampoline_kernelINS0_14default_configENS1_35adjacent_difference_config_selectorILb1EfEEZNS1_24adjacent_difference_implIS3_Lb1ELb0EPfS7_N6thrust23THRUST_200600_302600_NS5minusIfEEEE10hipError_tPvRmT2_T3_mT4_P12ihipStream_tbEUlT_E_NS1_11comp_targetILNS1_3genE5ELNS1_11target_archE942ELNS1_3gpuE9ELNS1_3repE0EEENS1_30default_config_static_selectorELNS0_4arch9wavefront6targetE1EEEvT1_.has_dyn_sized_stack, 0
	.set _ZN7rocprim17ROCPRIM_400000_NS6detail17trampoline_kernelINS0_14default_configENS1_35adjacent_difference_config_selectorILb1EfEEZNS1_24adjacent_difference_implIS3_Lb1ELb0EPfS7_N6thrust23THRUST_200600_302600_NS5minusIfEEEE10hipError_tPvRmT2_T3_mT4_P12ihipStream_tbEUlT_E_NS1_11comp_targetILNS1_3genE5ELNS1_11target_archE942ELNS1_3gpuE9ELNS1_3repE0EEENS1_30default_config_static_selectorELNS0_4arch9wavefront6targetE1EEEvT1_.has_recursion, 0
	.set _ZN7rocprim17ROCPRIM_400000_NS6detail17trampoline_kernelINS0_14default_configENS1_35adjacent_difference_config_selectorILb1EfEEZNS1_24adjacent_difference_implIS3_Lb1ELb0EPfS7_N6thrust23THRUST_200600_302600_NS5minusIfEEEE10hipError_tPvRmT2_T3_mT4_P12ihipStream_tbEUlT_E_NS1_11comp_targetILNS1_3genE5ELNS1_11target_archE942ELNS1_3gpuE9ELNS1_3repE0EEENS1_30default_config_static_selectorELNS0_4arch9wavefront6targetE1EEEvT1_.has_indirect_call, 0
	.section	.AMDGPU.csdata,"",@progbits
; Kernel info:
; codeLenInByte = 0
; TotalNumSgprs: 4
; NumVgprs: 0
; ScratchSize: 0
; MemoryBound: 0
; FloatMode: 240
; IeeeMode: 1
; LDSByteSize: 0 bytes/workgroup (compile time only)
; SGPRBlocks: 0
; VGPRBlocks: 0
; NumSGPRsForWavesPerEU: 4
; NumVGPRsForWavesPerEU: 1
; Occupancy: 10
; WaveLimiterHint : 0
; COMPUTE_PGM_RSRC2:SCRATCH_EN: 0
; COMPUTE_PGM_RSRC2:USER_SGPR: 6
; COMPUTE_PGM_RSRC2:TRAP_HANDLER: 0
; COMPUTE_PGM_RSRC2:TGID_X_EN: 1
; COMPUTE_PGM_RSRC2:TGID_Y_EN: 0
; COMPUTE_PGM_RSRC2:TGID_Z_EN: 0
; COMPUTE_PGM_RSRC2:TIDIG_COMP_CNT: 0
	.section	.text._ZN7rocprim17ROCPRIM_400000_NS6detail17trampoline_kernelINS0_14default_configENS1_35adjacent_difference_config_selectorILb1EfEEZNS1_24adjacent_difference_implIS3_Lb1ELb0EPfS7_N6thrust23THRUST_200600_302600_NS5minusIfEEEE10hipError_tPvRmT2_T3_mT4_P12ihipStream_tbEUlT_E_NS1_11comp_targetILNS1_3genE4ELNS1_11target_archE910ELNS1_3gpuE8ELNS1_3repE0EEENS1_30default_config_static_selectorELNS0_4arch9wavefront6targetE1EEEvT1_,"axG",@progbits,_ZN7rocprim17ROCPRIM_400000_NS6detail17trampoline_kernelINS0_14default_configENS1_35adjacent_difference_config_selectorILb1EfEEZNS1_24adjacent_difference_implIS3_Lb1ELb0EPfS7_N6thrust23THRUST_200600_302600_NS5minusIfEEEE10hipError_tPvRmT2_T3_mT4_P12ihipStream_tbEUlT_E_NS1_11comp_targetILNS1_3genE4ELNS1_11target_archE910ELNS1_3gpuE8ELNS1_3repE0EEENS1_30default_config_static_selectorELNS0_4arch9wavefront6targetE1EEEvT1_,comdat
	.protected	_ZN7rocprim17ROCPRIM_400000_NS6detail17trampoline_kernelINS0_14default_configENS1_35adjacent_difference_config_selectorILb1EfEEZNS1_24adjacent_difference_implIS3_Lb1ELb0EPfS7_N6thrust23THRUST_200600_302600_NS5minusIfEEEE10hipError_tPvRmT2_T3_mT4_P12ihipStream_tbEUlT_E_NS1_11comp_targetILNS1_3genE4ELNS1_11target_archE910ELNS1_3gpuE8ELNS1_3repE0EEENS1_30default_config_static_selectorELNS0_4arch9wavefront6targetE1EEEvT1_ ; -- Begin function _ZN7rocprim17ROCPRIM_400000_NS6detail17trampoline_kernelINS0_14default_configENS1_35adjacent_difference_config_selectorILb1EfEEZNS1_24adjacent_difference_implIS3_Lb1ELb0EPfS7_N6thrust23THRUST_200600_302600_NS5minusIfEEEE10hipError_tPvRmT2_T3_mT4_P12ihipStream_tbEUlT_E_NS1_11comp_targetILNS1_3genE4ELNS1_11target_archE910ELNS1_3gpuE8ELNS1_3repE0EEENS1_30default_config_static_selectorELNS0_4arch9wavefront6targetE1EEEvT1_
	.globl	_ZN7rocprim17ROCPRIM_400000_NS6detail17trampoline_kernelINS0_14default_configENS1_35adjacent_difference_config_selectorILb1EfEEZNS1_24adjacent_difference_implIS3_Lb1ELb0EPfS7_N6thrust23THRUST_200600_302600_NS5minusIfEEEE10hipError_tPvRmT2_T3_mT4_P12ihipStream_tbEUlT_E_NS1_11comp_targetILNS1_3genE4ELNS1_11target_archE910ELNS1_3gpuE8ELNS1_3repE0EEENS1_30default_config_static_selectorELNS0_4arch9wavefront6targetE1EEEvT1_
	.p2align	8
	.type	_ZN7rocprim17ROCPRIM_400000_NS6detail17trampoline_kernelINS0_14default_configENS1_35adjacent_difference_config_selectorILb1EfEEZNS1_24adjacent_difference_implIS3_Lb1ELb0EPfS7_N6thrust23THRUST_200600_302600_NS5minusIfEEEE10hipError_tPvRmT2_T3_mT4_P12ihipStream_tbEUlT_E_NS1_11comp_targetILNS1_3genE4ELNS1_11target_archE910ELNS1_3gpuE8ELNS1_3repE0EEENS1_30default_config_static_selectorELNS0_4arch9wavefront6targetE1EEEvT1_,@function
_ZN7rocprim17ROCPRIM_400000_NS6detail17trampoline_kernelINS0_14default_configENS1_35adjacent_difference_config_selectorILb1EfEEZNS1_24adjacent_difference_implIS3_Lb1ELb0EPfS7_N6thrust23THRUST_200600_302600_NS5minusIfEEEE10hipError_tPvRmT2_T3_mT4_P12ihipStream_tbEUlT_E_NS1_11comp_targetILNS1_3genE4ELNS1_11target_archE910ELNS1_3gpuE8ELNS1_3repE0EEENS1_30default_config_static_selectorELNS0_4arch9wavefront6targetE1EEEvT1_: ; @_ZN7rocprim17ROCPRIM_400000_NS6detail17trampoline_kernelINS0_14default_configENS1_35adjacent_difference_config_selectorILb1EfEEZNS1_24adjacent_difference_implIS3_Lb1ELb0EPfS7_N6thrust23THRUST_200600_302600_NS5minusIfEEEE10hipError_tPvRmT2_T3_mT4_P12ihipStream_tbEUlT_E_NS1_11comp_targetILNS1_3genE4ELNS1_11target_archE910ELNS1_3gpuE8ELNS1_3repE0EEENS1_30default_config_static_selectorELNS0_4arch9wavefront6targetE1EEEvT1_
; %bb.0:
	.section	.rodata,"a",@progbits
	.p2align	6, 0x0
	.amdhsa_kernel _ZN7rocprim17ROCPRIM_400000_NS6detail17trampoline_kernelINS0_14default_configENS1_35adjacent_difference_config_selectorILb1EfEEZNS1_24adjacent_difference_implIS3_Lb1ELb0EPfS7_N6thrust23THRUST_200600_302600_NS5minusIfEEEE10hipError_tPvRmT2_T3_mT4_P12ihipStream_tbEUlT_E_NS1_11comp_targetILNS1_3genE4ELNS1_11target_archE910ELNS1_3gpuE8ELNS1_3repE0EEENS1_30default_config_static_selectorELNS0_4arch9wavefront6targetE1EEEvT1_
		.amdhsa_group_segment_fixed_size 0
		.amdhsa_private_segment_fixed_size 0
		.amdhsa_kernarg_size 56
		.amdhsa_user_sgpr_count 6
		.amdhsa_user_sgpr_private_segment_buffer 1
		.amdhsa_user_sgpr_dispatch_ptr 0
		.amdhsa_user_sgpr_queue_ptr 0
		.amdhsa_user_sgpr_kernarg_segment_ptr 1
		.amdhsa_user_sgpr_dispatch_id 0
		.amdhsa_user_sgpr_flat_scratch_init 0
		.amdhsa_user_sgpr_private_segment_size 0
		.amdhsa_uses_dynamic_stack 0
		.amdhsa_system_sgpr_private_segment_wavefront_offset 0
		.amdhsa_system_sgpr_workgroup_id_x 1
		.amdhsa_system_sgpr_workgroup_id_y 0
		.amdhsa_system_sgpr_workgroup_id_z 0
		.amdhsa_system_sgpr_workgroup_info 0
		.amdhsa_system_vgpr_workitem_id 0
		.amdhsa_next_free_vgpr 1
		.amdhsa_next_free_sgpr 0
		.amdhsa_reserve_vcc 0
		.amdhsa_reserve_flat_scratch 0
		.amdhsa_float_round_mode_32 0
		.amdhsa_float_round_mode_16_64 0
		.amdhsa_float_denorm_mode_32 3
		.amdhsa_float_denorm_mode_16_64 3
		.amdhsa_dx10_clamp 1
		.amdhsa_ieee_mode 1
		.amdhsa_fp16_overflow 0
		.amdhsa_exception_fp_ieee_invalid_op 0
		.amdhsa_exception_fp_denorm_src 0
		.amdhsa_exception_fp_ieee_div_zero 0
		.amdhsa_exception_fp_ieee_overflow 0
		.amdhsa_exception_fp_ieee_underflow 0
		.amdhsa_exception_fp_ieee_inexact 0
		.amdhsa_exception_int_div_zero 0
	.end_amdhsa_kernel
	.section	.text._ZN7rocprim17ROCPRIM_400000_NS6detail17trampoline_kernelINS0_14default_configENS1_35adjacent_difference_config_selectorILb1EfEEZNS1_24adjacent_difference_implIS3_Lb1ELb0EPfS7_N6thrust23THRUST_200600_302600_NS5minusIfEEEE10hipError_tPvRmT2_T3_mT4_P12ihipStream_tbEUlT_E_NS1_11comp_targetILNS1_3genE4ELNS1_11target_archE910ELNS1_3gpuE8ELNS1_3repE0EEENS1_30default_config_static_selectorELNS0_4arch9wavefront6targetE1EEEvT1_,"axG",@progbits,_ZN7rocprim17ROCPRIM_400000_NS6detail17trampoline_kernelINS0_14default_configENS1_35adjacent_difference_config_selectorILb1EfEEZNS1_24adjacent_difference_implIS3_Lb1ELb0EPfS7_N6thrust23THRUST_200600_302600_NS5minusIfEEEE10hipError_tPvRmT2_T3_mT4_P12ihipStream_tbEUlT_E_NS1_11comp_targetILNS1_3genE4ELNS1_11target_archE910ELNS1_3gpuE8ELNS1_3repE0EEENS1_30default_config_static_selectorELNS0_4arch9wavefront6targetE1EEEvT1_,comdat
.Lfunc_end73:
	.size	_ZN7rocprim17ROCPRIM_400000_NS6detail17trampoline_kernelINS0_14default_configENS1_35adjacent_difference_config_selectorILb1EfEEZNS1_24adjacent_difference_implIS3_Lb1ELb0EPfS7_N6thrust23THRUST_200600_302600_NS5minusIfEEEE10hipError_tPvRmT2_T3_mT4_P12ihipStream_tbEUlT_E_NS1_11comp_targetILNS1_3genE4ELNS1_11target_archE910ELNS1_3gpuE8ELNS1_3repE0EEENS1_30default_config_static_selectorELNS0_4arch9wavefront6targetE1EEEvT1_, .Lfunc_end73-_ZN7rocprim17ROCPRIM_400000_NS6detail17trampoline_kernelINS0_14default_configENS1_35adjacent_difference_config_selectorILb1EfEEZNS1_24adjacent_difference_implIS3_Lb1ELb0EPfS7_N6thrust23THRUST_200600_302600_NS5minusIfEEEE10hipError_tPvRmT2_T3_mT4_P12ihipStream_tbEUlT_E_NS1_11comp_targetILNS1_3genE4ELNS1_11target_archE910ELNS1_3gpuE8ELNS1_3repE0EEENS1_30default_config_static_selectorELNS0_4arch9wavefront6targetE1EEEvT1_
                                        ; -- End function
	.set _ZN7rocprim17ROCPRIM_400000_NS6detail17trampoline_kernelINS0_14default_configENS1_35adjacent_difference_config_selectorILb1EfEEZNS1_24adjacent_difference_implIS3_Lb1ELb0EPfS7_N6thrust23THRUST_200600_302600_NS5minusIfEEEE10hipError_tPvRmT2_T3_mT4_P12ihipStream_tbEUlT_E_NS1_11comp_targetILNS1_3genE4ELNS1_11target_archE910ELNS1_3gpuE8ELNS1_3repE0EEENS1_30default_config_static_selectorELNS0_4arch9wavefront6targetE1EEEvT1_.num_vgpr, 0
	.set _ZN7rocprim17ROCPRIM_400000_NS6detail17trampoline_kernelINS0_14default_configENS1_35adjacent_difference_config_selectorILb1EfEEZNS1_24adjacent_difference_implIS3_Lb1ELb0EPfS7_N6thrust23THRUST_200600_302600_NS5minusIfEEEE10hipError_tPvRmT2_T3_mT4_P12ihipStream_tbEUlT_E_NS1_11comp_targetILNS1_3genE4ELNS1_11target_archE910ELNS1_3gpuE8ELNS1_3repE0EEENS1_30default_config_static_selectorELNS0_4arch9wavefront6targetE1EEEvT1_.num_agpr, 0
	.set _ZN7rocprim17ROCPRIM_400000_NS6detail17trampoline_kernelINS0_14default_configENS1_35adjacent_difference_config_selectorILb1EfEEZNS1_24adjacent_difference_implIS3_Lb1ELb0EPfS7_N6thrust23THRUST_200600_302600_NS5minusIfEEEE10hipError_tPvRmT2_T3_mT4_P12ihipStream_tbEUlT_E_NS1_11comp_targetILNS1_3genE4ELNS1_11target_archE910ELNS1_3gpuE8ELNS1_3repE0EEENS1_30default_config_static_selectorELNS0_4arch9wavefront6targetE1EEEvT1_.numbered_sgpr, 0
	.set _ZN7rocprim17ROCPRIM_400000_NS6detail17trampoline_kernelINS0_14default_configENS1_35adjacent_difference_config_selectorILb1EfEEZNS1_24adjacent_difference_implIS3_Lb1ELb0EPfS7_N6thrust23THRUST_200600_302600_NS5minusIfEEEE10hipError_tPvRmT2_T3_mT4_P12ihipStream_tbEUlT_E_NS1_11comp_targetILNS1_3genE4ELNS1_11target_archE910ELNS1_3gpuE8ELNS1_3repE0EEENS1_30default_config_static_selectorELNS0_4arch9wavefront6targetE1EEEvT1_.num_named_barrier, 0
	.set _ZN7rocprim17ROCPRIM_400000_NS6detail17trampoline_kernelINS0_14default_configENS1_35adjacent_difference_config_selectorILb1EfEEZNS1_24adjacent_difference_implIS3_Lb1ELb0EPfS7_N6thrust23THRUST_200600_302600_NS5minusIfEEEE10hipError_tPvRmT2_T3_mT4_P12ihipStream_tbEUlT_E_NS1_11comp_targetILNS1_3genE4ELNS1_11target_archE910ELNS1_3gpuE8ELNS1_3repE0EEENS1_30default_config_static_selectorELNS0_4arch9wavefront6targetE1EEEvT1_.private_seg_size, 0
	.set _ZN7rocprim17ROCPRIM_400000_NS6detail17trampoline_kernelINS0_14default_configENS1_35adjacent_difference_config_selectorILb1EfEEZNS1_24adjacent_difference_implIS3_Lb1ELb0EPfS7_N6thrust23THRUST_200600_302600_NS5minusIfEEEE10hipError_tPvRmT2_T3_mT4_P12ihipStream_tbEUlT_E_NS1_11comp_targetILNS1_3genE4ELNS1_11target_archE910ELNS1_3gpuE8ELNS1_3repE0EEENS1_30default_config_static_selectorELNS0_4arch9wavefront6targetE1EEEvT1_.uses_vcc, 0
	.set _ZN7rocprim17ROCPRIM_400000_NS6detail17trampoline_kernelINS0_14default_configENS1_35adjacent_difference_config_selectorILb1EfEEZNS1_24adjacent_difference_implIS3_Lb1ELb0EPfS7_N6thrust23THRUST_200600_302600_NS5minusIfEEEE10hipError_tPvRmT2_T3_mT4_P12ihipStream_tbEUlT_E_NS1_11comp_targetILNS1_3genE4ELNS1_11target_archE910ELNS1_3gpuE8ELNS1_3repE0EEENS1_30default_config_static_selectorELNS0_4arch9wavefront6targetE1EEEvT1_.uses_flat_scratch, 0
	.set _ZN7rocprim17ROCPRIM_400000_NS6detail17trampoline_kernelINS0_14default_configENS1_35adjacent_difference_config_selectorILb1EfEEZNS1_24adjacent_difference_implIS3_Lb1ELb0EPfS7_N6thrust23THRUST_200600_302600_NS5minusIfEEEE10hipError_tPvRmT2_T3_mT4_P12ihipStream_tbEUlT_E_NS1_11comp_targetILNS1_3genE4ELNS1_11target_archE910ELNS1_3gpuE8ELNS1_3repE0EEENS1_30default_config_static_selectorELNS0_4arch9wavefront6targetE1EEEvT1_.has_dyn_sized_stack, 0
	.set _ZN7rocprim17ROCPRIM_400000_NS6detail17trampoline_kernelINS0_14default_configENS1_35adjacent_difference_config_selectorILb1EfEEZNS1_24adjacent_difference_implIS3_Lb1ELb0EPfS7_N6thrust23THRUST_200600_302600_NS5minusIfEEEE10hipError_tPvRmT2_T3_mT4_P12ihipStream_tbEUlT_E_NS1_11comp_targetILNS1_3genE4ELNS1_11target_archE910ELNS1_3gpuE8ELNS1_3repE0EEENS1_30default_config_static_selectorELNS0_4arch9wavefront6targetE1EEEvT1_.has_recursion, 0
	.set _ZN7rocprim17ROCPRIM_400000_NS6detail17trampoline_kernelINS0_14default_configENS1_35adjacent_difference_config_selectorILb1EfEEZNS1_24adjacent_difference_implIS3_Lb1ELb0EPfS7_N6thrust23THRUST_200600_302600_NS5minusIfEEEE10hipError_tPvRmT2_T3_mT4_P12ihipStream_tbEUlT_E_NS1_11comp_targetILNS1_3genE4ELNS1_11target_archE910ELNS1_3gpuE8ELNS1_3repE0EEENS1_30default_config_static_selectorELNS0_4arch9wavefront6targetE1EEEvT1_.has_indirect_call, 0
	.section	.AMDGPU.csdata,"",@progbits
; Kernel info:
; codeLenInByte = 0
; TotalNumSgprs: 4
; NumVgprs: 0
; ScratchSize: 0
; MemoryBound: 0
; FloatMode: 240
; IeeeMode: 1
; LDSByteSize: 0 bytes/workgroup (compile time only)
; SGPRBlocks: 0
; VGPRBlocks: 0
; NumSGPRsForWavesPerEU: 4
; NumVGPRsForWavesPerEU: 1
; Occupancy: 10
; WaveLimiterHint : 0
; COMPUTE_PGM_RSRC2:SCRATCH_EN: 0
; COMPUTE_PGM_RSRC2:USER_SGPR: 6
; COMPUTE_PGM_RSRC2:TRAP_HANDLER: 0
; COMPUTE_PGM_RSRC2:TGID_X_EN: 1
; COMPUTE_PGM_RSRC2:TGID_Y_EN: 0
; COMPUTE_PGM_RSRC2:TGID_Z_EN: 0
; COMPUTE_PGM_RSRC2:TIDIG_COMP_CNT: 0
	.section	.text._ZN7rocprim17ROCPRIM_400000_NS6detail17trampoline_kernelINS0_14default_configENS1_35adjacent_difference_config_selectorILb1EfEEZNS1_24adjacent_difference_implIS3_Lb1ELb0EPfS7_N6thrust23THRUST_200600_302600_NS5minusIfEEEE10hipError_tPvRmT2_T3_mT4_P12ihipStream_tbEUlT_E_NS1_11comp_targetILNS1_3genE3ELNS1_11target_archE908ELNS1_3gpuE7ELNS1_3repE0EEENS1_30default_config_static_selectorELNS0_4arch9wavefront6targetE1EEEvT1_,"axG",@progbits,_ZN7rocprim17ROCPRIM_400000_NS6detail17trampoline_kernelINS0_14default_configENS1_35adjacent_difference_config_selectorILb1EfEEZNS1_24adjacent_difference_implIS3_Lb1ELb0EPfS7_N6thrust23THRUST_200600_302600_NS5minusIfEEEE10hipError_tPvRmT2_T3_mT4_P12ihipStream_tbEUlT_E_NS1_11comp_targetILNS1_3genE3ELNS1_11target_archE908ELNS1_3gpuE7ELNS1_3repE0EEENS1_30default_config_static_selectorELNS0_4arch9wavefront6targetE1EEEvT1_,comdat
	.protected	_ZN7rocprim17ROCPRIM_400000_NS6detail17trampoline_kernelINS0_14default_configENS1_35adjacent_difference_config_selectorILb1EfEEZNS1_24adjacent_difference_implIS3_Lb1ELb0EPfS7_N6thrust23THRUST_200600_302600_NS5minusIfEEEE10hipError_tPvRmT2_T3_mT4_P12ihipStream_tbEUlT_E_NS1_11comp_targetILNS1_3genE3ELNS1_11target_archE908ELNS1_3gpuE7ELNS1_3repE0EEENS1_30default_config_static_selectorELNS0_4arch9wavefront6targetE1EEEvT1_ ; -- Begin function _ZN7rocprim17ROCPRIM_400000_NS6detail17trampoline_kernelINS0_14default_configENS1_35adjacent_difference_config_selectorILb1EfEEZNS1_24adjacent_difference_implIS3_Lb1ELb0EPfS7_N6thrust23THRUST_200600_302600_NS5minusIfEEEE10hipError_tPvRmT2_T3_mT4_P12ihipStream_tbEUlT_E_NS1_11comp_targetILNS1_3genE3ELNS1_11target_archE908ELNS1_3gpuE7ELNS1_3repE0EEENS1_30default_config_static_selectorELNS0_4arch9wavefront6targetE1EEEvT1_
	.globl	_ZN7rocprim17ROCPRIM_400000_NS6detail17trampoline_kernelINS0_14default_configENS1_35adjacent_difference_config_selectorILb1EfEEZNS1_24adjacent_difference_implIS3_Lb1ELb0EPfS7_N6thrust23THRUST_200600_302600_NS5minusIfEEEE10hipError_tPvRmT2_T3_mT4_P12ihipStream_tbEUlT_E_NS1_11comp_targetILNS1_3genE3ELNS1_11target_archE908ELNS1_3gpuE7ELNS1_3repE0EEENS1_30default_config_static_selectorELNS0_4arch9wavefront6targetE1EEEvT1_
	.p2align	8
	.type	_ZN7rocprim17ROCPRIM_400000_NS6detail17trampoline_kernelINS0_14default_configENS1_35adjacent_difference_config_selectorILb1EfEEZNS1_24adjacent_difference_implIS3_Lb1ELb0EPfS7_N6thrust23THRUST_200600_302600_NS5minusIfEEEE10hipError_tPvRmT2_T3_mT4_P12ihipStream_tbEUlT_E_NS1_11comp_targetILNS1_3genE3ELNS1_11target_archE908ELNS1_3gpuE7ELNS1_3repE0EEENS1_30default_config_static_selectorELNS0_4arch9wavefront6targetE1EEEvT1_,@function
_ZN7rocprim17ROCPRIM_400000_NS6detail17trampoline_kernelINS0_14default_configENS1_35adjacent_difference_config_selectorILb1EfEEZNS1_24adjacent_difference_implIS3_Lb1ELb0EPfS7_N6thrust23THRUST_200600_302600_NS5minusIfEEEE10hipError_tPvRmT2_T3_mT4_P12ihipStream_tbEUlT_E_NS1_11comp_targetILNS1_3genE3ELNS1_11target_archE908ELNS1_3gpuE7ELNS1_3repE0EEENS1_30default_config_static_selectorELNS0_4arch9wavefront6targetE1EEEvT1_: ; @_ZN7rocprim17ROCPRIM_400000_NS6detail17trampoline_kernelINS0_14default_configENS1_35adjacent_difference_config_selectorILb1EfEEZNS1_24adjacent_difference_implIS3_Lb1ELb0EPfS7_N6thrust23THRUST_200600_302600_NS5minusIfEEEE10hipError_tPvRmT2_T3_mT4_P12ihipStream_tbEUlT_E_NS1_11comp_targetILNS1_3genE3ELNS1_11target_archE908ELNS1_3gpuE7ELNS1_3repE0EEENS1_30default_config_static_selectorELNS0_4arch9wavefront6targetE1EEEvT1_
; %bb.0:
	.section	.rodata,"a",@progbits
	.p2align	6, 0x0
	.amdhsa_kernel _ZN7rocprim17ROCPRIM_400000_NS6detail17trampoline_kernelINS0_14default_configENS1_35adjacent_difference_config_selectorILb1EfEEZNS1_24adjacent_difference_implIS3_Lb1ELb0EPfS7_N6thrust23THRUST_200600_302600_NS5minusIfEEEE10hipError_tPvRmT2_T3_mT4_P12ihipStream_tbEUlT_E_NS1_11comp_targetILNS1_3genE3ELNS1_11target_archE908ELNS1_3gpuE7ELNS1_3repE0EEENS1_30default_config_static_selectorELNS0_4arch9wavefront6targetE1EEEvT1_
		.amdhsa_group_segment_fixed_size 0
		.amdhsa_private_segment_fixed_size 0
		.amdhsa_kernarg_size 56
		.amdhsa_user_sgpr_count 6
		.amdhsa_user_sgpr_private_segment_buffer 1
		.amdhsa_user_sgpr_dispatch_ptr 0
		.amdhsa_user_sgpr_queue_ptr 0
		.amdhsa_user_sgpr_kernarg_segment_ptr 1
		.amdhsa_user_sgpr_dispatch_id 0
		.amdhsa_user_sgpr_flat_scratch_init 0
		.amdhsa_user_sgpr_private_segment_size 0
		.amdhsa_uses_dynamic_stack 0
		.amdhsa_system_sgpr_private_segment_wavefront_offset 0
		.amdhsa_system_sgpr_workgroup_id_x 1
		.amdhsa_system_sgpr_workgroup_id_y 0
		.amdhsa_system_sgpr_workgroup_id_z 0
		.amdhsa_system_sgpr_workgroup_info 0
		.amdhsa_system_vgpr_workitem_id 0
		.amdhsa_next_free_vgpr 1
		.amdhsa_next_free_sgpr 0
		.amdhsa_reserve_vcc 0
		.amdhsa_reserve_flat_scratch 0
		.amdhsa_float_round_mode_32 0
		.amdhsa_float_round_mode_16_64 0
		.amdhsa_float_denorm_mode_32 3
		.amdhsa_float_denorm_mode_16_64 3
		.amdhsa_dx10_clamp 1
		.amdhsa_ieee_mode 1
		.amdhsa_fp16_overflow 0
		.amdhsa_exception_fp_ieee_invalid_op 0
		.amdhsa_exception_fp_denorm_src 0
		.amdhsa_exception_fp_ieee_div_zero 0
		.amdhsa_exception_fp_ieee_overflow 0
		.amdhsa_exception_fp_ieee_underflow 0
		.amdhsa_exception_fp_ieee_inexact 0
		.amdhsa_exception_int_div_zero 0
	.end_amdhsa_kernel
	.section	.text._ZN7rocprim17ROCPRIM_400000_NS6detail17trampoline_kernelINS0_14default_configENS1_35adjacent_difference_config_selectorILb1EfEEZNS1_24adjacent_difference_implIS3_Lb1ELb0EPfS7_N6thrust23THRUST_200600_302600_NS5minusIfEEEE10hipError_tPvRmT2_T3_mT4_P12ihipStream_tbEUlT_E_NS1_11comp_targetILNS1_3genE3ELNS1_11target_archE908ELNS1_3gpuE7ELNS1_3repE0EEENS1_30default_config_static_selectorELNS0_4arch9wavefront6targetE1EEEvT1_,"axG",@progbits,_ZN7rocprim17ROCPRIM_400000_NS6detail17trampoline_kernelINS0_14default_configENS1_35adjacent_difference_config_selectorILb1EfEEZNS1_24adjacent_difference_implIS3_Lb1ELb0EPfS7_N6thrust23THRUST_200600_302600_NS5minusIfEEEE10hipError_tPvRmT2_T3_mT4_P12ihipStream_tbEUlT_E_NS1_11comp_targetILNS1_3genE3ELNS1_11target_archE908ELNS1_3gpuE7ELNS1_3repE0EEENS1_30default_config_static_selectorELNS0_4arch9wavefront6targetE1EEEvT1_,comdat
.Lfunc_end74:
	.size	_ZN7rocprim17ROCPRIM_400000_NS6detail17trampoline_kernelINS0_14default_configENS1_35adjacent_difference_config_selectorILb1EfEEZNS1_24adjacent_difference_implIS3_Lb1ELb0EPfS7_N6thrust23THRUST_200600_302600_NS5minusIfEEEE10hipError_tPvRmT2_T3_mT4_P12ihipStream_tbEUlT_E_NS1_11comp_targetILNS1_3genE3ELNS1_11target_archE908ELNS1_3gpuE7ELNS1_3repE0EEENS1_30default_config_static_selectorELNS0_4arch9wavefront6targetE1EEEvT1_, .Lfunc_end74-_ZN7rocprim17ROCPRIM_400000_NS6detail17trampoline_kernelINS0_14default_configENS1_35adjacent_difference_config_selectorILb1EfEEZNS1_24adjacent_difference_implIS3_Lb1ELb0EPfS7_N6thrust23THRUST_200600_302600_NS5minusIfEEEE10hipError_tPvRmT2_T3_mT4_P12ihipStream_tbEUlT_E_NS1_11comp_targetILNS1_3genE3ELNS1_11target_archE908ELNS1_3gpuE7ELNS1_3repE0EEENS1_30default_config_static_selectorELNS0_4arch9wavefront6targetE1EEEvT1_
                                        ; -- End function
	.set _ZN7rocprim17ROCPRIM_400000_NS6detail17trampoline_kernelINS0_14default_configENS1_35adjacent_difference_config_selectorILb1EfEEZNS1_24adjacent_difference_implIS3_Lb1ELb0EPfS7_N6thrust23THRUST_200600_302600_NS5minusIfEEEE10hipError_tPvRmT2_T3_mT4_P12ihipStream_tbEUlT_E_NS1_11comp_targetILNS1_3genE3ELNS1_11target_archE908ELNS1_3gpuE7ELNS1_3repE0EEENS1_30default_config_static_selectorELNS0_4arch9wavefront6targetE1EEEvT1_.num_vgpr, 0
	.set _ZN7rocprim17ROCPRIM_400000_NS6detail17trampoline_kernelINS0_14default_configENS1_35adjacent_difference_config_selectorILb1EfEEZNS1_24adjacent_difference_implIS3_Lb1ELb0EPfS7_N6thrust23THRUST_200600_302600_NS5minusIfEEEE10hipError_tPvRmT2_T3_mT4_P12ihipStream_tbEUlT_E_NS1_11comp_targetILNS1_3genE3ELNS1_11target_archE908ELNS1_3gpuE7ELNS1_3repE0EEENS1_30default_config_static_selectorELNS0_4arch9wavefront6targetE1EEEvT1_.num_agpr, 0
	.set _ZN7rocprim17ROCPRIM_400000_NS6detail17trampoline_kernelINS0_14default_configENS1_35adjacent_difference_config_selectorILb1EfEEZNS1_24adjacent_difference_implIS3_Lb1ELb0EPfS7_N6thrust23THRUST_200600_302600_NS5minusIfEEEE10hipError_tPvRmT2_T3_mT4_P12ihipStream_tbEUlT_E_NS1_11comp_targetILNS1_3genE3ELNS1_11target_archE908ELNS1_3gpuE7ELNS1_3repE0EEENS1_30default_config_static_selectorELNS0_4arch9wavefront6targetE1EEEvT1_.numbered_sgpr, 0
	.set _ZN7rocprim17ROCPRIM_400000_NS6detail17trampoline_kernelINS0_14default_configENS1_35adjacent_difference_config_selectorILb1EfEEZNS1_24adjacent_difference_implIS3_Lb1ELb0EPfS7_N6thrust23THRUST_200600_302600_NS5minusIfEEEE10hipError_tPvRmT2_T3_mT4_P12ihipStream_tbEUlT_E_NS1_11comp_targetILNS1_3genE3ELNS1_11target_archE908ELNS1_3gpuE7ELNS1_3repE0EEENS1_30default_config_static_selectorELNS0_4arch9wavefront6targetE1EEEvT1_.num_named_barrier, 0
	.set _ZN7rocprim17ROCPRIM_400000_NS6detail17trampoline_kernelINS0_14default_configENS1_35adjacent_difference_config_selectorILb1EfEEZNS1_24adjacent_difference_implIS3_Lb1ELb0EPfS7_N6thrust23THRUST_200600_302600_NS5minusIfEEEE10hipError_tPvRmT2_T3_mT4_P12ihipStream_tbEUlT_E_NS1_11comp_targetILNS1_3genE3ELNS1_11target_archE908ELNS1_3gpuE7ELNS1_3repE0EEENS1_30default_config_static_selectorELNS0_4arch9wavefront6targetE1EEEvT1_.private_seg_size, 0
	.set _ZN7rocprim17ROCPRIM_400000_NS6detail17trampoline_kernelINS0_14default_configENS1_35adjacent_difference_config_selectorILb1EfEEZNS1_24adjacent_difference_implIS3_Lb1ELb0EPfS7_N6thrust23THRUST_200600_302600_NS5minusIfEEEE10hipError_tPvRmT2_T3_mT4_P12ihipStream_tbEUlT_E_NS1_11comp_targetILNS1_3genE3ELNS1_11target_archE908ELNS1_3gpuE7ELNS1_3repE0EEENS1_30default_config_static_selectorELNS0_4arch9wavefront6targetE1EEEvT1_.uses_vcc, 0
	.set _ZN7rocprim17ROCPRIM_400000_NS6detail17trampoline_kernelINS0_14default_configENS1_35adjacent_difference_config_selectorILb1EfEEZNS1_24adjacent_difference_implIS3_Lb1ELb0EPfS7_N6thrust23THRUST_200600_302600_NS5minusIfEEEE10hipError_tPvRmT2_T3_mT4_P12ihipStream_tbEUlT_E_NS1_11comp_targetILNS1_3genE3ELNS1_11target_archE908ELNS1_3gpuE7ELNS1_3repE0EEENS1_30default_config_static_selectorELNS0_4arch9wavefront6targetE1EEEvT1_.uses_flat_scratch, 0
	.set _ZN7rocprim17ROCPRIM_400000_NS6detail17trampoline_kernelINS0_14default_configENS1_35adjacent_difference_config_selectorILb1EfEEZNS1_24adjacent_difference_implIS3_Lb1ELb0EPfS7_N6thrust23THRUST_200600_302600_NS5minusIfEEEE10hipError_tPvRmT2_T3_mT4_P12ihipStream_tbEUlT_E_NS1_11comp_targetILNS1_3genE3ELNS1_11target_archE908ELNS1_3gpuE7ELNS1_3repE0EEENS1_30default_config_static_selectorELNS0_4arch9wavefront6targetE1EEEvT1_.has_dyn_sized_stack, 0
	.set _ZN7rocprim17ROCPRIM_400000_NS6detail17trampoline_kernelINS0_14default_configENS1_35adjacent_difference_config_selectorILb1EfEEZNS1_24adjacent_difference_implIS3_Lb1ELb0EPfS7_N6thrust23THRUST_200600_302600_NS5minusIfEEEE10hipError_tPvRmT2_T3_mT4_P12ihipStream_tbEUlT_E_NS1_11comp_targetILNS1_3genE3ELNS1_11target_archE908ELNS1_3gpuE7ELNS1_3repE0EEENS1_30default_config_static_selectorELNS0_4arch9wavefront6targetE1EEEvT1_.has_recursion, 0
	.set _ZN7rocprim17ROCPRIM_400000_NS6detail17trampoline_kernelINS0_14default_configENS1_35adjacent_difference_config_selectorILb1EfEEZNS1_24adjacent_difference_implIS3_Lb1ELb0EPfS7_N6thrust23THRUST_200600_302600_NS5minusIfEEEE10hipError_tPvRmT2_T3_mT4_P12ihipStream_tbEUlT_E_NS1_11comp_targetILNS1_3genE3ELNS1_11target_archE908ELNS1_3gpuE7ELNS1_3repE0EEENS1_30default_config_static_selectorELNS0_4arch9wavefront6targetE1EEEvT1_.has_indirect_call, 0
	.section	.AMDGPU.csdata,"",@progbits
; Kernel info:
; codeLenInByte = 0
; TotalNumSgprs: 4
; NumVgprs: 0
; ScratchSize: 0
; MemoryBound: 0
; FloatMode: 240
; IeeeMode: 1
; LDSByteSize: 0 bytes/workgroup (compile time only)
; SGPRBlocks: 0
; VGPRBlocks: 0
; NumSGPRsForWavesPerEU: 4
; NumVGPRsForWavesPerEU: 1
; Occupancy: 10
; WaveLimiterHint : 0
; COMPUTE_PGM_RSRC2:SCRATCH_EN: 0
; COMPUTE_PGM_RSRC2:USER_SGPR: 6
; COMPUTE_PGM_RSRC2:TRAP_HANDLER: 0
; COMPUTE_PGM_RSRC2:TGID_X_EN: 1
; COMPUTE_PGM_RSRC2:TGID_Y_EN: 0
; COMPUTE_PGM_RSRC2:TGID_Z_EN: 0
; COMPUTE_PGM_RSRC2:TIDIG_COMP_CNT: 0
	.section	.text._ZN7rocprim17ROCPRIM_400000_NS6detail17trampoline_kernelINS0_14default_configENS1_35adjacent_difference_config_selectorILb1EfEEZNS1_24adjacent_difference_implIS3_Lb1ELb0EPfS7_N6thrust23THRUST_200600_302600_NS5minusIfEEEE10hipError_tPvRmT2_T3_mT4_P12ihipStream_tbEUlT_E_NS1_11comp_targetILNS1_3genE2ELNS1_11target_archE906ELNS1_3gpuE6ELNS1_3repE0EEENS1_30default_config_static_selectorELNS0_4arch9wavefront6targetE1EEEvT1_,"axG",@progbits,_ZN7rocprim17ROCPRIM_400000_NS6detail17trampoline_kernelINS0_14default_configENS1_35adjacent_difference_config_selectorILb1EfEEZNS1_24adjacent_difference_implIS3_Lb1ELb0EPfS7_N6thrust23THRUST_200600_302600_NS5minusIfEEEE10hipError_tPvRmT2_T3_mT4_P12ihipStream_tbEUlT_E_NS1_11comp_targetILNS1_3genE2ELNS1_11target_archE906ELNS1_3gpuE6ELNS1_3repE0EEENS1_30default_config_static_selectorELNS0_4arch9wavefront6targetE1EEEvT1_,comdat
	.protected	_ZN7rocprim17ROCPRIM_400000_NS6detail17trampoline_kernelINS0_14default_configENS1_35adjacent_difference_config_selectorILb1EfEEZNS1_24adjacent_difference_implIS3_Lb1ELb0EPfS7_N6thrust23THRUST_200600_302600_NS5minusIfEEEE10hipError_tPvRmT2_T3_mT4_P12ihipStream_tbEUlT_E_NS1_11comp_targetILNS1_3genE2ELNS1_11target_archE906ELNS1_3gpuE6ELNS1_3repE0EEENS1_30default_config_static_selectorELNS0_4arch9wavefront6targetE1EEEvT1_ ; -- Begin function _ZN7rocprim17ROCPRIM_400000_NS6detail17trampoline_kernelINS0_14default_configENS1_35adjacent_difference_config_selectorILb1EfEEZNS1_24adjacent_difference_implIS3_Lb1ELb0EPfS7_N6thrust23THRUST_200600_302600_NS5minusIfEEEE10hipError_tPvRmT2_T3_mT4_P12ihipStream_tbEUlT_E_NS1_11comp_targetILNS1_3genE2ELNS1_11target_archE906ELNS1_3gpuE6ELNS1_3repE0EEENS1_30default_config_static_selectorELNS0_4arch9wavefront6targetE1EEEvT1_
	.globl	_ZN7rocprim17ROCPRIM_400000_NS6detail17trampoline_kernelINS0_14default_configENS1_35adjacent_difference_config_selectorILb1EfEEZNS1_24adjacent_difference_implIS3_Lb1ELb0EPfS7_N6thrust23THRUST_200600_302600_NS5minusIfEEEE10hipError_tPvRmT2_T3_mT4_P12ihipStream_tbEUlT_E_NS1_11comp_targetILNS1_3genE2ELNS1_11target_archE906ELNS1_3gpuE6ELNS1_3repE0EEENS1_30default_config_static_selectorELNS0_4arch9wavefront6targetE1EEEvT1_
	.p2align	8
	.type	_ZN7rocprim17ROCPRIM_400000_NS6detail17trampoline_kernelINS0_14default_configENS1_35adjacent_difference_config_selectorILb1EfEEZNS1_24adjacent_difference_implIS3_Lb1ELb0EPfS7_N6thrust23THRUST_200600_302600_NS5minusIfEEEE10hipError_tPvRmT2_T3_mT4_P12ihipStream_tbEUlT_E_NS1_11comp_targetILNS1_3genE2ELNS1_11target_archE906ELNS1_3gpuE6ELNS1_3repE0EEENS1_30default_config_static_selectorELNS0_4arch9wavefront6targetE1EEEvT1_,@function
_ZN7rocprim17ROCPRIM_400000_NS6detail17trampoline_kernelINS0_14default_configENS1_35adjacent_difference_config_selectorILb1EfEEZNS1_24adjacent_difference_implIS3_Lb1ELb0EPfS7_N6thrust23THRUST_200600_302600_NS5minusIfEEEE10hipError_tPvRmT2_T3_mT4_P12ihipStream_tbEUlT_E_NS1_11comp_targetILNS1_3genE2ELNS1_11target_archE906ELNS1_3gpuE6ELNS1_3repE0EEENS1_30default_config_static_selectorELNS0_4arch9wavefront6targetE1EEEvT1_: ; @_ZN7rocprim17ROCPRIM_400000_NS6detail17trampoline_kernelINS0_14default_configENS1_35adjacent_difference_config_selectorILb1EfEEZNS1_24adjacent_difference_implIS3_Lb1ELb0EPfS7_N6thrust23THRUST_200600_302600_NS5minusIfEEEE10hipError_tPvRmT2_T3_mT4_P12ihipStream_tbEUlT_E_NS1_11comp_targetILNS1_3genE2ELNS1_11target_archE906ELNS1_3gpuE6ELNS1_3repE0EEENS1_30default_config_static_selectorELNS0_4arch9wavefront6targetE1EEEvT1_
; %bb.0:
	s_load_dwordx8 s[20:27], s[4:5], 0x0
	s_load_dwordx4 s[8:11], s[4:5], 0x28
	s_mul_i32 s28, s6, 0xb00
	s_mov_b32 s7, 0
	s_mov_b64 s[14:15], -1
	s_waitcnt lgkmcnt(0)
	s_lshl_b64 s[30:31], s[22:23], 2
	s_add_u32 s18, s20, s30
	s_addc_u32 s19, s21, s31
	s_mul_i32 s3, s27, 0xba2e8ba3
	s_mul_hi_u32 s4, s26, 0xba2e8ba3
	s_mul_hi_u32 s2, s27, 0xba2e8ba3
	s_add_u32 s3, s3, s4
	s_mul_i32 s1, s26, 0x2e8ba2e8
	s_addc_u32 s2, s2, 0
	s_mul_hi_u32 s0, s26, 0x2e8ba2e8
	s_add_u32 s1, s1, s3
	s_addc_u32 s0, s0, 0
	s_add_u32 s0, s2, s0
	s_addc_u32 s1, 0, 0
	s_mul_i32 s3, s27, 0x2e8ba2e8
	s_mul_hi_u32 s2, s27, 0x2e8ba2e8
	s_add_u32 s0, s3, s0
	s_addc_u32 s1, s2, s1
	s_lshr_b64 s[2:3], s[0:1], 9
	s_lshr_b32 s0, s1, 9
	s_mulk_i32 s0, 0xb00
	s_mul_hi_u32 s1, s2, 0xb00
	s_add_i32 s1, s1, s0
	s_mul_i32 s0, s2, 0xb00
	s_sub_u32 s0, s26, s0
	s_subb_u32 s1, s27, s1
	s_cmp_lg_u64 s[0:1], 0
	s_cselect_b64 s[0:1], -1, 0
	v_cndmask_b32_e64 v1, 0, 1, s[0:1]
	v_readfirstlane_b32 s0, v1
	s_add_u32 s2, s2, s0
	s_addc_u32 s3, s3, 0
	s_add_u32 s4, s10, s6
	s_addc_u32 s5, s11, 0
	s_add_u32 s12, s2, -1
	s_addc_u32 s13, s3, -1
	v_mov_b32_e32 v1, s12
	v_mov_b32_e32 v2, s13
	v_cmp_ge_u64_e64 s[0:1], s[4:5], v[1:2]
	s_mul_i32 s27, s12, 0xfffff500
	s_and_b64 vcc, exec, s[0:1]
	s_cbranch_vccz .LBB75_24
; %bb.1:
	s_mov_b32 s29, s7
	s_add_i32 s20, s27, s26
	s_lshl_b64 s[14:15], s[28:29], 2
	s_add_u32 s14, s18, s14
	v_mov_b32_e32 v1, 0
	s_addc_u32 s15, s19, s15
	v_cmp_gt_u32_e32 vcc, s20, v0
	v_mov_b32_e32 v2, v1
	v_mov_b32_e32 v3, v1
	;; [unrolled: 1-line block ×10, first 2 shown]
	s_and_saveexec_b64 s[16:17], vcc
	s_cbranch_execz .LBB75_3
; %bb.2:
	v_lshlrev_b32_e32 v2, 2, v0
	global_load_dword v2, v2, s[14:15]
	v_mov_b32_e32 v3, v1
	v_mov_b32_e32 v4, v1
	;; [unrolled: 1-line block ×10, first 2 shown]
	s_waitcnt vmcnt(0)
	v_mov_b32_e32 v1, v2
	v_mov_b32_e32 v2, v3
	;; [unrolled: 1-line block ×11, first 2 shown]
.LBB75_3:
	s_or_b64 exec, exec, s[16:17]
	v_or_b32_e32 v12, 0x100, v0
	v_cmp_gt_u32_e32 vcc, s20, v12
	s_and_saveexec_b64 s[16:17], vcc
	s_cbranch_execz .LBB75_5
; %bb.4:
	v_lshlrev_b32_e32 v2, 2, v0
	global_load_dword v2, v2, s[14:15] offset:1024
.LBB75_5:
	s_or_b64 exec, exec, s[16:17]
	v_or_b32_e32 v12, 0x200, v0
	v_cmp_gt_u32_e32 vcc, s20, v12
	s_and_saveexec_b64 s[16:17], vcc
	s_cbranch_execz .LBB75_7
; %bb.6:
	v_lshlrev_b32_e32 v3, 2, v0
	global_load_dword v3, v3, s[14:15] offset:2048
.LBB75_7:
	;; [unrolled: 9-line block ×3, first 2 shown]
	s_or_b64 exec, exec, s[16:17]
	v_or_b32_e32 v12, 0x400, v0
	v_cmp_gt_u32_e32 vcc, s20, v12
	s_and_saveexec_b64 s[16:17], vcc
	s_cbranch_execz .LBB75_11
; %bb.10:
	v_lshlrev_b32_e32 v5, 2, v12
	global_load_dword v5, v5, s[14:15]
.LBB75_11:
	s_or_b64 exec, exec, s[16:17]
	v_or_b32_e32 v12, 0x500, v0
	v_cmp_gt_u32_e32 vcc, s20, v12
	s_and_saveexec_b64 s[16:17], vcc
	s_cbranch_execz .LBB75_13
; %bb.12:
	v_lshlrev_b32_e32 v6, 2, v12
	global_load_dword v6, v6, s[14:15]
.LBB75_13:
	;; [unrolled: 9-line block ×7, first 2 shown]
	s_or_b64 exec, exec, s[16:17]
	v_lshlrev_b32_e32 v12, 2, v0
	s_mov_b64 s[14:15], 0
	s_waitcnt vmcnt(0)
	ds_write2st64_b32 v12, v1, v2 offset1:4
	ds_write2st64_b32 v12, v3, v4 offset0:8 offset1:12
	ds_write2st64_b32 v12, v5, v6 offset0:16 offset1:20
	;; [unrolled: 1-line block ×4, first 2 shown]
	ds_write_b32 v12, v11 offset:10240
	s_waitcnt lgkmcnt(0)
	s_barrier
.LBB75_24:
	s_and_b64 vcc, exec, s[14:15]
	v_lshlrev_b32_e32 v13, 2, v0
	s_cbranch_vccz .LBB75_26
; %bb.25:
	s_mov_b32 s29, 0
	s_lshl_b64 s[14:15], s[28:29], 2
	s_add_u32 s14, s18, s14
	s_addc_u32 s15, s19, s15
	v_mov_b32_e32 v1, s15
	v_add_co_u32_e32 v3, vcc, s14, v13
	v_addc_co_u32_e32 v4, vcc, 0, v1, vcc
	v_add_co_u32_e32 v1, vcc, 0x1000, v3
	v_addc_co_u32_e32 v2, vcc, 0, v4, vcc
	v_add_co_u32_e32 v3, vcc, 0x2000, v3
	global_load_dword v5, v13, s[14:15] offset:1024
	global_load_dword v6, v13, s[14:15] offset:2048
	;; [unrolled: 1-line block ×3, first 2 shown]
	v_addc_co_u32_e32 v4, vcc, 0, v4, vcc
	global_load_dword v8, v13, s[14:15]
	global_load_dword v9, v[1:2], off
	global_load_dword v10, v[1:2], off offset:1024
	global_load_dword v11, v[1:2], off offset:2048
	;; [unrolled: 1-line block ×3, first 2 shown]
	global_load_dword v14, v[3:4], off
	global_load_dword v15, v[3:4], off offset:1024
	global_load_dword v16, v[3:4], off offset:2048
	s_waitcnt vmcnt(7)
	ds_write2st64_b32 v13, v8, v5 offset1:4
	ds_write2st64_b32 v13, v6, v7 offset0:8 offset1:12
	s_waitcnt vmcnt(5)
	ds_write2st64_b32 v13, v9, v10 offset0:16 offset1:20
	s_waitcnt vmcnt(3)
	;; [unrolled: 2-line block ×4, first 2 shown]
	ds_write_b32 v13, v16 offset:10240
	s_waitcnt lgkmcnt(0)
	s_barrier
.LBB75_26:
	v_mul_u32_u24_e32 v14, 44, v0
	ds_read2_b32 v[1:2], v14 offset1:1
	ds_read2_b32 v[3:4], v14 offset0:2 offset1:3
	ds_read2_b32 v[5:6], v14 offset0:4 offset1:5
	;; [unrolled: 1-line block ×4, first 2 shown]
	ds_read_b32 v11, v14 offset:40
	s_cmp_eq_u64 s[4:5], 0
	s_waitcnt lgkmcnt(0)
	s_barrier
	s_cbranch_scc1 .LBB75_31
; %bb.27:
	s_lshl_b64 s[10:11], s[10:11], 2
	s_add_u32 s8, s8, s10
	s_addc_u32 s9, s9, s11
	s_lshl_b64 s[6:7], s[6:7], 2
	s_add_u32 s6, s8, s6
	s_addc_u32 s7, s9, s7
	s_add_u32 s6, s6, -4
	s_addc_u32 s7, s7, -1
	s_load_dword s8, s[6:7], 0x0
	s_cmp_eq_u64 s[4:5], s[12:13]
	s_cbranch_scc1 .LBB75_32
; %bb.28:
	v_cmp_ne_u32_e32 vcc, 0, v0
	s_waitcnt lgkmcnt(0)
	v_mov_b32_e32 v12, s8
	ds_write_b32 v13, v11
	s_waitcnt lgkmcnt(0)
	s_barrier
	s_and_saveexec_b64 s[6:7], vcc
; %bb.29:
	v_add_u32_e32 v12, -4, v13
	ds_read_b32 v12, v12
; %bb.30:
	s_or_b64 exec, exec, s[6:7]
	v_sub_f32_e32 v15, v11, v10
	v_sub_f32_e32 v16, v10, v9
	;; [unrolled: 1-line block ×10, first 2 shown]
	s_waitcnt lgkmcnt(0)
	v_sub_f32_e32 v25, v1, v12
	s_branch .LBB75_36
.LBB75_31:
                                        ; implicit-def: $vgpr15
                                        ; implicit-def: $vgpr16
                                        ; implicit-def: $vgpr17
                                        ; implicit-def: $vgpr25
                                        ; implicit-def: $vgpr24
                                        ; implicit-def: $vgpr23
                                        ; implicit-def: $vgpr22
                                        ; implicit-def: $vgpr21
                                        ; implicit-def: $vgpr20
                                        ; implicit-def: $vgpr19
                                        ; implicit-def: $vgpr18
	s_branch .LBB75_37
.LBB75_32:
                                        ; implicit-def: $vgpr15
                                        ; implicit-def: $vgpr16
                                        ; implicit-def: $vgpr17
                                        ; implicit-def: $vgpr25
                                        ; implicit-def: $vgpr24
                                        ; implicit-def: $vgpr23
                                        ; implicit-def: $vgpr22
                                        ; implicit-def: $vgpr21
                                        ; implicit-def: $vgpr20
                                        ; implicit-def: $vgpr19
                                        ; implicit-def: $vgpr18
	s_cbranch_execz .LBB75_36
; %bb.33:
	v_mul_u32_u24_e32 v12, 11, v0
	v_cmp_ne_u32_e32 vcc, 0, v0
	s_waitcnt lgkmcnt(0)
	v_mov_b32_e32 v25, s8
	ds_write_b32 v13, v11
	s_waitcnt lgkmcnt(0)
	s_barrier
	s_and_saveexec_b64 s[6:7], vcc
; %bb.34:
	v_add_u32_e32 v15, -4, v13
	ds_read_b32 v25, v15
; %bb.35:
	s_or_b64 exec, exec, s[6:7]
	s_mulk_i32 s4, 0xf500
	s_add_i32 s4, s4, s26
	v_add_u32_e32 v15, 10, v12
	v_sub_f32_e32 v16, v11, v10
	v_cmp_gt_u32_e32 vcc, s4, v15
	v_cndmask_b32_e32 v15, v11, v16, vcc
	v_add_u32_e32 v16, 9, v12
	v_sub_f32_e32 v17, v10, v9
	v_cmp_gt_u32_e32 vcc, s4, v16
	v_cndmask_b32_e32 v16, v10, v17, vcc
	;; [unrolled: 4-line block ×10, first 2 shown]
	s_waitcnt lgkmcnt(0)
	v_sub_f32_e32 v25, v1, v25
	v_cmp_gt_u32_e32 vcc, s4, v12
	v_cndmask_b32_e32 v25, v1, v25, vcc
.LBB75_36:
	s_cbranch_execnz .LBB75_45
.LBB75_37:
	s_cmp_eq_u64 s[2:3], 1
	v_sub_f32_e32 v15, v11, v10
	v_sub_f32_e32 v16, v10, v9
	;; [unrolled: 1-line block ×10, first 2 shown]
	v_cmp_ne_u32_e32 vcc, 0, v0
	s_cbranch_scc1 .LBB75_41
; %bb.38:
	v_mov_b32_e32 v25, v1
	ds_write_b32 v13, v11
	s_waitcnt lgkmcnt(0)
	s_barrier
	s_and_saveexec_b64 s[2:3], vcc
	s_cbranch_execz .LBB75_40
; %bb.39:
	v_add_u32_e32 v12, -4, v13
	ds_read_b32 v12, v12
	s_waitcnt lgkmcnt(0)
	v_sub_f32_e32 v25, v1, v12
.LBB75_40:
	s_or_b64 exec, exec, s[2:3]
	s_cbranch_execz .LBB75_42
	s_branch .LBB75_45
.LBB75_41:
                                        ; implicit-def: $vgpr25
.LBB75_42:
	v_mad_u32_u24 v25, v0, 11, 10
	v_cmp_gt_u32_e32 vcc, s26, v25
	v_mad_u32_u24 v25, v0, 11, 9
	v_cmp_gt_u32_e64 s[2:3], s26, v25
	v_mad_u32_u24 v25, v0, 11, 8
	v_cmp_gt_u32_e64 s[4:5], s26, v25
	;; [unrolled: 2-line block ×3, first 2 shown]
	v_mad_u32_u24 v25, v0, 11, 6
	s_waitcnt lgkmcnt(0)
	v_cmp_gt_u32_e64 s[8:9], s26, v25
	v_mad_u32_u24 v25, v0, 11, 5
	v_cmp_gt_u32_e64 s[10:11], s26, v25
	v_mad_u32_u24 v25, v0, 11, 4
	;; [unrolled: 2-line block ×3, first 2 shown]
	v_mul_u32_u24_e32 v12, 11, v0
	v_cmp_gt_u32_e64 s[14:15], s26, v25
	v_mad_u32_u24 v25, v0, 11, 2
	v_cmp_gt_u32_e64 s[16:17], s26, v25
	v_mad_u32_u24 v25, v0, 11, 1
	v_cmp_ne_u32_e64 s[20:21], 0, v0
	v_cmp_gt_u32_e64 s[22:23], s26, v12
	v_cmp_gt_u32_e64 s[18:19], s26, v25
	s_and_b64 s[22:23], s[20:21], s[22:23]
	ds_write_b32 v13, v11
	s_waitcnt lgkmcnt(0)
	s_barrier
	s_and_saveexec_b64 s[20:21], s[22:23]
	s_cbranch_execz .LBB75_44
; %bb.43:
	v_add_u32_e32 v12, -4, v13
	ds_read_b32 v12, v12
	s_waitcnt lgkmcnt(0)
	v_sub_f32_e32 v1, v1, v12
.LBB75_44:
	s_or_b64 exec, exec, s[20:21]
	v_cndmask_b32_e32 v15, v11, v15, vcc
	v_cndmask_b32_e64 v16, v10, v16, s[2:3]
	v_cndmask_b32_e64 v17, v9, v17, s[4:5]
	;; [unrolled: 1-line block ×9, first 2 shown]
	v_mov_b32_e32 v25, v1
.LBB75_45:
	s_add_u32 s4, s24, s30
	s_addc_u32 s5, s25, s31
	s_and_b64 vcc, exec, s[0:1]
	s_waitcnt lgkmcnt(0)
	s_barrier
	s_cbranch_vccz .LBB75_67
; %bb.46:
	v_mul_i32_i24_e32 v26, 0xffffffd8, v0
	v_mad_u32_u24 v1, v0, 44, v26
	ds_write2_b32 v14, v25, v24 offset1:1
	ds_write2_b32 v14, v23, v22 offset0:2 offset1:3
	ds_write2_b32 v14, v21, v20 offset0:4 offset1:5
	;; [unrolled: 1-line block ×4, first 2 shown]
	ds_write_b32 v14, v15 offset:40
	s_waitcnt lgkmcnt(0)
	s_barrier
	ds_read2st64_b32 v[11:12], v1 offset0:4 offset1:8
	ds_read2st64_b32 v[9:10], v1 offset0:12 offset1:16
	;; [unrolled: 1-line block ×5, first 2 shown]
	s_mov_b32 s29, 0
	s_add_i32 s27, s27, s26
	s_lshl_b64 s[0:1], s[28:29], 2
	s_add_u32 s0, s4, s0
	s_addc_u32 s1, s5, s1
	v_mov_b32_e32 v4, s1
	v_add_co_u32_e32 v3, vcc, s0, v13
	v_addc_co_u32_e32 v4, vcc, 0, v4, vcc
	v_cmp_gt_u32_e32 vcc, s27, v0
	s_and_saveexec_b64 s[0:1], vcc
	s_cbranch_execz .LBB75_48
; %bb.47:
	v_add_u32_e32 v26, v14, v26
	ds_read_b32 v26, v26
	s_waitcnt lgkmcnt(0)
	global_store_dword v[3:4], v26, off
.LBB75_48:
	s_or_b64 exec, exec, s[0:1]
	v_or_b32_e32 v26, 0x100, v0
	v_cmp_gt_u32_e32 vcc, s27, v26
	s_and_saveexec_b64 s[0:1], vcc
	s_cbranch_execz .LBB75_50
; %bb.49:
	s_waitcnt lgkmcnt(4)
	global_store_dword v[3:4], v11, off offset:1024
.LBB75_50:
	s_or_b64 exec, exec, s[0:1]
	s_waitcnt lgkmcnt(4)
	v_or_b32_e32 v11, 0x200, v0
	v_cmp_gt_u32_e32 vcc, s27, v11
	s_and_saveexec_b64 s[0:1], vcc
	s_cbranch_execz .LBB75_52
; %bb.51:
	global_store_dword v[3:4], v12, off offset:2048
.LBB75_52:
	s_or_b64 exec, exec, s[0:1]
	v_or_b32_e32 v11, 0x300, v0
	v_cmp_gt_u32_e32 vcc, s27, v11
	s_and_saveexec_b64 s[0:1], vcc
	s_cbranch_execz .LBB75_54
; %bb.53:
	s_waitcnt lgkmcnt(3)
	global_store_dword v[3:4], v9, off offset:3072
.LBB75_54:
	s_or_b64 exec, exec, s[0:1]
	s_waitcnt lgkmcnt(3)
	v_or_b32_e32 v9, 0x400, v0
	v_cmp_gt_u32_e32 vcc, s27, v9
	s_and_saveexec_b64 s[0:1], vcc
	s_cbranch_execz .LBB75_56
; %bb.55:
	v_add_co_u32_e32 v11, vcc, 0x1000, v3
	v_addc_co_u32_e32 v12, vcc, 0, v4, vcc
	global_store_dword v[11:12], v10, off
.LBB75_56:
	s_or_b64 exec, exec, s[0:1]
	v_or_b32_e32 v9, 0x500, v0
	v_cmp_gt_u32_e32 vcc, s27, v9
	s_and_saveexec_b64 s[0:1], vcc
	s_cbranch_execz .LBB75_58
; %bb.57:
	v_add_co_u32_e32 v9, vcc, 0x1000, v3
	v_addc_co_u32_e32 v10, vcc, 0, v4, vcc
	s_waitcnt lgkmcnt(2)
	global_store_dword v[9:10], v7, off offset:1024
.LBB75_58:
	s_or_b64 exec, exec, s[0:1]
	s_waitcnt lgkmcnt(2)
	v_or_b32_e32 v7, 0x600, v0
	v_cmp_gt_u32_e32 vcc, s27, v7
	s_and_saveexec_b64 s[0:1], vcc
	s_cbranch_execz .LBB75_60
; %bb.59:
	v_add_co_u32_e32 v9, vcc, 0x1000, v3
	v_addc_co_u32_e32 v10, vcc, 0, v4, vcc
	global_store_dword v[9:10], v8, off offset:2048
.LBB75_60:
	s_or_b64 exec, exec, s[0:1]
	v_or_b32_e32 v7, 0x700, v0
	v_cmp_gt_u32_e32 vcc, s27, v7
	s_and_saveexec_b64 s[0:1], vcc
	s_cbranch_execz .LBB75_62
; %bb.61:
	v_add_co_u32_e32 v7, vcc, 0x1000, v3
	v_addc_co_u32_e32 v8, vcc, 0, v4, vcc
	s_waitcnt lgkmcnt(1)
	global_store_dword v[7:8], v5, off offset:3072
.LBB75_62:
	s_or_b64 exec, exec, s[0:1]
	s_waitcnt lgkmcnt(1)
	v_or_b32_e32 v5, 0x800, v0
	v_cmp_gt_u32_e32 vcc, s27, v5
	s_and_saveexec_b64 s[0:1], vcc
	s_cbranch_execz .LBB75_64
; %bb.63:
	v_add_co_u32_e32 v7, vcc, 0x2000, v3
	v_addc_co_u32_e32 v8, vcc, 0, v4, vcc
	global_store_dword v[7:8], v6, off
.LBB75_64:
	s_or_b64 exec, exec, s[0:1]
	v_or_b32_e32 v5, 0x900, v0
	v_cmp_gt_u32_e32 vcc, s27, v5
	s_and_saveexec_b64 s[0:1], vcc
	s_cbranch_execz .LBB75_66
; %bb.65:
	v_add_co_u32_e32 v5, vcc, 0x2000, v3
	v_addc_co_u32_e32 v6, vcc, 0, v4, vcc
	s_waitcnt lgkmcnt(0)
	global_store_dword v[5:6], v1, off offset:1024
.LBB75_66:
	s_or_b64 exec, exec, s[0:1]
	s_waitcnt lgkmcnt(0)
	v_or_b32_e32 v1, 0xa00, v0
	v_cmp_gt_u32_e64 s[0:1], s27, v1
	s_branch .LBB75_69
.LBB75_67:
	s_mov_b64 s[0:1], 0
                                        ; implicit-def: $vgpr2
                                        ; implicit-def: $vgpr3_vgpr4
	s_cbranch_execz .LBB75_69
; %bb.68:
	s_mov_b32 s29, 0
	s_lshl_b64 s[2:3], s[28:29], 2
	s_add_u32 s2, s4, s2
	v_mul_i32_i24_e32 v1, 0xffffffd8, v0
	s_addc_u32 s3, s5, s3
	v_mad_u32_u24 v2, v0, 44, v1
	ds_write2_b32 v14, v25, v24 offset1:1
	ds_write2_b32 v14, v23, v22 offset0:2 offset1:3
	ds_write2_b32 v14, v21, v20 offset0:4 offset1:5
	;; [unrolled: 1-line block ×4, first 2 shown]
	ds_write_b32 v14, v15 offset:40
	s_waitcnt vmcnt(0) lgkmcnt(0)
	s_barrier
	ds_read2st64_b32 v[0:1], v2 offset1:4
	ds_read2st64_b32 v[5:6], v2 offset0:8 offset1:12
	ds_read2st64_b32 v[7:8], v2 offset0:16 offset1:20
	;; [unrolled: 1-line block ×4, first 2 shown]
	ds_read_b32 v2, v2 offset:10240
	v_mov_b32_e32 v4, s3
	v_add_co_u32_e32 v3, vcc, s2, v13
	v_addc_co_u32_e32 v4, vcc, 0, v4, vcc
	s_waitcnt lgkmcnt(5)
	global_store_dword v13, v0, s[2:3]
	global_store_dword v13, v1, s[2:3] offset:1024
	s_waitcnt lgkmcnt(4)
	global_store_dword v13, v5, s[2:3] offset:2048
	global_store_dword v13, v6, s[2:3] offset:3072
	s_movk_i32 s2, 0x1000
	v_add_co_u32_e32 v0, vcc, s2, v3
	v_addc_co_u32_e32 v1, vcc, 0, v4, vcc
	s_waitcnt lgkmcnt(3)
	global_store_dword v[0:1], v7, off
	global_store_dword v[0:1], v8, off offset:1024
	s_waitcnt lgkmcnt(2)
	global_store_dword v[0:1], v9, off offset:2048
	global_store_dword v[0:1], v10, off offset:3072
	v_add_co_u32_e32 v0, vcc, 0x2000, v3
	v_addc_co_u32_e32 v1, vcc, 0, v4, vcc
	s_or_b64 s[0:1], s[0:1], exec
	s_waitcnt lgkmcnt(1)
	global_store_dword v[0:1], v11, off
	global_store_dword v[0:1], v12, off offset:1024
.LBB75_69:
	s_and_saveexec_b64 s[2:3], s[0:1]
	s_cbranch_execnz .LBB75_71
; %bb.70:
	s_endpgm
.LBB75_71:
	v_add_co_u32_e32 v0, vcc, 0x2000, v3
	v_addc_co_u32_e32 v1, vcc, 0, v4, vcc
	s_waitcnt lgkmcnt(0)
	global_store_dword v[0:1], v2, off offset:2048
	s_endpgm
	.section	.rodata,"a",@progbits
	.p2align	6, 0x0
	.amdhsa_kernel _ZN7rocprim17ROCPRIM_400000_NS6detail17trampoline_kernelINS0_14default_configENS1_35adjacent_difference_config_selectorILb1EfEEZNS1_24adjacent_difference_implIS3_Lb1ELb0EPfS7_N6thrust23THRUST_200600_302600_NS5minusIfEEEE10hipError_tPvRmT2_T3_mT4_P12ihipStream_tbEUlT_E_NS1_11comp_targetILNS1_3genE2ELNS1_11target_archE906ELNS1_3gpuE6ELNS1_3repE0EEENS1_30default_config_static_selectorELNS0_4arch9wavefront6targetE1EEEvT1_
		.amdhsa_group_segment_fixed_size 11264
		.amdhsa_private_segment_fixed_size 0
		.amdhsa_kernarg_size 56
		.amdhsa_user_sgpr_count 6
		.amdhsa_user_sgpr_private_segment_buffer 1
		.amdhsa_user_sgpr_dispatch_ptr 0
		.amdhsa_user_sgpr_queue_ptr 0
		.amdhsa_user_sgpr_kernarg_segment_ptr 1
		.amdhsa_user_sgpr_dispatch_id 0
		.amdhsa_user_sgpr_flat_scratch_init 0
		.amdhsa_user_sgpr_private_segment_size 0
		.amdhsa_uses_dynamic_stack 0
		.amdhsa_system_sgpr_private_segment_wavefront_offset 0
		.amdhsa_system_sgpr_workgroup_id_x 1
		.amdhsa_system_sgpr_workgroup_id_y 0
		.amdhsa_system_sgpr_workgroup_id_z 0
		.amdhsa_system_sgpr_workgroup_info 0
		.amdhsa_system_vgpr_workitem_id 0
		.amdhsa_next_free_vgpr 41
		.amdhsa_next_free_sgpr 98
		.amdhsa_reserve_vcc 1
		.amdhsa_reserve_flat_scratch 0
		.amdhsa_float_round_mode_32 0
		.amdhsa_float_round_mode_16_64 0
		.amdhsa_float_denorm_mode_32 3
		.amdhsa_float_denorm_mode_16_64 3
		.amdhsa_dx10_clamp 1
		.amdhsa_ieee_mode 1
		.amdhsa_fp16_overflow 0
		.amdhsa_exception_fp_ieee_invalid_op 0
		.amdhsa_exception_fp_denorm_src 0
		.amdhsa_exception_fp_ieee_div_zero 0
		.amdhsa_exception_fp_ieee_overflow 0
		.amdhsa_exception_fp_ieee_underflow 0
		.amdhsa_exception_fp_ieee_inexact 0
		.amdhsa_exception_int_div_zero 0
	.end_amdhsa_kernel
	.section	.text._ZN7rocprim17ROCPRIM_400000_NS6detail17trampoline_kernelINS0_14default_configENS1_35adjacent_difference_config_selectorILb1EfEEZNS1_24adjacent_difference_implIS3_Lb1ELb0EPfS7_N6thrust23THRUST_200600_302600_NS5minusIfEEEE10hipError_tPvRmT2_T3_mT4_P12ihipStream_tbEUlT_E_NS1_11comp_targetILNS1_3genE2ELNS1_11target_archE906ELNS1_3gpuE6ELNS1_3repE0EEENS1_30default_config_static_selectorELNS0_4arch9wavefront6targetE1EEEvT1_,"axG",@progbits,_ZN7rocprim17ROCPRIM_400000_NS6detail17trampoline_kernelINS0_14default_configENS1_35adjacent_difference_config_selectorILb1EfEEZNS1_24adjacent_difference_implIS3_Lb1ELb0EPfS7_N6thrust23THRUST_200600_302600_NS5minusIfEEEE10hipError_tPvRmT2_T3_mT4_P12ihipStream_tbEUlT_E_NS1_11comp_targetILNS1_3genE2ELNS1_11target_archE906ELNS1_3gpuE6ELNS1_3repE0EEENS1_30default_config_static_selectorELNS0_4arch9wavefront6targetE1EEEvT1_,comdat
.Lfunc_end75:
	.size	_ZN7rocprim17ROCPRIM_400000_NS6detail17trampoline_kernelINS0_14default_configENS1_35adjacent_difference_config_selectorILb1EfEEZNS1_24adjacent_difference_implIS3_Lb1ELb0EPfS7_N6thrust23THRUST_200600_302600_NS5minusIfEEEE10hipError_tPvRmT2_T3_mT4_P12ihipStream_tbEUlT_E_NS1_11comp_targetILNS1_3genE2ELNS1_11target_archE906ELNS1_3gpuE6ELNS1_3repE0EEENS1_30default_config_static_selectorELNS0_4arch9wavefront6targetE1EEEvT1_, .Lfunc_end75-_ZN7rocprim17ROCPRIM_400000_NS6detail17trampoline_kernelINS0_14default_configENS1_35adjacent_difference_config_selectorILb1EfEEZNS1_24adjacent_difference_implIS3_Lb1ELb0EPfS7_N6thrust23THRUST_200600_302600_NS5minusIfEEEE10hipError_tPvRmT2_T3_mT4_P12ihipStream_tbEUlT_E_NS1_11comp_targetILNS1_3genE2ELNS1_11target_archE906ELNS1_3gpuE6ELNS1_3repE0EEENS1_30default_config_static_selectorELNS0_4arch9wavefront6targetE1EEEvT1_
                                        ; -- End function
	.set _ZN7rocprim17ROCPRIM_400000_NS6detail17trampoline_kernelINS0_14default_configENS1_35adjacent_difference_config_selectorILb1EfEEZNS1_24adjacent_difference_implIS3_Lb1ELb0EPfS7_N6thrust23THRUST_200600_302600_NS5minusIfEEEE10hipError_tPvRmT2_T3_mT4_P12ihipStream_tbEUlT_E_NS1_11comp_targetILNS1_3genE2ELNS1_11target_archE906ELNS1_3gpuE6ELNS1_3repE0EEENS1_30default_config_static_selectorELNS0_4arch9wavefront6targetE1EEEvT1_.num_vgpr, 27
	.set _ZN7rocprim17ROCPRIM_400000_NS6detail17trampoline_kernelINS0_14default_configENS1_35adjacent_difference_config_selectorILb1EfEEZNS1_24adjacent_difference_implIS3_Lb1ELb0EPfS7_N6thrust23THRUST_200600_302600_NS5minusIfEEEE10hipError_tPvRmT2_T3_mT4_P12ihipStream_tbEUlT_E_NS1_11comp_targetILNS1_3genE2ELNS1_11target_archE906ELNS1_3gpuE6ELNS1_3repE0EEENS1_30default_config_static_selectorELNS0_4arch9wavefront6targetE1EEEvT1_.num_agpr, 0
	.set _ZN7rocprim17ROCPRIM_400000_NS6detail17trampoline_kernelINS0_14default_configENS1_35adjacent_difference_config_selectorILb1EfEEZNS1_24adjacent_difference_implIS3_Lb1ELb0EPfS7_N6thrust23THRUST_200600_302600_NS5minusIfEEEE10hipError_tPvRmT2_T3_mT4_P12ihipStream_tbEUlT_E_NS1_11comp_targetILNS1_3genE2ELNS1_11target_archE906ELNS1_3gpuE6ELNS1_3repE0EEENS1_30default_config_static_selectorELNS0_4arch9wavefront6targetE1EEEvT1_.numbered_sgpr, 32
	.set _ZN7rocprim17ROCPRIM_400000_NS6detail17trampoline_kernelINS0_14default_configENS1_35adjacent_difference_config_selectorILb1EfEEZNS1_24adjacent_difference_implIS3_Lb1ELb0EPfS7_N6thrust23THRUST_200600_302600_NS5minusIfEEEE10hipError_tPvRmT2_T3_mT4_P12ihipStream_tbEUlT_E_NS1_11comp_targetILNS1_3genE2ELNS1_11target_archE906ELNS1_3gpuE6ELNS1_3repE0EEENS1_30default_config_static_selectorELNS0_4arch9wavefront6targetE1EEEvT1_.num_named_barrier, 0
	.set _ZN7rocprim17ROCPRIM_400000_NS6detail17trampoline_kernelINS0_14default_configENS1_35adjacent_difference_config_selectorILb1EfEEZNS1_24adjacent_difference_implIS3_Lb1ELb0EPfS7_N6thrust23THRUST_200600_302600_NS5minusIfEEEE10hipError_tPvRmT2_T3_mT4_P12ihipStream_tbEUlT_E_NS1_11comp_targetILNS1_3genE2ELNS1_11target_archE906ELNS1_3gpuE6ELNS1_3repE0EEENS1_30default_config_static_selectorELNS0_4arch9wavefront6targetE1EEEvT1_.private_seg_size, 0
	.set _ZN7rocprim17ROCPRIM_400000_NS6detail17trampoline_kernelINS0_14default_configENS1_35adjacent_difference_config_selectorILb1EfEEZNS1_24adjacent_difference_implIS3_Lb1ELb0EPfS7_N6thrust23THRUST_200600_302600_NS5minusIfEEEE10hipError_tPvRmT2_T3_mT4_P12ihipStream_tbEUlT_E_NS1_11comp_targetILNS1_3genE2ELNS1_11target_archE906ELNS1_3gpuE6ELNS1_3repE0EEENS1_30default_config_static_selectorELNS0_4arch9wavefront6targetE1EEEvT1_.uses_vcc, 1
	.set _ZN7rocprim17ROCPRIM_400000_NS6detail17trampoline_kernelINS0_14default_configENS1_35adjacent_difference_config_selectorILb1EfEEZNS1_24adjacent_difference_implIS3_Lb1ELb0EPfS7_N6thrust23THRUST_200600_302600_NS5minusIfEEEE10hipError_tPvRmT2_T3_mT4_P12ihipStream_tbEUlT_E_NS1_11comp_targetILNS1_3genE2ELNS1_11target_archE906ELNS1_3gpuE6ELNS1_3repE0EEENS1_30default_config_static_selectorELNS0_4arch9wavefront6targetE1EEEvT1_.uses_flat_scratch, 0
	.set _ZN7rocprim17ROCPRIM_400000_NS6detail17trampoline_kernelINS0_14default_configENS1_35adjacent_difference_config_selectorILb1EfEEZNS1_24adjacent_difference_implIS3_Lb1ELb0EPfS7_N6thrust23THRUST_200600_302600_NS5minusIfEEEE10hipError_tPvRmT2_T3_mT4_P12ihipStream_tbEUlT_E_NS1_11comp_targetILNS1_3genE2ELNS1_11target_archE906ELNS1_3gpuE6ELNS1_3repE0EEENS1_30default_config_static_selectorELNS0_4arch9wavefront6targetE1EEEvT1_.has_dyn_sized_stack, 0
	.set _ZN7rocprim17ROCPRIM_400000_NS6detail17trampoline_kernelINS0_14default_configENS1_35adjacent_difference_config_selectorILb1EfEEZNS1_24adjacent_difference_implIS3_Lb1ELb0EPfS7_N6thrust23THRUST_200600_302600_NS5minusIfEEEE10hipError_tPvRmT2_T3_mT4_P12ihipStream_tbEUlT_E_NS1_11comp_targetILNS1_3genE2ELNS1_11target_archE906ELNS1_3gpuE6ELNS1_3repE0EEENS1_30default_config_static_selectorELNS0_4arch9wavefront6targetE1EEEvT1_.has_recursion, 0
	.set _ZN7rocprim17ROCPRIM_400000_NS6detail17trampoline_kernelINS0_14default_configENS1_35adjacent_difference_config_selectorILb1EfEEZNS1_24adjacent_difference_implIS3_Lb1ELb0EPfS7_N6thrust23THRUST_200600_302600_NS5minusIfEEEE10hipError_tPvRmT2_T3_mT4_P12ihipStream_tbEUlT_E_NS1_11comp_targetILNS1_3genE2ELNS1_11target_archE906ELNS1_3gpuE6ELNS1_3repE0EEENS1_30default_config_static_selectorELNS0_4arch9wavefront6targetE1EEEvT1_.has_indirect_call, 0
	.section	.AMDGPU.csdata,"",@progbits
; Kernel info:
; codeLenInByte = 2928
; TotalNumSgprs: 36
; NumVgprs: 27
; ScratchSize: 0
; MemoryBound: 0
; FloatMode: 240
; IeeeMode: 1
; LDSByteSize: 11264 bytes/workgroup (compile time only)
; SGPRBlocks: 12
; VGPRBlocks: 10
; NumSGPRsForWavesPerEU: 102
; NumVGPRsForWavesPerEU: 41
; Occupancy: 5
; WaveLimiterHint : 1
; COMPUTE_PGM_RSRC2:SCRATCH_EN: 0
; COMPUTE_PGM_RSRC2:USER_SGPR: 6
; COMPUTE_PGM_RSRC2:TRAP_HANDLER: 0
; COMPUTE_PGM_RSRC2:TGID_X_EN: 1
; COMPUTE_PGM_RSRC2:TGID_Y_EN: 0
; COMPUTE_PGM_RSRC2:TGID_Z_EN: 0
; COMPUTE_PGM_RSRC2:TIDIG_COMP_CNT: 0
	.section	.text._ZN7rocprim17ROCPRIM_400000_NS6detail17trampoline_kernelINS0_14default_configENS1_35adjacent_difference_config_selectorILb1EfEEZNS1_24adjacent_difference_implIS3_Lb1ELb0EPfS7_N6thrust23THRUST_200600_302600_NS5minusIfEEEE10hipError_tPvRmT2_T3_mT4_P12ihipStream_tbEUlT_E_NS1_11comp_targetILNS1_3genE9ELNS1_11target_archE1100ELNS1_3gpuE3ELNS1_3repE0EEENS1_30default_config_static_selectorELNS0_4arch9wavefront6targetE1EEEvT1_,"axG",@progbits,_ZN7rocprim17ROCPRIM_400000_NS6detail17trampoline_kernelINS0_14default_configENS1_35adjacent_difference_config_selectorILb1EfEEZNS1_24adjacent_difference_implIS3_Lb1ELb0EPfS7_N6thrust23THRUST_200600_302600_NS5minusIfEEEE10hipError_tPvRmT2_T3_mT4_P12ihipStream_tbEUlT_E_NS1_11comp_targetILNS1_3genE9ELNS1_11target_archE1100ELNS1_3gpuE3ELNS1_3repE0EEENS1_30default_config_static_selectorELNS0_4arch9wavefront6targetE1EEEvT1_,comdat
	.protected	_ZN7rocprim17ROCPRIM_400000_NS6detail17trampoline_kernelINS0_14default_configENS1_35adjacent_difference_config_selectorILb1EfEEZNS1_24adjacent_difference_implIS3_Lb1ELb0EPfS7_N6thrust23THRUST_200600_302600_NS5minusIfEEEE10hipError_tPvRmT2_T3_mT4_P12ihipStream_tbEUlT_E_NS1_11comp_targetILNS1_3genE9ELNS1_11target_archE1100ELNS1_3gpuE3ELNS1_3repE0EEENS1_30default_config_static_selectorELNS0_4arch9wavefront6targetE1EEEvT1_ ; -- Begin function _ZN7rocprim17ROCPRIM_400000_NS6detail17trampoline_kernelINS0_14default_configENS1_35adjacent_difference_config_selectorILb1EfEEZNS1_24adjacent_difference_implIS3_Lb1ELb0EPfS7_N6thrust23THRUST_200600_302600_NS5minusIfEEEE10hipError_tPvRmT2_T3_mT4_P12ihipStream_tbEUlT_E_NS1_11comp_targetILNS1_3genE9ELNS1_11target_archE1100ELNS1_3gpuE3ELNS1_3repE0EEENS1_30default_config_static_selectorELNS0_4arch9wavefront6targetE1EEEvT1_
	.globl	_ZN7rocprim17ROCPRIM_400000_NS6detail17trampoline_kernelINS0_14default_configENS1_35adjacent_difference_config_selectorILb1EfEEZNS1_24adjacent_difference_implIS3_Lb1ELb0EPfS7_N6thrust23THRUST_200600_302600_NS5minusIfEEEE10hipError_tPvRmT2_T3_mT4_P12ihipStream_tbEUlT_E_NS1_11comp_targetILNS1_3genE9ELNS1_11target_archE1100ELNS1_3gpuE3ELNS1_3repE0EEENS1_30default_config_static_selectorELNS0_4arch9wavefront6targetE1EEEvT1_
	.p2align	8
	.type	_ZN7rocprim17ROCPRIM_400000_NS6detail17trampoline_kernelINS0_14default_configENS1_35adjacent_difference_config_selectorILb1EfEEZNS1_24adjacent_difference_implIS3_Lb1ELb0EPfS7_N6thrust23THRUST_200600_302600_NS5minusIfEEEE10hipError_tPvRmT2_T3_mT4_P12ihipStream_tbEUlT_E_NS1_11comp_targetILNS1_3genE9ELNS1_11target_archE1100ELNS1_3gpuE3ELNS1_3repE0EEENS1_30default_config_static_selectorELNS0_4arch9wavefront6targetE1EEEvT1_,@function
_ZN7rocprim17ROCPRIM_400000_NS6detail17trampoline_kernelINS0_14default_configENS1_35adjacent_difference_config_selectorILb1EfEEZNS1_24adjacent_difference_implIS3_Lb1ELb0EPfS7_N6thrust23THRUST_200600_302600_NS5minusIfEEEE10hipError_tPvRmT2_T3_mT4_P12ihipStream_tbEUlT_E_NS1_11comp_targetILNS1_3genE9ELNS1_11target_archE1100ELNS1_3gpuE3ELNS1_3repE0EEENS1_30default_config_static_selectorELNS0_4arch9wavefront6targetE1EEEvT1_: ; @_ZN7rocprim17ROCPRIM_400000_NS6detail17trampoline_kernelINS0_14default_configENS1_35adjacent_difference_config_selectorILb1EfEEZNS1_24adjacent_difference_implIS3_Lb1ELb0EPfS7_N6thrust23THRUST_200600_302600_NS5minusIfEEEE10hipError_tPvRmT2_T3_mT4_P12ihipStream_tbEUlT_E_NS1_11comp_targetILNS1_3genE9ELNS1_11target_archE1100ELNS1_3gpuE3ELNS1_3repE0EEENS1_30default_config_static_selectorELNS0_4arch9wavefront6targetE1EEEvT1_
; %bb.0:
	.section	.rodata,"a",@progbits
	.p2align	6, 0x0
	.amdhsa_kernel _ZN7rocprim17ROCPRIM_400000_NS6detail17trampoline_kernelINS0_14default_configENS1_35adjacent_difference_config_selectorILb1EfEEZNS1_24adjacent_difference_implIS3_Lb1ELb0EPfS7_N6thrust23THRUST_200600_302600_NS5minusIfEEEE10hipError_tPvRmT2_T3_mT4_P12ihipStream_tbEUlT_E_NS1_11comp_targetILNS1_3genE9ELNS1_11target_archE1100ELNS1_3gpuE3ELNS1_3repE0EEENS1_30default_config_static_selectorELNS0_4arch9wavefront6targetE1EEEvT1_
		.amdhsa_group_segment_fixed_size 0
		.amdhsa_private_segment_fixed_size 0
		.amdhsa_kernarg_size 56
		.amdhsa_user_sgpr_count 6
		.amdhsa_user_sgpr_private_segment_buffer 1
		.amdhsa_user_sgpr_dispatch_ptr 0
		.amdhsa_user_sgpr_queue_ptr 0
		.amdhsa_user_sgpr_kernarg_segment_ptr 1
		.amdhsa_user_sgpr_dispatch_id 0
		.amdhsa_user_sgpr_flat_scratch_init 0
		.amdhsa_user_sgpr_private_segment_size 0
		.amdhsa_uses_dynamic_stack 0
		.amdhsa_system_sgpr_private_segment_wavefront_offset 0
		.amdhsa_system_sgpr_workgroup_id_x 1
		.amdhsa_system_sgpr_workgroup_id_y 0
		.amdhsa_system_sgpr_workgroup_id_z 0
		.amdhsa_system_sgpr_workgroup_info 0
		.amdhsa_system_vgpr_workitem_id 0
		.amdhsa_next_free_vgpr 1
		.amdhsa_next_free_sgpr 0
		.amdhsa_reserve_vcc 0
		.amdhsa_reserve_flat_scratch 0
		.amdhsa_float_round_mode_32 0
		.amdhsa_float_round_mode_16_64 0
		.amdhsa_float_denorm_mode_32 3
		.amdhsa_float_denorm_mode_16_64 3
		.amdhsa_dx10_clamp 1
		.amdhsa_ieee_mode 1
		.amdhsa_fp16_overflow 0
		.amdhsa_exception_fp_ieee_invalid_op 0
		.amdhsa_exception_fp_denorm_src 0
		.amdhsa_exception_fp_ieee_div_zero 0
		.amdhsa_exception_fp_ieee_overflow 0
		.amdhsa_exception_fp_ieee_underflow 0
		.amdhsa_exception_fp_ieee_inexact 0
		.amdhsa_exception_int_div_zero 0
	.end_amdhsa_kernel
	.section	.text._ZN7rocprim17ROCPRIM_400000_NS6detail17trampoline_kernelINS0_14default_configENS1_35adjacent_difference_config_selectorILb1EfEEZNS1_24adjacent_difference_implIS3_Lb1ELb0EPfS7_N6thrust23THRUST_200600_302600_NS5minusIfEEEE10hipError_tPvRmT2_T3_mT4_P12ihipStream_tbEUlT_E_NS1_11comp_targetILNS1_3genE9ELNS1_11target_archE1100ELNS1_3gpuE3ELNS1_3repE0EEENS1_30default_config_static_selectorELNS0_4arch9wavefront6targetE1EEEvT1_,"axG",@progbits,_ZN7rocprim17ROCPRIM_400000_NS6detail17trampoline_kernelINS0_14default_configENS1_35adjacent_difference_config_selectorILb1EfEEZNS1_24adjacent_difference_implIS3_Lb1ELb0EPfS7_N6thrust23THRUST_200600_302600_NS5minusIfEEEE10hipError_tPvRmT2_T3_mT4_P12ihipStream_tbEUlT_E_NS1_11comp_targetILNS1_3genE9ELNS1_11target_archE1100ELNS1_3gpuE3ELNS1_3repE0EEENS1_30default_config_static_selectorELNS0_4arch9wavefront6targetE1EEEvT1_,comdat
.Lfunc_end76:
	.size	_ZN7rocprim17ROCPRIM_400000_NS6detail17trampoline_kernelINS0_14default_configENS1_35adjacent_difference_config_selectorILb1EfEEZNS1_24adjacent_difference_implIS3_Lb1ELb0EPfS7_N6thrust23THRUST_200600_302600_NS5minusIfEEEE10hipError_tPvRmT2_T3_mT4_P12ihipStream_tbEUlT_E_NS1_11comp_targetILNS1_3genE9ELNS1_11target_archE1100ELNS1_3gpuE3ELNS1_3repE0EEENS1_30default_config_static_selectorELNS0_4arch9wavefront6targetE1EEEvT1_, .Lfunc_end76-_ZN7rocprim17ROCPRIM_400000_NS6detail17trampoline_kernelINS0_14default_configENS1_35adjacent_difference_config_selectorILb1EfEEZNS1_24adjacent_difference_implIS3_Lb1ELb0EPfS7_N6thrust23THRUST_200600_302600_NS5minusIfEEEE10hipError_tPvRmT2_T3_mT4_P12ihipStream_tbEUlT_E_NS1_11comp_targetILNS1_3genE9ELNS1_11target_archE1100ELNS1_3gpuE3ELNS1_3repE0EEENS1_30default_config_static_selectorELNS0_4arch9wavefront6targetE1EEEvT1_
                                        ; -- End function
	.set _ZN7rocprim17ROCPRIM_400000_NS6detail17trampoline_kernelINS0_14default_configENS1_35adjacent_difference_config_selectorILb1EfEEZNS1_24adjacent_difference_implIS3_Lb1ELb0EPfS7_N6thrust23THRUST_200600_302600_NS5minusIfEEEE10hipError_tPvRmT2_T3_mT4_P12ihipStream_tbEUlT_E_NS1_11comp_targetILNS1_3genE9ELNS1_11target_archE1100ELNS1_3gpuE3ELNS1_3repE0EEENS1_30default_config_static_selectorELNS0_4arch9wavefront6targetE1EEEvT1_.num_vgpr, 0
	.set _ZN7rocprim17ROCPRIM_400000_NS6detail17trampoline_kernelINS0_14default_configENS1_35adjacent_difference_config_selectorILb1EfEEZNS1_24adjacent_difference_implIS3_Lb1ELb0EPfS7_N6thrust23THRUST_200600_302600_NS5minusIfEEEE10hipError_tPvRmT2_T3_mT4_P12ihipStream_tbEUlT_E_NS1_11comp_targetILNS1_3genE9ELNS1_11target_archE1100ELNS1_3gpuE3ELNS1_3repE0EEENS1_30default_config_static_selectorELNS0_4arch9wavefront6targetE1EEEvT1_.num_agpr, 0
	.set _ZN7rocprim17ROCPRIM_400000_NS6detail17trampoline_kernelINS0_14default_configENS1_35adjacent_difference_config_selectorILb1EfEEZNS1_24adjacent_difference_implIS3_Lb1ELb0EPfS7_N6thrust23THRUST_200600_302600_NS5minusIfEEEE10hipError_tPvRmT2_T3_mT4_P12ihipStream_tbEUlT_E_NS1_11comp_targetILNS1_3genE9ELNS1_11target_archE1100ELNS1_3gpuE3ELNS1_3repE0EEENS1_30default_config_static_selectorELNS0_4arch9wavefront6targetE1EEEvT1_.numbered_sgpr, 0
	.set _ZN7rocprim17ROCPRIM_400000_NS6detail17trampoline_kernelINS0_14default_configENS1_35adjacent_difference_config_selectorILb1EfEEZNS1_24adjacent_difference_implIS3_Lb1ELb0EPfS7_N6thrust23THRUST_200600_302600_NS5minusIfEEEE10hipError_tPvRmT2_T3_mT4_P12ihipStream_tbEUlT_E_NS1_11comp_targetILNS1_3genE9ELNS1_11target_archE1100ELNS1_3gpuE3ELNS1_3repE0EEENS1_30default_config_static_selectorELNS0_4arch9wavefront6targetE1EEEvT1_.num_named_barrier, 0
	.set _ZN7rocprim17ROCPRIM_400000_NS6detail17trampoline_kernelINS0_14default_configENS1_35adjacent_difference_config_selectorILb1EfEEZNS1_24adjacent_difference_implIS3_Lb1ELb0EPfS7_N6thrust23THRUST_200600_302600_NS5minusIfEEEE10hipError_tPvRmT2_T3_mT4_P12ihipStream_tbEUlT_E_NS1_11comp_targetILNS1_3genE9ELNS1_11target_archE1100ELNS1_3gpuE3ELNS1_3repE0EEENS1_30default_config_static_selectorELNS0_4arch9wavefront6targetE1EEEvT1_.private_seg_size, 0
	.set _ZN7rocprim17ROCPRIM_400000_NS6detail17trampoline_kernelINS0_14default_configENS1_35adjacent_difference_config_selectorILb1EfEEZNS1_24adjacent_difference_implIS3_Lb1ELb0EPfS7_N6thrust23THRUST_200600_302600_NS5minusIfEEEE10hipError_tPvRmT2_T3_mT4_P12ihipStream_tbEUlT_E_NS1_11comp_targetILNS1_3genE9ELNS1_11target_archE1100ELNS1_3gpuE3ELNS1_3repE0EEENS1_30default_config_static_selectorELNS0_4arch9wavefront6targetE1EEEvT1_.uses_vcc, 0
	.set _ZN7rocprim17ROCPRIM_400000_NS6detail17trampoline_kernelINS0_14default_configENS1_35adjacent_difference_config_selectorILb1EfEEZNS1_24adjacent_difference_implIS3_Lb1ELb0EPfS7_N6thrust23THRUST_200600_302600_NS5minusIfEEEE10hipError_tPvRmT2_T3_mT4_P12ihipStream_tbEUlT_E_NS1_11comp_targetILNS1_3genE9ELNS1_11target_archE1100ELNS1_3gpuE3ELNS1_3repE0EEENS1_30default_config_static_selectorELNS0_4arch9wavefront6targetE1EEEvT1_.uses_flat_scratch, 0
	.set _ZN7rocprim17ROCPRIM_400000_NS6detail17trampoline_kernelINS0_14default_configENS1_35adjacent_difference_config_selectorILb1EfEEZNS1_24adjacent_difference_implIS3_Lb1ELb0EPfS7_N6thrust23THRUST_200600_302600_NS5minusIfEEEE10hipError_tPvRmT2_T3_mT4_P12ihipStream_tbEUlT_E_NS1_11comp_targetILNS1_3genE9ELNS1_11target_archE1100ELNS1_3gpuE3ELNS1_3repE0EEENS1_30default_config_static_selectorELNS0_4arch9wavefront6targetE1EEEvT1_.has_dyn_sized_stack, 0
	.set _ZN7rocprim17ROCPRIM_400000_NS6detail17trampoline_kernelINS0_14default_configENS1_35adjacent_difference_config_selectorILb1EfEEZNS1_24adjacent_difference_implIS3_Lb1ELb0EPfS7_N6thrust23THRUST_200600_302600_NS5minusIfEEEE10hipError_tPvRmT2_T3_mT4_P12ihipStream_tbEUlT_E_NS1_11comp_targetILNS1_3genE9ELNS1_11target_archE1100ELNS1_3gpuE3ELNS1_3repE0EEENS1_30default_config_static_selectorELNS0_4arch9wavefront6targetE1EEEvT1_.has_recursion, 0
	.set _ZN7rocprim17ROCPRIM_400000_NS6detail17trampoline_kernelINS0_14default_configENS1_35adjacent_difference_config_selectorILb1EfEEZNS1_24adjacent_difference_implIS3_Lb1ELb0EPfS7_N6thrust23THRUST_200600_302600_NS5minusIfEEEE10hipError_tPvRmT2_T3_mT4_P12ihipStream_tbEUlT_E_NS1_11comp_targetILNS1_3genE9ELNS1_11target_archE1100ELNS1_3gpuE3ELNS1_3repE0EEENS1_30default_config_static_selectorELNS0_4arch9wavefront6targetE1EEEvT1_.has_indirect_call, 0
	.section	.AMDGPU.csdata,"",@progbits
; Kernel info:
; codeLenInByte = 0
; TotalNumSgprs: 4
; NumVgprs: 0
; ScratchSize: 0
; MemoryBound: 0
; FloatMode: 240
; IeeeMode: 1
; LDSByteSize: 0 bytes/workgroup (compile time only)
; SGPRBlocks: 0
; VGPRBlocks: 0
; NumSGPRsForWavesPerEU: 4
; NumVGPRsForWavesPerEU: 1
; Occupancy: 10
; WaveLimiterHint : 0
; COMPUTE_PGM_RSRC2:SCRATCH_EN: 0
; COMPUTE_PGM_RSRC2:USER_SGPR: 6
; COMPUTE_PGM_RSRC2:TRAP_HANDLER: 0
; COMPUTE_PGM_RSRC2:TGID_X_EN: 1
; COMPUTE_PGM_RSRC2:TGID_Y_EN: 0
; COMPUTE_PGM_RSRC2:TGID_Z_EN: 0
; COMPUTE_PGM_RSRC2:TIDIG_COMP_CNT: 0
	.section	.text._ZN7rocprim17ROCPRIM_400000_NS6detail17trampoline_kernelINS0_14default_configENS1_35adjacent_difference_config_selectorILb1EfEEZNS1_24adjacent_difference_implIS3_Lb1ELb0EPfS7_N6thrust23THRUST_200600_302600_NS5minusIfEEEE10hipError_tPvRmT2_T3_mT4_P12ihipStream_tbEUlT_E_NS1_11comp_targetILNS1_3genE8ELNS1_11target_archE1030ELNS1_3gpuE2ELNS1_3repE0EEENS1_30default_config_static_selectorELNS0_4arch9wavefront6targetE1EEEvT1_,"axG",@progbits,_ZN7rocprim17ROCPRIM_400000_NS6detail17trampoline_kernelINS0_14default_configENS1_35adjacent_difference_config_selectorILb1EfEEZNS1_24adjacent_difference_implIS3_Lb1ELb0EPfS7_N6thrust23THRUST_200600_302600_NS5minusIfEEEE10hipError_tPvRmT2_T3_mT4_P12ihipStream_tbEUlT_E_NS1_11comp_targetILNS1_3genE8ELNS1_11target_archE1030ELNS1_3gpuE2ELNS1_3repE0EEENS1_30default_config_static_selectorELNS0_4arch9wavefront6targetE1EEEvT1_,comdat
	.protected	_ZN7rocprim17ROCPRIM_400000_NS6detail17trampoline_kernelINS0_14default_configENS1_35adjacent_difference_config_selectorILb1EfEEZNS1_24adjacent_difference_implIS3_Lb1ELb0EPfS7_N6thrust23THRUST_200600_302600_NS5minusIfEEEE10hipError_tPvRmT2_T3_mT4_P12ihipStream_tbEUlT_E_NS1_11comp_targetILNS1_3genE8ELNS1_11target_archE1030ELNS1_3gpuE2ELNS1_3repE0EEENS1_30default_config_static_selectorELNS0_4arch9wavefront6targetE1EEEvT1_ ; -- Begin function _ZN7rocprim17ROCPRIM_400000_NS6detail17trampoline_kernelINS0_14default_configENS1_35adjacent_difference_config_selectorILb1EfEEZNS1_24adjacent_difference_implIS3_Lb1ELb0EPfS7_N6thrust23THRUST_200600_302600_NS5minusIfEEEE10hipError_tPvRmT2_T3_mT4_P12ihipStream_tbEUlT_E_NS1_11comp_targetILNS1_3genE8ELNS1_11target_archE1030ELNS1_3gpuE2ELNS1_3repE0EEENS1_30default_config_static_selectorELNS0_4arch9wavefront6targetE1EEEvT1_
	.globl	_ZN7rocprim17ROCPRIM_400000_NS6detail17trampoline_kernelINS0_14default_configENS1_35adjacent_difference_config_selectorILb1EfEEZNS1_24adjacent_difference_implIS3_Lb1ELb0EPfS7_N6thrust23THRUST_200600_302600_NS5minusIfEEEE10hipError_tPvRmT2_T3_mT4_P12ihipStream_tbEUlT_E_NS1_11comp_targetILNS1_3genE8ELNS1_11target_archE1030ELNS1_3gpuE2ELNS1_3repE0EEENS1_30default_config_static_selectorELNS0_4arch9wavefront6targetE1EEEvT1_
	.p2align	8
	.type	_ZN7rocprim17ROCPRIM_400000_NS6detail17trampoline_kernelINS0_14default_configENS1_35adjacent_difference_config_selectorILb1EfEEZNS1_24adjacent_difference_implIS3_Lb1ELb0EPfS7_N6thrust23THRUST_200600_302600_NS5minusIfEEEE10hipError_tPvRmT2_T3_mT4_P12ihipStream_tbEUlT_E_NS1_11comp_targetILNS1_3genE8ELNS1_11target_archE1030ELNS1_3gpuE2ELNS1_3repE0EEENS1_30default_config_static_selectorELNS0_4arch9wavefront6targetE1EEEvT1_,@function
_ZN7rocprim17ROCPRIM_400000_NS6detail17trampoline_kernelINS0_14default_configENS1_35adjacent_difference_config_selectorILb1EfEEZNS1_24adjacent_difference_implIS3_Lb1ELb0EPfS7_N6thrust23THRUST_200600_302600_NS5minusIfEEEE10hipError_tPvRmT2_T3_mT4_P12ihipStream_tbEUlT_E_NS1_11comp_targetILNS1_3genE8ELNS1_11target_archE1030ELNS1_3gpuE2ELNS1_3repE0EEENS1_30default_config_static_selectorELNS0_4arch9wavefront6targetE1EEEvT1_: ; @_ZN7rocprim17ROCPRIM_400000_NS6detail17trampoline_kernelINS0_14default_configENS1_35adjacent_difference_config_selectorILb1EfEEZNS1_24adjacent_difference_implIS3_Lb1ELb0EPfS7_N6thrust23THRUST_200600_302600_NS5minusIfEEEE10hipError_tPvRmT2_T3_mT4_P12ihipStream_tbEUlT_E_NS1_11comp_targetILNS1_3genE8ELNS1_11target_archE1030ELNS1_3gpuE2ELNS1_3repE0EEENS1_30default_config_static_selectorELNS0_4arch9wavefront6targetE1EEEvT1_
; %bb.0:
	.section	.rodata,"a",@progbits
	.p2align	6, 0x0
	.amdhsa_kernel _ZN7rocprim17ROCPRIM_400000_NS6detail17trampoline_kernelINS0_14default_configENS1_35adjacent_difference_config_selectorILb1EfEEZNS1_24adjacent_difference_implIS3_Lb1ELb0EPfS7_N6thrust23THRUST_200600_302600_NS5minusIfEEEE10hipError_tPvRmT2_T3_mT4_P12ihipStream_tbEUlT_E_NS1_11comp_targetILNS1_3genE8ELNS1_11target_archE1030ELNS1_3gpuE2ELNS1_3repE0EEENS1_30default_config_static_selectorELNS0_4arch9wavefront6targetE1EEEvT1_
		.amdhsa_group_segment_fixed_size 0
		.amdhsa_private_segment_fixed_size 0
		.amdhsa_kernarg_size 56
		.amdhsa_user_sgpr_count 6
		.amdhsa_user_sgpr_private_segment_buffer 1
		.amdhsa_user_sgpr_dispatch_ptr 0
		.amdhsa_user_sgpr_queue_ptr 0
		.amdhsa_user_sgpr_kernarg_segment_ptr 1
		.amdhsa_user_sgpr_dispatch_id 0
		.amdhsa_user_sgpr_flat_scratch_init 0
		.amdhsa_user_sgpr_private_segment_size 0
		.amdhsa_uses_dynamic_stack 0
		.amdhsa_system_sgpr_private_segment_wavefront_offset 0
		.amdhsa_system_sgpr_workgroup_id_x 1
		.amdhsa_system_sgpr_workgroup_id_y 0
		.amdhsa_system_sgpr_workgroup_id_z 0
		.amdhsa_system_sgpr_workgroup_info 0
		.amdhsa_system_vgpr_workitem_id 0
		.amdhsa_next_free_vgpr 1
		.amdhsa_next_free_sgpr 0
		.amdhsa_reserve_vcc 0
		.amdhsa_reserve_flat_scratch 0
		.amdhsa_float_round_mode_32 0
		.amdhsa_float_round_mode_16_64 0
		.amdhsa_float_denorm_mode_32 3
		.amdhsa_float_denorm_mode_16_64 3
		.amdhsa_dx10_clamp 1
		.amdhsa_ieee_mode 1
		.amdhsa_fp16_overflow 0
		.amdhsa_exception_fp_ieee_invalid_op 0
		.amdhsa_exception_fp_denorm_src 0
		.amdhsa_exception_fp_ieee_div_zero 0
		.amdhsa_exception_fp_ieee_overflow 0
		.amdhsa_exception_fp_ieee_underflow 0
		.amdhsa_exception_fp_ieee_inexact 0
		.amdhsa_exception_int_div_zero 0
	.end_amdhsa_kernel
	.section	.text._ZN7rocprim17ROCPRIM_400000_NS6detail17trampoline_kernelINS0_14default_configENS1_35adjacent_difference_config_selectorILb1EfEEZNS1_24adjacent_difference_implIS3_Lb1ELb0EPfS7_N6thrust23THRUST_200600_302600_NS5minusIfEEEE10hipError_tPvRmT2_T3_mT4_P12ihipStream_tbEUlT_E_NS1_11comp_targetILNS1_3genE8ELNS1_11target_archE1030ELNS1_3gpuE2ELNS1_3repE0EEENS1_30default_config_static_selectorELNS0_4arch9wavefront6targetE1EEEvT1_,"axG",@progbits,_ZN7rocprim17ROCPRIM_400000_NS6detail17trampoline_kernelINS0_14default_configENS1_35adjacent_difference_config_selectorILb1EfEEZNS1_24adjacent_difference_implIS3_Lb1ELb0EPfS7_N6thrust23THRUST_200600_302600_NS5minusIfEEEE10hipError_tPvRmT2_T3_mT4_P12ihipStream_tbEUlT_E_NS1_11comp_targetILNS1_3genE8ELNS1_11target_archE1030ELNS1_3gpuE2ELNS1_3repE0EEENS1_30default_config_static_selectorELNS0_4arch9wavefront6targetE1EEEvT1_,comdat
.Lfunc_end77:
	.size	_ZN7rocprim17ROCPRIM_400000_NS6detail17trampoline_kernelINS0_14default_configENS1_35adjacent_difference_config_selectorILb1EfEEZNS1_24adjacent_difference_implIS3_Lb1ELb0EPfS7_N6thrust23THRUST_200600_302600_NS5minusIfEEEE10hipError_tPvRmT2_T3_mT4_P12ihipStream_tbEUlT_E_NS1_11comp_targetILNS1_3genE8ELNS1_11target_archE1030ELNS1_3gpuE2ELNS1_3repE0EEENS1_30default_config_static_selectorELNS0_4arch9wavefront6targetE1EEEvT1_, .Lfunc_end77-_ZN7rocprim17ROCPRIM_400000_NS6detail17trampoline_kernelINS0_14default_configENS1_35adjacent_difference_config_selectorILb1EfEEZNS1_24adjacent_difference_implIS3_Lb1ELb0EPfS7_N6thrust23THRUST_200600_302600_NS5minusIfEEEE10hipError_tPvRmT2_T3_mT4_P12ihipStream_tbEUlT_E_NS1_11comp_targetILNS1_3genE8ELNS1_11target_archE1030ELNS1_3gpuE2ELNS1_3repE0EEENS1_30default_config_static_selectorELNS0_4arch9wavefront6targetE1EEEvT1_
                                        ; -- End function
	.set _ZN7rocprim17ROCPRIM_400000_NS6detail17trampoline_kernelINS0_14default_configENS1_35adjacent_difference_config_selectorILb1EfEEZNS1_24adjacent_difference_implIS3_Lb1ELb0EPfS7_N6thrust23THRUST_200600_302600_NS5minusIfEEEE10hipError_tPvRmT2_T3_mT4_P12ihipStream_tbEUlT_E_NS1_11comp_targetILNS1_3genE8ELNS1_11target_archE1030ELNS1_3gpuE2ELNS1_3repE0EEENS1_30default_config_static_selectorELNS0_4arch9wavefront6targetE1EEEvT1_.num_vgpr, 0
	.set _ZN7rocprim17ROCPRIM_400000_NS6detail17trampoline_kernelINS0_14default_configENS1_35adjacent_difference_config_selectorILb1EfEEZNS1_24adjacent_difference_implIS3_Lb1ELb0EPfS7_N6thrust23THRUST_200600_302600_NS5minusIfEEEE10hipError_tPvRmT2_T3_mT4_P12ihipStream_tbEUlT_E_NS1_11comp_targetILNS1_3genE8ELNS1_11target_archE1030ELNS1_3gpuE2ELNS1_3repE0EEENS1_30default_config_static_selectorELNS0_4arch9wavefront6targetE1EEEvT1_.num_agpr, 0
	.set _ZN7rocprim17ROCPRIM_400000_NS6detail17trampoline_kernelINS0_14default_configENS1_35adjacent_difference_config_selectorILb1EfEEZNS1_24adjacent_difference_implIS3_Lb1ELb0EPfS7_N6thrust23THRUST_200600_302600_NS5minusIfEEEE10hipError_tPvRmT2_T3_mT4_P12ihipStream_tbEUlT_E_NS1_11comp_targetILNS1_3genE8ELNS1_11target_archE1030ELNS1_3gpuE2ELNS1_3repE0EEENS1_30default_config_static_selectorELNS0_4arch9wavefront6targetE1EEEvT1_.numbered_sgpr, 0
	.set _ZN7rocprim17ROCPRIM_400000_NS6detail17trampoline_kernelINS0_14default_configENS1_35adjacent_difference_config_selectorILb1EfEEZNS1_24adjacent_difference_implIS3_Lb1ELb0EPfS7_N6thrust23THRUST_200600_302600_NS5minusIfEEEE10hipError_tPvRmT2_T3_mT4_P12ihipStream_tbEUlT_E_NS1_11comp_targetILNS1_3genE8ELNS1_11target_archE1030ELNS1_3gpuE2ELNS1_3repE0EEENS1_30default_config_static_selectorELNS0_4arch9wavefront6targetE1EEEvT1_.num_named_barrier, 0
	.set _ZN7rocprim17ROCPRIM_400000_NS6detail17trampoline_kernelINS0_14default_configENS1_35adjacent_difference_config_selectorILb1EfEEZNS1_24adjacent_difference_implIS3_Lb1ELb0EPfS7_N6thrust23THRUST_200600_302600_NS5minusIfEEEE10hipError_tPvRmT2_T3_mT4_P12ihipStream_tbEUlT_E_NS1_11comp_targetILNS1_3genE8ELNS1_11target_archE1030ELNS1_3gpuE2ELNS1_3repE0EEENS1_30default_config_static_selectorELNS0_4arch9wavefront6targetE1EEEvT1_.private_seg_size, 0
	.set _ZN7rocprim17ROCPRIM_400000_NS6detail17trampoline_kernelINS0_14default_configENS1_35adjacent_difference_config_selectorILb1EfEEZNS1_24adjacent_difference_implIS3_Lb1ELb0EPfS7_N6thrust23THRUST_200600_302600_NS5minusIfEEEE10hipError_tPvRmT2_T3_mT4_P12ihipStream_tbEUlT_E_NS1_11comp_targetILNS1_3genE8ELNS1_11target_archE1030ELNS1_3gpuE2ELNS1_3repE0EEENS1_30default_config_static_selectorELNS0_4arch9wavefront6targetE1EEEvT1_.uses_vcc, 0
	.set _ZN7rocprim17ROCPRIM_400000_NS6detail17trampoline_kernelINS0_14default_configENS1_35adjacent_difference_config_selectorILb1EfEEZNS1_24adjacent_difference_implIS3_Lb1ELb0EPfS7_N6thrust23THRUST_200600_302600_NS5minusIfEEEE10hipError_tPvRmT2_T3_mT4_P12ihipStream_tbEUlT_E_NS1_11comp_targetILNS1_3genE8ELNS1_11target_archE1030ELNS1_3gpuE2ELNS1_3repE0EEENS1_30default_config_static_selectorELNS0_4arch9wavefront6targetE1EEEvT1_.uses_flat_scratch, 0
	.set _ZN7rocprim17ROCPRIM_400000_NS6detail17trampoline_kernelINS0_14default_configENS1_35adjacent_difference_config_selectorILb1EfEEZNS1_24adjacent_difference_implIS3_Lb1ELb0EPfS7_N6thrust23THRUST_200600_302600_NS5minusIfEEEE10hipError_tPvRmT2_T3_mT4_P12ihipStream_tbEUlT_E_NS1_11comp_targetILNS1_3genE8ELNS1_11target_archE1030ELNS1_3gpuE2ELNS1_3repE0EEENS1_30default_config_static_selectorELNS0_4arch9wavefront6targetE1EEEvT1_.has_dyn_sized_stack, 0
	.set _ZN7rocprim17ROCPRIM_400000_NS6detail17trampoline_kernelINS0_14default_configENS1_35adjacent_difference_config_selectorILb1EfEEZNS1_24adjacent_difference_implIS3_Lb1ELb0EPfS7_N6thrust23THRUST_200600_302600_NS5minusIfEEEE10hipError_tPvRmT2_T3_mT4_P12ihipStream_tbEUlT_E_NS1_11comp_targetILNS1_3genE8ELNS1_11target_archE1030ELNS1_3gpuE2ELNS1_3repE0EEENS1_30default_config_static_selectorELNS0_4arch9wavefront6targetE1EEEvT1_.has_recursion, 0
	.set _ZN7rocprim17ROCPRIM_400000_NS6detail17trampoline_kernelINS0_14default_configENS1_35adjacent_difference_config_selectorILb1EfEEZNS1_24adjacent_difference_implIS3_Lb1ELb0EPfS7_N6thrust23THRUST_200600_302600_NS5minusIfEEEE10hipError_tPvRmT2_T3_mT4_P12ihipStream_tbEUlT_E_NS1_11comp_targetILNS1_3genE8ELNS1_11target_archE1030ELNS1_3gpuE2ELNS1_3repE0EEENS1_30default_config_static_selectorELNS0_4arch9wavefront6targetE1EEEvT1_.has_indirect_call, 0
	.section	.AMDGPU.csdata,"",@progbits
; Kernel info:
; codeLenInByte = 0
; TotalNumSgprs: 4
; NumVgprs: 0
; ScratchSize: 0
; MemoryBound: 0
; FloatMode: 240
; IeeeMode: 1
; LDSByteSize: 0 bytes/workgroup (compile time only)
; SGPRBlocks: 0
; VGPRBlocks: 0
; NumSGPRsForWavesPerEU: 4
; NumVGPRsForWavesPerEU: 1
; Occupancy: 10
; WaveLimiterHint : 0
; COMPUTE_PGM_RSRC2:SCRATCH_EN: 0
; COMPUTE_PGM_RSRC2:USER_SGPR: 6
; COMPUTE_PGM_RSRC2:TRAP_HANDLER: 0
; COMPUTE_PGM_RSRC2:TGID_X_EN: 1
; COMPUTE_PGM_RSRC2:TGID_Y_EN: 0
; COMPUTE_PGM_RSRC2:TGID_Z_EN: 0
; COMPUTE_PGM_RSRC2:TIDIG_COMP_CNT: 0
	.section	.text._ZN7rocprim17ROCPRIM_400000_NS6detail17trampoline_kernelINS0_14default_configENS1_35adjacent_difference_config_selectorILb0EfEEZNS1_24adjacent_difference_implIS3_Lb0ELb0EPfS7_N6thrust23THRUST_200600_302600_NS4plusIfEEEE10hipError_tPvRmT2_T3_mT4_P12ihipStream_tbEUlT_E_NS1_11comp_targetILNS1_3genE0ELNS1_11target_archE4294967295ELNS1_3gpuE0ELNS1_3repE0EEENS1_30default_config_static_selectorELNS0_4arch9wavefront6targetE1EEEvT1_,"axG",@progbits,_ZN7rocprim17ROCPRIM_400000_NS6detail17trampoline_kernelINS0_14default_configENS1_35adjacent_difference_config_selectorILb0EfEEZNS1_24adjacent_difference_implIS3_Lb0ELb0EPfS7_N6thrust23THRUST_200600_302600_NS4plusIfEEEE10hipError_tPvRmT2_T3_mT4_P12ihipStream_tbEUlT_E_NS1_11comp_targetILNS1_3genE0ELNS1_11target_archE4294967295ELNS1_3gpuE0ELNS1_3repE0EEENS1_30default_config_static_selectorELNS0_4arch9wavefront6targetE1EEEvT1_,comdat
	.protected	_ZN7rocprim17ROCPRIM_400000_NS6detail17trampoline_kernelINS0_14default_configENS1_35adjacent_difference_config_selectorILb0EfEEZNS1_24adjacent_difference_implIS3_Lb0ELb0EPfS7_N6thrust23THRUST_200600_302600_NS4plusIfEEEE10hipError_tPvRmT2_T3_mT4_P12ihipStream_tbEUlT_E_NS1_11comp_targetILNS1_3genE0ELNS1_11target_archE4294967295ELNS1_3gpuE0ELNS1_3repE0EEENS1_30default_config_static_selectorELNS0_4arch9wavefront6targetE1EEEvT1_ ; -- Begin function _ZN7rocprim17ROCPRIM_400000_NS6detail17trampoline_kernelINS0_14default_configENS1_35adjacent_difference_config_selectorILb0EfEEZNS1_24adjacent_difference_implIS3_Lb0ELb0EPfS7_N6thrust23THRUST_200600_302600_NS4plusIfEEEE10hipError_tPvRmT2_T3_mT4_P12ihipStream_tbEUlT_E_NS1_11comp_targetILNS1_3genE0ELNS1_11target_archE4294967295ELNS1_3gpuE0ELNS1_3repE0EEENS1_30default_config_static_selectorELNS0_4arch9wavefront6targetE1EEEvT1_
	.globl	_ZN7rocprim17ROCPRIM_400000_NS6detail17trampoline_kernelINS0_14default_configENS1_35adjacent_difference_config_selectorILb0EfEEZNS1_24adjacent_difference_implIS3_Lb0ELb0EPfS7_N6thrust23THRUST_200600_302600_NS4plusIfEEEE10hipError_tPvRmT2_T3_mT4_P12ihipStream_tbEUlT_E_NS1_11comp_targetILNS1_3genE0ELNS1_11target_archE4294967295ELNS1_3gpuE0ELNS1_3repE0EEENS1_30default_config_static_selectorELNS0_4arch9wavefront6targetE1EEEvT1_
	.p2align	8
	.type	_ZN7rocprim17ROCPRIM_400000_NS6detail17trampoline_kernelINS0_14default_configENS1_35adjacent_difference_config_selectorILb0EfEEZNS1_24adjacent_difference_implIS3_Lb0ELb0EPfS7_N6thrust23THRUST_200600_302600_NS4plusIfEEEE10hipError_tPvRmT2_T3_mT4_P12ihipStream_tbEUlT_E_NS1_11comp_targetILNS1_3genE0ELNS1_11target_archE4294967295ELNS1_3gpuE0ELNS1_3repE0EEENS1_30default_config_static_selectorELNS0_4arch9wavefront6targetE1EEEvT1_,@function
_ZN7rocprim17ROCPRIM_400000_NS6detail17trampoline_kernelINS0_14default_configENS1_35adjacent_difference_config_selectorILb0EfEEZNS1_24adjacent_difference_implIS3_Lb0ELb0EPfS7_N6thrust23THRUST_200600_302600_NS4plusIfEEEE10hipError_tPvRmT2_T3_mT4_P12ihipStream_tbEUlT_E_NS1_11comp_targetILNS1_3genE0ELNS1_11target_archE4294967295ELNS1_3gpuE0ELNS1_3repE0EEENS1_30default_config_static_selectorELNS0_4arch9wavefront6targetE1EEEvT1_: ; @_ZN7rocprim17ROCPRIM_400000_NS6detail17trampoline_kernelINS0_14default_configENS1_35adjacent_difference_config_selectorILb0EfEEZNS1_24adjacent_difference_implIS3_Lb0ELb0EPfS7_N6thrust23THRUST_200600_302600_NS4plusIfEEEE10hipError_tPvRmT2_T3_mT4_P12ihipStream_tbEUlT_E_NS1_11comp_targetILNS1_3genE0ELNS1_11target_archE4294967295ELNS1_3gpuE0ELNS1_3repE0EEENS1_30default_config_static_selectorELNS0_4arch9wavefront6targetE1EEEvT1_
; %bb.0:
	.section	.rodata,"a",@progbits
	.p2align	6, 0x0
	.amdhsa_kernel _ZN7rocprim17ROCPRIM_400000_NS6detail17trampoline_kernelINS0_14default_configENS1_35adjacent_difference_config_selectorILb0EfEEZNS1_24adjacent_difference_implIS3_Lb0ELb0EPfS7_N6thrust23THRUST_200600_302600_NS4plusIfEEEE10hipError_tPvRmT2_T3_mT4_P12ihipStream_tbEUlT_E_NS1_11comp_targetILNS1_3genE0ELNS1_11target_archE4294967295ELNS1_3gpuE0ELNS1_3repE0EEENS1_30default_config_static_selectorELNS0_4arch9wavefront6targetE1EEEvT1_
		.amdhsa_group_segment_fixed_size 0
		.amdhsa_private_segment_fixed_size 0
		.amdhsa_kernarg_size 56
		.amdhsa_user_sgpr_count 6
		.amdhsa_user_sgpr_private_segment_buffer 1
		.amdhsa_user_sgpr_dispatch_ptr 0
		.amdhsa_user_sgpr_queue_ptr 0
		.amdhsa_user_sgpr_kernarg_segment_ptr 1
		.amdhsa_user_sgpr_dispatch_id 0
		.amdhsa_user_sgpr_flat_scratch_init 0
		.amdhsa_user_sgpr_private_segment_size 0
		.amdhsa_uses_dynamic_stack 0
		.amdhsa_system_sgpr_private_segment_wavefront_offset 0
		.amdhsa_system_sgpr_workgroup_id_x 1
		.amdhsa_system_sgpr_workgroup_id_y 0
		.amdhsa_system_sgpr_workgroup_id_z 0
		.amdhsa_system_sgpr_workgroup_info 0
		.amdhsa_system_vgpr_workitem_id 0
		.amdhsa_next_free_vgpr 1
		.amdhsa_next_free_sgpr 0
		.amdhsa_reserve_vcc 0
		.amdhsa_reserve_flat_scratch 0
		.amdhsa_float_round_mode_32 0
		.amdhsa_float_round_mode_16_64 0
		.amdhsa_float_denorm_mode_32 3
		.amdhsa_float_denorm_mode_16_64 3
		.amdhsa_dx10_clamp 1
		.amdhsa_ieee_mode 1
		.amdhsa_fp16_overflow 0
		.amdhsa_exception_fp_ieee_invalid_op 0
		.amdhsa_exception_fp_denorm_src 0
		.amdhsa_exception_fp_ieee_div_zero 0
		.amdhsa_exception_fp_ieee_overflow 0
		.amdhsa_exception_fp_ieee_underflow 0
		.amdhsa_exception_fp_ieee_inexact 0
		.amdhsa_exception_int_div_zero 0
	.end_amdhsa_kernel
	.section	.text._ZN7rocprim17ROCPRIM_400000_NS6detail17trampoline_kernelINS0_14default_configENS1_35adjacent_difference_config_selectorILb0EfEEZNS1_24adjacent_difference_implIS3_Lb0ELb0EPfS7_N6thrust23THRUST_200600_302600_NS4plusIfEEEE10hipError_tPvRmT2_T3_mT4_P12ihipStream_tbEUlT_E_NS1_11comp_targetILNS1_3genE0ELNS1_11target_archE4294967295ELNS1_3gpuE0ELNS1_3repE0EEENS1_30default_config_static_selectorELNS0_4arch9wavefront6targetE1EEEvT1_,"axG",@progbits,_ZN7rocprim17ROCPRIM_400000_NS6detail17trampoline_kernelINS0_14default_configENS1_35adjacent_difference_config_selectorILb0EfEEZNS1_24adjacent_difference_implIS3_Lb0ELb0EPfS7_N6thrust23THRUST_200600_302600_NS4plusIfEEEE10hipError_tPvRmT2_T3_mT4_P12ihipStream_tbEUlT_E_NS1_11comp_targetILNS1_3genE0ELNS1_11target_archE4294967295ELNS1_3gpuE0ELNS1_3repE0EEENS1_30default_config_static_selectorELNS0_4arch9wavefront6targetE1EEEvT1_,comdat
.Lfunc_end78:
	.size	_ZN7rocprim17ROCPRIM_400000_NS6detail17trampoline_kernelINS0_14default_configENS1_35adjacent_difference_config_selectorILb0EfEEZNS1_24adjacent_difference_implIS3_Lb0ELb0EPfS7_N6thrust23THRUST_200600_302600_NS4plusIfEEEE10hipError_tPvRmT2_T3_mT4_P12ihipStream_tbEUlT_E_NS1_11comp_targetILNS1_3genE0ELNS1_11target_archE4294967295ELNS1_3gpuE0ELNS1_3repE0EEENS1_30default_config_static_selectorELNS0_4arch9wavefront6targetE1EEEvT1_, .Lfunc_end78-_ZN7rocprim17ROCPRIM_400000_NS6detail17trampoline_kernelINS0_14default_configENS1_35adjacent_difference_config_selectorILb0EfEEZNS1_24adjacent_difference_implIS3_Lb0ELb0EPfS7_N6thrust23THRUST_200600_302600_NS4plusIfEEEE10hipError_tPvRmT2_T3_mT4_P12ihipStream_tbEUlT_E_NS1_11comp_targetILNS1_3genE0ELNS1_11target_archE4294967295ELNS1_3gpuE0ELNS1_3repE0EEENS1_30default_config_static_selectorELNS0_4arch9wavefront6targetE1EEEvT1_
                                        ; -- End function
	.set _ZN7rocprim17ROCPRIM_400000_NS6detail17trampoline_kernelINS0_14default_configENS1_35adjacent_difference_config_selectorILb0EfEEZNS1_24adjacent_difference_implIS3_Lb0ELb0EPfS7_N6thrust23THRUST_200600_302600_NS4plusIfEEEE10hipError_tPvRmT2_T3_mT4_P12ihipStream_tbEUlT_E_NS1_11comp_targetILNS1_3genE0ELNS1_11target_archE4294967295ELNS1_3gpuE0ELNS1_3repE0EEENS1_30default_config_static_selectorELNS0_4arch9wavefront6targetE1EEEvT1_.num_vgpr, 0
	.set _ZN7rocprim17ROCPRIM_400000_NS6detail17trampoline_kernelINS0_14default_configENS1_35adjacent_difference_config_selectorILb0EfEEZNS1_24adjacent_difference_implIS3_Lb0ELb0EPfS7_N6thrust23THRUST_200600_302600_NS4plusIfEEEE10hipError_tPvRmT2_T3_mT4_P12ihipStream_tbEUlT_E_NS1_11comp_targetILNS1_3genE0ELNS1_11target_archE4294967295ELNS1_3gpuE0ELNS1_3repE0EEENS1_30default_config_static_selectorELNS0_4arch9wavefront6targetE1EEEvT1_.num_agpr, 0
	.set _ZN7rocprim17ROCPRIM_400000_NS6detail17trampoline_kernelINS0_14default_configENS1_35adjacent_difference_config_selectorILb0EfEEZNS1_24adjacent_difference_implIS3_Lb0ELb0EPfS7_N6thrust23THRUST_200600_302600_NS4plusIfEEEE10hipError_tPvRmT2_T3_mT4_P12ihipStream_tbEUlT_E_NS1_11comp_targetILNS1_3genE0ELNS1_11target_archE4294967295ELNS1_3gpuE0ELNS1_3repE0EEENS1_30default_config_static_selectorELNS0_4arch9wavefront6targetE1EEEvT1_.numbered_sgpr, 0
	.set _ZN7rocprim17ROCPRIM_400000_NS6detail17trampoline_kernelINS0_14default_configENS1_35adjacent_difference_config_selectorILb0EfEEZNS1_24adjacent_difference_implIS3_Lb0ELb0EPfS7_N6thrust23THRUST_200600_302600_NS4plusIfEEEE10hipError_tPvRmT2_T3_mT4_P12ihipStream_tbEUlT_E_NS1_11comp_targetILNS1_3genE0ELNS1_11target_archE4294967295ELNS1_3gpuE0ELNS1_3repE0EEENS1_30default_config_static_selectorELNS0_4arch9wavefront6targetE1EEEvT1_.num_named_barrier, 0
	.set _ZN7rocprim17ROCPRIM_400000_NS6detail17trampoline_kernelINS0_14default_configENS1_35adjacent_difference_config_selectorILb0EfEEZNS1_24adjacent_difference_implIS3_Lb0ELb0EPfS7_N6thrust23THRUST_200600_302600_NS4plusIfEEEE10hipError_tPvRmT2_T3_mT4_P12ihipStream_tbEUlT_E_NS1_11comp_targetILNS1_3genE0ELNS1_11target_archE4294967295ELNS1_3gpuE0ELNS1_3repE0EEENS1_30default_config_static_selectorELNS0_4arch9wavefront6targetE1EEEvT1_.private_seg_size, 0
	.set _ZN7rocprim17ROCPRIM_400000_NS6detail17trampoline_kernelINS0_14default_configENS1_35adjacent_difference_config_selectorILb0EfEEZNS1_24adjacent_difference_implIS3_Lb0ELb0EPfS7_N6thrust23THRUST_200600_302600_NS4plusIfEEEE10hipError_tPvRmT2_T3_mT4_P12ihipStream_tbEUlT_E_NS1_11comp_targetILNS1_3genE0ELNS1_11target_archE4294967295ELNS1_3gpuE0ELNS1_3repE0EEENS1_30default_config_static_selectorELNS0_4arch9wavefront6targetE1EEEvT1_.uses_vcc, 0
	.set _ZN7rocprim17ROCPRIM_400000_NS6detail17trampoline_kernelINS0_14default_configENS1_35adjacent_difference_config_selectorILb0EfEEZNS1_24adjacent_difference_implIS3_Lb0ELb0EPfS7_N6thrust23THRUST_200600_302600_NS4plusIfEEEE10hipError_tPvRmT2_T3_mT4_P12ihipStream_tbEUlT_E_NS1_11comp_targetILNS1_3genE0ELNS1_11target_archE4294967295ELNS1_3gpuE0ELNS1_3repE0EEENS1_30default_config_static_selectorELNS0_4arch9wavefront6targetE1EEEvT1_.uses_flat_scratch, 0
	.set _ZN7rocprim17ROCPRIM_400000_NS6detail17trampoline_kernelINS0_14default_configENS1_35adjacent_difference_config_selectorILb0EfEEZNS1_24adjacent_difference_implIS3_Lb0ELb0EPfS7_N6thrust23THRUST_200600_302600_NS4plusIfEEEE10hipError_tPvRmT2_T3_mT4_P12ihipStream_tbEUlT_E_NS1_11comp_targetILNS1_3genE0ELNS1_11target_archE4294967295ELNS1_3gpuE0ELNS1_3repE0EEENS1_30default_config_static_selectorELNS0_4arch9wavefront6targetE1EEEvT1_.has_dyn_sized_stack, 0
	.set _ZN7rocprim17ROCPRIM_400000_NS6detail17trampoline_kernelINS0_14default_configENS1_35adjacent_difference_config_selectorILb0EfEEZNS1_24adjacent_difference_implIS3_Lb0ELb0EPfS7_N6thrust23THRUST_200600_302600_NS4plusIfEEEE10hipError_tPvRmT2_T3_mT4_P12ihipStream_tbEUlT_E_NS1_11comp_targetILNS1_3genE0ELNS1_11target_archE4294967295ELNS1_3gpuE0ELNS1_3repE0EEENS1_30default_config_static_selectorELNS0_4arch9wavefront6targetE1EEEvT1_.has_recursion, 0
	.set _ZN7rocprim17ROCPRIM_400000_NS6detail17trampoline_kernelINS0_14default_configENS1_35adjacent_difference_config_selectorILb0EfEEZNS1_24adjacent_difference_implIS3_Lb0ELb0EPfS7_N6thrust23THRUST_200600_302600_NS4plusIfEEEE10hipError_tPvRmT2_T3_mT4_P12ihipStream_tbEUlT_E_NS1_11comp_targetILNS1_3genE0ELNS1_11target_archE4294967295ELNS1_3gpuE0ELNS1_3repE0EEENS1_30default_config_static_selectorELNS0_4arch9wavefront6targetE1EEEvT1_.has_indirect_call, 0
	.section	.AMDGPU.csdata,"",@progbits
; Kernel info:
; codeLenInByte = 0
; TotalNumSgprs: 4
; NumVgprs: 0
; ScratchSize: 0
; MemoryBound: 0
; FloatMode: 240
; IeeeMode: 1
; LDSByteSize: 0 bytes/workgroup (compile time only)
; SGPRBlocks: 0
; VGPRBlocks: 0
; NumSGPRsForWavesPerEU: 4
; NumVGPRsForWavesPerEU: 1
; Occupancy: 10
; WaveLimiterHint : 0
; COMPUTE_PGM_RSRC2:SCRATCH_EN: 0
; COMPUTE_PGM_RSRC2:USER_SGPR: 6
; COMPUTE_PGM_RSRC2:TRAP_HANDLER: 0
; COMPUTE_PGM_RSRC2:TGID_X_EN: 1
; COMPUTE_PGM_RSRC2:TGID_Y_EN: 0
; COMPUTE_PGM_RSRC2:TGID_Z_EN: 0
; COMPUTE_PGM_RSRC2:TIDIG_COMP_CNT: 0
	.section	.text._ZN7rocprim17ROCPRIM_400000_NS6detail17trampoline_kernelINS0_14default_configENS1_35adjacent_difference_config_selectorILb0EfEEZNS1_24adjacent_difference_implIS3_Lb0ELb0EPfS7_N6thrust23THRUST_200600_302600_NS4plusIfEEEE10hipError_tPvRmT2_T3_mT4_P12ihipStream_tbEUlT_E_NS1_11comp_targetILNS1_3genE10ELNS1_11target_archE1201ELNS1_3gpuE5ELNS1_3repE0EEENS1_30default_config_static_selectorELNS0_4arch9wavefront6targetE1EEEvT1_,"axG",@progbits,_ZN7rocprim17ROCPRIM_400000_NS6detail17trampoline_kernelINS0_14default_configENS1_35adjacent_difference_config_selectorILb0EfEEZNS1_24adjacent_difference_implIS3_Lb0ELb0EPfS7_N6thrust23THRUST_200600_302600_NS4plusIfEEEE10hipError_tPvRmT2_T3_mT4_P12ihipStream_tbEUlT_E_NS1_11comp_targetILNS1_3genE10ELNS1_11target_archE1201ELNS1_3gpuE5ELNS1_3repE0EEENS1_30default_config_static_selectorELNS0_4arch9wavefront6targetE1EEEvT1_,comdat
	.protected	_ZN7rocprim17ROCPRIM_400000_NS6detail17trampoline_kernelINS0_14default_configENS1_35adjacent_difference_config_selectorILb0EfEEZNS1_24adjacent_difference_implIS3_Lb0ELb0EPfS7_N6thrust23THRUST_200600_302600_NS4plusIfEEEE10hipError_tPvRmT2_T3_mT4_P12ihipStream_tbEUlT_E_NS1_11comp_targetILNS1_3genE10ELNS1_11target_archE1201ELNS1_3gpuE5ELNS1_3repE0EEENS1_30default_config_static_selectorELNS0_4arch9wavefront6targetE1EEEvT1_ ; -- Begin function _ZN7rocprim17ROCPRIM_400000_NS6detail17trampoline_kernelINS0_14default_configENS1_35adjacent_difference_config_selectorILb0EfEEZNS1_24adjacent_difference_implIS3_Lb0ELb0EPfS7_N6thrust23THRUST_200600_302600_NS4plusIfEEEE10hipError_tPvRmT2_T3_mT4_P12ihipStream_tbEUlT_E_NS1_11comp_targetILNS1_3genE10ELNS1_11target_archE1201ELNS1_3gpuE5ELNS1_3repE0EEENS1_30default_config_static_selectorELNS0_4arch9wavefront6targetE1EEEvT1_
	.globl	_ZN7rocprim17ROCPRIM_400000_NS6detail17trampoline_kernelINS0_14default_configENS1_35adjacent_difference_config_selectorILb0EfEEZNS1_24adjacent_difference_implIS3_Lb0ELb0EPfS7_N6thrust23THRUST_200600_302600_NS4plusIfEEEE10hipError_tPvRmT2_T3_mT4_P12ihipStream_tbEUlT_E_NS1_11comp_targetILNS1_3genE10ELNS1_11target_archE1201ELNS1_3gpuE5ELNS1_3repE0EEENS1_30default_config_static_selectorELNS0_4arch9wavefront6targetE1EEEvT1_
	.p2align	8
	.type	_ZN7rocprim17ROCPRIM_400000_NS6detail17trampoline_kernelINS0_14default_configENS1_35adjacent_difference_config_selectorILb0EfEEZNS1_24adjacent_difference_implIS3_Lb0ELb0EPfS7_N6thrust23THRUST_200600_302600_NS4plusIfEEEE10hipError_tPvRmT2_T3_mT4_P12ihipStream_tbEUlT_E_NS1_11comp_targetILNS1_3genE10ELNS1_11target_archE1201ELNS1_3gpuE5ELNS1_3repE0EEENS1_30default_config_static_selectorELNS0_4arch9wavefront6targetE1EEEvT1_,@function
_ZN7rocprim17ROCPRIM_400000_NS6detail17trampoline_kernelINS0_14default_configENS1_35adjacent_difference_config_selectorILb0EfEEZNS1_24adjacent_difference_implIS3_Lb0ELb0EPfS7_N6thrust23THRUST_200600_302600_NS4plusIfEEEE10hipError_tPvRmT2_T3_mT4_P12ihipStream_tbEUlT_E_NS1_11comp_targetILNS1_3genE10ELNS1_11target_archE1201ELNS1_3gpuE5ELNS1_3repE0EEENS1_30default_config_static_selectorELNS0_4arch9wavefront6targetE1EEEvT1_: ; @_ZN7rocprim17ROCPRIM_400000_NS6detail17trampoline_kernelINS0_14default_configENS1_35adjacent_difference_config_selectorILb0EfEEZNS1_24adjacent_difference_implIS3_Lb0ELb0EPfS7_N6thrust23THRUST_200600_302600_NS4plusIfEEEE10hipError_tPvRmT2_T3_mT4_P12ihipStream_tbEUlT_E_NS1_11comp_targetILNS1_3genE10ELNS1_11target_archE1201ELNS1_3gpuE5ELNS1_3repE0EEENS1_30default_config_static_selectorELNS0_4arch9wavefront6targetE1EEEvT1_
; %bb.0:
	.section	.rodata,"a",@progbits
	.p2align	6, 0x0
	.amdhsa_kernel _ZN7rocprim17ROCPRIM_400000_NS6detail17trampoline_kernelINS0_14default_configENS1_35adjacent_difference_config_selectorILb0EfEEZNS1_24adjacent_difference_implIS3_Lb0ELb0EPfS7_N6thrust23THRUST_200600_302600_NS4plusIfEEEE10hipError_tPvRmT2_T3_mT4_P12ihipStream_tbEUlT_E_NS1_11comp_targetILNS1_3genE10ELNS1_11target_archE1201ELNS1_3gpuE5ELNS1_3repE0EEENS1_30default_config_static_selectorELNS0_4arch9wavefront6targetE1EEEvT1_
		.amdhsa_group_segment_fixed_size 0
		.amdhsa_private_segment_fixed_size 0
		.amdhsa_kernarg_size 56
		.amdhsa_user_sgpr_count 6
		.amdhsa_user_sgpr_private_segment_buffer 1
		.amdhsa_user_sgpr_dispatch_ptr 0
		.amdhsa_user_sgpr_queue_ptr 0
		.amdhsa_user_sgpr_kernarg_segment_ptr 1
		.amdhsa_user_sgpr_dispatch_id 0
		.amdhsa_user_sgpr_flat_scratch_init 0
		.amdhsa_user_sgpr_private_segment_size 0
		.amdhsa_uses_dynamic_stack 0
		.amdhsa_system_sgpr_private_segment_wavefront_offset 0
		.amdhsa_system_sgpr_workgroup_id_x 1
		.amdhsa_system_sgpr_workgroup_id_y 0
		.amdhsa_system_sgpr_workgroup_id_z 0
		.amdhsa_system_sgpr_workgroup_info 0
		.amdhsa_system_vgpr_workitem_id 0
		.amdhsa_next_free_vgpr 1
		.amdhsa_next_free_sgpr 0
		.amdhsa_reserve_vcc 0
		.amdhsa_reserve_flat_scratch 0
		.amdhsa_float_round_mode_32 0
		.amdhsa_float_round_mode_16_64 0
		.amdhsa_float_denorm_mode_32 3
		.amdhsa_float_denorm_mode_16_64 3
		.amdhsa_dx10_clamp 1
		.amdhsa_ieee_mode 1
		.amdhsa_fp16_overflow 0
		.amdhsa_exception_fp_ieee_invalid_op 0
		.amdhsa_exception_fp_denorm_src 0
		.amdhsa_exception_fp_ieee_div_zero 0
		.amdhsa_exception_fp_ieee_overflow 0
		.amdhsa_exception_fp_ieee_underflow 0
		.amdhsa_exception_fp_ieee_inexact 0
		.amdhsa_exception_int_div_zero 0
	.end_amdhsa_kernel
	.section	.text._ZN7rocprim17ROCPRIM_400000_NS6detail17trampoline_kernelINS0_14default_configENS1_35adjacent_difference_config_selectorILb0EfEEZNS1_24adjacent_difference_implIS3_Lb0ELb0EPfS7_N6thrust23THRUST_200600_302600_NS4plusIfEEEE10hipError_tPvRmT2_T3_mT4_P12ihipStream_tbEUlT_E_NS1_11comp_targetILNS1_3genE10ELNS1_11target_archE1201ELNS1_3gpuE5ELNS1_3repE0EEENS1_30default_config_static_selectorELNS0_4arch9wavefront6targetE1EEEvT1_,"axG",@progbits,_ZN7rocprim17ROCPRIM_400000_NS6detail17trampoline_kernelINS0_14default_configENS1_35adjacent_difference_config_selectorILb0EfEEZNS1_24adjacent_difference_implIS3_Lb0ELb0EPfS7_N6thrust23THRUST_200600_302600_NS4plusIfEEEE10hipError_tPvRmT2_T3_mT4_P12ihipStream_tbEUlT_E_NS1_11comp_targetILNS1_3genE10ELNS1_11target_archE1201ELNS1_3gpuE5ELNS1_3repE0EEENS1_30default_config_static_selectorELNS0_4arch9wavefront6targetE1EEEvT1_,comdat
.Lfunc_end79:
	.size	_ZN7rocprim17ROCPRIM_400000_NS6detail17trampoline_kernelINS0_14default_configENS1_35adjacent_difference_config_selectorILb0EfEEZNS1_24adjacent_difference_implIS3_Lb0ELb0EPfS7_N6thrust23THRUST_200600_302600_NS4plusIfEEEE10hipError_tPvRmT2_T3_mT4_P12ihipStream_tbEUlT_E_NS1_11comp_targetILNS1_3genE10ELNS1_11target_archE1201ELNS1_3gpuE5ELNS1_3repE0EEENS1_30default_config_static_selectorELNS0_4arch9wavefront6targetE1EEEvT1_, .Lfunc_end79-_ZN7rocprim17ROCPRIM_400000_NS6detail17trampoline_kernelINS0_14default_configENS1_35adjacent_difference_config_selectorILb0EfEEZNS1_24adjacent_difference_implIS3_Lb0ELb0EPfS7_N6thrust23THRUST_200600_302600_NS4plusIfEEEE10hipError_tPvRmT2_T3_mT4_P12ihipStream_tbEUlT_E_NS1_11comp_targetILNS1_3genE10ELNS1_11target_archE1201ELNS1_3gpuE5ELNS1_3repE0EEENS1_30default_config_static_selectorELNS0_4arch9wavefront6targetE1EEEvT1_
                                        ; -- End function
	.set _ZN7rocprim17ROCPRIM_400000_NS6detail17trampoline_kernelINS0_14default_configENS1_35adjacent_difference_config_selectorILb0EfEEZNS1_24adjacent_difference_implIS3_Lb0ELb0EPfS7_N6thrust23THRUST_200600_302600_NS4plusIfEEEE10hipError_tPvRmT2_T3_mT4_P12ihipStream_tbEUlT_E_NS1_11comp_targetILNS1_3genE10ELNS1_11target_archE1201ELNS1_3gpuE5ELNS1_3repE0EEENS1_30default_config_static_selectorELNS0_4arch9wavefront6targetE1EEEvT1_.num_vgpr, 0
	.set _ZN7rocprim17ROCPRIM_400000_NS6detail17trampoline_kernelINS0_14default_configENS1_35adjacent_difference_config_selectorILb0EfEEZNS1_24adjacent_difference_implIS3_Lb0ELb0EPfS7_N6thrust23THRUST_200600_302600_NS4plusIfEEEE10hipError_tPvRmT2_T3_mT4_P12ihipStream_tbEUlT_E_NS1_11comp_targetILNS1_3genE10ELNS1_11target_archE1201ELNS1_3gpuE5ELNS1_3repE0EEENS1_30default_config_static_selectorELNS0_4arch9wavefront6targetE1EEEvT1_.num_agpr, 0
	.set _ZN7rocprim17ROCPRIM_400000_NS6detail17trampoline_kernelINS0_14default_configENS1_35adjacent_difference_config_selectorILb0EfEEZNS1_24adjacent_difference_implIS3_Lb0ELb0EPfS7_N6thrust23THRUST_200600_302600_NS4plusIfEEEE10hipError_tPvRmT2_T3_mT4_P12ihipStream_tbEUlT_E_NS1_11comp_targetILNS1_3genE10ELNS1_11target_archE1201ELNS1_3gpuE5ELNS1_3repE0EEENS1_30default_config_static_selectorELNS0_4arch9wavefront6targetE1EEEvT1_.numbered_sgpr, 0
	.set _ZN7rocprim17ROCPRIM_400000_NS6detail17trampoline_kernelINS0_14default_configENS1_35adjacent_difference_config_selectorILb0EfEEZNS1_24adjacent_difference_implIS3_Lb0ELb0EPfS7_N6thrust23THRUST_200600_302600_NS4plusIfEEEE10hipError_tPvRmT2_T3_mT4_P12ihipStream_tbEUlT_E_NS1_11comp_targetILNS1_3genE10ELNS1_11target_archE1201ELNS1_3gpuE5ELNS1_3repE0EEENS1_30default_config_static_selectorELNS0_4arch9wavefront6targetE1EEEvT1_.num_named_barrier, 0
	.set _ZN7rocprim17ROCPRIM_400000_NS6detail17trampoline_kernelINS0_14default_configENS1_35adjacent_difference_config_selectorILb0EfEEZNS1_24adjacent_difference_implIS3_Lb0ELb0EPfS7_N6thrust23THRUST_200600_302600_NS4plusIfEEEE10hipError_tPvRmT2_T3_mT4_P12ihipStream_tbEUlT_E_NS1_11comp_targetILNS1_3genE10ELNS1_11target_archE1201ELNS1_3gpuE5ELNS1_3repE0EEENS1_30default_config_static_selectorELNS0_4arch9wavefront6targetE1EEEvT1_.private_seg_size, 0
	.set _ZN7rocprim17ROCPRIM_400000_NS6detail17trampoline_kernelINS0_14default_configENS1_35adjacent_difference_config_selectorILb0EfEEZNS1_24adjacent_difference_implIS3_Lb0ELb0EPfS7_N6thrust23THRUST_200600_302600_NS4plusIfEEEE10hipError_tPvRmT2_T3_mT4_P12ihipStream_tbEUlT_E_NS1_11comp_targetILNS1_3genE10ELNS1_11target_archE1201ELNS1_3gpuE5ELNS1_3repE0EEENS1_30default_config_static_selectorELNS0_4arch9wavefront6targetE1EEEvT1_.uses_vcc, 0
	.set _ZN7rocprim17ROCPRIM_400000_NS6detail17trampoline_kernelINS0_14default_configENS1_35adjacent_difference_config_selectorILb0EfEEZNS1_24adjacent_difference_implIS3_Lb0ELb0EPfS7_N6thrust23THRUST_200600_302600_NS4plusIfEEEE10hipError_tPvRmT2_T3_mT4_P12ihipStream_tbEUlT_E_NS1_11comp_targetILNS1_3genE10ELNS1_11target_archE1201ELNS1_3gpuE5ELNS1_3repE0EEENS1_30default_config_static_selectorELNS0_4arch9wavefront6targetE1EEEvT1_.uses_flat_scratch, 0
	.set _ZN7rocprim17ROCPRIM_400000_NS6detail17trampoline_kernelINS0_14default_configENS1_35adjacent_difference_config_selectorILb0EfEEZNS1_24adjacent_difference_implIS3_Lb0ELb0EPfS7_N6thrust23THRUST_200600_302600_NS4plusIfEEEE10hipError_tPvRmT2_T3_mT4_P12ihipStream_tbEUlT_E_NS1_11comp_targetILNS1_3genE10ELNS1_11target_archE1201ELNS1_3gpuE5ELNS1_3repE0EEENS1_30default_config_static_selectorELNS0_4arch9wavefront6targetE1EEEvT1_.has_dyn_sized_stack, 0
	.set _ZN7rocprim17ROCPRIM_400000_NS6detail17trampoline_kernelINS0_14default_configENS1_35adjacent_difference_config_selectorILb0EfEEZNS1_24adjacent_difference_implIS3_Lb0ELb0EPfS7_N6thrust23THRUST_200600_302600_NS4plusIfEEEE10hipError_tPvRmT2_T3_mT4_P12ihipStream_tbEUlT_E_NS1_11comp_targetILNS1_3genE10ELNS1_11target_archE1201ELNS1_3gpuE5ELNS1_3repE0EEENS1_30default_config_static_selectorELNS0_4arch9wavefront6targetE1EEEvT1_.has_recursion, 0
	.set _ZN7rocprim17ROCPRIM_400000_NS6detail17trampoline_kernelINS0_14default_configENS1_35adjacent_difference_config_selectorILb0EfEEZNS1_24adjacent_difference_implIS3_Lb0ELb0EPfS7_N6thrust23THRUST_200600_302600_NS4plusIfEEEE10hipError_tPvRmT2_T3_mT4_P12ihipStream_tbEUlT_E_NS1_11comp_targetILNS1_3genE10ELNS1_11target_archE1201ELNS1_3gpuE5ELNS1_3repE0EEENS1_30default_config_static_selectorELNS0_4arch9wavefront6targetE1EEEvT1_.has_indirect_call, 0
	.section	.AMDGPU.csdata,"",@progbits
; Kernel info:
; codeLenInByte = 0
; TotalNumSgprs: 4
; NumVgprs: 0
; ScratchSize: 0
; MemoryBound: 0
; FloatMode: 240
; IeeeMode: 1
; LDSByteSize: 0 bytes/workgroup (compile time only)
; SGPRBlocks: 0
; VGPRBlocks: 0
; NumSGPRsForWavesPerEU: 4
; NumVGPRsForWavesPerEU: 1
; Occupancy: 10
; WaveLimiterHint : 0
; COMPUTE_PGM_RSRC2:SCRATCH_EN: 0
; COMPUTE_PGM_RSRC2:USER_SGPR: 6
; COMPUTE_PGM_RSRC2:TRAP_HANDLER: 0
; COMPUTE_PGM_RSRC2:TGID_X_EN: 1
; COMPUTE_PGM_RSRC2:TGID_Y_EN: 0
; COMPUTE_PGM_RSRC2:TGID_Z_EN: 0
; COMPUTE_PGM_RSRC2:TIDIG_COMP_CNT: 0
	.section	.text._ZN7rocprim17ROCPRIM_400000_NS6detail17trampoline_kernelINS0_14default_configENS1_35adjacent_difference_config_selectorILb0EfEEZNS1_24adjacent_difference_implIS3_Lb0ELb0EPfS7_N6thrust23THRUST_200600_302600_NS4plusIfEEEE10hipError_tPvRmT2_T3_mT4_P12ihipStream_tbEUlT_E_NS1_11comp_targetILNS1_3genE5ELNS1_11target_archE942ELNS1_3gpuE9ELNS1_3repE0EEENS1_30default_config_static_selectorELNS0_4arch9wavefront6targetE1EEEvT1_,"axG",@progbits,_ZN7rocprim17ROCPRIM_400000_NS6detail17trampoline_kernelINS0_14default_configENS1_35adjacent_difference_config_selectorILb0EfEEZNS1_24adjacent_difference_implIS3_Lb0ELb0EPfS7_N6thrust23THRUST_200600_302600_NS4plusIfEEEE10hipError_tPvRmT2_T3_mT4_P12ihipStream_tbEUlT_E_NS1_11comp_targetILNS1_3genE5ELNS1_11target_archE942ELNS1_3gpuE9ELNS1_3repE0EEENS1_30default_config_static_selectorELNS0_4arch9wavefront6targetE1EEEvT1_,comdat
	.protected	_ZN7rocprim17ROCPRIM_400000_NS6detail17trampoline_kernelINS0_14default_configENS1_35adjacent_difference_config_selectorILb0EfEEZNS1_24adjacent_difference_implIS3_Lb0ELb0EPfS7_N6thrust23THRUST_200600_302600_NS4plusIfEEEE10hipError_tPvRmT2_T3_mT4_P12ihipStream_tbEUlT_E_NS1_11comp_targetILNS1_3genE5ELNS1_11target_archE942ELNS1_3gpuE9ELNS1_3repE0EEENS1_30default_config_static_selectorELNS0_4arch9wavefront6targetE1EEEvT1_ ; -- Begin function _ZN7rocprim17ROCPRIM_400000_NS6detail17trampoline_kernelINS0_14default_configENS1_35adjacent_difference_config_selectorILb0EfEEZNS1_24adjacent_difference_implIS3_Lb0ELb0EPfS7_N6thrust23THRUST_200600_302600_NS4plusIfEEEE10hipError_tPvRmT2_T3_mT4_P12ihipStream_tbEUlT_E_NS1_11comp_targetILNS1_3genE5ELNS1_11target_archE942ELNS1_3gpuE9ELNS1_3repE0EEENS1_30default_config_static_selectorELNS0_4arch9wavefront6targetE1EEEvT1_
	.globl	_ZN7rocprim17ROCPRIM_400000_NS6detail17trampoline_kernelINS0_14default_configENS1_35adjacent_difference_config_selectorILb0EfEEZNS1_24adjacent_difference_implIS3_Lb0ELb0EPfS7_N6thrust23THRUST_200600_302600_NS4plusIfEEEE10hipError_tPvRmT2_T3_mT4_P12ihipStream_tbEUlT_E_NS1_11comp_targetILNS1_3genE5ELNS1_11target_archE942ELNS1_3gpuE9ELNS1_3repE0EEENS1_30default_config_static_selectorELNS0_4arch9wavefront6targetE1EEEvT1_
	.p2align	8
	.type	_ZN7rocprim17ROCPRIM_400000_NS6detail17trampoline_kernelINS0_14default_configENS1_35adjacent_difference_config_selectorILb0EfEEZNS1_24adjacent_difference_implIS3_Lb0ELb0EPfS7_N6thrust23THRUST_200600_302600_NS4plusIfEEEE10hipError_tPvRmT2_T3_mT4_P12ihipStream_tbEUlT_E_NS1_11comp_targetILNS1_3genE5ELNS1_11target_archE942ELNS1_3gpuE9ELNS1_3repE0EEENS1_30default_config_static_selectorELNS0_4arch9wavefront6targetE1EEEvT1_,@function
_ZN7rocprim17ROCPRIM_400000_NS6detail17trampoline_kernelINS0_14default_configENS1_35adjacent_difference_config_selectorILb0EfEEZNS1_24adjacent_difference_implIS3_Lb0ELb0EPfS7_N6thrust23THRUST_200600_302600_NS4plusIfEEEE10hipError_tPvRmT2_T3_mT4_P12ihipStream_tbEUlT_E_NS1_11comp_targetILNS1_3genE5ELNS1_11target_archE942ELNS1_3gpuE9ELNS1_3repE0EEENS1_30default_config_static_selectorELNS0_4arch9wavefront6targetE1EEEvT1_: ; @_ZN7rocprim17ROCPRIM_400000_NS6detail17trampoline_kernelINS0_14default_configENS1_35adjacent_difference_config_selectorILb0EfEEZNS1_24adjacent_difference_implIS3_Lb0ELb0EPfS7_N6thrust23THRUST_200600_302600_NS4plusIfEEEE10hipError_tPvRmT2_T3_mT4_P12ihipStream_tbEUlT_E_NS1_11comp_targetILNS1_3genE5ELNS1_11target_archE942ELNS1_3gpuE9ELNS1_3repE0EEENS1_30default_config_static_selectorELNS0_4arch9wavefront6targetE1EEEvT1_
; %bb.0:
	.section	.rodata,"a",@progbits
	.p2align	6, 0x0
	.amdhsa_kernel _ZN7rocprim17ROCPRIM_400000_NS6detail17trampoline_kernelINS0_14default_configENS1_35adjacent_difference_config_selectorILb0EfEEZNS1_24adjacent_difference_implIS3_Lb0ELb0EPfS7_N6thrust23THRUST_200600_302600_NS4plusIfEEEE10hipError_tPvRmT2_T3_mT4_P12ihipStream_tbEUlT_E_NS1_11comp_targetILNS1_3genE5ELNS1_11target_archE942ELNS1_3gpuE9ELNS1_3repE0EEENS1_30default_config_static_selectorELNS0_4arch9wavefront6targetE1EEEvT1_
		.amdhsa_group_segment_fixed_size 0
		.amdhsa_private_segment_fixed_size 0
		.amdhsa_kernarg_size 56
		.amdhsa_user_sgpr_count 6
		.amdhsa_user_sgpr_private_segment_buffer 1
		.amdhsa_user_sgpr_dispatch_ptr 0
		.amdhsa_user_sgpr_queue_ptr 0
		.amdhsa_user_sgpr_kernarg_segment_ptr 1
		.amdhsa_user_sgpr_dispatch_id 0
		.amdhsa_user_sgpr_flat_scratch_init 0
		.amdhsa_user_sgpr_private_segment_size 0
		.amdhsa_uses_dynamic_stack 0
		.amdhsa_system_sgpr_private_segment_wavefront_offset 0
		.amdhsa_system_sgpr_workgroup_id_x 1
		.amdhsa_system_sgpr_workgroup_id_y 0
		.amdhsa_system_sgpr_workgroup_id_z 0
		.amdhsa_system_sgpr_workgroup_info 0
		.amdhsa_system_vgpr_workitem_id 0
		.amdhsa_next_free_vgpr 1
		.amdhsa_next_free_sgpr 0
		.amdhsa_reserve_vcc 0
		.amdhsa_reserve_flat_scratch 0
		.amdhsa_float_round_mode_32 0
		.amdhsa_float_round_mode_16_64 0
		.amdhsa_float_denorm_mode_32 3
		.amdhsa_float_denorm_mode_16_64 3
		.amdhsa_dx10_clamp 1
		.amdhsa_ieee_mode 1
		.amdhsa_fp16_overflow 0
		.amdhsa_exception_fp_ieee_invalid_op 0
		.amdhsa_exception_fp_denorm_src 0
		.amdhsa_exception_fp_ieee_div_zero 0
		.amdhsa_exception_fp_ieee_overflow 0
		.amdhsa_exception_fp_ieee_underflow 0
		.amdhsa_exception_fp_ieee_inexact 0
		.amdhsa_exception_int_div_zero 0
	.end_amdhsa_kernel
	.section	.text._ZN7rocprim17ROCPRIM_400000_NS6detail17trampoline_kernelINS0_14default_configENS1_35adjacent_difference_config_selectorILb0EfEEZNS1_24adjacent_difference_implIS3_Lb0ELb0EPfS7_N6thrust23THRUST_200600_302600_NS4plusIfEEEE10hipError_tPvRmT2_T3_mT4_P12ihipStream_tbEUlT_E_NS1_11comp_targetILNS1_3genE5ELNS1_11target_archE942ELNS1_3gpuE9ELNS1_3repE0EEENS1_30default_config_static_selectorELNS0_4arch9wavefront6targetE1EEEvT1_,"axG",@progbits,_ZN7rocprim17ROCPRIM_400000_NS6detail17trampoline_kernelINS0_14default_configENS1_35adjacent_difference_config_selectorILb0EfEEZNS1_24adjacent_difference_implIS3_Lb0ELb0EPfS7_N6thrust23THRUST_200600_302600_NS4plusIfEEEE10hipError_tPvRmT2_T3_mT4_P12ihipStream_tbEUlT_E_NS1_11comp_targetILNS1_3genE5ELNS1_11target_archE942ELNS1_3gpuE9ELNS1_3repE0EEENS1_30default_config_static_selectorELNS0_4arch9wavefront6targetE1EEEvT1_,comdat
.Lfunc_end80:
	.size	_ZN7rocprim17ROCPRIM_400000_NS6detail17trampoline_kernelINS0_14default_configENS1_35adjacent_difference_config_selectorILb0EfEEZNS1_24adjacent_difference_implIS3_Lb0ELb0EPfS7_N6thrust23THRUST_200600_302600_NS4plusIfEEEE10hipError_tPvRmT2_T3_mT4_P12ihipStream_tbEUlT_E_NS1_11comp_targetILNS1_3genE5ELNS1_11target_archE942ELNS1_3gpuE9ELNS1_3repE0EEENS1_30default_config_static_selectorELNS0_4arch9wavefront6targetE1EEEvT1_, .Lfunc_end80-_ZN7rocprim17ROCPRIM_400000_NS6detail17trampoline_kernelINS0_14default_configENS1_35adjacent_difference_config_selectorILb0EfEEZNS1_24adjacent_difference_implIS3_Lb0ELb0EPfS7_N6thrust23THRUST_200600_302600_NS4plusIfEEEE10hipError_tPvRmT2_T3_mT4_P12ihipStream_tbEUlT_E_NS1_11comp_targetILNS1_3genE5ELNS1_11target_archE942ELNS1_3gpuE9ELNS1_3repE0EEENS1_30default_config_static_selectorELNS0_4arch9wavefront6targetE1EEEvT1_
                                        ; -- End function
	.set _ZN7rocprim17ROCPRIM_400000_NS6detail17trampoline_kernelINS0_14default_configENS1_35adjacent_difference_config_selectorILb0EfEEZNS1_24adjacent_difference_implIS3_Lb0ELb0EPfS7_N6thrust23THRUST_200600_302600_NS4plusIfEEEE10hipError_tPvRmT2_T3_mT4_P12ihipStream_tbEUlT_E_NS1_11comp_targetILNS1_3genE5ELNS1_11target_archE942ELNS1_3gpuE9ELNS1_3repE0EEENS1_30default_config_static_selectorELNS0_4arch9wavefront6targetE1EEEvT1_.num_vgpr, 0
	.set _ZN7rocprim17ROCPRIM_400000_NS6detail17trampoline_kernelINS0_14default_configENS1_35adjacent_difference_config_selectorILb0EfEEZNS1_24adjacent_difference_implIS3_Lb0ELb0EPfS7_N6thrust23THRUST_200600_302600_NS4plusIfEEEE10hipError_tPvRmT2_T3_mT4_P12ihipStream_tbEUlT_E_NS1_11comp_targetILNS1_3genE5ELNS1_11target_archE942ELNS1_3gpuE9ELNS1_3repE0EEENS1_30default_config_static_selectorELNS0_4arch9wavefront6targetE1EEEvT1_.num_agpr, 0
	.set _ZN7rocprim17ROCPRIM_400000_NS6detail17trampoline_kernelINS0_14default_configENS1_35adjacent_difference_config_selectorILb0EfEEZNS1_24adjacent_difference_implIS3_Lb0ELb0EPfS7_N6thrust23THRUST_200600_302600_NS4plusIfEEEE10hipError_tPvRmT2_T3_mT4_P12ihipStream_tbEUlT_E_NS1_11comp_targetILNS1_3genE5ELNS1_11target_archE942ELNS1_3gpuE9ELNS1_3repE0EEENS1_30default_config_static_selectorELNS0_4arch9wavefront6targetE1EEEvT1_.numbered_sgpr, 0
	.set _ZN7rocprim17ROCPRIM_400000_NS6detail17trampoline_kernelINS0_14default_configENS1_35adjacent_difference_config_selectorILb0EfEEZNS1_24adjacent_difference_implIS3_Lb0ELb0EPfS7_N6thrust23THRUST_200600_302600_NS4plusIfEEEE10hipError_tPvRmT2_T3_mT4_P12ihipStream_tbEUlT_E_NS1_11comp_targetILNS1_3genE5ELNS1_11target_archE942ELNS1_3gpuE9ELNS1_3repE0EEENS1_30default_config_static_selectorELNS0_4arch9wavefront6targetE1EEEvT1_.num_named_barrier, 0
	.set _ZN7rocprim17ROCPRIM_400000_NS6detail17trampoline_kernelINS0_14default_configENS1_35adjacent_difference_config_selectorILb0EfEEZNS1_24adjacent_difference_implIS3_Lb0ELb0EPfS7_N6thrust23THRUST_200600_302600_NS4plusIfEEEE10hipError_tPvRmT2_T3_mT4_P12ihipStream_tbEUlT_E_NS1_11comp_targetILNS1_3genE5ELNS1_11target_archE942ELNS1_3gpuE9ELNS1_3repE0EEENS1_30default_config_static_selectorELNS0_4arch9wavefront6targetE1EEEvT1_.private_seg_size, 0
	.set _ZN7rocprim17ROCPRIM_400000_NS6detail17trampoline_kernelINS0_14default_configENS1_35adjacent_difference_config_selectorILb0EfEEZNS1_24adjacent_difference_implIS3_Lb0ELb0EPfS7_N6thrust23THRUST_200600_302600_NS4plusIfEEEE10hipError_tPvRmT2_T3_mT4_P12ihipStream_tbEUlT_E_NS1_11comp_targetILNS1_3genE5ELNS1_11target_archE942ELNS1_3gpuE9ELNS1_3repE0EEENS1_30default_config_static_selectorELNS0_4arch9wavefront6targetE1EEEvT1_.uses_vcc, 0
	.set _ZN7rocprim17ROCPRIM_400000_NS6detail17trampoline_kernelINS0_14default_configENS1_35adjacent_difference_config_selectorILb0EfEEZNS1_24adjacent_difference_implIS3_Lb0ELb0EPfS7_N6thrust23THRUST_200600_302600_NS4plusIfEEEE10hipError_tPvRmT2_T3_mT4_P12ihipStream_tbEUlT_E_NS1_11comp_targetILNS1_3genE5ELNS1_11target_archE942ELNS1_3gpuE9ELNS1_3repE0EEENS1_30default_config_static_selectorELNS0_4arch9wavefront6targetE1EEEvT1_.uses_flat_scratch, 0
	.set _ZN7rocprim17ROCPRIM_400000_NS6detail17trampoline_kernelINS0_14default_configENS1_35adjacent_difference_config_selectorILb0EfEEZNS1_24adjacent_difference_implIS3_Lb0ELb0EPfS7_N6thrust23THRUST_200600_302600_NS4plusIfEEEE10hipError_tPvRmT2_T3_mT4_P12ihipStream_tbEUlT_E_NS1_11comp_targetILNS1_3genE5ELNS1_11target_archE942ELNS1_3gpuE9ELNS1_3repE0EEENS1_30default_config_static_selectorELNS0_4arch9wavefront6targetE1EEEvT1_.has_dyn_sized_stack, 0
	.set _ZN7rocprim17ROCPRIM_400000_NS6detail17trampoline_kernelINS0_14default_configENS1_35adjacent_difference_config_selectorILb0EfEEZNS1_24adjacent_difference_implIS3_Lb0ELb0EPfS7_N6thrust23THRUST_200600_302600_NS4plusIfEEEE10hipError_tPvRmT2_T3_mT4_P12ihipStream_tbEUlT_E_NS1_11comp_targetILNS1_3genE5ELNS1_11target_archE942ELNS1_3gpuE9ELNS1_3repE0EEENS1_30default_config_static_selectorELNS0_4arch9wavefront6targetE1EEEvT1_.has_recursion, 0
	.set _ZN7rocprim17ROCPRIM_400000_NS6detail17trampoline_kernelINS0_14default_configENS1_35adjacent_difference_config_selectorILb0EfEEZNS1_24adjacent_difference_implIS3_Lb0ELb0EPfS7_N6thrust23THRUST_200600_302600_NS4plusIfEEEE10hipError_tPvRmT2_T3_mT4_P12ihipStream_tbEUlT_E_NS1_11comp_targetILNS1_3genE5ELNS1_11target_archE942ELNS1_3gpuE9ELNS1_3repE0EEENS1_30default_config_static_selectorELNS0_4arch9wavefront6targetE1EEEvT1_.has_indirect_call, 0
	.section	.AMDGPU.csdata,"",@progbits
; Kernel info:
; codeLenInByte = 0
; TotalNumSgprs: 4
; NumVgprs: 0
; ScratchSize: 0
; MemoryBound: 0
; FloatMode: 240
; IeeeMode: 1
; LDSByteSize: 0 bytes/workgroup (compile time only)
; SGPRBlocks: 0
; VGPRBlocks: 0
; NumSGPRsForWavesPerEU: 4
; NumVGPRsForWavesPerEU: 1
; Occupancy: 10
; WaveLimiterHint : 0
; COMPUTE_PGM_RSRC2:SCRATCH_EN: 0
; COMPUTE_PGM_RSRC2:USER_SGPR: 6
; COMPUTE_PGM_RSRC2:TRAP_HANDLER: 0
; COMPUTE_PGM_RSRC2:TGID_X_EN: 1
; COMPUTE_PGM_RSRC2:TGID_Y_EN: 0
; COMPUTE_PGM_RSRC2:TGID_Z_EN: 0
; COMPUTE_PGM_RSRC2:TIDIG_COMP_CNT: 0
	.section	.text._ZN7rocprim17ROCPRIM_400000_NS6detail17trampoline_kernelINS0_14default_configENS1_35adjacent_difference_config_selectorILb0EfEEZNS1_24adjacent_difference_implIS3_Lb0ELb0EPfS7_N6thrust23THRUST_200600_302600_NS4plusIfEEEE10hipError_tPvRmT2_T3_mT4_P12ihipStream_tbEUlT_E_NS1_11comp_targetILNS1_3genE4ELNS1_11target_archE910ELNS1_3gpuE8ELNS1_3repE0EEENS1_30default_config_static_selectorELNS0_4arch9wavefront6targetE1EEEvT1_,"axG",@progbits,_ZN7rocprim17ROCPRIM_400000_NS6detail17trampoline_kernelINS0_14default_configENS1_35adjacent_difference_config_selectorILb0EfEEZNS1_24adjacent_difference_implIS3_Lb0ELb0EPfS7_N6thrust23THRUST_200600_302600_NS4plusIfEEEE10hipError_tPvRmT2_T3_mT4_P12ihipStream_tbEUlT_E_NS1_11comp_targetILNS1_3genE4ELNS1_11target_archE910ELNS1_3gpuE8ELNS1_3repE0EEENS1_30default_config_static_selectorELNS0_4arch9wavefront6targetE1EEEvT1_,comdat
	.protected	_ZN7rocprim17ROCPRIM_400000_NS6detail17trampoline_kernelINS0_14default_configENS1_35adjacent_difference_config_selectorILb0EfEEZNS1_24adjacent_difference_implIS3_Lb0ELb0EPfS7_N6thrust23THRUST_200600_302600_NS4plusIfEEEE10hipError_tPvRmT2_T3_mT4_P12ihipStream_tbEUlT_E_NS1_11comp_targetILNS1_3genE4ELNS1_11target_archE910ELNS1_3gpuE8ELNS1_3repE0EEENS1_30default_config_static_selectorELNS0_4arch9wavefront6targetE1EEEvT1_ ; -- Begin function _ZN7rocprim17ROCPRIM_400000_NS6detail17trampoline_kernelINS0_14default_configENS1_35adjacent_difference_config_selectorILb0EfEEZNS1_24adjacent_difference_implIS3_Lb0ELb0EPfS7_N6thrust23THRUST_200600_302600_NS4plusIfEEEE10hipError_tPvRmT2_T3_mT4_P12ihipStream_tbEUlT_E_NS1_11comp_targetILNS1_3genE4ELNS1_11target_archE910ELNS1_3gpuE8ELNS1_3repE0EEENS1_30default_config_static_selectorELNS0_4arch9wavefront6targetE1EEEvT1_
	.globl	_ZN7rocprim17ROCPRIM_400000_NS6detail17trampoline_kernelINS0_14default_configENS1_35adjacent_difference_config_selectorILb0EfEEZNS1_24adjacent_difference_implIS3_Lb0ELb0EPfS7_N6thrust23THRUST_200600_302600_NS4plusIfEEEE10hipError_tPvRmT2_T3_mT4_P12ihipStream_tbEUlT_E_NS1_11comp_targetILNS1_3genE4ELNS1_11target_archE910ELNS1_3gpuE8ELNS1_3repE0EEENS1_30default_config_static_selectorELNS0_4arch9wavefront6targetE1EEEvT1_
	.p2align	8
	.type	_ZN7rocprim17ROCPRIM_400000_NS6detail17trampoline_kernelINS0_14default_configENS1_35adjacent_difference_config_selectorILb0EfEEZNS1_24adjacent_difference_implIS3_Lb0ELb0EPfS7_N6thrust23THRUST_200600_302600_NS4plusIfEEEE10hipError_tPvRmT2_T3_mT4_P12ihipStream_tbEUlT_E_NS1_11comp_targetILNS1_3genE4ELNS1_11target_archE910ELNS1_3gpuE8ELNS1_3repE0EEENS1_30default_config_static_selectorELNS0_4arch9wavefront6targetE1EEEvT1_,@function
_ZN7rocprim17ROCPRIM_400000_NS6detail17trampoline_kernelINS0_14default_configENS1_35adjacent_difference_config_selectorILb0EfEEZNS1_24adjacent_difference_implIS3_Lb0ELb0EPfS7_N6thrust23THRUST_200600_302600_NS4plusIfEEEE10hipError_tPvRmT2_T3_mT4_P12ihipStream_tbEUlT_E_NS1_11comp_targetILNS1_3genE4ELNS1_11target_archE910ELNS1_3gpuE8ELNS1_3repE0EEENS1_30default_config_static_selectorELNS0_4arch9wavefront6targetE1EEEvT1_: ; @_ZN7rocprim17ROCPRIM_400000_NS6detail17trampoline_kernelINS0_14default_configENS1_35adjacent_difference_config_selectorILb0EfEEZNS1_24adjacent_difference_implIS3_Lb0ELb0EPfS7_N6thrust23THRUST_200600_302600_NS4plusIfEEEE10hipError_tPvRmT2_T3_mT4_P12ihipStream_tbEUlT_E_NS1_11comp_targetILNS1_3genE4ELNS1_11target_archE910ELNS1_3gpuE8ELNS1_3repE0EEENS1_30default_config_static_selectorELNS0_4arch9wavefront6targetE1EEEvT1_
; %bb.0:
	.section	.rodata,"a",@progbits
	.p2align	6, 0x0
	.amdhsa_kernel _ZN7rocprim17ROCPRIM_400000_NS6detail17trampoline_kernelINS0_14default_configENS1_35adjacent_difference_config_selectorILb0EfEEZNS1_24adjacent_difference_implIS3_Lb0ELb0EPfS7_N6thrust23THRUST_200600_302600_NS4plusIfEEEE10hipError_tPvRmT2_T3_mT4_P12ihipStream_tbEUlT_E_NS1_11comp_targetILNS1_3genE4ELNS1_11target_archE910ELNS1_3gpuE8ELNS1_3repE0EEENS1_30default_config_static_selectorELNS0_4arch9wavefront6targetE1EEEvT1_
		.amdhsa_group_segment_fixed_size 0
		.amdhsa_private_segment_fixed_size 0
		.amdhsa_kernarg_size 56
		.amdhsa_user_sgpr_count 6
		.amdhsa_user_sgpr_private_segment_buffer 1
		.amdhsa_user_sgpr_dispatch_ptr 0
		.amdhsa_user_sgpr_queue_ptr 0
		.amdhsa_user_sgpr_kernarg_segment_ptr 1
		.amdhsa_user_sgpr_dispatch_id 0
		.amdhsa_user_sgpr_flat_scratch_init 0
		.amdhsa_user_sgpr_private_segment_size 0
		.amdhsa_uses_dynamic_stack 0
		.amdhsa_system_sgpr_private_segment_wavefront_offset 0
		.amdhsa_system_sgpr_workgroup_id_x 1
		.amdhsa_system_sgpr_workgroup_id_y 0
		.amdhsa_system_sgpr_workgroup_id_z 0
		.amdhsa_system_sgpr_workgroup_info 0
		.amdhsa_system_vgpr_workitem_id 0
		.amdhsa_next_free_vgpr 1
		.amdhsa_next_free_sgpr 0
		.amdhsa_reserve_vcc 0
		.amdhsa_reserve_flat_scratch 0
		.amdhsa_float_round_mode_32 0
		.amdhsa_float_round_mode_16_64 0
		.amdhsa_float_denorm_mode_32 3
		.amdhsa_float_denorm_mode_16_64 3
		.amdhsa_dx10_clamp 1
		.amdhsa_ieee_mode 1
		.amdhsa_fp16_overflow 0
		.amdhsa_exception_fp_ieee_invalid_op 0
		.amdhsa_exception_fp_denorm_src 0
		.amdhsa_exception_fp_ieee_div_zero 0
		.amdhsa_exception_fp_ieee_overflow 0
		.amdhsa_exception_fp_ieee_underflow 0
		.amdhsa_exception_fp_ieee_inexact 0
		.amdhsa_exception_int_div_zero 0
	.end_amdhsa_kernel
	.section	.text._ZN7rocprim17ROCPRIM_400000_NS6detail17trampoline_kernelINS0_14default_configENS1_35adjacent_difference_config_selectorILb0EfEEZNS1_24adjacent_difference_implIS3_Lb0ELb0EPfS7_N6thrust23THRUST_200600_302600_NS4plusIfEEEE10hipError_tPvRmT2_T3_mT4_P12ihipStream_tbEUlT_E_NS1_11comp_targetILNS1_3genE4ELNS1_11target_archE910ELNS1_3gpuE8ELNS1_3repE0EEENS1_30default_config_static_selectorELNS0_4arch9wavefront6targetE1EEEvT1_,"axG",@progbits,_ZN7rocprim17ROCPRIM_400000_NS6detail17trampoline_kernelINS0_14default_configENS1_35adjacent_difference_config_selectorILb0EfEEZNS1_24adjacent_difference_implIS3_Lb0ELb0EPfS7_N6thrust23THRUST_200600_302600_NS4plusIfEEEE10hipError_tPvRmT2_T3_mT4_P12ihipStream_tbEUlT_E_NS1_11comp_targetILNS1_3genE4ELNS1_11target_archE910ELNS1_3gpuE8ELNS1_3repE0EEENS1_30default_config_static_selectorELNS0_4arch9wavefront6targetE1EEEvT1_,comdat
.Lfunc_end81:
	.size	_ZN7rocprim17ROCPRIM_400000_NS6detail17trampoline_kernelINS0_14default_configENS1_35adjacent_difference_config_selectorILb0EfEEZNS1_24adjacent_difference_implIS3_Lb0ELb0EPfS7_N6thrust23THRUST_200600_302600_NS4plusIfEEEE10hipError_tPvRmT2_T3_mT4_P12ihipStream_tbEUlT_E_NS1_11comp_targetILNS1_3genE4ELNS1_11target_archE910ELNS1_3gpuE8ELNS1_3repE0EEENS1_30default_config_static_selectorELNS0_4arch9wavefront6targetE1EEEvT1_, .Lfunc_end81-_ZN7rocprim17ROCPRIM_400000_NS6detail17trampoline_kernelINS0_14default_configENS1_35adjacent_difference_config_selectorILb0EfEEZNS1_24adjacent_difference_implIS3_Lb0ELb0EPfS7_N6thrust23THRUST_200600_302600_NS4plusIfEEEE10hipError_tPvRmT2_T3_mT4_P12ihipStream_tbEUlT_E_NS1_11comp_targetILNS1_3genE4ELNS1_11target_archE910ELNS1_3gpuE8ELNS1_3repE0EEENS1_30default_config_static_selectorELNS0_4arch9wavefront6targetE1EEEvT1_
                                        ; -- End function
	.set _ZN7rocprim17ROCPRIM_400000_NS6detail17trampoline_kernelINS0_14default_configENS1_35adjacent_difference_config_selectorILb0EfEEZNS1_24adjacent_difference_implIS3_Lb0ELb0EPfS7_N6thrust23THRUST_200600_302600_NS4plusIfEEEE10hipError_tPvRmT2_T3_mT4_P12ihipStream_tbEUlT_E_NS1_11comp_targetILNS1_3genE4ELNS1_11target_archE910ELNS1_3gpuE8ELNS1_3repE0EEENS1_30default_config_static_selectorELNS0_4arch9wavefront6targetE1EEEvT1_.num_vgpr, 0
	.set _ZN7rocprim17ROCPRIM_400000_NS6detail17trampoline_kernelINS0_14default_configENS1_35adjacent_difference_config_selectorILb0EfEEZNS1_24adjacent_difference_implIS3_Lb0ELb0EPfS7_N6thrust23THRUST_200600_302600_NS4plusIfEEEE10hipError_tPvRmT2_T3_mT4_P12ihipStream_tbEUlT_E_NS1_11comp_targetILNS1_3genE4ELNS1_11target_archE910ELNS1_3gpuE8ELNS1_3repE0EEENS1_30default_config_static_selectorELNS0_4arch9wavefront6targetE1EEEvT1_.num_agpr, 0
	.set _ZN7rocprim17ROCPRIM_400000_NS6detail17trampoline_kernelINS0_14default_configENS1_35adjacent_difference_config_selectorILb0EfEEZNS1_24adjacent_difference_implIS3_Lb0ELb0EPfS7_N6thrust23THRUST_200600_302600_NS4plusIfEEEE10hipError_tPvRmT2_T3_mT4_P12ihipStream_tbEUlT_E_NS1_11comp_targetILNS1_3genE4ELNS1_11target_archE910ELNS1_3gpuE8ELNS1_3repE0EEENS1_30default_config_static_selectorELNS0_4arch9wavefront6targetE1EEEvT1_.numbered_sgpr, 0
	.set _ZN7rocprim17ROCPRIM_400000_NS6detail17trampoline_kernelINS0_14default_configENS1_35adjacent_difference_config_selectorILb0EfEEZNS1_24adjacent_difference_implIS3_Lb0ELb0EPfS7_N6thrust23THRUST_200600_302600_NS4plusIfEEEE10hipError_tPvRmT2_T3_mT4_P12ihipStream_tbEUlT_E_NS1_11comp_targetILNS1_3genE4ELNS1_11target_archE910ELNS1_3gpuE8ELNS1_3repE0EEENS1_30default_config_static_selectorELNS0_4arch9wavefront6targetE1EEEvT1_.num_named_barrier, 0
	.set _ZN7rocprim17ROCPRIM_400000_NS6detail17trampoline_kernelINS0_14default_configENS1_35adjacent_difference_config_selectorILb0EfEEZNS1_24adjacent_difference_implIS3_Lb0ELb0EPfS7_N6thrust23THRUST_200600_302600_NS4plusIfEEEE10hipError_tPvRmT2_T3_mT4_P12ihipStream_tbEUlT_E_NS1_11comp_targetILNS1_3genE4ELNS1_11target_archE910ELNS1_3gpuE8ELNS1_3repE0EEENS1_30default_config_static_selectorELNS0_4arch9wavefront6targetE1EEEvT1_.private_seg_size, 0
	.set _ZN7rocprim17ROCPRIM_400000_NS6detail17trampoline_kernelINS0_14default_configENS1_35adjacent_difference_config_selectorILb0EfEEZNS1_24adjacent_difference_implIS3_Lb0ELb0EPfS7_N6thrust23THRUST_200600_302600_NS4plusIfEEEE10hipError_tPvRmT2_T3_mT4_P12ihipStream_tbEUlT_E_NS1_11comp_targetILNS1_3genE4ELNS1_11target_archE910ELNS1_3gpuE8ELNS1_3repE0EEENS1_30default_config_static_selectorELNS0_4arch9wavefront6targetE1EEEvT1_.uses_vcc, 0
	.set _ZN7rocprim17ROCPRIM_400000_NS6detail17trampoline_kernelINS0_14default_configENS1_35adjacent_difference_config_selectorILb0EfEEZNS1_24adjacent_difference_implIS3_Lb0ELb0EPfS7_N6thrust23THRUST_200600_302600_NS4plusIfEEEE10hipError_tPvRmT2_T3_mT4_P12ihipStream_tbEUlT_E_NS1_11comp_targetILNS1_3genE4ELNS1_11target_archE910ELNS1_3gpuE8ELNS1_3repE0EEENS1_30default_config_static_selectorELNS0_4arch9wavefront6targetE1EEEvT1_.uses_flat_scratch, 0
	.set _ZN7rocprim17ROCPRIM_400000_NS6detail17trampoline_kernelINS0_14default_configENS1_35adjacent_difference_config_selectorILb0EfEEZNS1_24adjacent_difference_implIS3_Lb0ELb0EPfS7_N6thrust23THRUST_200600_302600_NS4plusIfEEEE10hipError_tPvRmT2_T3_mT4_P12ihipStream_tbEUlT_E_NS1_11comp_targetILNS1_3genE4ELNS1_11target_archE910ELNS1_3gpuE8ELNS1_3repE0EEENS1_30default_config_static_selectorELNS0_4arch9wavefront6targetE1EEEvT1_.has_dyn_sized_stack, 0
	.set _ZN7rocprim17ROCPRIM_400000_NS6detail17trampoline_kernelINS0_14default_configENS1_35adjacent_difference_config_selectorILb0EfEEZNS1_24adjacent_difference_implIS3_Lb0ELb0EPfS7_N6thrust23THRUST_200600_302600_NS4plusIfEEEE10hipError_tPvRmT2_T3_mT4_P12ihipStream_tbEUlT_E_NS1_11comp_targetILNS1_3genE4ELNS1_11target_archE910ELNS1_3gpuE8ELNS1_3repE0EEENS1_30default_config_static_selectorELNS0_4arch9wavefront6targetE1EEEvT1_.has_recursion, 0
	.set _ZN7rocprim17ROCPRIM_400000_NS6detail17trampoline_kernelINS0_14default_configENS1_35adjacent_difference_config_selectorILb0EfEEZNS1_24adjacent_difference_implIS3_Lb0ELb0EPfS7_N6thrust23THRUST_200600_302600_NS4plusIfEEEE10hipError_tPvRmT2_T3_mT4_P12ihipStream_tbEUlT_E_NS1_11comp_targetILNS1_3genE4ELNS1_11target_archE910ELNS1_3gpuE8ELNS1_3repE0EEENS1_30default_config_static_selectorELNS0_4arch9wavefront6targetE1EEEvT1_.has_indirect_call, 0
	.section	.AMDGPU.csdata,"",@progbits
; Kernel info:
; codeLenInByte = 0
; TotalNumSgprs: 4
; NumVgprs: 0
; ScratchSize: 0
; MemoryBound: 0
; FloatMode: 240
; IeeeMode: 1
; LDSByteSize: 0 bytes/workgroup (compile time only)
; SGPRBlocks: 0
; VGPRBlocks: 0
; NumSGPRsForWavesPerEU: 4
; NumVGPRsForWavesPerEU: 1
; Occupancy: 10
; WaveLimiterHint : 0
; COMPUTE_PGM_RSRC2:SCRATCH_EN: 0
; COMPUTE_PGM_RSRC2:USER_SGPR: 6
; COMPUTE_PGM_RSRC2:TRAP_HANDLER: 0
; COMPUTE_PGM_RSRC2:TGID_X_EN: 1
; COMPUTE_PGM_RSRC2:TGID_Y_EN: 0
; COMPUTE_PGM_RSRC2:TGID_Z_EN: 0
; COMPUTE_PGM_RSRC2:TIDIG_COMP_CNT: 0
	.section	.text._ZN7rocprim17ROCPRIM_400000_NS6detail17trampoline_kernelINS0_14default_configENS1_35adjacent_difference_config_selectorILb0EfEEZNS1_24adjacent_difference_implIS3_Lb0ELb0EPfS7_N6thrust23THRUST_200600_302600_NS4plusIfEEEE10hipError_tPvRmT2_T3_mT4_P12ihipStream_tbEUlT_E_NS1_11comp_targetILNS1_3genE3ELNS1_11target_archE908ELNS1_3gpuE7ELNS1_3repE0EEENS1_30default_config_static_selectorELNS0_4arch9wavefront6targetE1EEEvT1_,"axG",@progbits,_ZN7rocprim17ROCPRIM_400000_NS6detail17trampoline_kernelINS0_14default_configENS1_35adjacent_difference_config_selectorILb0EfEEZNS1_24adjacent_difference_implIS3_Lb0ELb0EPfS7_N6thrust23THRUST_200600_302600_NS4plusIfEEEE10hipError_tPvRmT2_T3_mT4_P12ihipStream_tbEUlT_E_NS1_11comp_targetILNS1_3genE3ELNS1_11target_archE908ELNS1_3gpuE7ELNS1_3repE0EEENS1_30default_config_static_selectorELNS0_4arch9wavefront6targetE1EEEvT1_,comdat
	.protected	_ZN7rocprim17ROCPRIM_400000_NS6detail17trampoline_kernelINS0_14default_configENS1_35adjacent_difference_config_selectorILb0EfEEZNS1_24adjacent_difference_implIS3_Lb0ELb0EPfS7_N6thrust23THRUST_200600_302600_NS4plusIfEEEE10hipError_tPvRmT2_T3_mT4_P12ihipStream_tbEUlT_E_NS1_11comp_targetILNS1_3genE3ELNS1_11target_archE908ELNS1_3gpuE7ELNS1_3repE0EEENS1_30default_config_static_selectorELNS0_4arch9wavefront6targetE1EEEvT1_ ; -- Begin function _ZN7rocprim17ROCPRIM_400000_NS6detail17trampoline_kernelINS0_14default_configENS1_35adjacent_difference_config_selectorILb0EfEEZNS1_24adjacent_difference_implIS3_Lb0ELb0EPfS7_N6thrust23THRUST_200600_302600_NS4plusIfEEEE10hipError_tPvRmT2_T3_mT4_P12ihipStream_tbEUlT_E_NS1_11comp_targetILNS1_3genE3ELNS1_11target_archE908ELNS1_3gpuE7ELNS1_3repE0EEENS1_30default_config_static_selectorELNS0_4arch9wavefront6targetE1EEEvT1_
	.globl	_ZN7rocprim17ROCPRIM_400000_NS6detail17trampoline_kernelINS0_14default_configENS1_35adjacent_difference_config_selectorILb0EfEEZNS1_24adjacent_difference_implIS3_Lb0ELb0EPfS7_N6thrust23THRUST_200600_302600_NS4plusIfEEEE10hipError_tPvRmT2_T3_mT4_P12ihipStream_tbEUlT_E_NS1_11comp_targetILNS1_3genE3ELNS1_11target_archE908ELNS1_3gpuE7ELNS1_3repE0EEENS1_30default_config_static_selectorELNS0_4arch9wavefront6targetE1EEEvT1_
	.p2align	8
	.type	_ZN7rocprim17ROCPRIM_400000_NS6detail17trampoline_kernelINS0_14default_configENS1_35adjacent_difference_config_selectorILb0EfEEZNS1_24adjacent_difference_implIS3_Lb0ELb0EPfS7_N6thrust23THRUST_200600_302600_NS4plusIfEEEE10hipError_tPvRmT2_T3_mT4_P12ihipStream_tbEUlT_E_NS1_11comp_targetILNS1_3genE3ELNS1_11target_archE908ELNS1_3gpuE7ELNS1_3repE0EEENS1_30default_config_static_selectorELNS0_4arch9wavefront6targetE1EEEvT1_,@function
_ZN7rocprim17ROCPRIM_400000_NS6detail17trampoline_kernelINS0_14default_configENS1_35adjacent_difference_config_selectorILb0EfEEZNS1_24adjacent_difference_implIS3_Lb0ELb0EPfS7_N6thrust23THRUST_200600_302600_NS4plusIfEEEE10hipError_tPvRmT2_T3_mT4_P12ihipStream_tbEUlT_E_NS1_11comp_targetILNS1_3genE3ELNS1_11target_archE908ELNS1_3gpuE7ELNS1_3repE0EEENS1_30default_config_static_selectorELNS0_4arch9wavefront6targetE1EEEvT1_: ; @_ZN7rocprim17ROCPRIM_400000_NS6detail17trampoline_kernelINS0_14default_configENS1_35adjacent_difference_config_selectorILb0EfEEZNS1_24adjacent_difference_implIS3_Lb0ELb0EPfS7_N6thrust23THRUST_200600_302600_NS4plusIfEEEE10hipError_tPvRmT2_T3_mT4_P12ihipStream_tbEUlT_E_NS1_11comp_targetILNS1_3genE3ELNS1_11target_archE908ELNS1_3gpuE7ELNS1_3repE0EEENS1_30default_config_static_selectorELNS0_4arch9wavefront6targetE1EEEvT1_
; %bb.0:
	.section	.rodata,"a",@progbits
	.p2align	6, 0x0
	.amdhsa_kernel _ZN7rocprim17ROCPRIM_400000_NS6detail17trampoline_kernelINS0_14default_configENS1_35adjacent_difference_config_selectorILb0EfEEZNS1_24adjacent_difference_implIS3_Lb0ELb0EPfS7_N6thrust23THRUST_200600_302600_NS4plusIfEEEE10hipError_tPvRmT2_T3_mT4_P12ihipStream_tbEUlT_E_NS1_11comp_targetILNS1_3genE3ELNS1_11target_archE908ELNS1_3gpuE7ELNS1_3repE0EEENS1_30default_config_static_selectorELNS0_4arch9wavefront6targetE1EEEvT1_
		.amdhsa_group_segment_fixed_size 0
		.amdhsa_private_segment_fixed_size 0
		.amdhsa_kernarg_size 56
		.amdhsa_user_sgpr_count 6
		.amdhsa_user_sgpr_private_segment_buffer 1
		.amdhsa_user_sgpr_dispatch_ptr 0
		.amdhsa_user_sgpr_queue_ptr 0
		.amdhsa_user_sgpr_kernarg_segment_ptr 1
		.amdhsa_user_sgpr_dispatch_id 0
		.amdhsa_user_sgpr_flat_scratch_init 0
		.amdhsa_user_sgpr_private_segment_size 0
		.amdhsa_uses_dynamic_stack 0
		.amdhsa_system_sgpr_private_segment_wavefront_offset 0
		.amdhsa_system_sgpr_workgroup_id_x 1
		.amdhsa_system_sgpr_workgroup_id_y 0
		.amdhsa_system_sgpr_workgroup_id_z 0
		.amdhsa_system_sgpr_workgroup_info 0
		.amdhsa_system_vgpr_workitem_id 0
		.amdhsa_next_free_vgpr 1
		.amdhsa_next_free_sgpr 0
		.amdhsa_reserve_vcc 0
		.amdhsa_reserve_flat_scratch 0
		.amdhsa_float_round_mode_32 0
		.amdhsa_float_round_mode_16_64 0
		.amdhsa_float_denorm_mode_32 3
		.amdhsa_float_denorm_mode_16_64 3
		.amdhsa_dx10_clamp 1
		.amdhsa_ieee_mode 1
		.amdhsa_fp16_overflow 0
		.amdhsa_exception_fp_ieee_invalid_op 0
		.amdhsa_exception_fp_denorm_src 0
		.amdhsa_exception_fp_ieee_div_zero 0
		.amdhsa_exception_fp_ieee_overflow 0
		.amdhsa_exception_fp_ieee_underflow 0
		.amdhsa_exception_fp_ieee_inexact 0
		.amdhsa_exception_int_div_zero 0
	.end_amdhsa_kernel
	.section	.text._ZN7rocprim17ROCPRIM_400000_NS6detail17trampoline_kernelINS0_14default_configENS1_35adjacent_difference_config_selectorILb0EfEEZNS1_24adjacent_difference_implIS3_Lb0ELb0EPfS7_N6thrust23THRUST_200600_302600_NS4plusIfEEEE10hipError_tPvRmT2_T3_mT4_P12ihipStream_tbEUlT_E_NS1_11comp_targetILNS1_3genE3ELNS1_11target_archE908ELNS1_3gpuE7ELNS1_3repE0EEENS1_30default_config_static_selectorELNS0_4arch9wavefront6targetE1EEEvT1_,"axG",@progbits,_ZN7rocprim17ROCPRIM_400000_NS6detail17trampoline_kernelINS0_14default_configENS1_35adjacent_difference_config_selectorILb0EfEEZNS1_24adjacent_difference_implIS3_Lb0ELb0EPfS7_N6thrust23THRUST_200600_302600_NS4plusIfEEEE10hipError_tPvRmT2_T3_mT4_P12ihipStream_tbEUlT_E_NS1_11comp_targetILNS1_3genE3ELNS1_11target_archE908ELNS1_3gpuE7ELNS1_3repE0EEENS1_30default_config_static_selectorELNS0_4arch9wavefront6targetE1EEEvT1_,comdat
.Lfunc_end82:
	.size	_ZN7rocprim17ROCPRIM_400000_NS6detail17trampoline_kernelINS0_14default_configENS1_35adjacent_difference_config_selectorILb0EfEEZNS1_24adjacent_difference_implIS3_Lb0ELb0EPfS7_N6thrust23THRUST_200600_302600_NS4plusIfEEEE10hipError_tPvRmT2_T3_mT4_P12ihipStream_tbEUlT_E_NS1_11comp_targetILNS1_3genE3ELNS1_11target_archE908ELNS1_3gpuE7ELNS1_3repE0EEENS1_30default_config_static_selectorELNS0_4arch9wavefront6targetE1EEEvT1_, .Lfunc_end82-_ZN7rocprim17ROCPRIM_400000_NS6detail17trampoline_kernelINS0_14default_configENS1_35adjacent_difference_config_selectorILb0EfEEZNS1_24adjacent_difference_implIS3_Lb0ELb0EPfS7_N6thrust23THRUST_200600_302600_NS4plusIfEEEE10hipError_tPvRmT2_T3_mT4_P12ihipStream_tbEUlT_E_NS1_11comp_targetILNS1_3genE3ELNS1_11target_archE908ELNS1_3gpuE7ELNS1_3repE0EEENS1_30default_config_static_selectorELNS0_4arch9wavefront6targetE1EEEvT1_
                                        ; -- End function
	.set _ZN7rocprim17ROCPRIM_400000_NS6detail17trampoline_kernelINS0_14default_configENS1_35adjacent_difference_config_selectorILb0EfEEZNS1_24adjacent_difference_implIS3_Lb0ELb0EPfS7_N6thrust23THRUST_200600_302600_NS4plusIfEEEE10hipError_tPvRmT2_T3_mT4_P12ihipStream_tbEUlT_E_NS1_11comp_targetILNS1_3genE3ELNS1_11target_archE908ELNS1_3gpuE7ELNS1_3repE0EEENS1_30default_config_static_selectorELNS0_4arch9wavefront6targetE1EEEvT1_.num_vgpr, 0
	.set _ZN7rocprim17ROCPRIM_400000_NS6detail17trampoline_kernelINS0_14default_configENS1_35adjacent_difference_config_selectorILb0EfEEZNS1_24adjacent_difference_implIS3_Lb0ELb0EPfS7_N6thrust23THRUST_200600_302600_NS4plusIfEEEE10hipError_tPvRmT2_T3_mT4_P12ihipStream_tbEUlT_E_NS1_11comp_targetILNS1_3genE3ELNS1_11target_archE908ELNS1_3gpuE7ELNS1_3repE0EEENS1_30default_config_static_selectorELNS0_4arch9wavefront6targetE1EEEvT1_.num_agpr, 0
	.set _ZN7rocprim17ROCPRIM_400000_NS6detail17trampoline_kernelINS0_14default_configENS1_35adjacent_difference_config_selectorILb0EfEEZNS1_24adjacent_difference_implIS3_Lb0ELb0EPfS7_N6thrust23THRUST_200600_302600_NS4plusIfEEEE10hipError_tPvRmT2_T3_mT4_P12ihipStream_tbEUlT_E_NS1_11comp_targetILNS1_3genE3ELNS1_11target_archE908ELNS1_3gpuE7ELNS1_3repE0EEENS1_30default_config_static_selectorELNS0_4arch9wavefront6targetE1EEEvT1_.numbered_sgpr, 0
	.set _ZN7rocprim17ROCPRIM_400000_NS6detail17trampoline_kernelINS0_14default_configENS1_35adjacent_difference_config_selectorILb0EfEEZNS1_24adjacent_difference_implIS3_Lb0ELb0EPfS7_N6thrust23THRUST_200600_302600_NS4plusIfEEEE10hipError_tPvRmT2_T3_mT4_P12ihipStream_tbEUlT_E_NS1_11comp_targetILNS1_3genE3ELNS1_11target_archE908ELNS1_3gpuE7ELNS1_3repE0EEENS1_30default_config_static_selectorELNS0_4arch9wavefront6targetE1EEEvT1_.num_named_barrier, 0
	.set _ZN7rocprim17ROCPRIM_400000_NS6detail17trampoline_kernelINS0_14default_configENS1_35adjacent_difference_config_selectorILb0EfEEZNS1_24adjacent_difference_implIS3_Lb0ELb0EPfS7_N6thrust23THRUST_200600_302600_NS4plusIfEEEE10hipError_tPvRmT2_T3_mT4_P12ihipStream_tbEUlT_E_NS1_11comp_targetILNS1_3genE3ELNS1_11target_archE908ELNS1_3gpuE7ELNS1_3repE0EEENS1_30default_config_static_selectorELNS0_4arch9wavefront6targetE1EEEvT1_.private_seg_size, 0
	.set _ZN7rocprim17ROCPRIM_400000_NS6detail17trampoline_kernelINS0_14default_configENS1_35adjacent_difference_config_selectorILb0EfEEZNS1_24adjacent_difference_implIS3_Lb0ELb0EPfS7_N6thrust23THRUST_200600_302600_NS4plusIfEEEE10hipError_tPvRmT2_T3_mT4_P12ihipStream_tbEUlT_E_NS1_11comp_targetILNS1_3genE3ELNS1_11target_archE908ELNS1_3gpuE7ELNS1_3repE0EEENS1_30default_config_static_selectorELNS0_4arch9wavefront6targetE1EEEvT1_.uses_vcc, 0
	.set _ZN7rocprim17ROCPRIM_400000_NS6detail17trampoline_kernelINS0_14default_configENS1_35adjacent_difference_config_selectorILb0EfEEZNS1_24adjacent_difference_implIS3_Lb0ELb0EPfS7_N6thrust23THRUST_200600_302600_NS4plusIfEEEE10hipError_tPvRmT2_T3_mT4_P12ihipStream_tbEUlT_E_NS1_11comp_targetILNS1_3genE3ELNS1_11target_archE908ELNS1_3gpuE7ELNS1_3repE0EEENS1_30default_config_static_selectorELNS0_4arch9wavefront6targetE1EEEvT1_.uses_flat_scratch, 0
	.set _ZN7rocprim17ROCPRIM_400000_NS6detail17trampoline_kernelINS0_14default_configENS1_35adjacent_difference_config_selectorILb0EfEEZNS1_24adjacent_difference_implIS3_Lb0ELb0EPfS7_N6thrust23THRUST_200600_302600_NS4plusIfEEEE10hipError_tPvRmT2_T3_mT4_P12ihipStream_tbEUlT_E_NS1_11comp_targetILNS1_3genE3ELNS1_11target_archE908ELNS1_3gpuE7ELNS1_3repE0EEENS1_30default_config_static_selectorELNS0_4arch9wavefront6targetE1EEEvT1_.has_dyn_sized_stack, 0
	.set _ZN7rocprim17ROCPRIM_400000_NS6detail17trampoline_kernelINS0_14default_configENS1_35adjacent_difference_config_selectorILb0EfEEZNS1_24adjacent_difference_implIS3_Lb0ELb0EPfS7_N6thrust23THRUST_200600_302600_NS4plusIfEEEE10hipError_tPvRmT2_T3_mT4_P12ihipStream_tbEUlT_E_NS1_11comp_targetILNS1_3genE3ELNS1_11target_archE908ELNS1_3gpuE7ELNS1_3repE0EEENS1_30default_config_static_selectorELNS0_4arch9wavefront6targetE1EEEvT1_.has_recursion, 0
	.set _ZN7rocprim17ROCPRIM_400000_NS6detail17trampoline_kernelINS0_14default_configENS1_35adjacent_difference_config_selectorILb0EfEEZNS1_24adjacent_difference_implIS3_Lb0ELb0EPfS7_N6thrust23THRUST_200600_302600_NS4plusIfEEEE10hipError_tPvRmT2_T3_mT4_P12ihipStream_tbEUlT_E_NS1_11comp_targetILNS1_3genE3ELNS1_11target_archE908ELNS1_3gpuE7ELNS1_3repE0EEENS1_30default_config_static_selectorELNS0_4arch9wavefront6targetE1EEEvT1_.has_indirect_call, 0
	.section	.AMDGPU.csdata,"",@progbits
; Kernel info:
; codeLenInByte = 0
; TotalNumSgprs: 4
; NumVgprs: 0
; ScratchSize: 0
; MemoryBound: 0
; FloatMode: 240
; IeeeMode: 1
; LDSByteSize: 0 bytes/workgroup (compile time only)
; SGPRBlocks: 0
; VGPRBlocks: 0
; NumSGPRsForWavesPerEU: 4
; NumVGPRsForWavesPerEU: 1
; Occupancy: 10
; WaveLimiterHint : 0
; COMPUTE_PGM_RSRC2:SCRATCH_EN: 0
; COMPUTE_PGM_RSRC2:USER_SGPR: 6
; COMPUTE_PGM_RSRC2:TRAP_HANDLER: 0
; COMPUTE_PGM_RSRC2:TGID_X_EN: 1
; COMPUTE_PGM_RSRC2:TGID_Y_EN: 0
; COMPUTE_PGM_RSRC2:TGID_Z_EN: 0
; COMPUTE_PGM_RSRC2:TIDIG_COMP_CNT: 0
	.section	.text._ZN7rocprim17ROCPRIM_400000_NS6detail17trampoline_kernelINS0_14default_configENS1_35adjacent_difference_config_selectorILb0EfEEZNS1_24adjacent_difference_implIS3_Lb0ELb0EPfS7_N6thrust23THRUST_200600_302600_NS4plusIfEEEE10hipError_tPvRmT2_T3_mT4_P12ihipStream_tbEUlT_E_NS1_11comp_targetILNS1_3genE2ELNS1_11target_archE906ELNS1_3gpuE6ELNS1_3repE0EEENS1_30default_config_static_selectorELNS0_4arch9wavefront6targetE1EEEvT1_,"axG",@progbits,_ZN7rocprim17ROCPRIM_400000_NS6detail17trampoline_kernelINS0_14default_configENS1_35adjacent_difference_config_selectorILb0EfEEZNS1_24adjacent_difference_implIS3_Lb0ELb0EPfS7_N6thrust23THRUST_200600_302600_NS4plusIfEEEE10hipError_tPvRmT2_T3_mT4_P12ihipStream_tbEUlT_E_NS1_11comp_targetILNS1_3genE2ELNS1_11target_archE906ELNS1_3gpuE6ELNS1_3repE0EEENS1_30default_config_static_selectorELNS0_4arch9wavefront6targetE1EEEvT1_,comdat
	.protected	_ZN7rocprim17ROCPRIM_400000_NS6detail17trampoline_kernelINS0_14default_configENS1_35adjacent_difference_config_selectorILb0EfEEZNS1_24adjacent_difference_implIS3_Lb0ELb0EPfS7_N6thrust23THRUST_200600_302600_NS4plusIfEEEE10hipError_tPvRmT2_T3_mT4_P12ihipStream_tbEUlT_E_NS1_11comp_targetILNS1_3genE2ELNS1_11target_archE906ELNS1_3gpuE6ELNS1_3repE0EEENS1_30default_config_static_selectorELNS0_4arch9wavefront6targetE1EEEvT1_ ; -- Begin function _ZN7rocprim17ROCPRIM_400000_NS6detail17trampoline_kernelINS0_14default_configENS1_35adjacent_difference_config_selectorILb0EfEEZNS1_24adjacent_difference_implIS3_Lb0ELb0EPfS7_N6thrust23THRUST_200600_302600_NS4plusIfEEEE10hipError_tPvRmT2_T3_mT4_P12ihipStream_tbEUlT_E_NS1_11comp_targetILNS1_3genE2ELNS1_11target_archE906ELNS1_3gpuE6ELNS1_3repE0EEENS1_30default_config_static_selectorELNS0_4arch9wavefront6targetE1EEEvT1_
	.globl	_ZN7rocprim17ROCPRIM_400000_NS6detail17trampoline_kernelINS0_14default_configENS1_35adjacent_difference_config_selectorILb0EfEEZNS1_24adjacent_difference_implIS3_Lb0ELb0EPfS7_N6thrust23THRUST_200600_302600_NS4plusIfEEEE10hipError_tPvRmT2_T3_mT4_P12ihipStream_tbEUlT_E_NS1_11comp_targetILNS1_3genE2ELNS1_11target_archE906ELNS1_3gpuE6ELNS1_3repE0EEENS1_30default_config_static_selectorELNS0_4arch9wavefront6targetE1EEEvT1_
	.p2align	8
	.type	_ZN7rocprim17ROCPRIM_400000_NS6detail17trampoline_kernelINS0_14default_configENS1_35adjacent_difference_config_selectorILb0EfEEZNS1_24adjacent_difference_implIS3_Lb0ELb0EPfS7_N6thrust23THRUST_200600_302600_NS4plusIfEEEE10hipError_tPvRmT2_T3_mT4_P12ihipStream_tbEUlT_E_NS1_11comp_targetILNS1_3genE2ELNS1_11target_archE906ELNS1_3gpuE6ELNS1_3repE0EEENS1_30default_config_static_selectorELNS0_4arch9wavefront6targetE1EEEvT1_,@function
_ZN7rocprim17ROCPRIM_400000_NS6detail17trampoline_kernelINS0_14default_configENS1_35adjacent_difference_config_selectorILb0EfEEZNS1_24adjacent_difference_implIS3_Lb0ELb0EPfS7_N6thrust23THRUST_200600_302600_NS4plusIfEEEE10hipError_tPvRmT2_T3_mT4_P12ihipStream_tbEUlT_E_NS1_11comp_targetILNS1_3genE2ELNS1_11target_archE906ELNS1_3gpuE6ELNS1_3repE0EEENS1_30default_config_static_selectorELNS0_4arch9wavefront6targetE1EEEvT1_: ; @_ZN7rocprim17ROCPRIM_400000_NS6detail17trampoline_kernelINS0_14default_configENS1_35adjacent_difference_config_selectorILb0EfEEZNS1_24adjacent_difference_implIS3_Lb0ELb0EPfS7_N6thrust23THRUST_200600_302600_NS4plusIfEEEE10hipError_tPvRmT2_T3_mT4_P12ihipStream_tbEUlT_E_NS1_11comp_targetILNS1_3genE2ELNS1_11target_archE906ELNS1_3gpuE6ELNS1_3repE0EEENS1_30default_config_static_selectorELNS0_4arch9wavefront6targetE1EEEvT1_
; %bb.0:
	s_load_dwordx8 s[8:15], s[4:5], 0x0
	s_load_dwordx2 s[0:1], s[4:5], 0x30
	s_mul_i32 s16, s6, 0x1400
	s_mov_b32 s17, 0
	s_waitcnt lgkmcnt(0)
	s_lshl_b64 s[18:19], s[10:11], 2
	s_add_u32 s20, s8, s18
	s_addc_u32 s21, s9, s19
	s_mul_i32 s5, s15, 0xcccccccd
	s_mul_hi_u32 s7, s14, 0xcccccccd
	s_mul_hi_u32 s4, s15, 0xcccccccd
	s_add_u32 s5, s5, s7
	s_mul_i32 s3, s14, 0xcccccccc
	s_addc_u32 s4, s4, 0
	s_mul_hi_u32 s2, s14, 0xcccccccc
	s_add_u32 s3, s3, s5
	s_addc_u32 s2, s2, 0
	s_add_u32 s2, s4, s2
	s_addc_u32 s3, 0, 0
	s_mul_i32 s5, s15, 0xcccccccc
	s_mul_hi_u32 s4, s15, 0xcccccccc
	s_add_u32 s2, s5, s2
	s_addc_u32 s3, s4, s3
	s_lshr_b64 s[4:5], s[2:3], 12
	s_lshr_b32 s2, s3, 12
	s_mulk_i32 s2, 0x1400
	s_mul_hi_u32 s3, s4, 0x1400
	s_add_i32 s3, s3, s2
	s_mul_i32 s2, s4, 0x1400
	s_sub_u32 s2, s14, s2
	s_subb_u32 s3, s15, s3
	s_cmp_lg_u64 s[2:3], 0
	s_cselect_b64 s[2:3], -1, 0
	v_cndmask_b32_e64 v1, 0, 1, s[2:3]
	v_readfirstlane_b32 s2, v1
	s_add_u32 s2, s4, s2
	s_addc_u32 s3, s5, 0
	s_add_u32 s4, s0, s6
	s_addc_u32 s5, s1, 0
	s_add_u32 s6, s2, -1
	s_addc_u32 s7, s3, -1
	v_mov_b32_e32 v1, s6
	v_mov_b32_e32 v2, s7
	v_cmp_ge_u64_e64 s[0:1], s[4:5], v[1:2]
	s_mov_b64 s[8:9], -1
	s_and_b64 vcc, exec, s[0:1]
	s_mul_i32 s15, s6, 0xffffec00
	s_cbranch_vccz .LBB83_12
; %bb.1:
	s_add_i32 s22, s15, s14
	s_lshl_b64 s[8:9], s[16:17], 2
	s_add_u32 s8, s20, s8
	v_mov_b32_e32 v1, 0
	s_addc_u32 s9, s21, s9
	v_cmp_gt_u32_e32 vcc, s22, v0
	v_mov_b32_e32 v2, v1
	v_mov_b32_e32 v3, v1
	;; [unrolled: 1-line block ×4, first 2 shown]
	s_and_saveexec_b64 s[10:11], vcc
	s_cbranch_execz .LBB83_3
; %bb.2:
	v_lshlrev_b32_e32 v2, 2, v0
	global_load_dword v2, v2, s[8:9]
	v_mov_b32_e32 v3, v1
	v_mov_b32_e32 v4, v1
	;; [unrolled: 1-line block ×4, first 2 shown]
	s_waitcnt vmcnt(0)
	v_mov_b32_e32 v1, v2
	v_mov_b32_e32 v2, v3
	;; [unrolled: 1-line block ×5, first 2 shown]
.LBB83_3:
	s_or_b64 exec, exec, s[10:11]
	v_or_b32_e32 v6, 0x400, v0
	v_cmp_gt_u32_e32 vcc, s22, v6
	s_and_saveexec_b64 s[10:11], vcc
	s_cbranch_execz .LBB83_5
; %bb.4:
	v_lshlrev_b32_e32 v2, 2, v6
	global_load_dword v2, v2, s[8:9]
.LBB83_5:
	s_or_b64 exec, exec, s[10:11]
	v_or_b32_e32 v6, 0x800, v0
	v_cmp_gt_u32_e32 vcc, s22, v6
	s_and_saveexec_b64 s[10:11], vcc
	s_cbranch_execz .LBB83_7
; %bb.6:
	v_lshlrev_b32_e32 v3, 2, v6
	global_load_dword v3, v3, s[8:9]
.LBB83_7:
	;; [unrolled: 9-line block ×4, first 2 shown]
	s_or_b64 exec, exec, s[10:11]
	v_lshlrev_b32_e32 v6, 2, v0
	s_mov_b64 s[8:9], 0
	s_waitcnt vmcnt(0)
	ds_write2st64_b32 v6, v1, v2 offset1:16
	ds_write2st64_b32 v6, v3, v4 offset0:32 offset1:48
	ds_write_b32 v6, v5 offset:16384
	s_waitcnt lgkmcnt(0)
	s_barrier
.LBB83_12:
	s_and_b64 vcc, exec, s[8:9]
	v_lshlrev_b32_e32 v7, 2, v0
	s_cbranch_vccz .LBB83_14
; %bb.13:
	s_lshl_b64 s[8:9], s[16:17], 2
	s_add_u32 s8, s20, s8
	s_addc_u32 s9, s21, s9
	v_mov_b32_e32 v1, s9
	v_add_co_u32_e32 v8, vcc, s8, v7
	v_addc_co_u32_e32 v9, vcc, 0, v1, vcc
	v_add_co_u32_e32 v1, vcc, 0x1000, v8
	v_addc_co_u32_e32 v2, vcc, 0, v9, vcc
	;; [unrolled: 2-line block ×5, first 2 shown]
	global_load_dword v10, v7, s[8:9]
	global_load_dword v11, v[1:2], off
	global_load_dword v12, v[3:4], off
	;; [unrolled: 1-line block ×4, first 2 shown]
	s_waitcnt vmcnt(3)
	ds_write2st64_b32 v7, v10, v11 offset1:16
	s_waitcnt vmcnt(1)
	ds_write2st64_b32 v7, v12, v13 offset0:32 offset1:48
	s_waitcnt vmcnt(0)
	ds_write_b32 v7, v14 offset:16384
	s_waitcnt lgkmcnt(0)
	s_barrier
.LBB83_14:
	v_mul_u32_u24_e32 v8, 20, v0
	ds_read2_b32 v[1:2], v8 offset1:1
	ds_read2_b32 v[3:4], v8 offset0:2 offset1:3
	ds_read_b32 v5, v8 offset:16
	s_cmp_eq_u64 s[4:5], 0
	s_waitcnt lgkmcnt(0)
	s_barrier
	s_cbranch_scc1 .LBB83_19
; %bb.15:
	s_lshl_b64 s[8:9], s[16:17], 2
	s_add_u32 s8, s20, s8
	s_addc_u32 s9, s21, s9
	s_add_u32 s8, s8, -4
	s_addc_u32 s9, s9, -1
	s_load_dword s8, s[8:9], 0x0
	s_cmp_eq_u64 s[4:5], s[6:7]
	s_cbranch_scc1 .LBB83_20
; %bb.16:
	v_cmp_ne_u32_e32 vcc, 0, v0
	s_waitcnt lgkmcnt(0)
	v_mov_b32_e32 v6, s8
	ds_write_b32 v7, v5
	s_waitcnt lgkmcnt(0)
	s_barrier
	s_and_saveexec_b64 s[6:7], vcc
; %bb.17:
	v_add_u32_e32 v6, -4, v7
	ds_read_b32 v6, v6
; %bb.18:
	s_or_b64 exec, exec, s[6:7]
	v_add_f32_e32 v9, v4, v5
	v_add_f32_e32 v10, v3, v4
	;; [unrolled: 1-line block ×4, first 2 shown]
	s_waitcnt lgkmcnt(0)
	v_add_f32_e32 v13, v1, v6
	s_branch .LBB83_24
.LBB83_19:
                                        ; implicit-def: $vgpr9
                                        ; implicit-def: $vgpr10
                                        ; implicit-def: $vgpr11
                                        ; implicit-def: $vgpr12
                                        ; implicit-def: $vgpr13
	s_branch .LBB83_25
.LBB83_20:
                                        ; implicit-def: $vgpr9
                                        ; implicit-def: $vgpr10
                                        ; implicit-def: $vgpr11
                                        ; implicit-def: $vgpr12
                                        ; implicit-def: $vgpr13
	s_cbranch_execz .LBB83_24
; %bb.21:
	v_mul_u32_u24_e32 v6, 5, v0
	v_cmp_ne_u32_e32 vcc, 0, v0
	s_waitcnt lgkmcnt(0)
	v_mov_b32_e32 v13, s8
	ds_write_b32 v7, v5
	s_waitcnt lgkmcnt(0)
	s_barrier
	s_and_saveexec_b64 s[6:7], vcc
; %bb.22:
	v_add_u32_e32 v9, -4, v7
	ds_read_b32 v13, v9
; %bb.23:
	s_or_b64 exec, exec, s[6:7]
	s_mulk_i32 s4, 0xec00
	s_add_i32 s4, s4, s14
	v_add_u32_e32 v9, 4, v6
	v_add_f32_e32 v10, v4, v5
	v_cmp_gt_u32_e32 vcc, s4, v9
	v_cndmask_b32_e32 v9, v5, v10, vcc
	v_add_u32_e32 v10, 3, v6
	v_add_f32_e32 v11, v3, v4
	v_cmp_gt_u32_e32 vcc, s4, v10
	v_cndmask_b32_e32 v10, v4, v11, vcc
	;; [unrolled: 4-line block ×4, first 2 shown]
	s_waitcnt lgkmcnt(0)
	v_add_f32_e32 v13, v1, v13
	v_cmp_gt_u32_e32 vcc, s4, v6
	v_cndmask_b32_e32 v13, v1, v13, vcc
.LBB83_24:
	s_cbranch_execnz .LBB83_33
.LBB83_25:
	s_cmp_eq_u64 s[2:3], 1
	v_add_f32_e32 v9, v4, v5
	v_add_f32_e32 v10, v3, v4
	;; [unrolled: 1-line block ×4, first 2 shown]
	v_cmp_ne_u32_e32 vcc, 0, v0
	s_cbranch_scc1 .LBB83_29
; %bb.26:
	v_mov_b32_e32 v13, v1
	ds_write_b32 v7, v5
	s_waitcnt lgkmcnt(0)
	s_barrier
	s_and_saveexec_b64 s[2:3], vcc
	s_cbranch_execz .LBB83_28
; %bb.27:
	v_add_u32_e32 v6, -4, v7
	ds_read_b32 v6, v6
	s_waitcnt lgkmcnt(0)
	v_add_f32_e32 v13, v1, v6
.LBB83_28:
	s_or_b64 exec, exec, s[2:3]
	s_cbranch_execz .LBB83_30
	s_branch .LBB83_33
.LBB83_29:
                                        ; implicit-def: $vgpr13
.LBB83_30:
	v_mad_u32_u24 v13, v0, 5, 4
	v_cmp_gt_u32_e32 vcc, s14, v13
	v_mad_u32_u24 v13, v0, 5, 3
	v_mul_u32_u24_e32 v6, 5, v0
	v_cmp_gt_u32_e64 s[2:3], s14, v13
	v_mad_u32_u24 v13, v0, 5, 2
	v_cmp_gt_u32_e64 s[4:5], s14, v13
	v_mad_u32_u24 v13, v0, 5, 1
	s_waitcnt lgkmcnt(0)
	v_cmp_ne_u32_e64 s[8:9], 0, v0
	v_cmp_gt_u32_e64 s[10:11], s14, v6
	v_cmp_gt_u32_e64 s[6:7], s14, v13
	s_and_b64 s[10:11], s[8:9], s[10:11]
	ds_write_b32 v7, v5
	s_waitcnt lgkmcnt(0)
	s_barrier
	s_and_saveexec_b64 s[8:9], s[10:11]
	s_cbranch_execz .LBB83_32
; %bb.31:
	v_add_u32_e32 v6, -4, v7
	ds_read_b32 v6, v6
	s_waitcnt lgkmcnt(0)
	v_add_f32_e32 v1, v1, v6
.LBB83_32:
	s_or_b64 exec, exec, s[8:9]
	v_cndmask_b32_e32 v9, v5, v9, vcc
	v_cndmask_b32_e64 v10, v4, v10, s[2:3]
	v_cndmask_b32_e64 v11, v3, v11, s[4:5]
	;; [unrolled: 1-line block ×3, first 2 shown]
	v_mov_b32_e32 v13, v1
.LBB83_33:
	s_add_u32 s4, s12, s18
	s_addc_u32 s5, s13, s19
	s_and_b64 vcc, exec, s[0:1]
	v_lshlrev_b32_e32 v14, 4, v0
	s_waitcnt lgkmcnt(0)
	s_barrier
	s_cbranch_vccz .LBB83_43
; %bb.34:
	s_add_i32 s15, s15, s14
	s_lshl_b64 s[0:1], s[16:17], 2
	v_sub_u32_e32 v1, v8, v14
	s_add_u32 s0, s4, s0
	ds_write2_b32 v8, v13, v12 offset1:1
	ds_write2_b32 v8, v11, v10 offset0:2 offset1:3
	ds_write_b32 v8, v9 offset:16
	s_waitcnt lgkmcnt(0)
	s_barrier
	ds_read2st64_b32 v[5:6], v1 offset0:16 offset1:32
	ds_read2st64_b32 v[1:2], v1 offset0:48 offset1:64
	s_addc_u32 s1, s5, s1
	v_mov_b32_e32 v4, s1
	v_add_co_u32_e32 v3, vcc, s0, v7
	v_addc_co_u32_e32 v4, vcc, 0, v4, vcc
	v_cmp_gt_u32_e32 vcc, s15, v0
	s_and_saveexec_b64 s[0:1], vcc
	s_cbranch_execz .LBB83_36
; %bb.35:
	v_sub_u32_e32 v15, 0, v14
	v_add_u32_e32 v15, v8, v15
	ds_read_b32 v15, v15
	s_waitcnt lgkmcnt(0)
	global_store_dword v[3:4], v15, off
.LBB83_36:
	s_or_b64 exec, exec, s[0:1]
	v_or_b32_e32 v15, 0x400, v0
	v_cmp_gt_u32_e32 vcc, s15, v15
	s_and_saveexec_b64 s[0:1], vcc
	s_cbranch_execz .LBB83_38
; %bb.37:
	v_add_co_u32_e32 v15, vcc, 0x1000, v3
	v_addc_co_u32_e32 v16, vcc, 0, v4, vcc
	s_waitcnt lgkmcnt(1)
	global_store_dword v[15:16], v5, off
.LBB83_38:
	s_or_b64 exec, exec, s[0:1]
	s_waitcnt lgkmcnt(1)
	v_or_b32_e32 v5, 0x800, v0
	v_cmp_gt_u32_e32 vcc, s15, v5
	s_and_saveexec_b64 s[0:1], vcc
	s_cbranch_execz .LBB83_40
; %bb.39:
	v_add_co_u32_e32 v15, vcc, 0x2000, v3
	v_addc_co_u32_e32 v16, vcc, 0, v4, vcc
	global_store_dword v[15:16], v6, off
.LBB83_40:
	s_or_b64 exec, exec, s[0:1]
	v_or_b32_e32 v5, 0xc00, v0
	v_cmp_gt_u32_e32 vcc, s15, v5
	s_and_saveexec_b64 s[0:1], vcc
	s_cbranch_execz .LBB83_42
; %bb.41:
	v_add_co_u32_e32 v5, vcc, 0x3000, v3
	v_addc_co_u32_e32 v6, vcc, 0, v4, vcc
	s_waitcnt lgkmcnt(0)
	global_store_dword v[5:6], v1, off
.LBB83_42:
	s_or_b64 exec, exec, s[0:1]
	v_or_b32_e32 v0, 0x1000, v0
	v_cmp_gt_u32_e64 s[0:1], s15, v0
	s_branch .LBB83_45
.LBB83_43:
	s_mov_b64 s[0:1], 0
                                        ; implicit-def: $vgpr2
                                        ; implicit-def: $vgpr3_vgpr4
	s_cbranch_execz .LBB83_45
; %bb.44:
	s_lshl_b64 s[2:3], s[16:17], 2
	s_waitcnt lgkmcnt(0)
	v_sub_u32_e32 v2, v8, v14
	s_add_u32 s2, s4, s2
	ds_write2_b32 v8, v13, v12 offset1:1
	ds_write2_b32 v8, v11, v10 offset0:2 offset1:3
	ds_write_b32 v8, v9 offset:16
	s_waitcnt vmcnt(0) lgkmcnt(0)
	s_barrier
	ds_read2st64_b32 v[0:1], v2 offset1:16
	ds_read2st64_b32 v[5:6], v2 offset0:32 offset1:48
	ds_read_b32 v2, v2 offset:16384
	s_addc_u32 s3, s5, s3
	v_mov_b32_e32 v4, s3
	v_add_co_u32_e32 v3, vcc, s2, v7
	v_addc_co_u32_e32 v4, vcc, 0, v4, vcc
	s_waitcnt lgkmcnt(2)
	global_store_dword v7, v0, s[2:3]
	s_movk_i32 s2, 0x1000
	v_add_co_u32_e32 v7, vcc, s2, v3
	v_addc_co_u32_e32 v8, vcc, 0, v4, vcc
	v_add_co_u32_e32 v0, vcc, 0x2000, v3
	global_store_dword v[7:8], v1, off
	v_addc_co_u32_e32 v1, vcc, 0, v4, vcc
	s_waitcnt lgkmcnt(1)
	global_store_dword v[0:1], v5, off
	v_add_co_u32_e32 v0, vcc, 0x3000, v3
	v_addc_co_u32_e32 v1, vcc, 0, v4, vcc
	s_or_b64 s[0:1], s[0:1], exec
	global_store_dword v[0:1], v6, off
.LBB83_45:
	s_and_saveexec_b64 s[2:3], s[0:1]
	s_cbranch_execnz .LBB83_47
; %bb.46:
	s_endpgm
.LBB83_47:
	v_add_co_u32_e32 v0, vcc, 0x4000, v3
	s_waitcnt lgkmcnt(0)
	v_addc_co_u32_e32 v1, vcc, 0, v4, vcc
	global_store_dword v[0:1], v2, off
	s_endpgm
	.section	.rodata,"a",@progbits
	.p2align	6, 0x0
	.amdhsa_kernel _ZN7rocprim17ROCPRIM_400000_NS6detail17trampoline_kernelINS0_14default_configENS1_35adjacent_difference_config_selectorILb0EfEEZNS1_24adjacent_difference_implIS3_Lb0ELb0EPfS7_N6thrust23THRUST_200600_302600_NS4plusIfEEEE10hipError_tPvRmT2_T3_mT4_P12ihipStream_tbEUlT_E_NS1_11comp_targetILNS1_3genE2ELNS1_11target_archE906ELNS1_3gpuE6ELNS1_3repE0EEENS1_30default_config_static_selectorELNS0_4arch9wavefront6targetE1EEEvT1_
		.amdhsa_group_segment_fixed_size 20480
		.amdhsa_private_segment_fixed_size 0
		.amdhsa_kernarg_size 56
		.amdhsa_user_sgpr_count 6
		.amdhsa_user_sgpr_private_segment_buffer 1
		.amdhsa_user_sgpr_dispatch_ptr 0
		.amdhsa_user_sgpr_queue_ptr 0
		.amdhsa_user_sgpr_kernarg_segment_ptr 1
		.amdhsa_user_sgpr_dispatch_id 0
		.amdhsa_user_sgpr_flat_scratch_init 0
		.amdhsa_user_sgpr_private_segment_size 0
		.amdhsa_uses_dynamic_stack 0
		.amdhsa_system_sgpr_private_segment_wavefront_offset 0
		.amdhsa_system_sgpr_workgroup_id_x 1
		.amdhsa_system_sgpr_workgroup_id_y 0
		.amdhsa_system_sgpr_workgroup_id_z 0
		.amdhsa_system_sgpr_workgroup_info 0
		.amdhsa_system_vgpr_workitem_id 0
		.amdhsa_next_free_vgpr 29
		.amdhsa_next_free_sgpr 61
		.amdhsa_reserve_vcc 1
		.amdhsa_reserve_flat_scratch 0
		.amdhsa_float_round_mode_32 0
		.amdhsa_float_round_mode_16_64 0
		.amdhsa_float_denorm_mode_32 3
		.amdhsa_float_denorm_mode_16_64 3
		.amdhsa_dx10_clamp 1
		.amdhsa_ieee_mode 1
		.amdhsa_fp16_overflow 0
		.amdhsa_exception_fp_ieee_invalid_op 0
		.amdhsa_exception_fp_denorm_src 0
		.amdhsa_exception_fp_ieee_div_zero 0
		.amdhsa_exception_fp_ieee_overflow 0
		.amdhsa_exception_fp_ieee_underflow 0
		.amdhsa_exception_fp_ieee_inexact 0
		.amdhsa_exception_int_div_zero 0
	.end_amdhsa_kernel
	.section	.text._ZN7rocprim17ROCPRIM_400000_NS6detail17trampoline_kernelINS0_14default_configENS1_35adjacent_difference_config_selectorILb0EfEEZNS1_24adjacent_difference_implIS3_Lb0ELb0EPfS7_N6thrust23THRUST_200600_302600_NS4plusIfEEEE10hipError_tPvRmT2_T3_mT4_P12ihipStream_tbEUlT_E_NS1_11comp_targetILNS1_3genE2ELNS1_11target_archE906ELNS1_3gpuE6ELNS1_3repE0EEENS1_30default_config_static_selectorELNS0_4arch9wavefront6targetE1EEEvT1_,"axG",@progbits,_ZN7rocprim17ROCPRIM_400000_NS6detail17trampoline_kernelINS0_14default_configENS1_35adjacent_difference_config_selectorILb0EfEEZNS1_24adjacent_difference_implIS3_Lb0ELb0EPfS7_N6thrust23THRUST_200600_302600_NS4plusIfEEEE10hipError_tPvRmT2_T3_mT4_P12ihipStream_tbEUlT_E_NS1_11comp_targetILNS1_3genE2ELNS1_11target_archE906ELNS1_3gpuE6ELNS1_3repE0EEENS1_30default_config_static_selectorELNS0_4arch9wavefront6targetE1EEEvT1_,comdat
.Lfunc_end83:
	.size	_ZN7rocprim17ROCPRIM_400000_NS6detail17trampoline_kernelINS0_14default_configENS1_35adjacent_difference_config_selectorILb0EfEEZNS1_24adjacent_difference_implIS3_Lb0ELb0EPfS7_N6thrust23THRUST_200600_302600_NS4plusIfEEEE10hipError_tPvRmT2_T3_mT4_P12ihipStream_tbEUlT_E_NS1_11comp_targetILNS1_3genE2ELNS1_11target_archE906ELNS1_3gpuE6ELNS1_3repE0EEENS1_30default_config_static_selectorELNS0_4arch9wavefront6targetE1EEEvT1_, .Lfunc_end83-_ZN7rocprim17ROCPRIM_400000_NS6detail17trampoline_kernelINS0_14default_configENS1_35adjacent_difference_config_selectorILb0EfEEZNS1_24adjacent_difference_implIS3_Lb0ELb0EPfS7_N6thrust23THRUST_200600_302600_NS4plusIfEEEE10hipError_tPvRmT2_T3_mT4_P12ihipStream_tbEUlT_E_NS1_11comp_targetILNS1_3genE2ELNS1_11target_archE906ELNS1_3gpuE6ELNS1_3repE0EEENS1_30default_config_static_selectorELNS0_4arch9wavefront6targetE1EEEvT1_
                                        ; -- End function
	.set _ZN7rocprim17ROCPRIM_400000_NS6detail17trampoline_kernelINS0_14default_configENS1_35adjacent_difference_config_selectorILb0EfEEZNS1_24adjacent_difference_implIS3_Lb0ELb0EPfS7_N6thrust23THRUST_200600_302600_NS4plusIfEEEE10hipError_tPvRmT2_T3_mT4_P12ihipStream_tbEUlT_E_NS1_11comp_targetILNS1_3genE2ELNS1_11target_archE906ELNS1_3gpuE6ELNS1_3repE0EEENS1_30default_config_static_selectorELNS0_4arch9wavefront6targetE1EEEvT1_.num_vgpr, 17
	.set _ZN7rocprim17ROCPRIM_400000_NS6detail17trampoline_kernelINS0_14default_configENS1_35adjacent_difference_config_selectorILb0EfEEZNS1_24adjacent_difference_implIS3_Lb0ELb0EPfS7_N6thrust23THRUST_200600_302600_NS4plusIfEEEE10hipError_tPvRmT2_T3_mT4_P12ihipStream_tbEUlT_E_NS1_11comp_targetILNS1_3genE2ELNS1_11target_archE906ELNS1_3gpuE6ELNS1_3repE0EEENS1_30default_config_static_selectorELNS0_4arch9wavefront6targetE1EEEvT1_.num_agpr, 0
	.set _ZN7rocprim17ROCPRIM_400000_NS6detail17trampoline_kernelINS0_14default_configENS1_35adjacent_difference_config_selectorILb0EfEEZNS1_24adjacent_difference_implIS3_Lb0ELb0EPfS7_N6thrust23THRUST_200600_302600_NS4plusIfEEEE10hipError_tPvRmT2_T3_mT4_P12ihipStream_tbEUlT_E_NS1_11comp_targetILNS1_3genE2ELNS1_11target_archE906ELNS1_3gpuE6ELNS1_3repE0EEENS1_30default_config_static_selectorELNS0_4arch9wavefront6targetE1EEEvT1_.numbered_sgpr, 23
	.set _ZN7rocprim17ROCPRIM_400000_NS6detail17trampoline_kernelINS0_14default_configENS1_35adjacent_difference_config_selectorILb0EfEEZNS1_24adjacent_difference_implIS3_Lb0ELb0EPfS7_N6thrust23THRUST_200600_302600_NS4plusIfEEEE10hipError_tPvRmT2_T3_mT4_P12ihipStream_tbEUlT_E_NS1_11comp_targetILNS1_3genE2ELNS1_11target_archE906ELNS1_3gpuE6ELNS1_3repE0EEENS1_30default_config_static_selectorELNS0_4arch9wavefront6targetE1EEEvT1_.num_named_barrier, 0
	.set _ZN7rocprim17ROCPRIM_400000_NS6detail17trampoline_kernelINS0_14default_configENS1_35adjacent_difference_config_selectorILb0EfEEZNS1_24adjacent_difference_implIS3_Lb0ELb0EPfS7_N6thrust23THRUST_200600_302600_NS4plusIfEEEE10hipError_tPvRmT2_T3_mT4_P12ihipStream_tbEUlT_E_NS1_11comp_targetILNS1_3genE2ELNS1_11target_archE906ELNS1_3gpuE6ELNS1_3repE0EEENS1_30default_config_static_selectorELNS0_4arch9wavefront6targetE1EEEvT1_.private_seg_size, 0
	.set _ZN7rocprim17ROCPRIM_400000_NS6detail17trampoline_kernelINS0_14default_configENS1_35adjacent_difference_config_selectorILb0EfEEZNS1_24adjacent_difference_implIS3_Lb0ELb0EPfS7_N6thrust23THRUST_200600_302600_NS4plusIfEEEE10hipError_tPvRmT2_T3_mT4_P12ihipStream_tbEUlT_E_NS1_11comp_targetILNS1_3genE2ELNS1_11target_archE906ELNS1_3gpuE6ELNS1_3repE0EEENS1_30default_config_static_selectorELNS0_4arch9wavefront6targetE1EEEvT1_.uses_vcc, 1
	.set _ZN7rocprim17ROCPRIM_400000_NS6detail17trampoline_kernelINS0_14default_configENS1_35adjacent_difference_config_selectorILb0EfEEZNS1_24adjacent_difference_implIS3_Lb0ELb0EPfS7_N6thrust23THRUST_200600_302600_NS4plusIfEEEE10hipError_tPvRmT2_T3_mT4_P12ihipStream_tbEUlT_E_NS1_11comp_targetILNS1_3genE2ELNS1_11target_archE906ELNS1_3gpuE6ELNS1_3repE0EEENS1_30default_config_static_selectorELNS0_4arch9wavefront6targetE1EEEvT1_.uses_flat_scratch, 0
	.set _ZN7rocprim17ROCPRIM_400000_NS6detail17trampoline_kernelINS0_14default_configENS1_35adjacent_difference_config_selectorILb0EfEEZNS1_24adjacent_difference_implIS3_Lb0ELb0EPfS7_N6thrust23THRUST_200600_302600_NS4plusIfEEEE10hipError_tPvRmT2_T3_mT4_P12ihipStream_tbEUlT_E_NS1_11comp_targetILNS1_3genE2ELNS1_11target_archE906ELNS1_3gpuE6ELNS1_3repE0EEENS1_30default_config_static_selectorELNS0_4arch9wavefront6targetE1EEEvT1_.has_dyn_sized_stack, 0
	.set _ZN7rocprim17ROCPRIM_400000_NS6detail17trampoline_kernelINS0_14default_configENS1_35adjacent_difference_config_selectorILb0EfEEZNS1_24adjacent_difference_implIS3_Lb0ELb0EPfS7_N6thrust23THRUST_200600_302600_NS4plusIfEEEE10hipError_tPvRmT2_T3_mT4_P12ihipStream_tbEUlT_E_NS1_11comp_targetILNS1_3genE2ELNS1_11target_archE906ELNS1_3gpuE6ELNS1_3repE0EEENS1_30default_config_static_selectorELNS0_4arch9wavefront6targetE1EEEvT1_.has_recursion, 0
	.set _ZN7rocprim17ROCPRIM_400000_NS6detail17trampoline_kernelINS0_14default_configENS1_35adjacent_difference_config_selectorILb0EfEEZNS1_24adjacent_difference_implIS3_Lb0ELb0EPfS7_N6thrust23THRUST_200600_302600_NS4plusIfEEEE10hipError_tPvRmT2_T3_mT4_P12ihipStream_tbEUlT_E_NS1_11comp_targetILNS1_3genE2ELNS1_11target_archE906ELNS1_3gpuE6ELNS1_3repE0EEENS1_30default_config_static_selectorELNS0_4arch9wavefront6targetE1EEEvT1_.has_indirect_call, 0
	.section	.AMDGPU.csdata,"",@progbits
; Kernel info:
; codeLenInByte = 1808
; TotalNumSgprs: 27
; NumVgprs: 17
; ScratchSize: 0
; MemoryBound: 0
; FloatMode: 240
; IeeeMode: 1
; LDSByteSize: 20480 bytes/workgroup (compile time only)
; SGPRBlocks: 8
; VGPRBlocks: 7
; NumSGPRsForWavesPerEU: 65
; NumVGPRsForWavesPerEU: 29
; Occupancy: 8
; WaveLimiterHint : 1
; COMPUTE_PGM_RSRC2:SCRATCH_EN: 0
; COMPUTE_PGM_RSRC2:USER_SGPR: 6
; COMPUTE_PGM_RSRC2:TRAP_HANDLER: 0
; COMPUTE_PGM_RSRC2:TGID_X_EN: 1
; COMPUTE_PGM_RSRC2:TGID_Y_EN: 0
; COMPUTE_PGM_RSRC2:TGID_Z_EN: 0
; COMPUTE_PGM_RSRC2:TIDIG_COMP_CNT: 0
	.section	.text._ZN7rocprim17ROCPRIM_400000_NS6detail17trampoline_kernelINS0_14default_configENS1_35adjacent_difference_config_selectorILb0EfEEZNS1_24adjacent_difference_implIS3_Lb0ELb0EPfS7_N6thrust23THRUST_200600_302600_NS4plusIfEEEE10hipError_tPvRmT2_T3_mT4_P12ihipStream_tbEUlT_E_NS1_11comp_targetILNS1_3genE9ELNS1_11target_archE1100ELNS1_3gpuE3ELNS1_3repE0EEENS1_30default_config_static_selectorELNS0_4arch9wavefront6targetE1EEEvT1_,"axG",@progbits,_ZN7rocprim17ROCPRIM_400000_NS6detail17trampoline_kernelINS0_14default_configENS1_35adjacent_difference_config_selectorILb0EfEEZNS1_24adjacent_difference_implIS3_Lb0ELb0EPfS7_N6thrust23THRUST_200600_302600_NS4plusIfEEEE10hipError_tPvRmT2_T3_mT4_P12ihipStream_tbEUlT_E_NS1_11comp_targetILNS1_3genE9ELNS1_11target_archE1100ELNS1_3gpuE3ELNS1_3repE0EEENS1_30default_config_static_selectorELNS0_4arch9wavefront6targetE1EEEvT1_,comdat
	.protected	_ZN7rocprim17ROCPRIM_400000_NS6detail17trampoline_kernelINS0_14default_configENS1_35adjacent_difference_config_selectorILb0EfEEZNS1_24adjacent_difference_implIS3_Lb0ELb0EPfS7_N6thrust23THRUST_200600_302600_NS4plusIfEEEE10hipError_tPvRmT2_T3_mT4_P12ihipStream_tbEUlT_E_NS1_11comp_targetILNS1_3genE9ELNS1_11target_archE1100ELNS1_3gpuE3ELNS1_3repE0EEENS1_30default_config_static_selectorELNS0_4arch9wavefront6targetE1EEEvT1_ ; -- Begin function _ZN7rocprim17ROCPRIM_400000_NS6detail17trampoline_kernelINS0_14default_configENS1_35adjacent_difference_config_selectorILb0EfEEZNS1_24adjacent_difference_implIS3_Lb0ELb0EPfS7_N6thrust23THRUST_200600_302600_NS4plusIfEEEE10hipError_tPvRmT2_T3_mT4_P12ihipStream_tbEUlT_E_NS1_11comp_targetILNS1_3genE9ELNS1_11target_archE1100ELNS1_3gpuE3ELNS1_3repE0EEENS1_30default_config_static_selectorELNS0_4arch9wavefront6targetE1EEEvT1_
	.globl	_ZN7rocprim17ROCPRIM_400000_NS6detail17trampoline_kernelINS0_14default_configENS1_35adjacent_difference_config_selectorILb0EfEEZNS1_24adjacent_difference_implIS3_Lb0ELb0EPfS7_N6thrust23THRUST_200600_302600_NS4plusIfEEEE10hipError_tPvRmT2_T3_mT4_P12ihipStream_tbEUlT_E_NS1_11comp_targetILNS1_3genE9ELNS1_11target_archE1100ELNS1_3gpuE3ELNS1_3repE0EEENS1_30default_config_static_selectorELNS0_4arch9wavefront6targetE1EEEvT1_
	.p2align	8
	.type	_ZN7rocprim17ROCPRIM_400000_NS6detail17trampoline_kernelINS0_14default_configENS1_35adjacent_difference_config_selectorILb0EfEEZNS1_24adjacent_difference_implIS3_Lb0ELb0EPfS7_N6thrust23THRUST_200600_302600_NS4plusIfEEEE10hipError_tPvRmT2_T3_mT4_P12ihipStream_tbEUlT_E_NS1_11comp_targetILNS1_3genE9ELNS1_11target_archE1100ELNS1_3gpuE3ELNS1_3repE0EEENS1_30default_config_static_selectorELNS0_4arch9wavefront6targetE1EEEvT1_,@function
_ZN7rocprim17ROCPRIM_400000_NS6detail17trampoline_kernelINS0_14default_configENS1_35adjacent_difference_config_selectorILb0EfEEZNS1_24adjacent_difference_implIS3_Lb0ELb0EPfS7_N6thrust23THRUST_200600_302600_NS4plusIfEEEE10hipError_tPvRmT2_T3_mT4_P12ihipStream_tbEUlT_E_NS1_11comp_targetILNS1_3genE9ELNS1_11target_archE1100ELNS1_3gpuE3ELNS1_3repE0EEENS1_30default_config_static_selectorELNS0_4arch9wavefront6targetE1EEEvT1_: ; @_ZN7rocprim17ROCPRIM_400000_NS6detail17trampoline_kernelINS0_14default_configENS1_35adjacent_difference_config_selectorILb0EfEEZNS1_24adjacent_difference_implIS3_Lb0ELb0EPfS7_N6thrust23THRUST_200600_302600_NS4plusIfEEEE10hipError_tPvRmT2_T3_mT4_P12ihipStream_tbEUlT_E_NS1_11comp_targetILNS1_3genE9ELNS1_11target_archE1100ELNS1_3gpuE3ELNS1_3repE0EEENS1_30default_config_static_selectorELNS0_4arch9wavefront6targetE1EEEvT1_
; %bb.0:
	.section	.rodata,"a",@progbits
	.p2align	6, 0x0
	.amdhsa_kernel _ZN7rocprim17ROCPRIM_400000_NS6detail17trampoline_kernelINS0_14default_configENS1_35adjacent_difference_config_selectorILb0EfEEZNS1_24adjacent_difference_implIS3_Lb0ELb0EPfS7_N6thrust23THRUST_200600_302600_NS4plusIfEEEE10hipError_tPvRmT2_T3_mT4_P12ihipStream_tbEUlT_E_NS1_11comp_targetILNS1_3genE9ELNS1_11target_archE1100ELNS1_3gpuE3ELNS1_3repE0EEENS1_30default_config_static_selectorELNS0_4arch9wavefront6targetE1EEEvT1_
		.amdhsa_group_segment_fixed_size 0
		.amdhsa_private_segment_fixed_size 0
		.amdhsa_kernarg_size 56
		.amdhsa_user_sgpr_count 6
		.amdhsa_user_sgpr_private_segment_buffer 1
		.amdhsa_user_sgpr_dispatch_ptr 0
		.amdhsa_user_sgpr_queue_ptr 0
		.amdhsa_user_sgpr_kernarg_segment_ptr 1
		.amdhsa_user_sgpr_dispatch_id 0
		.amdhsa_user_sgpr_flat_scratch_init 0
		.amdhsa_user_sgpr_private_segment_size 0
		.amdhsa_uses_dynamic_stack 0
		.amdhsa_system_sgpr_private_segment_wavefront_offset 0
		.amdhsa_system_sgpr_workgroup_id_x 1
		.amdhsa_system_sgpr_workgroup_id_y 0
		.amdhsa_system_sgpr_workgroup_id_z 0
		.amdhsa_system_sgpr_workgroup_info 0
		.amdhsa_system_vgpr_workitem_id 0
		.amdhsa_next_free_vgpr 1
		.amdhsa_next_free_sgpr 0
		.amdhsa_reserve_vcc 0
		.amdhsa_reserve_flat_scratch 0
		.amdhsa_float_round_mode_32 0
		.amdhsa_float_round_mode_16_64 0
		.amdhsa_float_denorm_mode_32 3
		.amdhsa_float_denorm_mode_16_64 3
		.amdhsa_dx10_clamp 1
		.amdhsa_ieee_mode 1
		.amdhsa_fp16_overflow 0
		.amdhsa_exception_fp_ieee_invalid_op 0
		.amdhsa_exception_fp_denorm_src 0
		.amdhsa_exception_fp_ieee_div_zero 0
		.amdhsa_exception_fp_ieee_overflow 0
		.amdhsa_exception_fp_ieee_underflow 0
		.amdhsa_exception_fp_ieee_inexact 0
		.amdhsa_exception_int_div_zero 0
	.end_amdhsa_kernel
	.section	.text._ZN7rocprim17ROCPRIM_400000_NS6detail17trampoline_kernelINS0_14default_configENS1_35adjacent_difference_config_selectorILb0EfEEZNS1_24adjacent_difference_implIS3_Lb0ELb0EPfS7_N6thrust23THRUST_200600_302600_NS4plusIfEEEE10hipError_tPvRmT2_T3_mT4_P12ihipStream_tbEUlT_E_NS1_11comp_targetILNS1_3genE9ELNS1_11target_archE1100ELNS1_3gpuE3ELNS1_3repE0EEENS1_30default_config_static_selectorELNS0_4arch9wavefront6targetE1EEEvT1_,"axG",@progbits,_ZN7rocprim17ROCPRIM_400000_NS6detail17trampoline_kernelINS0_14default_configENS1_35adjacent_difference_config_selectorILb0EfEEZNS1_24adjacent_difference_implIS3_Lb0ELb0EPfS7_N6thrust23THRUST_200600_302600_NS4plusIfEEEE10hipError_tPvRmT2_T3_mT4_P12ihipStream_tbEUlT_E_NS1_11comp_targetILNS1_3genE9ELNS1_11target_archE1100ELNS1_3gpuE3ELNS1_3repE0EEENS1_30default_config_static_selectorELNS0_4arch9wavefront6targetE1EEEvT1_,comdat
.Lfunc_end84:
	.size	_ZN7rocprim17ROCPRIM_400000_NS6detail17trampoline_kernelINS0_14default_configENS1_35adjacent_difference_config_selectorILb0EfEEZNS1_24adjacent_difference_implIS3_Lb0ELb0EPfS7_N6thrust23THRUST_200600_302600_NS4plusIfEEEE10hipError_tPvRmT2_T3_mT4_P12ihipStream_tbEUlT_E_NS1_11comp_targetILNS1_3genE9ELNS1_11target_archE1100ELNS1_3gpuE3ELNS1_3repE0EEENS1_30default_config_static_selectorELNS0_4arch9wavefront6targetE1EEEvT1_, .Lfunc_end84-_ZN7rocprim17ROCPRIM_400000_NS6detail17trampoline_kernelINS0_14default_configENS1_35adjacent_difference_config_selectorILb0EfEEZNS1_24adjacent_difference_implIS3_Lb0ELb0EPfS7_N6thrust23THRUST_200600_302600_NS4plusIfEEEE10hipError_tPvRmT2_T3_mT4_P12ihipStream_tbEUlT_E_NS1_11comp_targetILNS1_3genE9ELNS1_11target_archE1100ELNS1_3gpuE3ELNS1_3repE0EEENS1_30default_config_static_selectorELNS0_4arch9wavefront6targetE1EEEvT1_
                                        ; -- End function
	.set _ZN7rocprim17ROCPRIM_400000_NS6detail17trampoline_kernelINS0_14default_configENS1_35adjacent_difference_config_selectorILb0EfEEZNS1_24adjacent_difference_implIS3_Lb0ELb0EPfS7_N6thrust23THRUST_200600_302600_NS4plusIfEEEE10hipError_tPvRmT2_T3_mT4_P12ihipStream_tbEUlT_E_NS1_11comp_targetILNS1_3genE9ELNS1_11target_archE1100ELNS1_3gpuE3ELNS1_3repE0EEENS1_30default_config_static_selectorELNS0_4arch9wavefront6targetE1EEEvT1_.num_vgpr, 0
	.set _ZN7rocprim17ROCPRIM_400000_NS6detail17trampoline_kernelINS0_14default_configENS1_35adjacent_difference_config_selectorILb0EfEEZNS1_24adjacent_difference_implIS3_Lb0ELb0EPfS7_N6thrust23THRUST_200600_302600_NS4plusIfEEEE10hipError_tPvRmT2_T3_mT4_P12ihipStream_tbEUlT_E_NS1_11comp_targetILNS1_3genE9ELNS1_11target_archE1100ELNS1_3gpuE3ELNS1_3repE0EEENS1_30default_config_static_selectorELNS0_4arch9wavefront6targetE1EEEvT1_.num_agpr, 0
	.set _ZN7rocprim17ROCPRIM_400000_NS6detail17trampoline_kernelINS0_14default_configENS1_35adjacent_difference_config_selectorILb0EfEEZNS1_24adjacent_difference_implIS3_Lb0ELb0EPfS7_N6thrust23THRUST_200600_302600_NS4plusIfEEEE10hipError_tPvRmT2_T3_mT4_P12ihipStream_tbEUlT_E_NS1_11comp_targetILNS1_3genE9ELNS1_11target_archE1100ELNS1_3gpuE3ELNS1_3repE0EEENS1_30default_config_static_selectorELNS0_4arch9wavefront6targetE1EEEvT1_.numbered_sgpr, 0
	.set _ZN7rocprim17ROCPRIM_400000_NS6detail17trampoline_kernelINS0_14default_configENS1_35adjacent_difference_config_selectorILb0EfEEZNS1_24adjacent_difference_implIS3_Lb0ELb0EPfS7_N6thrust23THRUST_200600_302600_NS4plusIfEEEE10hipError_tPvRmT2_T3_mT4_P12ihipStream_tbEUlT_E_NS1_11comp_targetILNS1_3genE9ELNS1_11target_archE1100ELNS1_3gpuE3ELNS1_3repE0EEENS1_30default_config_static_selectorELNS0_4arch9wavefront6targetE1EEEvT1_.num_named_barrier, 0
	.set _ZN7rocprim17ROCPRIM_400000_NS6detail17trampoline_kernelINS0_14default_configENS1_35adjacent_difference_config_selectorILb0EfEEZNS1_24adjacent_difference_implIS3_Lb0ELb0EPfS7_N6thrust23THRUST_200600_302600_NS4plusIfEEEE10hipError_tPvRmT2_T3_mT4_P12ihipStream_tbEUlT_E_NS1_11comp_targetILNS1_3genE9ELNS1_11target_archE1100ELNS1_3gpuE3ELNS1_3repE0EEENS1_30default_config_static_selectorELNS0_4arch9wavefront6targetE1EEEvT1_.private_seg_size, 0
	.set _ZN7rocprim17ROCPRIM_400000_NS6detail17trampoline_kernelINS0_14default_configENS1_35adjacent_difference_config_selectorILb0EfEEZNS1_24adjacent_difference_implIS3_Lb0ELb0EPfS7_N6thrust23THRUST_200600_302600_NS4plusIfEEEE10hipError_tPvRmT2_T3_mT4_P12ihipStream_tbEUlT_E_NS1_11comp_targetILNS1_3genE9ELNS1_11target_archE1100ELNS1_3gpuE3ELNS1_3repE0EEENS1_30default_config_static_selectorELNS0_4arch9wavefront6targetE1EEEvT1_.uses_vcc, 0
	.set _ZN7rocprim17ROCPRIM_400000_NS6detail17trampoline_kernelINS0_14default_configENS1_35adjacent_difference_config_selectorILb0EfEEZNS1_24adjacent_difference_implIS3_Lb0ELb0EPfS7_N6thrust23THRUST_200600_302600_NS4plusIfEEEE10hipError_tPvRmT2_T3_mT4_P12ihipStream_tbEUlT_E_NS1_11comp_targetILNS1_3genE9ELNS1_11target_archE1100ELNS1_3gpuE3ELNS1_3repE0EEENS1_30default_config_static_selectorELNS0_4arch9wavefront6targetE1EEEvT1_.uses_flat_scratch, 0
	.set _ZN7rocprim17ROCPRIM_400000_NS6detail17trampoline_kernelINS0_14default_configENS1_35adjacent_difference_config_selectorILb0EfEEZNS1_24adjacent_difference_implIS3_Lb0ELb0EPfS7_N6thrust23THRUST_200600_302600_NS4plusIfEEEE10hipError_tPvRmT2_T3_mT4_P12ihipStream_tbEUlT_E_NS1_11comp_targetILNS1_3genE9ELNS1_11target_archE1100ELNS1_3gpuE3ELNS1_3repE0EEENS1_30default_config_static_selectorELNS0_4arch9wavefront6targetE1EEEvT1_.has_dyn_sized_stack, 0
	.set _ZN7rocprim17ROCPRIM_400000_NS6detail17trampoline_kernelINS0_14default_configENS1_35adjacent_difference_config_selectorILb0EfEEZNS1_24adjacent_difference_implIS3_Lb0ELb0EPfS7_N6thrust23THRUST_200600_302600_NS4plusIfEEEE10hipError_tPvRmT2_T3_mT4_P12ihipStream_tbEUlT_E_NS1_11comp_targetILNS1_3genE9ELNS1_11target_archE1100ELNS1_3gpuE3ELNS1_3repE0EEENS1_30default_config_static_selectorELNS0_4arch9wavefront6targetE1EEEvT1_.has_recursion, 0
	.set _ZN7rocprim17ROCPRIM_400000_NS6detail17trampoline_kernelINS0_14default_configENS1_35adjacent_difference_config_selectorILb0EfEEZNS1_24adjacent_difference_implIS3_Lb0ELb0EPfS7_N6thrust23THRUST_200600_302600_NS4plusIfEEEE10hipError_tPvRmT2_T3_mT4_P12ihipStream_tbEUlT_E_NS1_11comp_targetILNS1_3genE9ELNS1_11target_archE1100ELNS1_3gpuE3ELNS1_3repE0EEENS1_30default_config_static_selectorELNS0_4arch9wavefront6targetE1EEEvT1_.has_indirect_call, 0
	.section	.AMDGPU.csdata,"",@progbits
; Kernel info:
; codeLenInByte = 0
; TotalNumSgprs: 4
; NumVgprs: 0
; ScratchSize: 0
; MemoryBound: 0
; FloatMode: 240
; IeeeMode: 1
; LDSByteSize: 0 bytes/workgroup (compile time only)
; SGPRBlocks: 0
; VGPRBlocks: 0
; NumSGPRsForWavesPerEU: 4
; NumVGPRsForWavesPerEU: 1
; Occupancy: 10
; WaveLimiterHint : 0
; COMPUTE_PGM_RSRC2:SCRATCH_EN: 0
; COMPUTE_PGM_RSRC2:USER_SGPR: 6
; COMPUTE_PGM_RSRC2:TRAP_HANDLER: 0
; COMPUTE_PGM_RSRC2:TGID_X_EN: 1
; COMPUTE_PGM_RSRC2:TGID_Y_EN: 0
; COMPUTE_PGM_RSRC2:TGID_Z_EN: 0
; COMPUTE_PGM_RSRC2:TIDIG_COMP_CNT: 0
	.section	.text._ZN7rocprim17ROCPRIM_400000_NS6detail17trampoline_kernelINS0_14default_configENS1_35adjacent_difference_config_selectorILb0EfEEZNS1_24adjacent_difference_implIS3_Lb0ELb0EPfS7_N6thrust23THRUST_200600_302600_NS4plusIfEEEE10hipError_tPvRmT2_T3_mT4_P12ihipStream_tbEUlT_E_NS1_11comp_targetILNS1_3genE8ELNS1_11target_archE1030ELNS1_3gpuE2ELNS1_3repE0EEENS1_30default_config_static_selectorELNS0_4arch9wavefront6targetE1EEEvT1_,"axG",@progbits,_ZN7rocprim17ROCPRIM_400000_NS6detail17trampoline_kernelINS0_14default_configENS1_35adjacent_difference_config_selectorILb0EfEEZNS1_24adjacent_difference_implIS3_Lb0ELb0EPfS7_N6thrust23THRUST_200600_302600_NS4plusIfEEEE10hipError_tPvRmT2_T3_mT4_P12ihipStream_tbEUlT_E_NS1_11comp_targetILNS1_3genE8ELNS1_11target_archE1030ELNS1_3gpuE2ELNS1_3repE0EEENS1_30default_config_static_selectorELNS0_4arch9wavefront6targetE1EEEvT1_,comdat
	.protected	_ZN7rocprim17ROCPRIM_400000_NS6detail17trampoline_kernelINS0_14default_configENS1_35adjacent_difference_config_selectorILb0EfEEZNS1_24adjacent_difference_implIS3_Lb0ELb0EPfS7_N6thrust23THRUST_200600_302600_NS4plusIfEEEE10hipError_tPvRmT2_T3_mT4_P12ihipStream_tbEUlT_E_NS1_11comp_targetILNS1_3genE8ELNS1_11target_archE1030ELNS1_3gpuE2ELNS1_3repE0EEENS1_30default_config_static_selectorELNS0_4arch9wavefront6targetE1EEEvT1_ ; -- Begin function _ZN7rocprim17ROCPRIM_400000_NS6detail17trampoline_kernelINS0_14default_configENS1_35adjacent_difference_config_selectorILb0EfEEZNS1_24adjacent_difference_implIS3_Lb0ELb0EPfS7_N6thrust23THRUST_200600_302600_NS4plusIfEEEE10hipError_tPvRmT2_T3_mT4_P12ihipStream_tbEUlT_E_NS1_11comp_targetILNS1_3genE8ELNS1_11target_archE1030ELNS1_3gpuE2ELNS1_3repE0EEENS1_30default_config_static_selectorELNS0_4arch9wavefront6targetE1EEEvT1_
	.globl	_ZN7rocprim17ROCPRIM_400000_NS6detail17trampoline_kernelINS0_14default_configENS1_35adjacent_difference_config_selectorILb0EfEEZNS1_24adjacent_difference_implIS3_Lb0ELb0EPfS7_N6thrust23THRUST_200600_302600_NS4plusIfEEEE10hipError_tPvRmT2_T3_mT4_P12ihipStream_tbEUlT_E_NS1_11comp_targetILNS1_3genE8ELNS1_11target_archE1030ELNS1_3gpuE2ELNS1_3repE0EEENS1_30default_config_static_selectorELNS0_4arch9wavefront6targetE1EEEvT1_
	.p2align	8
	.type	_ZN7rocprim17ROCPRIM_400000_NS6detail17trampoline_kernelINS0_14default_configENS1_35adjacent_difference_config_selectorILb0EfEEZNS1_24adjacent_difference_implIS3_Lb0ELb0EPfS7_N6thrust23THRUST_200600_302600_NS4plusIfEEEE10hipError_tPvRmT2_T3_mT4_P12ihipStream_tbEUlT_E_NS1_11comp_targetILNS1_3genE8ELNS1_11target_archE1030ELNS1_3gpuE2ELNS1_3repE0EEENS1_30default_config_static_selectorELNS0_4arch9wavefront6targetE1EEEvT1_,@function
_ZN7rocprim17ROCPRIM_400000_NS6detail17trampoline_kernelINS0_14default_configENS1_35adjacent_difference_config_selectorILb0EfEEZNS1_24adjacent_difference_implIS3_Lb0ELb0EPfS7_N6thrust23THRUST_200600_302600_NS4plusIfEEEE10hipError_tPvRmT2_T3_mT4_P12ihipStream_tbEUlT_E_NS1_11comp_targetILNS1_3genE8ELNS1_11target_archE1030ELNS1_3gpuE2ELNS1_3repE0EEENS1_30default_config_static_selectorELNS0_4arch9wavefront6targetE1EEEvT1_: ; @_ZN7rocprim17ROCPRIM_400000_NS6detail17trampoline_kernelINS0_14default_configENS1_35adjacent_difference_config_selectorILb0EfEEZNS1_24adjacent_difference_implIS3_Lb0ELb0EPfS7_N6thrust23THRUST_200600_302600_NS4plusIfEEEE10hipError_tPvRmT2_T3_mT4_P12ihipStream_tbEUlT_E_NS1_11comp_targetILNS1_3genE8ELNS1_11target_archE1030ELNS1_3gpuE2ELNS1_3repE0EEENS1_30default_config_static_selectorELNS0_4arch9wavefront6targetE1EEEvT1_
; %bb.0:
	.section	.rodata,"a",@progbits
	.p2align	6, 0x0
	.amdhsa_kernel _ZN7rocprim17ROCPRIM_400000_NS6detail17trampoline_kernelINS0_14default_configENS1_35adjacent_difference_config_selectorILb0EfEEZNS1_24adjacent_difference_implIS3_Lb0ELb0EPfS7_N6thrust23THRUST_200600_302600_NS4plusIfEEEE10hipError_tPvRmT2_T3_mT4_P12ihipStream_tbEUlT_E_NS1_11comp_targetILNS1_3genE8ELNS1_11target_archE1030ELNS1_3gpuE2ELNS1_3repE0EEENS1_30default_config_static_selectorELNS0_4arch9wavefront6targetE1EEEvT1_
		.amdhsa_group_segment_fixed_size 0
		.amdhsa_private_segment_fixed_size 0
		.amdhsa_kernarg_size 56
		.amdhsa_user_sgpr_count 6
		.amdhsa_user_sgpr_private_segment_buffer 1
		.amdhsa_user_sgpr_dispatch_ptr 0
		.amdhsa_user_sgpr_queue_ptr 0
		.amdhsa_user_sgpr_kernarg_segment_ptr 1
		.amdhsa_user_sgpr_dispatch_id 0
		.amdhsa_user_sgpr_flat_scratch_init 0
		.amdhsa_user_sgpr_private_segment_size 0
		.amdhsa_uses_dynamic_stack 0
		.amdhsa_system_sgpr_private_segment_wavefront_offset 0
		.amdhsa_system_sgpr_workgroup_id_x 1
		.amdhsa_system_sgpr_workgroup_id_y 0
		.amdhsa_system_sgpr_workgroup_id_z 0
		.amdhsa_system_sgpr_workgroup_info 0
		.amdhsa_system_vgpr_workitem_id 0
		.amdhsa_next_free_vgpr 1
		.amdhsa_next_free_sgpr 0
		.amdhsa_reserve_vcc 0
		.amdhsa_reserve_flat_scratch 0
		.amdhsa_float_round_mode_32 0
		.amdhsa_float_round_mode_16_64 0
		.amdhsa_float_denorm_mode_32 3
		.amdhsa_float_denorm_mode_16_64 3
		.amdhsa_dx10_clamp 1
		.amdhsa_ieee_mode 1
		.amdhsa_fp16_overflow 0
		.amdhsa_exception_fp_ieee_invalid_op 0
		.amdhsa_exception_fp_denorm_src 0
		.amdhsa_exception_fp_ieee_div_zero 0
		.amdhsa_exception_fp_ieee_overflow 0
		.amdhsa_exception_fp_ieee_underflow 0
		.amdhsa_exception_fp_ieee_inexact 0
		.amdhsa_exception_int_div_zero 0
	.end_amdhsa_kernel
	.section	.text._ZN7rocprim17ROCPRIM_400000_NS6detail17trampoline_kernelINS0_14default_configENS1_35adjacent_difference_config_selectorILb0EfEEZNS1_24adjacent_difference_implIS3_Lb0ELb0EPfS7_N6thrust23THRUST_200600_302600_NS4plusIfEEEE10hipError_tPvRmT2_T3_mT4_P12ihipStream_tbEUlT_E_NS1_11comp_targetILNS1_3genE8ELNS1_11target_archE1030ELNS1_3gpuE2ELNS1_3repE0EEENS1_30default_config_static_selectorELNS0_4arch9wavefront6targetE1EEEvT1_,"axG",@progbits,_ZN7rocprim17ROCPRIM_400000_NS6detail17trampoline_kernelINS0_14default_configENS1_35adjacent_difference_config_selectorILb0EfEEZNS1_24adjacent_difference_implIS3_Lb0ELb0EPfS7_N6thrust23THRUST_200600_302600_NS4plusIfEEEE10hipError_tPvRmT2_T3_mT4_P12ihipStream_tbEUlT_E_NS1_11comp_targetILNS1_3genE8ELNS1_11target_archE1030ELNS1_3gpuE2ELNS1_3repE0EEENS1_30default_config_static_selectorELNS0_4arch9wavefront6targetE1EEEvT1_,comdat
.Lfunc_end85:
	.size	_ZN7rocprim17ROCPRIM_400000_NS6detail17trampoline_kernelINS0_14default_configENS1_35adjacent_difference_config_selectorILb0EfEEZNS1_24adjacent_difference_implIS3_Lb0ELb0EPfS7_N6thrust23THRUST_200600_302600_NS4plusIfEEEE10hipError_tPvRmT2_T3_mT4_P12ihipStream_tbEUlT_E_NS1_11comp_targetILNS1_3genE8ELNS1_11target_archE1030ELNS1_3gpuE2ELNS1_3repE0EEENS1_30default_config_static_selectorELNS0_4arch9wavefront6targetE1EEEvT1_, .Lfunc_end85-_ZN7rocprim17ROCPRIM_400000_NS6detail17trampoline_kernelINS0_14default_configENS1_35adjacent_difference_config_selectorILb0EfEEZNS1_24adjacent_difference_implIS3_Lb0ELb0EPfS7_N6thrust23THRUST_200600_302600_NS4plusIfEEEE10hipError_tPvRmT2_T3_mT4_P12ihipStream_tbEUlT_E_NS1_11comp_targetILNS1_3genE8ELNS1_11target_archE1030ELNS1_3gpuE2ELNS1_3repE0EEENS1_30default_config_static_selectorELNS0_4arch9wavefront6targetE1EEEvT1_
                                        ; -- End function
	.set _ZN7rocprim17ROCPRIM_400000_NS6detail17trampoline_kernelINS0_14default_configENS1_35adjacent_difference_config_selectorILb0EfEEZNS1_24adjacent_difference_implIS3_Lb0ELb0EPfS7_N6thrust23THRUST_200600_302600_NS4plusIfEEEE10hipError_tPvRmT2_T3_mT4_P12ihipStream_tbEUlT_E_NS1_11comp_targetILNS1_3genE8ELNS1_11target_archE1030ELNS1_3gpuE2ELNS1_3repE0EEENS1_30default_config_static_selectorELNS0_4arch9wavefront6targetE1EEEvT1_.num_vgpr, 0
	.set _ZN7rocprim17ROCPRIM_400000_NS6detail17trampoline_kernelINS0_14default_configENS1_35adjacent_difference_config_selectorILb0EfEEZNS1_24adjacent_difference_implIS3_Lb0ELb0EPfS7_N6thrust23THRUST_200600_302600_NS4plusIfEEEE10hipError_tPvRmT2_T3_mT4_P12ihipStream_tbEUlT_E_NS1_11comp_targetILNS1_3genE8ELNS1_11target_archE1030ELNS1_3gpuE2ELNS1_3repE0EEENS1_30default_config_static_selectorELNS0_4arch9wavefront6targetE1EEEvT1_.num_agpr, 0
	.set _ZN7rocprim17ROCPRIM_400000_NS6detail17trampoline_kernelINS0_14default_configENS1_35adjacent_difference_config_selectorILb0EfEEZNS1_24adjacent_difference_implIS3_Lb0ELb0EPfS7_N6thrust23THRUST_200600_302600_NS4plusIfEEEE10hipError_tPvRmT2_T3_mT4_P12ihipStream_tbEUlT_E_NS1_11comp_targetILNS1_3genE8ELNS1_11target_archE1030ELNS1_3gpuE2ELNS1_3repE0EEENS1_30default_config_static_selectorELNS0_4arch9wavefront6targetE1EEEvT1_.numbered_sgpr, 0
	.set _ZN7rocprim17ROCPRIM_400000_NS6detail17trampoline_kernelINS0_14default_configENS1_35adjacent_difference_config_selectorILb0EfEEZNS1_24adjacent_difference_implIS3_Lb0ELb0EPfS7_N6thrust23THRUST_200600_302600_NS4plusIfEEEE10hipError_tPvRmT2_T3_mT4_P12ihipStream_tbEUlT_E_NS1_11comp_targetILNS1_3genE8ELNS1_11target_archE1030ELNS1_3gpuE2ELNS1_3repE0EEENS1_30default_config_static_selectorELNS0_4arch9wavefront6targetE1EEEvT1_.num_named_barrier, 0
	.set _ZN7rocprim17ROCPRIM_400000_NS6detail17trampoline_kernelINS0_14default_configENS1_35adjacent_difference_config_selectorILb0EfEEZNS1_24adjacent_difference_implIS3_Lb0ELb0EPfS7_N6thrust23THRUST_200600_302600_NS4plusIfEEEE10hipError_tPvRmT2_T3_mT4_P12ihipStream_tbEUlT_E_NS1_11comp_targetILNS1_3genE8ELNS1_11target_archE1030ELNS1_3gpuE2ELNS1_3repE0EEENS1_30default_config_static_selectorELNS0_4arch9wavefront6targetE1EEEvT1_.private_seg_size, 0
	.set _ZN7rocprim17ROCPRIM_400000_NS6detail17trampoline_kernelINS0_14default_configENS1_35adjacent_difference_config_selectorILb0EfEEZNS1_24adjacent_difference_implIS3_Lb0ELb0EPfS7_N6thrust23THRUST_200600_302600_NS4plusIfEEEE10hipError_tPvRmT2_T3_mT4_P12ihipStream_tbEUlT_E_NS1_11comp_targetILNS1_3genE8ELNS1_11target_archE1030ELNS1_3gpuE2ELNS1_3repE0EEENS1_30default_config_static_selectorELNS0_4arch9wavefront6targetE1EEEvT1_.uses_vcc, 0
	.set _ZN7rocprim17ROCPRIM_400000_NS6detail17trampoline_kernelINS0_14default_configENS1_35adjacent_difference_config_selectorILb0EfEEZNS1_24adjacent_difference_implIS3_Lb0ELb0EPfS7_N6thrust23THRUST_200600_302600_NS4plusIfEEEE10hipError_tPvRmT2_T3_mT4_P12ihipStream_tbEUlT_E_NS1_11comp_targetILNS1_3genE8ELNS1_11target_archE1030ELNS1_3gpuE2ELNS1_3repE0EEENS1_30default_config_static_selectorELNS0_4arch9wavefront6targetE1EEEvT1_.uses_flat_scratch, 0
	.set _ZN7rocprim17ROCPRIM_400000_NS6detail17trampoline_kernelINS0_14default_configENS1_35adjacent_difference_config_selectorILb0EfEEZNS1_24adjacent_difference_implIS3_Lb0ELb0EPfS7_N6thrust23THRUST_200600_302600_NS4plusIfEEEE10hipError_tPvRmT2_T3_mT4_P12ihipStream_tbEUlT_E_NS1_11comp_targetILNS1_3genE8ELNS1_11target_archE1030ELNS1_3gpuE2ELNS1_3repE0EEENS1_30default_config_static_selectorELNS0_4arch9wavefront6targetE1EEEvT1_.has_dyn_sized_stack, 0
	.set _ZN7rocprim17ROCPRIM_400000_NS6detail17trampoline_kernelINS0_14default_configENS1_35adjacent_difference_config_selectorILb0EfEEZNS1_24adjacent_difference_implIS3_Lb0ELb0EPfS7_N6thrust23THRUST_200600_302600_NS4plusIfEEEE10hipError_tPvRmT2_T3_mT4_P12ihipStream_tbEUlT_E_NS1_11comp_targetILNS1_3genE8ELNS1_11target_archE1030ELNS1_3gpuE2ELNS1_3repE0EEENS1_30default_config_static_selectorELNS0_4arch9wavefront6targetE1EEEvT1_.has_recursion, 0
	.set _ZN7rocprim17ROCPRIM_400000_NS6detail17trampoline_kernelINS0_14default_configENS1_35adjacent_difference_config_selectorILb0EfEEZNS1_24adjacent_difference_implIS3_Lb0ELb0EPfS7_N6thrust23THRUST_200600_302600_NS4plusIfEEEE10hipError_tPvRmT2_T3_mT4_P12ihipStream_tbEUlT_E_NS1_11comp_targetILNS1_3genE8ELNS1_11target_archE1030ELNS1_3gpuE2ELNS1_3repE0EEENS1_30default_config_static_selectorELNS0_4arch9wavefront6targetE1EEEvT1_.has_indirect_call, 0
	.section	.AMDGPU.csdata,"",@progbits
; Kernel info:
; codeLenInByte = 0
; TotalNumSgprs: 4
; NumVgprs: 0
; ScratchSize: 0
; MemoryBound: 0
; FloatMode: 240
; IeeeMode: 1
; LDSByteSize: 0 bytes/workgroup (compile time only)
; SGPRBlocks: 0
; VGPRBlocks: 0
; NumSGPRsForWavesPerEU: 4
; NumVGPRsForWavesPerEU: 1
; Occupancy: 10
; WaveLimiterHint : 0
; COMPUTE_PGM_RSRC2:SCRATCH_EN: 0
; COMPUTE_PGM_RSRC2:USER_SGPR: 6
; COMPUTE_PGM_RSRC2:TRAP_HANDLER: 0
; COMPUTE_PGM_RSRC2:TGID_X_EN: 1
; COMPUTE_PGM_RSRC2:TGID_Y_EN: 0
; COMPUTE_PGM_RSRC2:TGID_Z_EN: 0
; COMPUTE_PGM_RSRC2:TIDIG_COMP_CNT: 0
	.section	.text._ZN7rocprim17ROCPRIM_400000_NS6detail17trampoline_kernelINS0_14default_configENS1_25transform_config_selectorIfLb0EEEZNS1_14transform_implILb0ES3_S5_NS0_18transform_iteratorINS0_17counting_iteratorImlEEZNS1_24adjacent_difference_implIS3_Lb1ELb0EPfSB_N6thrust23THRUST_200600_302600_NS4plusIfEEEE10hipError_tPvRmT2_T3_mT4_P12ihipStream_tbEUlmE_fEESB_NS0_8identityIvEEEESG_SJ_SK_mSL_SN_bEUlT_E_NS1_11comp_targetILNS1_3genE0ELNS1_11target_archE4294967295ELNS1_3gpuE0ELNS1_3repE0EEENS1_30default_config_static_selectorELNS0_4arch9wavefront6targetE1EEEvT1_,"axG",@progbits,_ZN7rocprim17ROCPRIM_400000_NS6detail17trampoline_kernelINS0_14default_configENS1_25transform_config_selectorIfLb0EEEZNS1_14transform_implILb0ES3_S5_NS0_18transform_iteratorINS0_17counting_iteratorImlEEZNS1_24adjacent_difference_implIS3_Lb1ELb0EPfSB_N6thrust23THRUST_200600_302600_NS4plusIfEEEE10hipError_tPvRmT2_T3_mT4_P12ihipStream_tbEUlmE_fEESB_NS0_8identityIvEEEESG_SJ_SK_mSL_SN_bEUlT_E_NS1_11comp_targetILNS1_3genE0ELNS1_11target_archE4294967295ELNS1_3gpuE0ELNS1_3repE0EEENS1_30default_config_static_selectorELNS0_4arch9wavefront6targetE1EEEvT1_,comdat
	.protected	_ZN7rocprim17ROCPRIM_400000_NS6detail17trampoline_kernelINS0_14default_configENS1_25transform_config_selectorIfLb0EEEZNS1_14transform_implILb0ES3_S5_NS0_18transform_iteratorINS0_17counting_iteratorImlEEZNS1_24adjacent_difference_implIS3_Lb1ELb0EPfSB_N6thrust23THRUST_200600_302600_NS4plusIfEEEE10hipError_tPvRmT2_T3_mT4_P12ihipStream_tbEUlmE_fEESB_NS0_8identityIvEEEESG_SJ_SK_mSL_SN_bEUlT_E_NS1_11comp_targetILNS1_3genE0ELNS1_11target_archE4294967295ELNS1_3gpuE0ELNS1_3repE0EEENS1_30default_config_static_selectorELNS0_4arch9wavefront6targetE1EEEvT1_ ; -- Begin function _ZN7rocprim17ROCPRIM_400000_NS6detail17trampoline_kernelINS0_14default_configENS1_25transform_config_selectorIfLb0EEEZNS1_14transform_implILb0ES3_S5_NS0_18transform_iteratorINS0_17counting_iteratorImlEEZNS1_24adjacent_difference_implIS3_Lb1ELb0EPfSB_N6thrust23THRUST_200600_302600_NS4plusIfEEEE10hipError_tPvRmT2_T3_mT4_P12ihipStream_tbEUlmE_fEESB_NS0_8identityIvEEEESG_SJ_SK_mSL_SN_bEUlT_E_NS1_11comp_targetILNS1_3genE0ELNS1_11target_archE4294967295ELNS1_3gpuE0ELNS1_3repE0EEENS1_30default_config_static_selectorELNS0_4arch9wavefront6targetE1EEEvT1_
	.globl	_ZN7rocprim17ROCPRIM_400000_NS6detail17trampoline_kernelINS0_14default_configENS1_25transform_config_selectorIfLb0EEEZNS1_14transform_implILb0ES3_S5_NS0_18transform_iteratorINS0_17counting_iteratorImlEEZNS1_24adjacent_difference_implIS3_Lb1ELb0EPfSB_N6thrust23THRUST_200600_302600_NS4plusIfEEEE10hipError_tPvRmT2_T3_mT4_P12ihipStream_tbEUlmE_fEESB_NS0_8identityIvEEEESG_SJ_SK_mSL_SN_bEUlT_E_NS1_11comp_targetILNS1_3genE0ELNS1_11target_archE4294967295ELNS1_3gpuE0ELNS1_3repE0EEENS1_30default_config_static_selectorELNS0_4arch9wavefront6targetE1EEEvT1_
	.p2align	8
	.type	_ZN7rocprim17ROCPRIM_400000_NS6detail17trampoline_kernelINS0_14default_configENS1_25transform_config_selectorIfLb0EEEZNS1_14transform_implILb0ES3_S5_NS0_18transform_iteratorINS0_17counting_iteratorImlEEZNS1_24adjacent_difference_implIS3_Lb1ELb0EPfSB_N6thrust23THRUST_200600_302600_NS4plusIfEEEE10hipError_tPvRmT2_T3_mT4_P12ihipStream_tbEUlmE_fEESB_NS0_8identityIvEEEESG_SJ_SK_mSL_SN_bEUlT_E_NS1_11comp_targetILNS1_3genE0ELNS1_11target_archE4294967295ELNS1_3gpuE0ELNS1_3repE0EEENS1_30default_config_static_selectorELNS0_4arch9wavefront6targetE1EEEvT1_,@function
_ZN7rocprim17ROCPRIM_400000_NS6detail17trampoline_kernelINS0_14default_configENS1_25transform_config_selectorIfLb0EEEZNS1_14transform_implILb0ES3_S5_NS0_18transform_iteratorINS0_17counting_iteratorImlEEZNS1_24adjacent_difference_implIS3_Lb1ELb0EPfSB_N6thrust23THRUST_200600_302600_NS4plusIfEEEE10hipError_tPvRmT2_T3_mT4_P12ihipStream_tbEUlmE_fEESB_NS0_8identityIvEEEESG_SJ_SK_mSL_SN_bEUlT_E_NS1_11comp_targetILNS1_3genE0ELNS1_11target_archE4294967295ELNS1_3gpuE0ELNS1_3repE0EEENS1_30default_config_static_selectorELNS0_4arch9wavefront6targetE1EEEvT1_: ; @_ZN7rocprim17ROCPRIM_400000_NS6detail17trampoline_kernelINS0_14default_configENS1_25transform_config_selectorIfLb0EEEZNS1_14transform_implILb0ES3_S5_NS0_18transform_iteratorINS0_17counting_iteratorImlEEZNS1_24adjacent_difference_implIS3_Lb1ELb0EPfSB_N6thrust23THRUST_200600_302600_NS4plusIfEEEE10hipError_tPvRmT2_T3_mT4_P12ihipStream_tbEUlmE_fEESB_NS0_8identityIvEEEESG_SJ_SK_mSL_SN_bEUlT_E_NS1_11comp_targetILNS1_3genE0ELNS1_11target_archE4294967295ELNS1_3gpuE0ELNS1_3repE0EEENS1_30default_config_static_selectorELNS0_4arch9wavefront6targetE1EEEvT1_
; %bb.0:
	.section	.rodata,"a",@progbits
	.p2align	6, 0x0
	.amdhsa_kernel _ZN7rocprim17ROCPRIM_400000_NS6detail17trampoline_kernelINS0_14default_configENS1_25transform_config_selectorIfLb0EEEZNS1_14transform_implILb0ES3_S5_NS0_18transform_iteratorINS0_17counting_iteratorImlEEZNS1_24adjacent_difference_implIS3_Lb1ELb0EPfSB_N6thrust23THRUST_200600_302600_NS4plusIfEEEE10hipError_tPvRmT2_T3_mT4_P12ihipStream_tbEUlmE_fEESB_NS0_8identityIvEEEESG_SJ_SK_mSL_SN_bEUlT_E_NS1_11comp_targetILNS1_3genE0ELNS1_11target_archE4294967295ELNS1_3gpuE0ELNS1_3repE0EEENS1_30default_config_static_selectorELNS0_4arch9wavefront6targetE1EEEvT1_
		.amdhsa_group_segment_fixed_size 0
		.amdhsa_private_segment_fixed_size 0
		.amdhsa_kernarg_size 56
		.amdhsa_user_sgpr_count 6
		.amdhsa_user_sgpr_private_segment_buffer 1
		.amdhsa_user_sgpr_dispatch_ptr 0
		.amdhsa_user_sgpr_queue_ptr 0
		.amdhsa_user_sgpr_kernarg_segment_ptr 1
		.amdhsa_user_sgpr_dispatch_id 0
		.amdhsa_user_sgpr_flat_scratch_init 0
		.amdhsa_user_sgpr_private_segment_size 0
		.amdhsa_uses_dynamic_stack 0
		.amdhsa_system_sgpr_private_segment_wavefront_offset 0
		.amdhsa_system_sgpr_workgroup_id_x 1
		.amdhsa_system_sgpr_workgroup_id_y 0
		.amdhsa_system_sgpr_workgroup_id_z 0
		.amdhsa_system_sgpr_workgroup_info 0
		.amdhsa_system_vgpr_workitem_id 0
		.amdhsa_next_free_vgpr 1
		.amdhsa_next_free_sgpr 0
		.amdhsa_reserve_vcc 0
		.amdhsa_reserve_flat_scratch 0
		.amdhsa_float_round_mode_32 0
		.amdhsa_float_round_mode_16_64 0
		.amdhsa_float_denorm_mode_32 3
		.amdhsa_float_denorm_mode_16_64 3
		.amdhsa_dx10_clamp 1
		.amdhsa_ieee_mode 1
		.amdhsa_fp16_overflow 0
		.amdhsa_exception_fp_ieee_invalid_op 0
		.amdhsa_exception_fp_denorm_src 0
		.amdhsa_exception_fp_ieee_div_zero 0
		.amdhsa_exception_fp_ieee_overflow 0
		.amdhsa_exception_fp_ieee_underflow 0
		.amdhsa_exception_fp_ieee_inexact 0
		.amdhsa_exception_int_div_zero 0
	.end_amdhsa_kernel
	.section	.text._ZN7rocprim17ROCPRIM_400000_NS6detail17trampoline_kernelINS0_14default_configENS1_25transform_config_selectorIfLb0EEEZNS1_14transform_implILb0ES3_S5_NS0_18transform_iteratorINS0_17counting_iteratorImlEEZNS1_24adjacent_difference_implIS3_Lb1ELb0EPfSB_N6thrust23THRUST_200600_302600_NS4plusIfEEEE10hipError_tPvRmT2_T3_mT4_P12ihipStream_tbEUlmE_fEESB_NS0_8identityIvEEEESG_SJ_SK_mSL_SN_bEUlT_E_NS1_11comp_targetILNS1_3genE0ELNS1_11target_archE4294967295ELNS1_3gpuE0ELNS1_3repE0EEENS1_30default_config_static_selectorELNS0_4arch9wavefront6targetE1EEEvT1_,"axG",@progbits,_ZN7rocprim17ROCPRIM_400000_NS6detail17trampoline_kernelINS0_14default_configENS1_25transform_config_selectorIfLb0EEEZNS1_14transform_implILb0ES3_S5_NS0_18transform_iteratorINS0_17counting_iteratorImlEEZNS1_24adjacent_difference_implIS3_Lb1ELb0EPfSB_N6thrust23THRUST_200600_302600_NS4plusIfEEEE10hipError_tPvRmT2_T3_mT4_P12ihipStream_tbEUlmE_fEESB_NS0_8identityIvEEEESG_SJ_SK_mSL_SN_bEUlT_E_NS1_11comp_targetILNS1_3genE0ELNS1_11target_archE4294967295ELNS1_3gpuE0ELNS1_3repE0EEENS1_30default_config_static_selectorELNS0_4arch9wavefront6targetE1EEEvT1_,comdat
.Lfunc_end86:
	.size	_ZN7rocprim17ROCPRIM_400000_NS6detail17trampoline_kernelINS0_14default_configENS1_25transform_config_selectorIfLb0EEEZNS1_14transform_implILb0ES3_S5_NS0_18transform_iteratorINS0_17counting_iteratorImlEEZNS1_24adjacent_difference_implIS3_Lb1ELb0EPfSB_N6thrust23THRUST_200600_302600_NS4plusIfEEEE10hipError_tPvRmT2_T3_mT4_P12ihipStream_tbEUlmE_fEESB_NS0_8identityIvEEEESG_SJ_SK_mSL_SN_bEUlT_E_NS1_11comp_targetILNS1_3genE0ELNS1_11target_archE4294967295ELNS1_3gpuE0ELNS1_3repE0EEENS1_30default_config_static_selectorELNS0_4arch9wavefront6targetE1EEEvT1_, .Lfunc_end86-_ZN7rocprim17ROCPRIM_400000_NS6detail17trampoline_kernelINS0_14default_configENS1_25transform_config_selectorIfLb0EEEZNS1_14transform_implILb0ES3_S5_NS0_18transform_iteratorINS0_17counting_iteratorImlEEZNS1_24adjacent_difference_implIS3_Lb1ELb0EPfSB_N6thrust23THRUST_200600_302600_NS4plusIfEEEE10hipError_tPvRmT2_T3_mT4_P12ihipStream_tbEUlmE_fEESB_NS0_8identityIvEEEESG_SJ_SK_mSL_SN_bEUlT_E_NS1_11comp_targetILNS1_3genE0ELNS1_11target_archE4294967295ELNS1_3gpuE0ELNS1_3repE0EEENS1_30default_config_static_selectorELNS0_4arch9wavefront6targetE1EEEvT1_
                                        ; -- End function
	.set _ZN7rocprim17ROCPRIM_400000_NS6detail17trampoline_kernelINS0_14default_configENS1_25transform_config_selectorIfLb0EEEZNS1_14transform_implILb0ES3_S5_NS0_18transform_iteratorINS0_17counting_iteratorImlEEZNS1_24adjacent_difference_implIS3_Lb1ELb0EPfSB_N6thrust23THRUST_200600_302600_NS4plusIfEEEE10hipError_tPvRmT2_T3_mT4_P12ihipStream_tbEUlmE_fEESB_NS0_8identityIvEEEESG_SJ_SK_mSL_SN_bEUlT_E_NS1_11comp_targetILNS1_3genE0ELNS1_11target_archE4294967295ELNS1_3gpuE0ELNS1_3repE0EEENS1_30default_config_static_selectorELNS0_4arch9wavefront6targetE1EEEvT1_.num_vgpr, 0
	.set _ZN7rocprim17ROCPRIM_400000_NS6detail17trampoline_kernelINS0_14default_configENS1_25transform_config_selectorIfLb0EEEZNS1_14transform_implILb0ES3_S5_NS0_18transform_iteratorINS0_17counting_iteratorImlEEZNS1_24adjacent_difference_implIS3_Lb1ELb0EPfSB_N6thrust23THRUST_200600_302600_NS4plusIfEEEE10hipError_tPvRmT2_T3_mT4_P12ihipStream_tbEUlmE_fEESB_NS0_8identityIvEEEESG_SJ_SK_mSL_SN_bEUlT_E_NS1_11comp_targetILNS1_3genE0ELNS1_11target_archE4294967295ELNS1_3gpuE0ELNS1_3repE0EEENS1_30default_config_static_selectorELNS0_4arch9wavefront6targetE1EEEvT1_.num_agpr, 0
	.set _ZN7rocprim17ROCPRIM_400000_NS6detail17trampoline_kernelINS0_14default_configENS1_25transform_config_selectorIfLb0EEEZNS1_14transform_implILb0ES3_S5_NS0_18transform_iteratorINS0_17counting_iteratorImlEEZNS1_24adjacent_difference_implIS3_Lb1ELb0EPfSB_N6thrust23THRUST_200600_302600_NS4plusIfEEEE10hipError_tPvRmT2_T3_mT4_P12ihipStream_tbEUlmE_fEESB_NS0_8identityIvEEEESG_SJ_SK_mSL_SN_bEUlT_E_NS1_11comp_targetILNS1_3genE0ELNS1_11target_archE4294967295ELNS1_3gpuE0ELNS1_3repE0EEENS1_30default_config_static_selectorELNS0_4arch9wavefront6targetE1EEEvT1_.numbered_sgpr, 0
	.set _ZN7rocprim17ROCPRIM_400000_NS6detail17trampoline_kernelINS0_14default_configENS1_25transform_config_selectorIfLb0EEEZNS1_14transform_implILb0ES3_S5_NS0_18transform_iteratorINS0_17counting_iteratorImlEEZNS1_24adjacent_difference_implIS3_Lb1ELb0EPfSB_N6thrust23THRUST_200600_302600_NS4plusIfEEEE10hipError_tPvRmT2_T3_mT4_P12ihipStream_tbEUlmE_fEESB_NS0_8identityIvEEEESG_SJ_SK_mSL_SN_bEUlT_E_NS1_11comp_targetILNS1_3genE0ELNS1_11target_archE4294967295ELNS1_3gpuE0ELNS1_3repE0EEENS1_30default_config_static_selectorELNS0_4arch9wavefront6targetE1EEEvT1_.num_named_barrier, 0
	.set _ZN7rocprim17ROCPRIM_400000_NS6detail17trampoline_kernelINS0_14default_configENS1_25transform_config_selectorIfLb0EEEZNS1_14transform_implILb0ES3_S5_NS0_18transform_iteratorINS0_17counting_iteratorImlEEZNS1_24adjacent_difference_implIS3_Lb1ELb0EPfSB_N6thrust23THRUST_200600_302600_NS4plusIfEEEE10hipError_tPvRmT2_T3_mT4_P12ihipStream_tbEUlmE_fEESB_NS0_8identityIvEEEESG_SJ_SK_mSL_SN_bEUlT_E_NS1_11comp_targetILNS1_3genE0ELNS1_11target_archE4294967295ELNS1_3gpuE0ELNS1_3repE0EEENS1_30default_config_static_selectorELNS0_4arch9wavefront6targetE1EEEvT1_.private_seg_size, 0
	.set _ZN7rocprim17ROCPRIM_400000_NS6detail17trampoline_kernelINS0_14default_configENS1_25transform_config_selectorIfLb0EEEZNS1_14transform_implILb0ES3_S5_NS0_18transform_iteratorINS0_17counting_iteratorImlEEZNS1_24adjacent_difference_implIS3_Lb1ELb0EPfSB_N6thrust23THRUST_200600_302600_NS4plusIfEEEE10hipError_tPvRmT2_T3_mT4_P12ihipStream_tbEUlmE_fEESB_NS0_8identityIvEEEESG_SJ_SK_mSL_SN_bEUlT_E_NS1_11comp_targetILNS1_3genE0ELNS1_11target_archE4294967295ELNS1_3gpuE0ELNS1_3repE0EEENS1_30default_config_static_selectorELNS0_4arch9wavefront6targetE1EEEvT1_.uses_vcc, 0
	.set _ZN7rocprim17ROCPRIM_400000_NS6detail17trampoline_kernelINS0_14default_configENS1_25transform_config_selectorIfLb0EEEZNS1_14transform_implILb0ES3_S5_NS0_18transform_iteratorINS0_17counting_iteratorImlEEZNS1_24adjacent_difference_implIS3_Lb1ELb0EPfSB_N6thrust23THRUST_200600_302600_NS4plusIfEEEE10hipError_tPvRmT2_T3_mT4_P12ihipStream_tbEUlmE_fEESB_NS0_8identityIvEEEESG_SJ_SK_mSL_SN_bEUlT_E_NS1_11comp_targetILNS1_3genE0ELNS1_11target_archE4294967295ELNS1_3gpuE0ELNS1_3repE0EEENS1_30default_config_static_selectorELNS0_4arch9wavefront6targetE1EEEvT1_.uses_flat_scratch, 0
	.set _ZN7rocprim17ROCPRIM_400000_NS6detail17trampoline_kernelINS0_14default_configENS1_25transform_config_selectorIfLb0EEEZNS1_14transform_implILb0ES3_S5_NS0_18transform_iteratorINS0_17counting_iteratorImlEEZNS1_24adjacent_difference_implIS3_Lb1ELb0EPfSB_N6thrust23THRUST_200600_302600_NS4plusIfEEEE10hipError_tPvRmT2_T3_mT4_P12ihipStream_tbEUlmE_fEESB_NS0_8identityIvEEEESG_SJ_SK_mSL_SN_bEUlT_E_NS1_11comp_targetILNS1_3genE0ELNS1_11target_archE4294967295ELNS1_3gpuE0ELNS1_3repE0EEENS1_30default_config_static_selectorELNS0_4arch9wavefront6targetE1EEEvT1_.has_dyn_sized_stack, 0
	.set _ZN7rocprim17ROCPRIM_400000_NS6detail17trampoline_kernelINS0_14default_configENS1_25transform_config_selectorIfLb0EEEZNS1_14transform_implILb0ES3_S5_NS0_18transform_iteratorINS0_17counting_iteratorImlEEZNS1_24adjacent_difference_implIS3_Lb1ELb0EPfSB_N6thrust23THRUST_200600_302600_NS4plusIfEEEE10hipError_tPvRmT2_T3_mT4_P12ihipStream_tbEUlmE_fEESB_NS0_8identityIvEEEESG_SJ_SK_mSL_SN_bEUlT_E_NS1_11comp_targetILNS1_3genE0ELNS1_11target_archE4294967295ELNS1_3gpuE0ELNS1_3repE0EEENS1_30default_config_static_selectorELNS0_4arch9wavefront6targetE1EEEvT1_.has_recursion, 0
	.set _ZN7rocprim17ROCPRIM_400000_NS6detail17trampoline_kernelINS0_14default_configENS1_25transform_config_selectorIfLb0EEEZNS1_14transform_implILb0ES3_S5_NS0_18transform_iteratorINS0_17counting_iteratorImlEEZNS1_24adjacent_difference_implIS3_Lb1ELb0EPfSB_N6thrust23THRUST_200600_302600_NS4plusIfEEEE10hipError_tPvRmT2_T3_mT4_P12ihipStream_tbEUlmE_fEESB_NS0_8identityIvEEEESG_SJ_SK_mSL_SN_bEUlT_E_NS1_11comp_targetILNS1_3genE0ELNS1_11target_archE4294967295ELNS1_3gpuE0ELNS1_3repE0EEENS1_30default_config_static_selectorELNS0_4arch9wavefront6targetE1EEEvT1_.has_indirect_call, 0
	.section	.AMDGPU.csdata,"",@progbits
; Kernel info:
; codeLenInByte = 0
; TotalNumSgprs: 4
; NumVgprs: 0
; ScratchSize: 0
; MemoryBound: 0
; FloatMode: 240
; IeeeMode: 1
; LDSByteSize: 0 bytes/workgroup (compile time only)
; SGPRBlocks: 0
; VGPRBlocks: 0
; NumSGPRsForWavesPerEU: 4
; NumVGPRsForWavesPerEU: 1
; Occupancy: 10
; WaveLimiterHint : 0
; COMPUTE_PGM_RSRC2:SCRATCH_EN: 0
; COMPUTE_PGM_RSRC2:USER_SGPR: 6
; COMPUTE_PGM_RSRC2:TRAP_HANDLER: 0
; COMPUTE_PGM_RSRC2:TGID_X_EN: 1
; COMPUTE_PGM_RSRC2:TGID_Y_EN: 0
; COMPUTE_PGM_RSRC2:TGID_Z_EN: 0
; COMPUTE_PGM_RSRC2:TIDIG_COMP_CNT: 0
	.section	.text._ZN7rocprim17ROCPRIM_400000_NS6detail17trampoline_kernelINS0_14default_configENS1_25transform_config_selectorIfLb0EEEZNS1_14transform_implILb0ES3_S5_NS0_18transform_iteratorINS0_17counting_iteratorImlEEZNS1_24adjacent_difference_implIS3_Lb1ELb0EPfSB_N6thrust23THRUST_200600_302600_NS4plusIfEEEE10hipError_tPvRmT2_T3_mT4_P12ihipStream_tbEUlmE_fEESB_NS0_8identityIvEEEESG_SJ_SK_mSL_SN_bEUlT_E_NS1_11comp_targetILNS1_3genE5ELNS1_11target_archE942ELNS1_3gpuE9ELNS1_3repE0EEENS1_30default_config_static_selectorELNS0_4arch9wavefront6targetE1EEEvT1_,"axG",@progbits,_ZN7rocprim17ROCPRIM_400000_NS6detail17trampoline_kernelINS0_14default_configENS1_25transform_config_selectorIfLb0EEEZNS1_14transform_implILb0ES3_S5_NS0_18transform_iteratorINS0_17counting_iteratorImlEEZNS1_24adjacent_difference_implIS3_Lb1ELb0EPfSB_N6thrust23THRUST_200600_302600_NS4plusIfEEEE10hipError_tPvRmT2_T3_mT4_P12ihipStream_tbEUlmE_fEESB_NS0_8identityIvEEEESG_SJ_SK_mSL_SN_bEUlT_E_NS1_11comp_targetILNS1_3genE5ELNS1_11target_archE942ELNS1_3gpuE9ELNS1_3repE0EEENS1_30default_config_static_selectorELNS0_4arch9wavefront6targetE1EEEvT1_,comdat
	.protected	_ZN7rocprim17ROCPRIM_400000_NS6detail17trampoline_kernelINS0_14default_configENS1_25transform_config_selectorIfLb0EEEZNS1_14transform_implILb0ES3_S5_NS0_18transform_iteratorINS0_17counting_iteratorImlEEZNS1_24adjacent_difference_implIS3_Lb1ELb0EPfSB_N6thrust23THRUST_200600_302600_NS4plusIfEEEE10hipError_tPvRmT2_T3_mT4_P12ihipStream_tbEUlmE_fEESB_NS0_8identityIvEEEESG_SJ_SK_mSL_SN_bEUlT_E_NS1_11comp_targetILNS1_3genE5ELNS1_11target_archE942ELNS1_3gpuE9ELNS1_3repE0EEENS1_30default_config_static_selectorELNS0_4arch9wavefront6targetE1EEEvT1_ ; -- Begin function _ZN7rocprim17ROCPRIM_400000_NS6detail17trampoline_kernelINS0_14default_configENS1_25transform_config_selectorIfLb0EEEZNS1_14transform_implILb0ES3_S5_NS0_18transform_iteratorINS0_17counting_iteratorImlEEZNS1_24adjacent_difference_implIS3_Lb1ELb0EPfSB_N6thrust23THRUST_200600_302600_NS4plusIfEEEE10hipError_tPvRmT2_T3_mT4_P12ihipStream_tbEUlmE_fEESB_NS0_8identityIvEEEESG_SJ_SK_mSL_SN_bEUlT_E_NS1_11comp_targetILNS1_3genE5ELNS1_11target_archE942ELNS1_3gpuE9ELNS1_3repE0EEENS1_30default_config_static_selectorELNS0_4arch9wavefront6targetE1EEEvT1_
	.globl	_ZN7rocprim17ROCPRIM_400000_NS6detail17trampoline_kernelINS0_14default_configENS1_25transform_config_selectorIfLb0EEEZNS1_14transform_implILb0ES3_S5_NS0_18transform_iteratorINS0_17counting_iteratorImlEEZNS1_24adjacent_difference_implIS3_Lb1ELb0EPfSB_N6thrust23THRUST_200600_302600_NS4plusIfEEEE10hipError_tPvRmT2_T3_mT4_P12ihipStream_tbEUlmE_fEESB_NS0_8identityIvEEEESG_SJ_SK_mSL_SN_bEUlT_E_NS1_11comp_targetILNS1_3genE5ELNS1_11target_archE942ELNS1_3gpuE9ELNS1_3repE0EEENS1_30default_config_static_selectorELNS0_4arch9wavefront6targetE1EEEvT1_
	.p2align	8
	.type	_ZN7rocprim17ROCPRIM_400000_NS6detail17trampoline_kernelINS0_14default_configENS1_25transform_config_selectorIfLb0EEEZNS1_14transform_implILb0ES3_S5_NS0_18transform_iteratorINS0_17counting_iteratorImlEEZNS1_24adjacent_difference_implIS3_Lb1ELb0EPfSB_N6thrust23THRUST_200600_302600_NS4plusIfEEEE10hipError_tPvRmT2_T3_mT4_P12ihipStream_tbEUlmE_fEESB_NS0_8identityIvEEEESG_SJ_SK_mSL_SN_bEUlT_E_NS1_11comp_targetILNS1_3genE5ELNS1_11target_archE942ELNS1_3gpuE9ELNS1_3repE0EEENS1_30default_config_static_selectorELNS0_4arch9wavefront6targetE1EEEvT1_,@function
_ZN7rocprim17ROCPRIM_400000_NS6detail17trampoline_kernelINS0_14default_configENS1_25transform_config_selectorIfLb0EEEZNS1_14transform_implILb0ES3_S5_NS0_18transform_iteratorINS0_17counting_iteratorImlEEZNS1_24adjacent_difference_implIS3_Lb1ELb0EPfSB_N6thrust23THRUST_200600_302600_NS4plusIfEEEE10hipError_tPvRmT2_T3_mT4_P12ihipStream_tbEUlmE_fEESB_NS0_8identityIvEEEESG_SJ_SK_mSL_SN_bEUlT_E_NS1_11comp_targetILNS1_3genE5ELNS1_11target_archE942ELNS1_3gpuE9ELNS1_3repE0EEENS1_30default_config_static_selectorELNS0_4arch9wavefront6targetE1EEEvT1_: ; @_ZN7rocprim17ROCPRIM_400000_NS6detail17trampoline_kernelINS0_14default_configENS1_25transform_config_selectorIfLb0EEEZNS1_14transform_implILb0ES3_S5_NS0_18transform_iteratorINS0_17counting_iteratorImlEEZNS1_24adjacent_difference_implIS3_Lb1ELb0EPfSB_N6thrust23THRUST_200600_302600_NS4plusIfEEEE10hipError_tPvRmT2_T3_mT4_P12ihipStream_tbEUlmE_fEESB_NS0_8identityIvEEEESG_SJ_SK_mSL_SN_bEUlT_E_NS1_11comp_targetILNS1_3genE5ELNS1_11target_archE942ELNS1_3gpuE9ELNS1_3repE0EEENS1_30default_config_static_selectorELNS0_4arch9wavefront6targetE1EEEvT1_
; %bb.0:
	.section	.rodata,"a",@progbits
	.p2align	6, 0x0
	.amdhsa_kernel _ZN7rocprim17ROCPRIM_400000_NS6detail17trampoline_kernelINS0_14default_configENS1_25transform_config_selectorIfLb0EEEZNS1_14transform_implILb0ES3_S5_NS0_18transform_iteratorINS0_17counting_iteratorImlEEZNS1_24adjacent_difference_implIS3_Lb1ELb0EPfSB_N6thrust23THRUST_200600_302600_NS4plusIfEEEE10hipError_tPvRmT2_T3_mT4_P12ihipStream_tbEUlmE_fEESB_NS0_8identityIvEEEESG_SJ_SK_mSL_SN_bEUlT_E_NS1_11comp_targetILNS1_3genE5ELNS1_11target_archE942ELNS1_3gpuE9ELNS1_3repE0EEENS1_30default_config_static_selectorELNS0_4arch9wavefront6targetE1EEEvT1_
		.amdhsa_group_segment_fixed_size 0
		.amdhsa_private_segment_fixed_size 0
		.amdhsa_kernarg_size 56
		.amdhsa_user_sgpr_count 6
		.amdhsa_user_sgpr_private_segment_buffer 1
		.amdhsa_user_sgpr_dispatch_ptr 0
		.amdhsa_user_sgpr_queue_ptr 0
		.amdhsa_user_sgpr_kernarg_segment_ptr 1
		.amdhsa_user_sgpr_dispatch_id 0
		.amdhsa_user_sgpr_flat_scratch_init 0
		.amdhsa_user_sgpr_private_segment_size 0
		.amdhsa_uses_dynamic_stack 0
		.amdhsa_system_sgpr_private_segment_wavefront_offset 0
		.amdhsa_system_sgpr_workgroup_id_x 1
		.amdhsa_system_sgpr_workgroup_id_y 0
		.amdhsa_system_sgpr_workgroup_id_z 0
		.amdhsa_system_sgpr_workgroup_info 0
		.amdhsa_system_vgpr_workitem_id 0
		.amdhsa_next_free_vgpr 1
		.amdhsa_next_free_sgpr 0
		.amdhsa_reserve_vcc 0
		.amdhsa_reserve_flat_scratch 0
		.amdhsa_float_round_mode_32 0
		.amdhsa_float_round_mode_16_64 0
		.amdhsa_float_denorm_mode_32 3
		.amdhsa_float_denorm_mode_16_64 3
		.amdhsa_dx10_clamp 1
		.amdhsa_ieee_mode 1
		.amdhsa_fp16_overflow 0
		.amdhsa_exception_fp_ieee_invalid_op 0
		.amdhsa_exception_fp_denorm_src 0
		.amdhsa_exception_fp_ieee_div_zero 0
		.amdhsa_exception_fp_ieee_overflow 0
		.amdhsa_exception_fp_ieee_underflow 0
		.amdhsa_exception_fp_ieee_inexact 0
		.amdhsa_exception_int_div_zero 0
	.end_amdhsa_kernel
	.section	.text._ZN7rocprim17ROCPRIM_400000_NS6detail17trampoline_kernelINS0_14default_configENS1_25transform_config_selectorIfLb0EEEZNS1_14transform_implILb0ES3_S5_NS0_18transform_iteratorINS0_17counting_iteratorImlEEZNS1_24adjacent_difference_implIS3_Lb1ELb0EPfSB_N6thrust23THRUST_200600_302600_NS4plusIfEEEE10hipError_tPvRmT2_T3_mT4_P12ihipStream_tbEUlmE_fEESB_NS0_8identityIvEEEESG_SJ_SK_mSL_SN_bEUlT_E_NS1_11comp_targetILNS1_3genE5ELNS1_11target_archE942ELNS1_3gpuE9ELNS1_3repE0EEENS1_30default_config_static_selectorELNS0_4arch9wavefront6targetE1EEEvT1_,"axG",@progbits,_ZN7rocprim17ROCPRIM_400000_NS6detail17trampoline_kernelINS0_14default_configENS1_25transform_config_selectorIfLb0EEEZNS1_14transform_implILb0ES3_S5_NS0_18transform_iteratorINS0_17counting_iteratorImlEEZNS1_24adjacent_difference_implIS3_Lb1ELb0EPfSB_N6thrust23THRUST_200600_302600_NS4plusIfEEEE10hipError_tPvRmT2_T3_mT4_P12ihipStream_tbEUlmE_fEESB_NS0_8identityIvEEEESG_SJ_SK_mSL_SN_bEUlT_E_NS1_11comp_targetILNS1_3genE5ELNS1_11target_archE942ELNS1_3gpuE9ELNS1_3repE0EEENS1_30default_config_static_selectorELNS0_4arch9wavefront6targetE1EEEvT1_,comdat
.Lfunc_end87:
	.size	_ZN7rocprim17ROCPRIM_400000_NS6detail17trampoline_kernelINS0_14default_configENS1_25transform_config_selectorIfLb0EEEZNS1_14transform_implILb0ES3_S5_NS0_18transform_iteratorINS0_17counting_iteratorImlEEZNS1_24adjacent_difference_implIS3_Lb1ELb0EPfSB_N6thrust23THRUST_200600_302600_NS4plusIfEEEE10hipError_tPvRmT2_T3_mT4_P12ihipStream_tbEUlmE_fEESB_NS0_8identityIvEEEESG_SJ_SK_mSL_SN_bEUlT_E_NS1_11comp_targetILNS1_3genE5ELNS1_11target_archE942ELNS1_3gpuE9ELNS1_3repE0EEENS1_30default_config_static_selectorELNS0_4arch9wavefront6targetE1EEEvT1_, .Lfunc_end87-_ZN7rocprim17ROCPRIM_400000_NS6detail17trampoline_kernelINS0_14default_configENS1_25transform_config_selectorIfLb0EEEZNS1_14transform_implILb0ES3_S5_NS0_18transform_iteratorINS0_17counting_iteratorImlEEZNS1_24adjacent_difference_implIS3_Lb1ELb0EPfSB_N6thrust23THRUST_200600_302600_NS4plusIfEEEE10hipError_tPvRmT2_T3_mT4_P12ihipStream_tbEUlmE_fEESB_NS0_8identityIvEEEESG_SJ_SK_mSL_SN_bEUlT_E_NS1_11comp_targetILNS1_3genE5ELNS1_11target_archE942ELNS1_3gpuE9ELNS1_3repE0EEENS1_30default_config_static_selectorELNS0_4arch9wavefront6targetE1EEEvT1_
                                        ; -- End function
	.set _ZN7rocprim17ROCPRIM_400000_NS6detail17trampoline_kernelINS0_14default_configENS1_25transform_config_selectorIfLb0EEEZNS1_14transform_implILb0ES3_S5_NS0_18transform_iteratorINS0_17counting_iteratorImlEEZNS1_24adjacent_difference_implIS3_Lb1ELb0EPfSB_N6thrust23THRUST_200600_302600_NS4plusIfEEEE10hipError_tPvRmT2_T3_mT4_P12ihipStream_tbEUlmE_fEESB_NS0_8identityIvEEEESG_SJ_SK_mSL_SN_bEUlT_E_NS1_11comp_targetILNS1_3genE5ELNS1_11target_archE942ELNS1_3gpuE9ELNS1_3repE0EEENS1_30default_config_static_selectorELNS0_4arch9wavefront6targetE1EEEvT1_.num_vgpr, 0
	.set _ZN7rocprim17ROCPRIM_400000_NS6detail17trampoline_kernelINS0_14default_configENS1_25transform_config_selectorIfLb0EEEZNS1_14transform_implILb0ES3_S5_NS0_18transform_iteratorINS0_17counting_iteratorImlEEZNS1_24adjacent_difference_implIS3_Lb1ELb0EPfSB_N6thrust23THRUST_200600_302600_NS4plusIfEEEE10hipError_tPvRmT2_T3_mT4_P12ihipStream_tbEUlmE_fEESB_NS0_8identityIvEEEESG_SJ_SK_mSL_SN_bEUlT_E_NS1_11comp_targetILNS1_3genE5ELNS1_11target_archE942ELNS1_3gpuE9ELNS1_3repE0EEENS1_30default_config_static_selectorELNS0_4arch9wavefront6targetE1EEEvT1_.num_agpr, 0
	.set _ZN7rocprim17ROCPRIM_400000_NS6detail17trampoline_kernelINS0_14default_configENS1_25transform_config_selectorIfLb0EEEZNS1_14transform_implILb0ES3_S5_NS0_18transform_iteratorINS0_17counting_iteratorImlEEZNS1_24adjacent_difference_implIS3_Lb1ELb0EPfSB_N6thrust23THRUST_200600_302600_NS4plusIfEEEE10hipError_tPvRmT2_T3_mT4_P12ihipStream_tbEUlmE_fEESB_NS0_8identityIvEEEESG_SJ_SK_mSL_SN_bEUlT_E_NS1_11comp_targetILNS1_3genE5ELNS1_11target_archE942ELNS1_3gpuE9ELNS1_3repE0EEENS1_30default_config_static_selectorELNS0_4arch9wavefront6targetE1EEEvT1_.numbered_sgpr, 0
	.set _ZN7rocprim17ROCPRIM_400000_NS6detail17trampoline_kernelINS0_14default_configENS1_25transform_config_selectorIfLb0EEEZNS1_14transform_implILb0ES3_S5_NS0_18transform_iteratorINS0_17counting_iteratorImlEEZNS1_24adjacent_difference_implIS3_Lb1ELb0EPfSB_N6thrust23THRUST_200600_302600_NS4plusIfEEEE10hipError_tPvRmT2_T3_mT4_P12ihipStream_tbEUlmE_fEESB_NS0_8identityIvEEEESG_SJ_SK_mSL_SN_bEUlT_E_NS1_11comp_targetILNS1_3genE5ELNS1_11target_archE942ELNS1_3gpuE9ELNS1_3repE0EEENS1_30default_config_static_selectorELNS0_4arch9wavefront6targetE1EEEvT1_.num_named_barrier, 0
	.set _ZN7rocprim17ROCPRIM_400000_NS6detail17trampoline_kernelINS0_14default_configENS1_25transform_config_selectorIfLb0EEEZNS1_14transform_implILb0ES3_S5_NS0_18transform_iteratorINS0_17counting_iteratorImlEEZNS1_24adjacent_difference_implIS3_Lb1ELb0EPfSB_N6thrust23THRUST_200600_302600_NS4plusIfEEEE10hipError_tPvRmT2_T3_mT4_P12ihipStream_tbEUlmE_fEESB_NS0_8identityIvEEEESG_SJ_SK_mSL_SN_bEUlT_E_NS1_11comp_targetILNS1_3genE5ELNS1_11target_archE942ELNS1_3gpuE9ELNS1_3repE0EEENS1_30default_config_static_selectorELNS0_4arch9wavefront6targetE1EEEvT1_.private_seg_size, 0
	.set _ZN7rocprim17ROCPRIM_400000_NS6detail17trampoline_kernelINS0_14default_configENS1_25transform_config_selectorIfLb0EEEZNS1_14transform_implILb0ES3_S5_NS0_18transform_iteratorINS0_17counting_iteratorImlEEZNS1_24adjacent_difference_implIS3_Lb1ELb0EPfSB_N6thrust23THRUST_200600_302600_NS4plusIfEEEE10hipError_tPvRmT2_T3_mT4_P12ihipStream_tbEUlmE_fEESB_NS0_8identityIvEEEESG_SJ_SK_mSL_SN_bEUlT_E_NS1_11comp_targetILNS1_3genE5ELNS1_11target_archE942ELNS1_3gpuE9ELNS1_3repE0EEENS1_30default_config_static_selectorELNS0_4arch9wavefront6targetE1EEEvT1_.uses_vcc, 0
	.set _ZN7rocprim17ROCPRIM_400000_NS6detail17trampoline_kernelINS0_14default_configENS1_25transform_config_selectorIfLb0EEEZNS1_14transform_implILb0ES3_S5_NS0_18transform_iteratorINS0_17counting_iteratorImlEEZNS1_24adjacent_difference_implIS3_Lb1ELb0EPfSB_N6thrust23THRUST_200600_302600_NS4plusIfEEEE10hipError_tPvRmT2_T3_mT4_P12ihipStream_tbEUlmE_fEESB_NS0_8identityIvEEEESG_SJ_SK_mSL_SN_bEUlT_E_NS1_11comp_targetILNS1_3genE5ELNS1_11target_archE942ELNS1_3gpuE9ELNS1_3repE0EEENS1_30default_config_static_selectorELNS0_4arch9wavefront6targetE1EEEvT1_.uses_flat_scratch, 0
	.set _ZN7rocprim17ROCPRIM_400000_NS6detail17trampoline_kernelINS0_14default_configENS1_25transform_config_selectorIfLb0EEEZNS1_14transform_implILb0ES3_S5_NS0_18transform_iteratorINS0_17counting_iteratorImlEEZNS1_24adjacent_difference_implIS3_Lb1ELb0EPfSB_N6thrust23THRUST_200600_302600_NS4plusIfEEEE10hipError_tPvRmT2_T3_mT4_P12ihipStream_tbEUlmE_fEESB_NS0_8identityIvEEEESG_SJ_SK_mSL_SN_bEUlT_E_NS1_11comp_targetILNS1_3genE5ELNS1_11target_archE942ELNS1_3gpuE9ELNS1_3repE0EEENS1_30default_config_static_selectorELNS0_4arch9wavefront6targetE1EEEvT1_.has_dyn_sized_stack, 0
	.set _ZN7rocprim17ROCPRIM_400000_NS6detail17trampoline_kernelINS0_14default_configENS1_25transform_config_selectorIfLb0EEEZNS1_14transform_implILb0ES3_S5_NS0_18transform_iteratorINS0_17counting_iteratorImlEEZNS1_24adjacent_difference_implIS3_Lb1ELb0EPfSB_N6thrust23THRUST_200600_302600_NS4plusIfEEEE10hipError_tPvRmT2_T3_mT4_P12ihipStream_tbEUlmE_fEESB_NS0_8identityIvEEEESG_SJ_SK_mSL_SN_bEUlT_E_NS1_11comp_targetILNS1_3genE5ELNS1_11target_archE942ELNS1_3gpuE9ELNS1_3repE0EEENS1_30default_config_static_selectorELNS0_4arch9wavefront6targetE1EEEvT1_.has_recursion, 0
	.set _ZN7rocprim17ROCPRIM_400000_NS6detail17trampoline_kernelINS0_14default_configENS1_25transform_config_selectorIfLb0EEEZNS1_14transform_implILb0ES3_S5_NS0_18transform_iteratorINS0_17counting_iteratorImlEEZNS1_24adjacent_difference_implIS3_Lb1ELb0EPfSB_N6thrust23THRUST_200600_302600_NS4plusIfEEEE10hipError_tPvRmT2_T3_mT4_P12ihipStream_tbEUlmE_fEESB_NS0_8identityIvEEEESG_SJ_SK_mSL_SN_bEUlT_E_NS1_11comp_targetILNS1_3genE5ELNS1_11target_archE942ELNS1_3gpuE9ELNS1_3repE0EEENS1_30default_config_static_selectorELNS0_4arch9wavefront6targetE1EEEvT1_.has_indirect_call, 0
	.section	.AMDGPU.csdata,"",@progbits
; Kernel info:
; codeLenInByte = 0
; TotalNumSgprs: 4
; NumVgprs: 0
; ScratchSize: 0
; MemoryBound: 0
; FloatMode: 240
; IeeeMode: 1
; LDSByteSize: 0 bytes/workgroup (compile time only)
; SGPRBlocks: 0
; VGPRBlocks: 0
; NumSGPRsForWavesPerEU: 4
; NumVGPRsForWavesPerEU: 1
; Occupancy: 10
; WaveLimiterHint : 0
; COMPUTE_PGM_RSRC2:SCRATCH_EN: 0
; COMPUTE_PGM_RSRC2:USER_SGPR: 6
; COMPUTE_PGM_RSRC2:TRAP_HANDLER: 0
; COMPUTE_PGM_RSRC2:TGID_X_EN: 1
; COMPUTE_PGM_RSRC2:TGID_Y_EN: 0
; COMPUTE_PGM_RSRC2:TGID_Z_EN: 0
; COMPUTE_PGM_RSRC2:TIDIG_COMP_CNT: 0
	.section	.text._ZN7rocprim17ROCPRIM_400000_NS6detail17trampoline_kernelINS0_14default_configENS1_25transform_config_selectorIfLb0EEEZNS1_14transform_implILb0ES3_S5_NS0_18transform_iteratorINS0_17counting_iteratorImlEEZNS1_24adjacent_difference_implIS3_Lb1ELb0EPfSB_N6thrust23THRUST_200600_302600_NS4plusIfEEEE10hipError_tPvRmT2_T3_mT4_P12ihipStream_tbEUlmE_fEESB_NS0_8identityIvEEEESG_SJ_SK_mSL_SN_bEUlT_E_NS1_11comp_targetILNS1_3genE4ELNS1_11target_archE910ELNS1_3gpuE8ELNS1_3repE0EEENS1_30default_config_static_selectorELNS0_4arch9wavefront6targetE1EEEvT1_,"axG",@progbits,_ZN7rocprim17ROCPRIM_400000_NS6detail17trampoline_kernelINS0_14default_configENS1_25transform_config_selectorIfLb0EEEZNS1_14transform_implILb0ES3_S5_NS0_18transform_iteratorINS0_17counting_iteratorImlEEZNS1_24adjacent_difference_implIS3_Lb1ELb0EPfSB_N6thrust23THRUST_200600_302600_NS4plusIfEEEE10hipError_tPvRmT2_T3_mT4_P12ihipStream_tbEUlmE_fEESB_NS0_8identityIvEEEESG_SJ_SK_mSL_SN_bEUlT_E_NS1_11comp_targetILNS1_3genE4ELNS1_11target_archE910ELNS1_3gpuE8ELNS1_3repE0EEENS1_30default_config_static_selectorELNS0_4arch9wavefront6targetE1EEEvT1_,comdat
	.protected	_ZN7rocprim17ROCPRIM_400000_NS6detail17trampoline_kernelINS0_14default_configENS1_25transform_config_selectorIfLb0EEEZNS1_14transform_implILb0ES3_S5_NS0_18transform_iteratorINS0_17counting_iteratorImlEEZNS1_24adjacent_difference_implIS3_Lb1ELb0EPfSB_N6thrust23THRUST_200600_302600_NS4plusIfEEEE10hipError_tPvRmT2_T3_mT4_P12ihipStream_tbEUlmE_fEESB_NS0_8identityIvEEEESG_SJ_SK_mSL_SN_bEUlT_E_NS1_11comp_targetILNS1_3genE4ELNS1_11target_archE910ELNS1_3gpuE8ELNS1_3repE0EEENS1_30default_config_static_selectorELNS0_4arch9wavefront6targetE1EEEvT1_ ; -- Begin function _ZN7rocprim17ROCPRIM_400000_NS6detail17trampoline_kernelINS0_14default_configENS1_25transform_config_selectorIfLb0EEEZNS1_14transform_implILb0ES3_S5_NS0_18transform_iteratorINS0_17counting_iteratorImlEEZNS1_24adjacent_difference_implIS3_Lb1ELb0EPfSB_N6thrust23THRUST_200600_302600_NS4plusIfEEEE10hipError_tPvRmT2_T3_mT4_P12ihipStream_tbEUlmE_fEESB_NS0_8identityIvEEEESG_SJ_SK_mSL_SN_bEUlT_E_NS1_11comp_targetILNS1_3genE4ELNS1_11target_archE910ELNS1_3gpuE8ELNS1_3repE0EEENS1_30default_config_static_selectorELNS0_4arch9wavefront6targetE1EEEvT1_
	.globl	_ZN7rocprim17ROCPRIM_400000_NS6detail17trampoline_kernelINS0_14default_configENS1_25transform_config_selectorIfLb0EEEZNS1_14transform_implILb0ES3_S5_NS0_18transform_iteratorINS0_17counting_iteratorImlEEZNS1_24adjacent_difference_implIS3_Lb1ELb0EPfSB_N6thrust23THRUST_200600_302600_NS4plusIfEEEE10hipError_tPvRmT2_T3_mT4_P12ihipStream_tbEUlmE_fEESB_NS0_8identityIvEEEESG_SJ_SK_mSL_SN_bEUlT_E_NS1_11comp_targetILNS1_3genE4ELNS1_11target_archE910ELNS1_3gpuE8ELNS1_3repE0EEENS1_30default_config_static_selectorELNS0_4arch9wavefront6targetE1EEEvT1_
	.p2align	8
	.type	_ZN7rocprim17ROCPRIM_400000_NS6detail17trampoline_kernelINS0_14default_configENS1_25transform_config_selectorIfLb0EEEZNS1_14transform_implILb0ES3_S5_NS0_18transform_iteratorINS0_17counting_iteratorImlEEZNS1_24adjacent_difference_implIS3_Lb1ELb0EPfSB_N6thrust23THRUST_200600_302600_NS4plusIfEEEE10hipError_tPvRmT2_T3_mT4_P12ihipStream_tbEUlmE_fEESB_NS0_8identityIvEEEESG_SJ_SK_mSL_SN_bEUlT_E_NS1_11comp_targetILNS1_3genE4ELNS1_11target_archE910ELNS1_3gpuE8ELNS1_3repE0EEENS1_30default_config_static_selectorELNS0_4arch9wavefront6targetE1EEEvT1_,@function
_ZN7rocprim17ROCPRIM_400000_NS6detail17trampoline_kernelINS0_14default_configENS1_25transform_config_selectorIfLb0EEEZNS1_14transform_implILb0ES3_S5_NS0_18transform_iteratorINS0_17counting_iteratorImlEEZNS1_24adjacent_difference_implIS3_Lb1ELb0EPfSB_N6thrust23THRUST_200600_302600_NS4plusIfEEEE10hipError_tPvRmT2_T3_mT4_P12ihipStream_tbEUlmE_fEESB_NS0_8identityIvEEEESG_SJ_SK_mSL_SN_bEUlT_E_NS1_11comp_targetILNS1_3genE4ELNS1_11target_archE910ELNS1_3gpuE8ELNS1_3repE0EEENS1_30default_config_static_selectorELNS0_4arch9wavefront6targetE1EEEvT1_: ; @_ZN7rocprim17ROCPRIM_400000_NS6detail17trampoline_kernelINS0_14default_configENS1_25transform_config_selectorIfLb0EEEZNS1_14transform_implILb0ES3_S5_NS0_18transform_iteratorINS0_17counting_iteratorImlEEZNS1_24adjacent_difference_implIS3_Lb1ELb0EPfSB_N6thrust23THRUST_200600_302600_NS4plusIfEEEE10hipError_tPvRmT2_T3_mT4_P12ihipStream_tbEUlmE_fEESB_NS0_8identityIvEEEESG_SJ_SK_mSL_SN_bEUlT_E_NS1_11comp_targetILNS1_3genE4ELNS1_11target_archE910ELNS1_3gpuE8ELNS1_3repE0EEENS1_30default_config_static_selectorELNS0_4arch9wavefront6targetE1EEEvT1_
; %bb.0:
	.section	.rodata,"a",@progbits
	.p2align	6, 0x0
	.amdhsa_kernel _ZN7rocprim17ROCPRIM_400000_NS6detail17trampoline_kernelINS0_14default_configENS1_25transform_config_selectorIfLb0EEEZNS1_14transform_implILb0ES3_S5_NS0_18transform_iteratorINS0_17counting_iteratorImlEEZNS1_24adjacent_difference_implIS3_Lb1ELb0EPfSB_N6thrust23THRUST_200600_302600_NS4plusIfEEEE10hipError_tPvRmT2_T3_mT4_P12ihipStream_tbEUlmE_fEESB_NS0_8identityIvEEEESG_SJ_SK_mSL_SN_bEUlT_E_NS1_11comp_targetILNS1_3genE4ELNS1_11target_archE910ELNS1_3gpuE8ELNS1_3repE0EEENS1_30default_config_static_selectorELNS0_4arch9wavefront6targetE1EEEvT1_
		.amdhsa_group_segment_fixed_size 0
		.amdhsa_private_segment_fixed_size 0
		.amdhsa_kernarg_size 56
		.amdhsa_user_sgpr_count 6
		.amdhsa_user_sgpr_private_segment_buffer 1
		.amdhsa_user_sgpr_dispatch_ptr 0
		.amdhsa_user_sgpr_queue_ptr 0
		.amdhsa_user_sgpr_kernarg_segment_ptr 1
		.amdhsa_user_sgpr_dispatch_id 0
		.amdhsa_user_sgpr_flat_scratch_init 0
		.amdhsa_user_sgpr_private_segment_size 0
		.amdhsa_uses_dynamic_stack 0
		.amdhsa_system_sgpr_private_segment_wavefront_offset 0
		.amdhsa_system_sgpr_workgroup_id_x 1
		.amdhsa_system_sgpr_workgroup_id_y 0
		.amdhsa_system_sgpr_workgroup_id_z 0
		.amdhsa_system_sgpr_workgroup_info 0
		.amdhsa_system_vgpr_workitem_id 0
		.amdhsa_next_free_vgpr 1
		.amdhsa_next_free_sgpr 0
		.amdhsa_reserve_vcc 0
		.amdhsa_reserve_flat_scratch 0
		.amdhsa_float_round_mode_32 0
		.amdhsa_float_round_mode_16_64 0
		.amdhsa_float_denorm_mode_32 3
		.amdhsa_float_denorm_mode_16_64 3
		.amdhsa_dx10_clamp 1
		.amdhsa_ieee_mode 1
		.amdhsa_fp16_overflow 0
		.amdhsa_exception_fp_ieee_invalid_op 0
		.amdhsa_exception_fp_denorm_src 0
		.amdhsa_exception_fp_ieee_div_zero 0
		.amdhsa_exception_fp_ieee_overflow 0
		.amdhsa_exception_fp_ieee_underflow 0
		.amdhsa_exception_fp_ieee_inexact 0
		.amdhsa_exception_int_div_zero 0
	.end_amdhsa_kernel
	.section	.text._ZN7rocprim17ROCPRIM_400000_NS6detail17trampoline_kernelINS0_14default_configENS1_25transform_config_selectorIfLb0EEEZNS1_14transform_implILb0ES3_S5_NS0_18transform_iteratorINS0_17counting_iteratorImlEEZNS1_24adjacent_difference_implIS3_Lb1ELb0EPfSB_N6thrust23THRUST_200600_302600_NS4plusIfEEEE10hipError_tPvRmT2_T3_mT4_P12ihipStream_tbEUlmE_fEESB_NS0_8identityIvEEEESG_SJ_SK_mSL_SN_bEUlT_E_NS1_11comp_targetILNS1_3genE4ELNS1_11target_archE910ELNS1_3gpuE8ELNS1_3repE0EEENS1_30default_config_static_selectorELNS0_4arch9wavefront6targetE1EEEvT1_,"axG",@progbits,_ZN7rocprim17ROCPRIM_400000_NS6detail17trampoline_kernelINS0_14default_configENS1_25transform_config_selectorIfLb0EEEZNS1_14transform_implILb0ES3_S5_NS0_18transform_iteratorINS0_17counting_iteratorImlEEZNS1_24adjacent_difference_implIS3_Lb1ELb0EPfSB_N6thrust23THRUST_200600_302600_NS4plusIfEEEE10hipError_tPvRmT2_T3_mT4_P12ihipStream_tbEUlmE_fEESB_NS0_8identityIvEEEESG_SJ_SK_mSL_SN_bEUlT_E_NS1_11comp_targetILNS1_3genE4ELNS1_11target_archE910ELNS1_3gpuE8ELNS1_3repE0EEENS1_30default_config_static_selectorELNS0_4arch9wavefront6targetE1EEEvT1_,comdat
.Lfunc_end88:
	.size	_ZN7rocprim17ROCPRIM_400000_NS6detail17trampoline_kernelINS0_14default_configENS1_25transform_config_selectorIfLb0EEEZNS1_14transform_implILb0ES3_S5_NS0_18transform_iteratorINS0_17counting_iteratorImlEEZNS1_24adjacent_difference_implIS3_Lb1ELb0EPfSB_N6thrust23THRUST_200600_302600_NS4plusIfEEEE10hipError_tPvRmT2_T3_mT4_P12ihipStream_tbEUlmE_fEESB_NS0_8identityIvEEEESG_SJ_SK_mSL_SN_bEUlT_E_NS1_11comp_targetILNS1_3genE4ELNS1_11target_archE910ELNS1_3gpuE8ELNS1_3repE0EEENS1_30default_config_static_selectorELNS0_4arch9wavefront6targetE1EEEvT1_, .Lfunc_end88-_ZN7rocprim17ROCPRIM_400000_NS6detail17trampoline_kernelINS0_14default_configENS1_25transform_config_selectorIfLb0EEEZNS1_14transform_implILb0ES3_S5_NS0_18transform_iteratorINS0_17counting_iteratorImlEEZNS1_24adjacent_difference_implIS3_Lb1ELb0EPfSB_N6thrust23THRUST_200600_302600_NS4plusIfEEEE10hipError_tPvRmT2_T3_mT4_P12ihipStream_tbEUlmE_fEESB_NS0_8identityIvEEEESG_SJ_SK_mSL_SN_bEUlT_E_NS1_11comp_targetILNS1_3genE4ELNS1_11target_archE910ELNS1_3gpuE8ELNS1_3repE0EEENS1_30default_config_static_selectorELNS0_4arch9wavefront6targetE1EEEvT1_
                                        ; -- End function
	.set _ZN7rocprim17ROCPRIM_400000_NS6detail17trampoline_kernelINS0_14default_configENS1_25transform_config_selectorIfLb0EEEZNS1_14transform_implILb0ES3_S5_NS0_18transform_iteratorINS0_17counting_iteratorImlEEZNS1_24adjacent_difference_implIS3_Lb1ELb0EPfSB_N6thrust23THRUST_200600_302600_NS4plusIfEEEE10hipError_tPvRmT2_T3_mT4_P12ihipStream_tbEUlmE_fEESB_NS0_8identityIvEEEESG_SJ_SK_mSL_SN_bEUlT_E_NS1_11comp_targetILNS1_3genE4ELNS1_11target_archE910ELNS1_3gpuE8ELNS1_3repE0EEENS1_30default_config_static_selectorELNS0_4arch9wavefront6targetE1EEEvT1_.num_vgpr, 0
	.set _ZN7rocprim17ROCPRIM_400000_NS6detail17trampoline_kernelINS0_14default_configENS1_25transform_config_selectorIfLb0EEEZNS1_14transform_implILb0ES3_S5_NS0_18transform_iteratorINS0_17counting_iteratorImlEEZNS1_24adjacent_difference_implIS3_Lb1ELb0EPfSB_N6thrust23THRUST_200600_302600_NS4plusIfEEEE10hipError_tPvRmT2_T3_mT4_P12ihipStream_tbEUlmE_fEESB_NS0_8identityIvEEEESG_SJ_SK_mSL_SN_bEUlT_E_NS1_11comp_targetILNS1_3genE4ELNS1_11target_archE910ELNS1_3gpuE8ELNS1_3repE0EEENS1_30default_config_static_selectorELNS0_4arch9wavefront6targetE1EEEvT1_.num_agpr, 0
	.set _ZN7rocprim17ROCPRIM_400000_NS6detail17trampoline_kernelINS0_14default_configENS1_25transform_config_selectorIfLb0EEEZNS1_14transform_implILb0ES3_S5_NS0_18transform_iteratorINS0_17counting_iteratorImlEEZNS1_24adjacent_difference_implIS3_Lb1ELb0EPfSB_N6thrust23THRUST_200600_302600_NS4plusIfEEEE10hipError_tPvRmT2_T3_mT4_P12ihipStream_tbEUlmE_fEESB_NS0_8identityIvEEEESG_SJ_SK_mSL_SN_bEUlT_E_NS1_11comp_targetILNS1_3genE4ELNS1_11target_archE910ELNS1_3gpuE8ELNS1_3repE0EEENS1_30default_config_static_selectorELNS0_4arch9wavefront6targetE1EEEvT1_.numbered_sgpr, 0
	.set _ZN7rocprim17ROCPRIM_400000_NS6detail17trampoline_kernelINS0_14default_configENS1_25transform_config_selectorIfLb0EEEZNS1_14transform_implILb0ES3_S5_NS0_18transform_iteratorINS0_17counting_iteratorImlEEZNS1_24adjacent_difference_implIS3_Lb1ELb0EPfSB_N6thrust23THRUST_200600_302600_NS4plusIfEEEE10hipError_tPvRmT2_T3_mT4_P12ihipStream_tbEUlmE_fEESB_NS0_8identityIvEEEESG_SJ_SK_mSL_SN_bEUlT_E_NS1_11comp_targetILNS1_3genE4ELNS1_11target_archE910ELNS1_3gpuE8ELNS1_3repE0EEENS1_30default_config_static_selectorELNS0_4arch9wavefront6targetE1EEEvT1_.num_named_barrier, 0
	.set _ZN7rocprim17ROCPRIM_400000_NS6detail17trampoline_kernelINS0_14default_configENS1_25transform_config_selectorIfLb0EEEZNS1_14transform_implILb0ES3_S5_NS0_18transform_iteratorINS0_17counting_iteratorImlEEZNS1_24adjacent_difference_implIS3_Lb1ELb0EPfSB_N6thrust23THRUST_200600_302600_NS4plusIfEEEE10hipError_tPvRmT2_T3_mT4_P12ihipStream_tbEUlmE_fEESB_NS0_8identityIvEEEESG_SJ_SK_mSL_SN_bEUlT_E_NS1_11comp_targetILNS1_3genE4ELNS1_11target_archE910ELNS1_3gpuE8ELNS1_3repE0EEENS1_30default_config_static_selectorELNS0_4arch9wavefront6targetE1EEEvT1_.private_seg_size, 0
	.set _ZN7rocprim17ROCPRIM_400000_NS6detail17trampoline_kernelINS0_14default_configENS1_25transform_config_selectorIfLb0EEEZNS1_14transform_implILb0ES3_S5_NS0_18transform_iteratorINS0_17counting_iteratorImlEEZNS1_24adjacent_difference_implIS3_Lb1ELb0EPfSB_N6thrust23THRUST_200600_302600_NS4plusIfEEEE10hipError_tPvRmT2_T3_mT4_P12ihipStream_tbEUlmE_fEESB_NS0_8identityIvEEEESG_SJ_SK_mSL_SN_bEUlT_E_NS1_11comp_targetILNS1_3genE4ELNS1_11target_archE910ELNS1_3gpuE8ELNS1_3repE0EEENS1_30default_config_static_selectorELNS0_4arch9wavefront6targetE1EEEvT1_.uses_vcc, 0
	.set _ZN7rocprim17ROCPRIM_400000_NS6detail17trampoline_kernelINS0_14default_configENS1_25transform_config_selectorIfLb0EEEZNS1_14transform_implILb0ES3_S5_NS0_18transform_iteratorINS0_17counting_iteratorImlEEZNS1_24adjacent_difference_implIS3_Lb1ELb0EPfSB_N6thrust23THRUST_200600_302600_NS4plusIfEEEE10hipError_tPvRmT2_T3_mT4_P12ihipStream_tbEUlmE_fEESB_NS0_8identityIvEEEESG_SJ_SK_mSL_SN_bEUlT_E_NS1_11comp_targetILNS1_3genE4ELNS1_11target_archE910ELNS1_3gpuE8ELNS1_3repE0EEENS1_30default_config_static_selectorELNS0_4arch9wavefront6targetE1EEEvT1_.uses_flat_scratch, 0
	.set _ZN7rocprim17ROCPRIM_400000_NS6detail17trampoline_kernelINS0_14default_configENS1_25transform_config_selectorIfLb0EEEZNS1_14transform_implILb0ES3_S5_NS0_18transform_iteratorINS0_17counting_iteratorImlEEZNS1_24adjacent_difference_implIS3_Lb1ELb0EPfSB_N6thrust23THRUST_200600_302600_NS4plusIfEEEE10hipError_tPvRmT2_T3_mT4_P12ihipStream_tbEUlmE_fEESB_NS0_8identityIvEEEESG_SJ_SK_mSL_SN_bEUlT_E_NS1_11comp_targetILNS1_3genE4ELNS1_11target_archE910ELNS1_3gpuE8ELNS1_3repE0EEENS1_30default_config_static_selectorELNS0_4arch9wavefront6targetE1EEEvT1_.has_dyn_sized_stack, 0
	.set _ZN7rocprim17ROCPRIM_400000_NS6detail17trampoline_kernelINS0_14default_configENS1_25transform_config_selectorIfLb0EEEZNS1_14transform_implILb0ES3_S5_NS0_18transform_iteratorINS0_17counting_iteratorImlEEZNS1_24adjacent_difference_implIS3_Lb1ELb0EPfSB_N6thrust23THRUST_200600_302600_NS4plusIfEEEE10hipError_tPvRmT2_T3_mT4_P12ihipStream_tbEUlmE_fEESB_NS0_8identityIvEEEESG_SJ_SK_mSL_SN_bEUlT_E_NS1_11comp_targetILNS1_3genE4ELNS1_11target_archE910ELNS1_3gpuE8ELNS1_3repE0EEENS1_30default_config_static_selectorELNS0_4arch9wavefront6targetE1EEEvT1_.has_recursion, 0
	.set _ZN7rocprim17ROCPRIM_400000_NS6detail17trampoline_kernelINS0_14default_configENS1_25transform_config_selectorIfLb0EEEZNS1_14transform_implILb0ES3_S5_NS0_18transform_iteratorINS0_17counting_iteratorImlEEZNS1_24adjacent_difference_implIS3_Lb1ELb0EPfSB_N6thrust23THRUST_200600_302600_NS4plusIfEEEE10hipError_tPvRmT2_T3_mT4_P12ihipStream_tbEUlmE_fEESB_NS0_8identityIvEEEESG_SJ_SK_mSL_SN_bEUlT_E_NS1_11comp_targetILNS1_3genE4ELNS1_11target_archE910ELNS1_3gpuE8ELNS1_3repE0EEENS1_30default_config_static_selectorELNS0_4arch9wavefront6targetE1EEEvT1_.has_indirect_call, 0
	.section	.AMDGPU.csdata,"",@progbits
; Kernel info:
; codeLenInByte = 0
; TotalNumSgprs: 4
; NumVgprs: 0
; ScratchSize: 0
; MemoryBound: 0
; FloatMode: 240
; IeeeMode: 1
; LDSByteSize: 0 bytes/workgroup (compile time only)
; SGPRBlocks: 0
; VGPRBlocks: 0
; NumSGPRsForWavesPerEU: 4
; NumVGPRsForWavesPerEU: 1
; Occupancy: 10
; WaveLimiterHint : 0
; COMPUTE_PGM_RSRC2:SCRATCH_EN: 0
; COMPUTE_PGM_RSRC2:USER_SGPR: 6
; COMPUTE_PGM_RSRC2:TRAP_HANDLER: 0
; COMPUTE_PGM_RSRC2:TGID_X_EN: 1
; COMPUTE_PGM_RSRC2:TGID_Y_EN: 0
; COMPUTE_PGM_RSRC2:TGID_Z_EN: 0
; COMPUTE_PGM_RSRC2:TIDIG_COMP_CNT: 0
	.section	.text._ZN7rocprim17ROCPRIM_400000_NS6detail17trampoline_kernelINS0_14default_configENS1_25transform_config_selectorIfLb0EEEZNS1_14transform_implILb0ES3_S5_NS0_18transform_iteratorINS0_17counting_iteratorImlEEZNS1_24adjacent_difference_implIS3_Lb1ELb0EPfSB_N6thrust23THRUST_200600_302600_NS4plusIfEEEE10hipError_tPvRmT2_T3_mT4_P12ihipStream_tbEUlmE_fEESB_NS0_8identityIvEEEESG_SJ_SK_mSL_SN_bEUlT_E_NS1_11comp_targetILNS1_3genE3ELNS1_11target_archE908ELNS1_3gpuE7ELNS1_3repE0EEENS1_30default_config_static_selectorELNS0_4arch9wavefront6targetE1EEEvT1_,"axG",@progbits,_ZN7rocprim17ROCPRIM_400000_NS6detail17trampoline_kernelINS0_14default_configENS1_25transform_config_selectorIfLb0EEEZNS1_14transform_implILb0ES3_S5_NS0_18transform_iteratorINS0_17counting_iteratorImlEEZNS1_24adjacent_difference_implIS3_Lb1ELb0EPfSB_N6thrust23THRUST_200600_302600_NS4plusIfEEEE10hipError_tPvRmT2_T3_mT4_P12ihipStream_tbEUlmE_fEESB_NS0_8identityIvEEEESG_SJ_SK_mSL_SN_bEUlT_E_NS1_11comp_targetILNS1_3genE3ELNS1_11target_archE908ELNS1_3gpuE7ELNS1_3repE0EEENS1_30default_config_static_selectorELNS0_4arch9wavefront6targetE1EEEvT1_,comdat
	.protected	_ZN7rocprim17ROCPRIM_400000_NS6detail17trampoline_kernelINS0_14default_configENS1_25transform_config_selectorIfLb0EEEZNS1_14transform_implILb0ES3_S5_NS0_18transform_iteratorINS0_17counting_iteratorImlEEZNS1_24adjacent_difference_implIS3_Lb1ELb0EPfSB_N6thrust23THRUST_200600_302600_NS4plusIfEEEE10hipError_tPvRmT2_T3_mT4_P12ihipStream_tbEUlmE_fEESB_NS0_8identityIvEEEESG_SJ_SK_mSL_SN_bEUlT_E_NS1_11comp_targetILNS1_3genE3ELNS1_11target_archE908ELNS1_3gpuE7ELNS1_3repE0EEENS1_30default_config_static_selectorELNS0_4arch9wavefront6targetE1EEEvT1_ ; -- Begin function _ZN7rocprim17ROCPRIM_400000_NS6detail17trampoline_kernelINS0_14default_configENS1_25transform_config_selectorIfLb0EEEZNS1_14transform_implILb0ES3_S5_NS0_18transform_iteratorINS0_17counting_iteratorImlEEZNS1_24adjacent_difference_implIS3_Lb1ELb0EPfSB_N6thrust23THRUST_200600_302600_NS4plusIfEEEE10hipError_tPvRmT2_T3_mT4_P12ihipStream_tbEUlmE_fEESB_NS0_8identityIvEEEESG_SJ_SK_mSL_SN_bEUlT_E_NS1_11comp_targetILNS1_3genE3ELNS1_11target_archE908ELNS1_3gpuE7ELNS1_3repE0EEENS1_30default_config_static_selectorELNS0_4arch9wavefront6targetE1EEEvT1_
	.globl	_ZN7rocprim17ROCPRIM_400000_NS6detail17trampoline_kernelINS0_14default_configENS1_25transform_config_selectorIfLb0EEEZNS1_14transform_implILb0ES3_S5_NS0_18transform_iteratorINS0_17counting_iteratorImlEEZNS1_24adjacent_difference_implIS3_Lb1ELb0EPfSB_N6thrust23THRUST_200600_302600_NS4plusIfEEEE10hipError_tPvRmT2_T3_mT4_P12ihipStream_tbEUlmE_fEESB_NS0_8identityIvEEEESG_SJ_SK_mSL_SN_bEUlT_E_NS1_11comp_targetILNS1_3genE3ELNS1_11target_archE908ELNS1_3gpuE7ELNS1_3repE0EEENS1_30default_config_static_selectorELNS0_4arch9wavefront6targetE1EEEvT1_
	.p2align	8
	.type	_ZN7rocprim17ROCPRIM_400000_NS6detail17trampoline_kernelINS0_14default_configENS1_25transform_config_selectorIfLb0EEEZNS1_14transform_implILb0ES3_S5_NS0_18transform_iteratorINS0_17counting_iteratorImlEEZNS1_24adjacent_difference_implIS3_Lb1ELb0EPfSB_N6thrust23THRUST_200600_302600_NS4plusIfEEEE10hipError_tPvRmT2_T3_mT4_P12ihipStream_tbEUlmE_fEESB_NS0_8identityIvEEEESG_SJ_SK_mSL_SN_bEUlT_E_NS1_11comp_targetILNS1_3genE3ELNS1_11target_archE908ELNS1_3gpuE7ELNS1_3repE0EEENS1_30default_config_static_selectorELNS0_4arch9wavefront6targetE1EEEvT1_,@function
_ZN7rocprim17ROCPRIM_400000_NS6detail17trampoline_kernelINS0_14default_configENS1_25transform_config_selectorIfLb0EEEZNS1_14transform_implILb0ES3_S5_NS0_18transform_iteratorINS0_17counting_iteratorImlEEZNS1_24adjacent_difference_implIS3_Lb1ELb0EPfSB_N6thrust23THRUST_200600_302600_NS4plusIfEEEE10hipError_tPvRmT2_T3_mT4_P12ihipStream_tbEUlmE_fEESB_NS0_8identityIvEEEESG_SJ_SK_mSL_SN_bEUlT_E_NS1_11comp_targetILNS1_3genE3ELNS1_11target_archE908ELNS1_3gpuE7ELNS1_3repE0EEENS1_30default_config_static_selectorELNS0_4arch9wavefront6targetE1EEEvT1_: ; @_ZN7rocprim17ROCPRIM_400000_NS6detail17trampoline_kernelINS0_14default_configENS1_25transform_config_selectorIfLb0EEEZNS1_14transform_implILb0ES3_S5_NS0_18transform_iteratorINS0_17counting_iteratorImlEEZNS1_24adjacent_difference_implIS3_Lb1ELb0EPfSB_N6thrust23THRUST_200600_302600_NS4plusIfEEEE10hipError_tPvRmT2_T3_mT4_P12ihipStream_tbEUlmE_fEESB_NS0_8identityIvEEEESG_SJ_SK_mSL_SN_bEUlT_E_NS1_11comp_targetILNS1_3genE3ELNS1_11target_archE908ELNS1_3gpuE7ELNS1_3repE0EEENS1_30default_config_static_selectorELNS0_4arch9wavefront6targetE1EEEvT1_
; %bb.0:
	.section	.rodata,"a",@progbits
	.p2align	6, 0x0
	.amdhsa_kernel _ZN7rocprim17ROCPRIM_400000_NS6detail17trampoline_kernelINS0_14default_configENS1_25transform_config_selectorIfLb0EEEZNS1_14transform_implILb0ES3_S5_NS0_18transform_iteratorINS0_17counting_iteratorImlEEZNS1_24adjacent_difference_implIS3_Lb1ELb0EPfSB_N6thrust23THRUST_200600_302600_NS4plusIfEEEE10hipError_tPvRmT2_T3_mT4_P12ihipStream_tbEUlmE_fEESB_NS0_8identityIvEEEESG_SJ_SK_mSL_SN_bEUlT_E_NS1_11comp_targetILNS1_3genE3ELNS1_11target_archE908ELNS1_3gpuE7ELNS1_3repE0EEENS1_30default_config_static_selectorELNS0_4arch9wavefront6targetE1EEEvT1_
		.amdhsa_group_segment_fixed_size 0
		.amdhsa_private_segment_fixed_size 0
		.amdhsa_kernarg_size 56
		.amdhsa_user_sgpr_count 6
		.amdhsa_user_sgpr_private_segment_buffer 1
		.amdhsa_user_sgpr_dispatch_ptr 0
		.amdhsa_user_sgpr_queue_ptr 0
		.amdhsa_user_sgpr_kernarg_segment_ptr 1
		.amdhsa_user_sgpr_dispatch_id 0
		.amdhsa_user_sgpr_flat_scratch_init 0
		.amdhsa_user_sgpr_private_segment_size 0
		.amdhsa_uses_dynamic_stack 0
		.amdhsa_system_sgpr_private_segment_wavefront_offset 0
		.amdhsa_system_sgpr_workgroup_id_x 1
		.amdhsa_system_sgpr_workgroup_id_y 0
		.amdhsa_system_sgpr_workgroup_id_z 0
		.amdhsa_system_sgpr_workgroup_info 0
		.amdhsa_system_vgpr_workitem_id 0
		.amdhsa_next_free_vgpr 1
		.amdhsa_next_free_sgpr 0
		.amdhsa_reserve_vcc 0
		.amdhsa_reserve_flat_scratch 0
		.amdhsa_float_round_mode_32 0
		.amdhsa_float_round_mode_16_64 0
		.amdhsa_float_denorm_mode_32 3
		.amdhsa_float_denorm_mode_16_64 3
		.amdhsa_dx10_clamp 1
		.amdhsa_ieee_mode 1
		.amdhsa_fp16_overflow 0
		.amdhsa_exception_fp_ieee_invalid_op 0
		.amdhsa_exception_fp_denorm_src 0
		.amdhsa_exception_fp_ieee_div_zero 0
		.amdhsa_exception_fp_ieee_overflow 0
		.amdhsa_exception_fp_ieee_underflow 0
		.amdhsa_exception_fp_ieee_inexact 0
		.amdhsa_exception_int_div_zero 0
	.end_amdhsa_kernel
	.section	.text._ZN7rocprim17ROCPRIM_400000_NS6detail17trampoline_kernelINS0_14default_configENS1_25transform_config_selectorIfLb0EEEZNS1_14transform_implILb0ES3_S5_NS0_18transform_iteratorINS0_17counting_iteratorImlEEZNS1_24adjacent_difference_implIS3_Lb1ELb0EPfSB_N6thrust23THRUST_200600_302600_NS4plusIfEEEE10hipError_tPvRmT2_T3_mT4_P12ihipStream_tbEUlmE_fEESB_NS0_8identityIvEEEESG_SJ_SK_mSL_SN_bEUlT_E_NS1_11comp_targetILNS1_3genE3ELNS1_11target_archE908ELNS1_3gpuE7ELNS1_3repE0EEENS1_30default_config_static_selectorELNS0_4arch9wavefront6targetE1EEEvT1_,"axG",@progbits,_ZN7rocprim17ROCPRIM_400000_NS6detail17trampoline_kernelINS0_14default_configENS1_25transform_config_selectorIfLb0EEEZNS1_14transform_implILb0ES3_S5_NS0_18transform_iteratorINS0_17counting_iteratorImlEEZNS1_24adjacent_difference_implIS3_Lb1ELb0EPfSB_N6thrust23THRUST_200600_302600_NS4plusIfEEEE10hipError_tPvRmT2_T3_mT4_P12ihipStream_tbEUlmE_fEESB_NS0_8identityIvEEEESG_SJ_SK_mSL_SN_bEUlT_E_NS1_11comp_targetILNS1_3genE3ELNS1_11target_archE908ELNS1_3gpuE7ELNS1_3repE0EEENS1_30default_config_static_selectorELNS0_4arch9wavefront6targetE1EEEvT1_,comdat
.Lfunc_end89:
	.size	_ZN7rocprim17ROCPRIM_400000_NS6detail17trampoline_kernelINS0_14default_configENS1_25transform_config_selectorIfLb0EEEZNS1_14transform_implILb0ES3_S5_NS0_18transform_iteratorINS0_17counting_iteratorImlEEZNS1_24adjacent_difference_implIS3_Lb1ELb0EPfSB_N6thrust23THRUST_200600_302600_NS4plusIfEEEE10hipError_tPvRmT2_T3_mT4_P12ihipStream_tbEUlmE_fEESB_NS0_8identityIvEEEESG_SJ_SK_mSL_SN_bEUlT_E_NS1_11comp_targetILNS1_3genE3ELNS1_11target_archE908ELNS1_3gpuE7ELNS1_3repE0EEENS1_30default_config_static_selectorELNS0_4arch9wavefront6targetE1EEEvT1_, .Lfunc_end89-_ZN7rocprim17ROCPRIM_400000_NS6detail17trampoline_kernelINS0_14default_configENS1_25transform_config_selectorIfLb0EEEZNS1_14transform_implILb0ES3_S5_NS0_18transform_iteratorINS0_17counting_iteratorImlEEZNS1_24adjacent_difference_implIS3_Lb1ELb0EPfSB_N6thrust23THRUST_200600_302600_NS4plusIfEEEE10hipError_tPvRmT2_T3_mT4_P12ihipStream_tbEUlmE_fEESB_NS0_8identityIvEEEESG_SJ_SK_mSL_SN_bEUlT_E_NS1_11comp_targetILNS1_3genE3ELNS1_11target_archE908ELNS1_3gpuE7ELNS1_3repE0EEENS1_30default_config_static_selectorELNS0_4arch9wavefront6targetE1EEEvT1_
                                        ; -- End function
	.set _ZN7rocprim17ROCPRIM_400000_NS6detail17trampoline_kernelINS0_14default_configENS1_25transform_config_selectorIfLb0EEEZNS1_14transform_implILb0ES3_S5_NS0_18transform_iteratorINS0_17counting_iteratorImlEEZNS1_24adjacent_difference_implIS3_Lb1ELb0EPfSB_N6thrust23THRUST_200600_302600_NS4plusIfEEEE10hipError_tPvRmT2_T3_mT4_P12ihipStream_tbEUlmE_fEESB_NS0_8identityIvEEEESG_SJ_SK_mSL_SN_bEUlT_E_NS1_11comp_targetILNS1_3genE3ELNS1_11target_archE908ELNS1_3gpuE7ELNS1_3repE0EEENS1_30default_config_static_selectorELNS0_4arch9wavefront6targetE1EEEvT1_.num_vgpr, 0
	.set _ZN7rocprim17ROCPRIM_400000_NS6detail17trampoline_kernelINS0_14default_configENS1_25transform_config_selectorIfLb0EEEZNS1_14transform_implILb0ES3_S5_NS0_18transform_iteratorINS0_17counting_iteratorImlEEZNS1_24adjacent_difference_implIS3_Lb1ELb0EPfSB_N6thrust23THRUST_200600_302600_NS4plusIfEEEE10hipError_tPvRmT2_T3_mT4_P12ihipStream_tbEUlmE_fEESB_NS0_8identityIvEEEESG_SJ_SK_mSL_SN_bEUlT_E_NS1_11comp_targetILNS1_3genE3ELNS1_11target_archE908ELNS1_3gpuE7ELNS1_3repE0EEENS1_30default_config_static_selectorELNS0_4arch9wavefront6targetE1EEEvT1_.num_agpr, 0
	.set _ZN7rocprim17ROCPRIM_400000_NS6detail17trampoline_kernelINS0_14default_configENS1_25transform_config_selectorIfLb0EEEZNS1_14transform_implILb0ES3_S5_NS0_18transform_iteratorINS0_17counting_iteratorImlEEZNS1_24adjacent_difference_implIS3_Lb1ELb0EPfSB_N6thrust23THRUST_200600_302600_NS4plusIfEEEE10hipError_tPvRmT2_T3_mT4_P12ihipStream_tbEUlmE_fEESB_NS0_8identityIvEEEESG_SJ_SK_mSL_SN_bEUlT_E_NS1_11comp_targetILNS1_3genE3ELNS1_11target_archE908ELNS1_3gpuE7ELNS1_3repE0EEENS1_30default_config_static_selectorELNS0_4arch9wavefront6targetE1EEEvT1_.numbered_sgpr, 0
	.set _ZN7rocprim17ROCPRIM_400000_NS6detail17trampoline_kernelINS0_14default_configENS1_25transform_config_selectorIfLb0EEEZNS1_14transform_implILb0ES3_S5_NS0_18transform_iteratorINS0_17counting_iteratorImlEEZNS1_24adjacent_difference_implIS3_Lb1ELb0EPfSB_N6thrust23THRUST_200600_302600_NS4plusIfEEEE10hipError_tPvRmT2_T3_mT4_P12ihipStream_tbEUlmE_fEESB_NS0_8identityIvEEEESG_SJ_SK_mSL_SN_bEUlT_E_NS1_11comp_targetILNS1_3genE3ELNS1_11target_archE908ELNS1_3gpuE7ELNS1_3repE0EEENS1_30default_config_static_selectorELNS0_4arch9wavefront6targetE1EEEvT1_.num_named_barrier, 0
	.set _ZN7rocprim17ROCPRIM_400000_NS6detail17trampoline_kernelINS0_14default_configENS1_25transform_config_selectorIfLb0EEEZNS1_14transform_implILb0ES3_S5_NS0_18transform_iteratorINS0_17counting_iteratorImlEEZNS1_24adjacent_difference_implIS3_Lb1ELb0EPfSB_N6thrust23THRUST_200600_302600_NS4plusIfEEEE10hipError_tPvRmT2_T3_mT4_P12ihipStream_tbEUlmE_fEESB_NS0_8identityIvEEEESG_SJ_SK_mSL_SN_bEUlT_E_NS1_11comp_targetILNS1_3genE3ELNS1_11target_archE908ELNS1_3gpuE7ELNS1_3repE0EEENS1_30default_config_static_selectorELNS0_4arch9wavefront6targetE1EEEvT1_.private_seg_size, 0
	.set _ZN7rocprim17ROCPRIM_400000_NS6detail17trampoline_kernelINS0_14default_configENS1_25transform_config_selectorIfLb0EEEZNS1_14transform_implILb0ES3_S5_NS0_18transform_iteratorINS0_17counting_iteratorImlEEZNS1_24adjacent_difference_implIS3_Lb1ELb0EPfSB_N6thrust23THRUST_200600_302600_NS4plusIfEEEE10hipError_tPvRmT2_T3_mT4_P12ihipStream_tbEUlmE_fEESB_NS0_8identityIvEEEESG_SJ_SK_mSL_SN_bEUlT_E_NS1_11comp_targetILNS1_3genE3ELNS1_11target_archE908ELNS1_3gpuE7ELNS1_3repE0EEENS1_30default_config_static_selectorELNS0_4arch9wavefront6targetE1EEEvT1_.uses_vcc, 0
	.set _ZN7rocprim17ROCPRIM_400000_NS6detail17trampoline_kernelINS0_14default_configENS1_25transform_config_selectorIfLb0EEEZNS1_14transform_implILb0ES3_S5_NS0_18transform_iteratorINS0_17counting_iteratorImlEEZNS1_24adjacent_difference_implIS3_Lb1ELb0EPfSB_N6thrust23THRUST_200600_302600_NS4plusIfEEEE10hipError_tPvRmT2_T3_mT4_P12ihipStream_tbEUlmE_fEESB_NS0_8identityIvEEEESG_SJ_SK_mSL_SN_bEUlT_E_NS1_11comp_targetILNS1_3genE3ELNS1_11target_archE908ELNS1_3gpuE7ELNS1_3repE0EEENS1_30default_config_static_selectorELNS0_4arch9wavefront6targetE1EEEvT1_.uses_flat_scratch, 0
	.set _ZN7rocprim17ROCPRIM_400000_NS6detail17trampoline_kernelINS0_14default_configENS1_25transform_config_selectorIfLb0EEEZNS1_14transform_implILb0ES3_S5_NS0_18transform_iteratorINS0_17counting_iteratorImlEEZNS1_24adjacent_difference_implIS3_Lb1ELb0EPfSB_N6thrust23THRUST_200600_302600_NS4plusIfEEEE10hipError_tPvRmT2_T3_mT4_P12ihipStream_tbEUlmE_fEESB_NS0_8identityIvEEEESG_SJ_SK_mSL_SN_bEUlT_E_NS1_11comp_targetILNS1_3genE3ELNS1_11target_archE908ELNS1_3gpuE7ELNS1_3repE0EEENS1_30default_config_static_selectorELNS0_4arch9wavefront6targetE1EEEvT1_.has_dyn_sized_stack, 0
	.set _ZN7rocprim17ROCPRIM_400000_NS6detail17trampoline_kernelINS0_14default_configENS1_25transform_config_selectorIfLb0EEEZNS1_14transform_implILb0ES3_S5_NS0_18transform_iteratorINS0_17counting_iteratorImlEEZNS1_24adjacent_difference_implIS3_Lb1ELb0EPfSB_N6thrust23THRUST_200600_302600_NS4plusIfEEEE10hipError_tPvRmT2_T3_mT4_P12ihipStream_tbEUlmE_fEESB_NS0_8identityIvEEEESG_SJ_SK_mSL_SN_bEUlT_E_NS1_11comp_targetILNS1_3genE3ELNS1_11target_archE908ELNS1_3gpuE7ELNS1_3repE0EEENS1_30default_config_static_selectorELNS0_4arch9wavefront6targetE1EEEvT1_.has_recursion, 0
	.set _ZN7rocprim17ROCPRIM_400000_NS6detail17trampoline_kernelINS0_14default_configENS1_25transform_config_selectorIfLb0EEEZNS1_14transform_implILb0ES3_S5_NS0_18transform_iteratorINS0_17counting_iteratorImlEEZNS1_24adjacent_difference_implIS3_Lb1ELb0EPfSB_N6thrust23THRUST_200600_302600_NS4plusIfEEEE10hipError_tPvRmT2_T3_mT4_P12ihipStream_tbEUlmE_fEESB_NS0_8identityIvEEEESG_SJ_SK_mSL_SN_bEUlT_E_NS1_11comp_targetILNS1_3genE3ELNS1_11target_archE908ELNS1_3gpuE7ELNS1_3repE0EEENS1_30default_config_static_selectorELNS0_4arch9wavefront6targetE1EEEvT1_.has_indirect_call, 0
	.section	.AMDGPU.csdata,"",@progbits
; Kernel info:
; codeLenInByte = 0
; TotalNumSgprs: 4
; NumVgprs: 0
; ScratchSize: 0
; MemoryBound: 0
; FloatMode: 240
; IeeeMode: 1
; LDSByteSize: 0 bytes/workgroup (compile time only)
; SGPRBlocks: 0
; VGPRBlocks: 0
; NumSGPRsForWavesPerEU: 4
; NumVGPRsForWavesPerEU: 1
; Occupancy: 10
; WaveLimiterHint : 0
; COMPUTE_PGM_RSRC2:SCRATCH_EN: 0
; COMPUTE_PGM_RSRC2:USER_SGPR: 6
; COMPUTE_PGM_RSRC2:TRAP_HANDLER: 0
; COMPUTE_PGM_RSRC2:TGID_X_EN: 1
; COMPUTE_PGM_RSRC2:TGID_Y_EN: 0
; COMPUTE_PGM_RSRC2:TGID_Z_EN: 0
; COMPUTE_PGM_RSRC2:TIDIG_COMP_CNT: 0
	.section	.text._ZN7rocprim17ROCPRIM_400000_NS6detail17trampoline_kernelINS0_14default_configENS1_25transform_config_selectorIfLb0EEEZNS1_14transform_implILb0ES3_S5_NS0_18transform_iteratorINS0_17counting_iteratorImlEEZNS1_24adjacent_difference_implIS3_Lb1ELb0EPfSB_N6thrust23THRUST_200600_302600_NS4plusIfEEEE10hipError_tPvRmT2_T3_mT4_P12ihipStream_tbEUlmE_fEESB_NS0_8identityIvEEEESG_SJ_SK_mSL_SN_bEUlT_E_NS1_11comp_targetILNS1_3genE2ELNS1_11target_archE906ELNS1_3gpuE6ELNS1_3repE0EEENS1_30default_config_static_selectorELNS0_4arch9wavefront6targetE1EEEvT1_,"axG",@progbits,_ZN7rocprim17ROCPRIM_400000_NS6detail17trampoline_kernelINS0_14default_configENS1_25transform_config_selectorIfLb0EEEZNS1_14transform_implILb0ES3_S5_NS0_18transform_iteratorINS0_17counting_iteratorImlEEZNS1_24adjacent_difference_implIS3_Lb1ELb0EPfSB_N6thrust23THRUST_200600_302600_NS4plusIfEEEE10hipError_tPvRmT2_T3_mT4_P12ihipStream_tbEUlmE_fEESB_NS0_8identityIvEEEESG_SJ_SK_mSL_SN_bEUlT_E_NS1_11comp_targetILNS1_3genE2ELNS1_11target_archE906ELNS1_3gpuE6ELNS1_3repE0EEENS1_30default_config_static_selectorELNS0_4arch9wavefront6targetE1EEEvT1_,comdat
	.protected	_ZN7rocprim17ROCPRIM_400000_NS6detail17trampoline_kernelINS0_14default_configENS1_25transform_config_selectorIfLb0EEEZNS1_14transform_implILb0ES3_S5_NS0_18transform_iteratorINS0_17counting_iteratorImlEEZNS1_24adjacent_difference_implIS3_Lb1ELb0EPfSB_N6thrust23THRUST_200600_302600_NS4plusIfEEEE10hipError_tPvRmT2_T3_mT4_P12ihipStream_tbEUlmE_fEESB_NS0_8identityIvEEEESG_SJ_SK_mSL_SN_bEUlT_E_NS1_11comp_targetILNS1_3genE2ELNS1_11target_archE906ELNS1_3gpuE6ELNS1_3repE0EEENS1_30default_config_static_selectorELNS0_4arch9wavefront6targetE1EEEvT1_ ; -- Begin function _ZN7rocprim17ROCPRIM_400000_NS6detail17trampoline_kernelINS0_14default_configENS1_25transform_config_selectorIfLb0EEEZNS1_14transform_implILb0ES3_S5_NS0_18transform_iteratorINS0_17counting_iteratorImlEEZNS1_24adjacent_difference_implIS3_Lb1ELb0EPfSB_N6thrust23THRUST_200600_302600_NS4plusIfEEEE10hipError_tPvRmT2_T3_mT4_P12ihipStream_tbEUlmE_fEESB_NS0_8identityIvEEEESG_SJ_SK_mSL_SN_bEUlT_E_NS1_11comp_targetILNS1_3genE2ELNS1_11target_archE906ELNS1_3gpuE6ELNS1_3repE0EEENS1_30default_config_static_selectorELNS0_4arch9wavefront6targetE1EEEvT1_
	.globl	_ZN7rocprim17ROCPRIM_400000_NS6detail17trampoline_kernelINS0_14default_configENS1_25transform_config_selectorIfLb0EEEZNS1_14transform_implILb0ES3_S5_NS0_18transform_iteratorINS0_17counting_iteratorImlEEZNS1_24adjacent_difference_implIS3_Lb1ELb0EPfSB_N6thrust23THRUST_200600_302600_NS4plusIfEEEE10hipError_tPvRmT2_T3_mT4_P12ihipStream_tbEUlmE_fEESB_NS0_8identityIvEEEESG_SJ_SK_mSL_SN_bEUlT_E_NS1_11comp_targetILNS1_3genE2ELNS1_11target_archE906ELNS1_3gpuE6ELNS1_3repE0EEENS1_30default_config_static_selectorELNS0_4arch9wavefront6targetE1EEEvT1_
	.p2align	8
	.type	_ZN7rocprim17ROCPRIM_400000_NS6detail17trampoline_kernelINS0_14default_configENS1_25transform_config_selectorIfLb0EEEZNS1_14transform_implILb0ES3_S5_NS0_18transform_iteratorINS0_17counting_iteratorImlEEZNS1_24adjacent_difference_implIS3_Lb1ELb0EPfSB_N6thrust23THRUST_200600_302600_NS4plusIfEEEE10hipError_tPvRmT2_T3_mT4_P12ihipStream_tbEUlmE_fEESB_NS0_8identityIvEEEESG_SJ_SK_mSL_SN_bEUlT_E_NS1_11comp_targetILNS1_3genE2ELNS1_11target_archE906ELNS1_3gpuE6ELNS1_3repE0EEENS1_30default_config_static_selectorELNS0_4arch9wavefront6targetE1EEEvT1_,@function
_ZN7rocprim17ROCPRIM_400000_NS6detail17trampoline_kernelINS0_14default_configENS1_25transform_config_selectorIfLb0EEEZNS1_14transform_implILb0ES3_S5_NS0_18transform_iteratorINS0_17counting_iteratorImlEEZNS1_24adjacent_difference_implIS3_Lb1ELb0EPfSB_N6thrust23THRUST_200600_302600_NS4plusIfEEEE10hipError_tPvRmT2_T3_mT4_P12ihipStream_tbEUlmE_fEESB_NS0_8identityIvEEEESG_SJ_SK_mSL_SN_bEUlT_E_NS1_11comp_targetILNS1_3genE2ELNS1_11target_archE906ELNS1_3gpuE6ELNS1_3repE0EEENS1_30default_config_static_selectorELNS0_4arch9wavefront6targetE1EEEvT1_: ; @_ZN7rocprim17ROCPRIM_400000_NS6detail17trampoline_kernelINS0_14default_configENS1_25transform_config_selectorIfLb0EEEZNS1_14transform_implILb0ES3_S5_NS0_18transform_iteratorINS0_17counting_iteratorImlEEZNS1_24adjacent_difference_implIS3_Lb1ELb0EPfSB_N6thrust23THRUST_200600_302600_NS4plusIfEEEE10hipError_tPvRmT2_T3_mT4_P12ihipStream_tbEUlmE_fEESB_NS0_8identityIvEEEESG_SJ_SK_mSL_SN_bEUlT_E_NS1_11comp_targetILNS1_3genE2ELNS1_11target_archE906ELNS1_3gpuE6ELNS1_3repE0EEENS1_30default_config_static_selectorELNS0_4arch9wavefront6targetE1EEEvT1_
; %bb.0:
	s_load_dwordx4 s[0:3], s[4:5], 0x18
	s_load_dwordx2 s[14:15], s[4:5], 0x28
	s_load_dwordx4 s[8:11], s[4:5], 0x0
	s_load_dword s12, s[4:5], 0x10
	s_waitcnt lgkmcnt(0)
	s_load_dword s3, s[4:5], 0x38
                                        ; kill: killed $sgpr4_sgpr5
	s_lshl_b64 s[4:5], s[0:1], 2
	s_add_u32 s14, s14, s4
	s_addc_u32 s15, s15, s5
	s_lshl_b32 s4, s6, 11
	s_waitcnt lgkmcnt(0)
	s_add_i32 s3, s3, -1
	s_add_u32 s7, s8, s4
	s_addc_u32 s8, s9, 0
	s_add_u32 s16, s7, s0
	s_addc_u32 s17, s8, s1
	s_mov_b32 s5, 0
	s_cmp_lg_u32 s6, s3
	v_lshlrev_b32_e32 v5, 2, v0
	s_cbranch_scc0 .LBB90_2
; %bb.1:
	v_mov_b32_e32 v1, s17
	v_add_co_u32_e32 v2, vcc, s16, v0
	v_addc_co_u32_e32 v3, vcc, 0, v1, vcc
	v_mad_u64_u32 v[1:2], s[0:1], v2, s12, 0
	s_mov_b32 s13, s5
	s_lshl_b64 s[6:7], s[4:5], 2
	v_mad_u64_u32 v[2:3], s[0:1], v3, s12, v[2:3]
	v_mov_b32_e32 v3, s11
	s_lshl_b64 s[0:1], s[12:13], 12
	v_lshlrev_b64 v[1:2], 2, v[1:2]
	s_add_u32 s6, s14, s6
	v_add_co_u32_e32 v1, vcc, s10, v1
	v_addc_co_u32_e32 v2, vcc, v3, v2, vcc
	global_load_dword v6, v[1:2], off
	v_mov_b32_e32 v3, s1
	v_add_co_u32_e32 v1, vcc, s0, v1
	v_addc_co_u32_e32 v2, vcc, v2, v3, vcc
	global_load_dword v1, v[1:2], off
	s_addc_u32 s7, s15, s7
	v_mov_b32_e32 v2, s7
	v_add_co_u32_e32 v3, vcc, s6, v5
	v_addc_co_u32_e32 v4, vcc, 0, v2, vcc
	s_waitcnt vmcnt(1)
	global_store_dword v5, v6, s[6:7]
	s_mov_b64 s[6:7], -1
	s_cbranch_execz .LBB90_3
	s_branch .LBB90_12
.LBB90_2:
	s_mov_b64 s[6:7], 0
                                        ; implicit-def: $vgpr1
                                        ; implicit-def: $vgpr3_vgpr4
.LBB90_3:
	s_sub_i32 s8, s2, s4
	s_waitcnt vmcnt(1)
	v_mov_b32_e32 v1, 0
	v_cmp_gt_u32_e32 vcc, s8, v0
	v_mov_b32_e32 v2, v1
	s_and_saveexec_b64 s[2:3], vcc
	s_cbranch_execz .LBB90_5
; %bb.4:
	v_mov_b32_e32 v2, s17
	v_add_co_u32_e64 v3, s[0:1], s16, v0
	v_addc_co_u32_e64 v4, s[0:1], 0, v2, s[0:1]
	v_mad_u64_u32 v[2:3], s[0:1], v3, s12, 0
	v_mad_u64_u32 v[3:4], s[0:1], v4, s12, v[3:4]
	v_mov_b32_e32 v4, s11
	v_lshlrev_b64 v[2:3], 2, v[2:3]
	v_add_co_u32_e64 v2, s[0:1], s10, v2
	v_addc_co_u32_e64 v3, s[0:1], v4, v3, s[0:1]
	global_load_dword v2, v[2:3], off
	v_mov_b32_e32 v3, v1
	s_waitcnt vmcnt(0)
	v_mov_b32_e32 v1, v2
	v_mov_b32_e32 v2, v3
.LBB90_5:
	s_or_b64 exec, exec, s[2:3]
	v_or_b32_e32 v0, 0x400, v0
	v_cmp_gt_u32_e64 s[0:1], s8, v0
	s_and_saveexec_b64 s[8:9], s[0:1]
	s_cbranch_execz .LBB90_7
; %bb.6:
	v_mov_b32_e32 v2, s17
	v_add_co_u32_e64 v0, s[2:3], s16, v0
	v_addc_co_u32_e64 v4, s[2:3], 0, v2, s[2:3]
	v_mad_u64_u32 v[2:3], s[2:3], v0, s12, 0
	v_mov_b32_e32 v0, v3
	v_mad_u64_u32 v[3:4], s[2:3], v4, s12, v[0:1]
	v_mov_b32_e32 v0, s11
	v_lshlrev_b64 v[2:3], 2, v[2:3]
	v_add_co_u32_e64 v2, s[2:3], s10, v2
	v_addc_co_u32_e64 v3, s[2:3], v0, v3, s[2:3]
	global_load_dword v2, v[2:3], off
.LBB90_7:
	s_or_b64 exec, exec, s[8:9]
	s_lshl_b64 s[2:3], s[4:5], 2
	s_add_u32 s2, s14, s2
	s_addc_u32 s3, s15, s3
	v_cndmask_b32_e32 v0, 0, v1, vcc
	v_mov_b32_e32 v1, s3
	v_add_co_u32_e64 v3, s[2:3], s2, v5
	v_addc_co_u32_e64 v4, s[2:3], 0, v1, s[2:3]
	s_and_saveexec_b64 s[2:3], vcc
	s_cbranch_execz .LBB90_9
; %bb.8:
	global_store_dword v[3:4], v0, off
.LBB90_9:
	s_or_b64 exec, exec, s[2:3]
                                        ; implicit-def: $vgpr1
	s_and_saveexec_b64 s[2:3], s[0:1]
	s_cbranch_execz .LBB90_11
; %bb.10:
	s_waitcnt vmcnt(0)
	v_cndmask_b32_e64 v1, 0, v2, s[0:1]
	s_or_b64 s[6:7], s[6:7], exec
.LBB90_11:
	s_or_b64 exec, exec, s[2:3]
.LBB90_12:
	s_and_saveexec_b64 s[0:1], s[6:7]
	s_cbranch_execnz .LBB90_14
; %bb.13:
	s_endpgm
.LBB90_14:
	s_waitcnt vmcnt(0)
	v_add_co_u32_e32 v2, vcc, 0x1000, v3
	v_addc_co_u32_e32 v3, vcc, 0, v4, vcc
	global_store_dword v[2:3], v1, off
	s_endpgm
	.section	.rodata,"a",@progbits
	.p2align	6, 0x0
	.amdhsa_kernel _ZN7rocprim17ROCPRIM_400000_NS6detail17trampoline_kernelINS0_14default_configENS1_25transform_config_selectorIfLb0EEEZNS1_14transform_implILb0ES3_S5_NS0_18transform_iteratorINS0_17counting_iteratorImlEEZNS1_24adjacent_difference_implIS3_Lb1ELb0EPfSB_N6thrust23THRUST_200600_302600_NS4plusIfEEEE10hipError_tPvRmT2_T3_mT4_P12ihipStream_tbEUlmE_fEESB_NS0_8identityIvEEEESG_SJ_SK_mSL_SN_bEUlT_E_NS1_11comp_targetILNS1_3genE2ELNS1_11target_archE906ELNS1_3gpuE6ELNS1_3repE0EEENS1_30default_config_static_selectorELNS0_4arch9wavefront6targetE1EEEvT1_
		.amdhsa_group_segment_fixed_size 0
		.amdhsa_private_segment_fixed_size 0
		.amdhsa_kernarg_size 312
		.amdhsa_user_sgpr_count 6
		.amdhsa_user_sgpr_private_segment_buffer 1
		.amdhsa_user_sgpr_dispatch_ptr 0
		.amdhsa_user_sgpr_queue_ptr 0
		.amdhsa_user_sgpr_kernarg_segment_ptr 1
		.amdhsa_user_sgpr_dispatch_id 0
		.amdhsa_user_sgpr_flat_scratch_init 0
		.amdhsa_user_sgpr_private_segment_size 0
		.amdhsa_uses_dynamic_stack 0
		.amdhsa_system_sgpr_private_segment_wavefront_offset 0
		.amdhsa_system_sgpr_workgroup_id_x 1
		.amdhsa_system_sgpr_workgroup_id_y 0
		.amdhsa_system_sgpr_workgroup_id_z 0
		.amdhsa_system_sgpr_workgroup_info 0
		.amdhsa_system_vgpr_workitem_id 0
		.amdhsa_next_free_vgpr 7
		.amdhsa_next_free_sgpr 18
		.amdhsa_reserve_vcc 1
		.amdhsa_reserve_flat_scratch 0
		.amdhsa_float_round_mode_32 0
		.amdhsa_float_round_mode_16_64 0
		.amdhsa_float_denorm_mode_32 3
		.amdhsa_float_denorm_mode_16_64 3
		.amdhsa_dx10_clamp 1
		.amdhsa_ieee_mode 1
		.amdhsa_fp16_overflow 0
		.amdhsa_exception_fp_ieee_invalid_op 0
		.amdhsa_exception_fp_denorm_src 0
		.amdhsa_exception_fp_ieee_div_zero 0
		.amdhsa_exception_fp_ieee_overflow 0
		.amdhsa_exception_fp_ieee_underflow 0
		.amdhsa_exception_fp_ieee_inexact 0
		.amdhsa_exception_int_div_zero 0
	.end_amdhsa_kernel
	.section	.text._ZN7rocprim17ROCPRIM_400000_NS6detail17trampoline_kernelINS0_14default_configENS1_25transform_config_selectorIfLb0EEEZNS1_14transform_implILb0ES3_S5_NS0_18transform_iteratorINS0_17counting_iteratorImlEEZNS1_24adjacent_difference_implIS3_Lb1ELb0EPfSB_N6thrust23THRUST_200600_302600_NS4plusIfEEEE10hipError_tPvRmT2_T3_mT4_P12ihipStream_tbEUlmE_fEESB_NS0_8identityIvEEEESG_SJ_SK_mSL_SN_bEUlT_E_NS1_11comp_targetILNS1_3genE2ELNS1_11target_archE906ELNS1_3gpuE6ELNS1_3repE0EEENS1_30default_config_static_selectorELNS0_4arch9wavefront6targetE1EEEvT1_,"axG",@progbits,_ZN7rocprim17ROCPRIM_400000_NS6detail17trampoline_kernelINS0_14default_configENS1_25transform_config_selectorIfLb0EEEZNS1_14transform_implILb0ES3_S5_NS0_18transform_iteratorINS0_17counting_iteratorImlEEZNS1_24adjacent_difference_implIS3_Lb1ELb0EPfSB_N6thrust23THRUST_200600_302600_NS4plusIfEEEE10hipError_tPvRmT2_T3_mT4_P12ihipStream_tbEUlmE_fEESB_NS0_8identityIvEEEESG_SJ_SK_mSL_SN_bEUlT_E_NS1_11comp_targetILNS1_3genE2ELNS1_11target_archE906ELNS1_3gpuE6ELNS1_3repE0EEENS1_30default_config_static_selectorELNS0_4arch9wavefront6targetE1EEEvT1_,comdat
.Lfunc_end90:
	.size	_ZN7rocprim17ROCPRIM_400000_NS6detail17trampoline_kernelINS0_14default_configENS1_25transform_config_selectorIfLb0EEEZNS1_14transform_implILb0ES3_S5_NS0_18transform_iteratorINS0_17counting_iteratorImlEEZNS1_24adjacent_difference_implIS3_Lb1ELb0EPfSB_N6thrust23THRUST_200600_302600_NS4plusIfEEEE10hipError_tPvRmT2_T3_mT4_P12ihipStream_tbEUlmE_fEESB_NS0_8identityIvEEEESG_SJ_SK_mSL_SN_bEUlT_E_NS1_11comp_targetILNS1_3genE2ELNS1_11target_archE906ELNS1_3gpuE6ELNS1_3repE0EEENS1_30default_config_static_selectorELNS0_4arch9wavefront6targetE1EEEvT1_, .Lfunc_end90-_ZN7rocprim17ROCPRIM_400000_NS6detail17trampoline_kernelINS0_14default_configENS1_25transform_config_selectorIfLb0EEEZNS1_14transform_implILb0ES3_S5_NS0_18transform_iteratorINS0_17counting_iteratorImlEEZNS1_24adjacent_difference_implIS3_Lb1ELb0EPfSB_N6thrust23THRUST_200600_302600_NS4plusIfEEEE10hipError_tPvRmT2_T3_mT4_P12ihipStream_tbEUlmE_fEESB_NS0_8identityIvEEEESG_SJ_SK_mSL_SN_bEUlT_E_NS1_11comp_targetILNS1_3genE2ELNS1_11target_archE906ELNS1_3gpuE6ELNS1_3repE0EEENS1_30default_config_static_selectorELNS0_4arch9wavefront6targetE1EEEvT1_
                                        ; -- End function
	.set _ZN7rocprim17ROCPRIM_400000_NS6detail17trampoline_kernelINS0_14default_configENS1_25transform_config_selectorIfLb0EEEZNS1_14transform_implILb0ES3_S5_NS0_18transform_iteratorINS0_17counting_iteratorImlEEZNS1_24adjacent_difference_implIS3_Lb1ELb0EPfSB_N6thrust23THRUST_200600_302600_NS4plusIfEEEE10hipError_tPvRmT2_T3_mT4_P12ihipStream_tbEUlmE_fEESB_NS0_8identityIvEEEESG_SJ_SK_mSL_SN_bEUlT_E_NS1_11comp_targetILNS1_3genE2ELNS1_11target_archE906ELNS1_3gpuE6ELNS1_3repE0EEENS1_30default_config_static_selectorELNS0_4arch9wavefront6targetE1EEEvT1_.num_vgpr, 7
	.set _ZN7rocprim17ROCPRIM_400000_NS6detail17trampoline_kernelINS0_14default_configENS1_25transform_config_selectorIfLb0EEEZNS1_14transform_implILb0ES3_S5_NS0_18transform_iteratorINS0_17counting_iteratorImlEEZNS1_24adjacent_difference_implIS3_Lb1ELb0EPfSB_N6thrust23THRUST_200600_302600_NS4plusIfEEEE10hipError_tPvRmT2_T3_mT4_P12ihipStream_tbEUlmE_fEESB_NS0_8identityIvEEEESG_SJ_SK_mSL_SN_bEUlT_E_NS1_11comp_targetILNS1_3genE2ELNS1_11target_archE906ELNS1_3gpuE6ELNS1_3repE0EEENS1_30default_config_static_selectorELNS0_4arch9wavefront6targetE1EEEvT1_.num_agpr, 0
	.set _ZN7rocprim17ROCPRIM_400000_NS6detail17trampoline_kernelINS0_14default_configENS1_25transform_config_selectorIfLb0EEEZNS1_14transform_implILb0ES3_S5_NS0_18transform_iteratorINS0_17counting_iteratorImlEEZNS1_24adjacent_difference_implIS3_Lb1ELb0EPfSB_N6thrust23THRUST_200600_302600_NS4plusIfEEEE10hipError_tPvRmT2_T3_mT4_P12ihipStream_tbEUlmE_fEESB_NS0_8identityIvEEEESG_SJ_SK_mSL_SN_bEUlT_E_NS1_11comp_targetILNS1_3genE2ELNS1_11target_archE906ELNS1_3gpuE6ELNS1_3repE0EEENS1_30default_config_static_selectorELNS0_4arch9wavefront6targetE1EEEvT1_.numbered_sgpr, 18
	.set _ZN7rocprim17ROCPRIM_400000_NS6detail17trampoline_kernelINS0_14default_configENS1_25transform_config_selectorIfLb0EEEZNS1_14transform_implILb0ES3_S5_NS0_18transform_iteratorINS0_17counting_iteratorImlEEZNS1_24adjacent_difference_implIS3_Lb1ELb0EPfSB_N6thrust23THRUST_200600_302600_NS4plusIfEEEE10hipError_tPvRmT2_T3_mT4_P12ihipStream_tbEUlmE_fEESB_NS0_8identityIvEEEESG_SJ_SK_mSL_SN_bEUlT_E_NS1_11comp_targetILNS1_3genE2ELNS1_11target_archE906ELNS1_3gpuE6ELNS1_3repE0EEENS1_30default_config_static_selectorELNS0_4arch9wavefront6targetE1EEEvT1_.num_named_barrier, 0
	.set _ZN7rocprim17ROCPRIM_400000_NS6detail17trampoline_kernelINS0_14default_configENS1_25transform_config_selectorIfLb0EEEZNS1_14transform_implILb0ES3_S5_NS0_18transform_iteratorINS0_17counting_iteratorImlEEZNS1_24adjacent_difference_implIS3_Lb1ELb0EPfSB_N6thrust23THRUST_200600_302600_NS4plusIfEEEE10hipError_tPvRmT2_T3_mT4_P12ihipStream_tbEUlmE_fEESB_NS0_8identityIvEEEESG_SJ_SK_mSL_SN_bEUlT_E_NS1_11comp_targetILNS1_3genE2ELNS1_11target_archE906ELNS1_3gpuE6ELNS1_3repE0EEENS1_30default_config_static_selectorELNS0_4arch9wavefront6targetE1EEEvT1_.private_seg_size, 0
	.set _ZN7rocprim17ROCPRIM_400000_NS6detail17trampoline_kernelINS0_14default_configENS1_25transform_config_selectorIfLb0EEEZNS1_14transform_implILb0ES3_S5_NS0_18transform_iteratorINS0_17counting_iteratorImlEEZNS1_24adjacent_difference_implIS3_Lb1ELb0EPfSB_N6thrust23THRUST_200600_302600_NS4plusIfEEEE10hipError_tPvRmT2_T3_mT4_P12ihipStream_tbEUlmE_fEESB_NS0_8identityIvEEEESG_SJ_SK_mSL_SN_bEUlT_E_NS1_11comp_targetILNS1_3genE2ELNS1_11target_archE906ELNS1_3gpuE6ELNS1_3repE0EEENS1_30default_config_static_selectorELNS0_4arch9wavefront6targetE1EEEvT1_.uses_vcc, 1
	.set _ZN7rocprim17ROCPRIM_400000_NS6detail17trampoline_kernelINS0_14default_configENS1_25transform_config_selectorIfLb0EEEZNS1_14transform_implILb0ES3_S5_NS0_18transform_iteratorINS0_17counting_iteratorImlEEZNS1_24adjacent_difference_implIS3_Lb1ELb0EPfSB_N6thrust23THRUST_200600_302600_NS4plusIfEEEE10hipError_tPvRmT2_T3_mT4_P12ihipStream_tbEUlmE_fEESB_NS0_8identityIvEEEESG_SJ_SK_mSL_SN_bEUlT_E_NS1_11comp_targetILNS1_3genE2ELNS1_11target_archE906ELNS1_3gpuE6ELNS1_3repE0EEENS1_30default_config_static_selectorELNS0_4arch9wavefront6targetE1EEEvT1_.uses_flat_scratch, 0
	.set _ZN7rocprim17ROCPRIM_400000_NS6detail17trampoline_kernelINS0_14default_configENS1_25transform_config_selectorIfLb0EEEZNS1_14transform_implILb0ES3_S5_NS0_18transform_iteratorINS0_17counting_iteratorImlEEZNS1_24adjacent_difference_implIS3_Lb1ELb0EPfSB_N6thrust23THRUST_200600_302600_NS4plusIfEEEE10hipError_tPvRmT2_T3_mT4_P12ihipStream_tbEUlmE_fEESB_NS0_8identityIvEEEESG_SJ_SK_mSL_SN_bEUlT_E_NS1_11comp_targetILNS1_3genE2ELNS1_11target_archE906ELNS1_3gpuE6ELNS1_3repE0EEENS1_30default_config_static_selectorELNS0_4arch9wavefront6targetE1EEEvT1_.has_dyn_sized_stack, 0
	.set _ZN7rocprim17ROCPRIM_400000_NS6detail17trampoline_kernelINS0_14default_configENS1_25transform_config_selectorIfLb0EEEZNS1_14transform_implILb0ES3_S5_NS0_18transform_iteratorINS0_17counting_iteratorImlEEZNS1_24adjacent_difference_implIS3_Lb1ELb0EPfSB_N6thrust23THRUST_200600_302600_NS4plusIfEEEE10hipError_tPvRmT2_T3_mT4_P12ihipStream_tbEUlmE_fEESB_NS0_8identityIvEEEESG_SJ_SK_mSL_SN_bEUlT_E_NS1_11comp_targetILNS1_3genE2ELNS1_11target_archE906ELNS1_3gpuE6ELNS1_3repE0EEENS1_30default_config_static_selectorELNS0_4arch9wavefront6targetE1EEEvT1_.has_recursion, 0
	.set _ZN7rocprim17ROCPRIM_400000_NS6detail17trampoline_kernelINS0_14default_configENS1_25transform_config_selectorIfLb0EEEZNS1_14transform_implILb0ES3_S5_NS0_18transform_iteratorINS0_17counting_iteratorImlEEZNS1_24adjacent_difference_implIS3_Lb1ELb0EPfSB_N6thrust23THRUST_200600_302600_NS4plusIfEEEE10hipError_tPvRmT2_T3_mT4_P12ihipStream_tbEUlmE_fEESB_NS0_8identityIvEEEESG_SJ_SK_mSL_SN_bEUlT_E_NS1_11comp_targetILNS1_3genE2ELNS1_11target_archE906ELNS1_3gpuE6ELNS1_3repE0EEENS1_30default_config_static_selectorELNS0_4arch9wavefront6targetE1EEEvT1_.has_indirect_call, 0
	.section	.AMDGPU.csdata,"",@progbits
; Kernel info:
; codeLenInByte = 584
; TotalNumSgprs: 22
; NumVgprs: 7
; ScratchSize: 0
; MemoryBound: 0
; FloatMode: 240
; IeeeMode: 1
; LDSByteSize: 0 bytes/workgroup (compile time only)
; SGPRBlocks: 2
; VGPRBlocks: 1
; NumSGPRsForWavesPerEU: 22
; NumVGPRsForWavesPerEU: 7
; Occupancy: 10
; WaveLimiterHint : 0
; COMPUTE_PGM_RSRC2:SCRATCH_EN: 0
; COMPUTE_PGM_RSRC2:USER_SGPR: 6
; COMPUTE_PGM_RSRC2:TRAP_HANDLER: 0
; COMPUTE_PGM_RSRC2:TGID_X_EN: 1
; COMPUTE_PGM_RSRC2:TGID_Y_EN: 0
; COMPUTE_PGM_RSRC2:TGID_Z_EN: 0
; COMPUTE_PGM_RSRC2:TIDIG_COMP_CNT: 0
	.section	.text._ZN7rocprim17ROCPRIM_400000_NS6detail17trampoline_kernelINS0_14default_configENS1_25transform_config_selectorIfLb0EEEZNS1_14transform_implILb0ES3_S5_NS0_18transform_iteratorINS0_17counting_iteratorImlEEZNS1_24adjacent_difference_implIS3_Lb1ELb0EPfSB_N6thrust23THRUST_200600_302600_NS4plusIfEEEE10hipError_tPvRmT2_T3_mT4_P12ihipStream_tbEUlmE_fEESB_NS0_8identityIvEEEESG_SJ_SK_mSL_SN_bEUlT_E_NS1_11comp_targetILNS1_3genE10ELNS1_11target_archE1201ELNS1_3gpuE5ELNS1_3repE0EEENS1_30default_config_static_selectorELNS0_4arch9wavefront6targetE1EEEvT1_,"axG",@progbits,_ZN7rocprim17ROCPRIM_400000_NS6detail17trampoline_kernelINS0_14default_configENS1_25transform_config_selectorIfLb0EEEZNS1_14transform_implILb0ES3_S5_NS0_18transform_iteratorINS0_17counting_iteratorImlEEZNS1_24adjacent_difference_implIS3_Lb1ELb0EPfSB_N6thrust23THRUST_200600_302600_NS4plusIfEEEE10hipError_tPvRmT2_T3_mT4_P12ihipStream_tbEUlmE_fEESB_NS0_8identityIvEEEESG_SJ_SK_mSL_SN_bEUlT_E_NS1_11comp_targetILNS1_3genE10ELNS1_11target_archE1201ELNS1_3gpuE5ELNS1_3repE0EEENS1_30default_config_static_selectorELNS0_4arch9wavefront6targetE1EEEvT1_,comdat
	.protected	_ZN7rocprim17ROCPRIM_400000_NS6detail17trampoline_kernelINS0_14default_configENS1_25transform_config_selectorIfLb0EEEZNS1_14transform_implILb0ES3_S5_NS0_18transform_iteratorINS0_17counting_iteratorImlEEZNS1_24adjacent_difference_implIS3_Lb1ELb0EPfSB_N6thrust23THRUST_200600_302600_NS4plusIfEEEE10hipError_tPvRmT2_T3_mT4_P12ihipStream_tbEUlmE_fEESB_NS0_8identityIvEEEESG_SJ_SK_mSL_SN_bEUlT_E_NS1_11comp_targetILNS1_3genE10ELNS1_11target_archE1201ELNS1_3gpuE5ELNS1_3repE0EEENS1_30default_config_static_selectorELNS0_4arch9wavefront6targetE1EEEvT1_ ; -- Begin function _ZN7rocprim17ROCPRIM_400000_NS6detail17trampoline_kernelINS0_14default_configENS1_25transform_config_selectorIfLb0EEEZNS1_14transform_implILb0ES3_S5_NS0_18transform_iteratorINS0_17counting_iteratorImlEEZNS1_24adjacent_difference_implIS3_Lb1ELb0EPfSB_N6thrust23THRUST_200600_302600_NS4plusIfEEEE10hipError_tPvRmT2_T3_mT4_P12ihipStream_tbEUlmE_fEESB_NS0_8identityIvEEEESG_SJ_SK_mSL_SN_bEUlT_E_NS1_11comp_targetILNS1_3genE10ELNS1_11target_archE1201ELNS1_3gpuE5ELNS1_3repE0EEENS1_30default_config_static_selectorELNS0_4arch9wavefront6targetE1EEEvT1_
	.globl	_ZN7rocprim17ROCPRIM_400000_NS6detail17trampoline_kernelINS0_14default_configENS1_25transform_config_selectorIfLb0EEEZNS1_14transform_implILb0ES3_S5_NS0_18transform_iteratorINS0_17counting_iteratorImlEEZNS1_24adjacent_difference_implIS3_Lb1ELb0EPfSB_N6thrust23THRUST_200600_302600_NS4plusIfEEEE10hipError_tPvRmT2_T3_mT4_P12ihipStream_tbEUlmE_fEESB_NS0_8identityIvEEEESG_SJ_SK_mSL_SN_bEUlT_E_NS1_11comp_targetILNS1_3genE10ELNS1_11target_archE1201ELNS1_3gpuE5ELNS1_3repE0EEENS1_30default_config_static_selectorELNS0_4arch9wavefront6targetE1EEEvT1_
	.p2align	8
	.type	_ZN7rocprim17ROCPRIM_400000_NS6detail17trampoline_kernelINS0_14default_configENS1_25transform_config_selectorIfLb0EEEZNS1_14transform_implILb0ES3_S5_NS0_18transform_iteratorINS0_17counting_iteratorImlEEZNS1_24adjacent_difference_implIS3_Lb1ELb0EPfSB_N6thrust23THRUST_200600_302600_NS4plusIfEEEE10hipError_tPvRmT2_T3_mT4_P12ihipStream_tbEUlmE_fEESB_NS0_8identityIvEEEESG_SJ_SK_mSL_SN_bEUlT_E_NS1_11comp_targetILNS1_3genE10ELNS1_11target_archE1201ELNS1_3gpuE5ELNS1_3repE0EEENS1_30default_config_static_selectorELNS0_4arch9wavefront6targetE1EEEvT1_,@function
_ZN7rocprim17ROCPRIM_400000_NS6detail17trampoline_kernelINS0_14default_configENS1_25transform_config_selectorIfLb0EEEZNS1_14transform_implILb0ES3_S5_NS0_18transform_iteratorINS0_17counting_iteratorImlEEZNS1_24adjacent_difference_implIS3_Lb1ELb0EPfSB_N6thrust23THRUST_200600_302600_NS4plusIfEEEE10hipError_tPvRmT2_T3_mT4_P12ihipStream_tbEUlmE_fEESB_NS0_8identityIvEEEESG_SJ_SK_mSL_SN_bEUlT_E_NS1_11comp_targetILNS1_3genE10ELNS1_11target_archE1201ELNS1_3gpuE5ELNS1_3repE0EEENS1_30default_config_static_selectorELNS0_4arch9wavefront6targetE1EEEvT1_: ; @_ZN7rocprim17ROCPRIM_400000_NS6detail17trampoline_kernelINS0_14default_configENS1_25transform_config_selectorIfLb0EEEZNS1_14transform_implILb0ES3_S5_NS0_18transform_iteratorINS0_17counting_iteratorImlEEZNS1_24adjacent_difference_implIS3_Lb1ELb0EPfSB_N6thrust23THRUST_200600_302600_NS4plusIfEEEE10hipError_tPvRmT2_T3_mT4_P12ihipStream_tbEUlmE_fEESB_NS0_8identityIvEEEESG_SJ_SK_mSL_SN_bEUlT_E_NS1_11comp_targetILNS1_3genE10ELNS1_11target_archE1201ELNS1_3gpuE5ELNS1_3repE0EEENS1_30default_config_static_selectorELNS0_4arch9wavefront6targetE1EEEvT1_
; %bb.0:
	.section	.rodata,"a",@progbits
	.p2align	6, 0x0
	.amdhsa_kernel _ZN7rocprim17ROCPRIM_400000_NS6detail17trampoline_kernelINS0_14default_configENS1_25transform_config_selectorIfLb0EEEZNS1_14transform_implILb0ES3_S5_NS0_18transform_iteratorINS0_17counting_iteratorImlEEZNS1_24adjacent_difference_implIS3_Lb1ELb0EPfSB_N6thrust23THRUST_200600_302600_NS4plusIfEEEE10hipError_tPvRmT2_T3_mT4_P12ihipStream_tbEUlmE_fEESB_NS0_8identityIvEEEESG_SJ_SK_mSL_SN_bEUlT_E_NS1_11comp_targetILNS1_3genE10ELNS1_11target_archE1201ELNS1_3gpuE5ELNS1_3repE0EEENS1_30default_config_static_selectorELNS0_4arch9wavefront6targetE1EEEvT1_
		.amdhsa_group_segment_fixed_size 0
		.amdhsa_private_segment_fixed_size 0
		.amdhsa_kernarg_size 56
		.amdhsa_user_sgpr_count 6
		.amdhsa_user_sgpr_private_segment_buffer 1
		.amdhsa_user_sgpr_dispatch_ptr 0
		.amdhsa_user_sgpr_queue_ptr 0
		.amdhsa_user_sgpr_kernarg_segment_ptr 1
		.amdhsa_user_sgpr_dispatch_id 0
		.amdhsa_user_sgpr_flat_scratch_init 0
		.amdhsa_user_sgpr_private_segment_size 0
		.amdhsa_uses_dynamic_stack 0
		.amdhsa_system_sgpr_private_segment_wavefront_offset 0
		.amdhsa_system_sgpr_workgroup_id_x 1
		.amdhsa_system_sgpr_workgroup_id_y 0
		.amdhsa_system_sgpr_workgroup_id_z 0
		.amdhsa_system_sgpr_workgroup_info 0
		.amdhsa_system_vgpr_workitem_id 0
		.amdhsa_next_free_vgpr 1
		.amdhsa_next_free_sgpr 0
		.amdhsa_reserve_vcc 0
		.amdhsa_reserve_flat_scratch 0
		.amdhsa_float_round_mode_32 0
		.amdhsa_float_round_mode_16_64 0
		.amdhsa_float_denorm_mode_32 3
		.amdhsa_float_denorm_mode_16_64 3
		.amdhsa_dx10_clamp 1
		.amdhsa_ieee_mode 1
		.amdhsa_fp16_overflow 0
		.amdhsa_exception_fp_ieee_invalid_op 0
		.amdhsa_exception_fp_denorm_src 0
		.amdhsa_exception_fp_ieee_div_zero 0
		.amdhsa_exception_fp_ieee_overflow 0
		.amdhsa_exception_fp_ieee_underflow 0
		.amdhsa_exception_fp_ieee_inexact 0
		.amdhsa_exception_int_div_zero 0
	.end_amdhsa_kernel
	.section	.text._ZN7rocprim17ROCPRIM_400000_NS6detail17trampoline_kernelINS0_14default_configENS1_25transform_config_selectorIfLb0EEEZNS1_14transform_implILb0ES3_S5_NS0_18transform_iteratorINS0_17counting_iteratorImlEEZNS1_24adjacent_difference_implIS3_Lb1ELb0EPfSB_N6thrust23THRUST_200600_302600_NS4plusIfEEEE10hipError_tPvRmT2_T3_mT4_P12ihipStream_tbEUlmE_fEESB_NS0_8identityIvEEEESG_SJ_SK_mSL_SN_bEUlT_E_NS1_11comp_targetILNS1_3genE10ELNS1_11target_archE1201ELNS1_3gpuE5ELNS1_3repE0EEENS1_30default_config_static_selectorELNS0_4arch9wavefront6targetE1EEEvT1_,"axG",@progbits,_ZN7rocprim17ROCPRIM_400000_NS6detail17trampoline_kernelINS0_14default_configENS1_25transform_config_selectorIfLb0EEEZNS1_14transform_implILb0ES3_S5_NS0_18transform_iteratorINS0_17counting_iteratorImlEEZNS1_24adjacent_difference_implIS3_Lb1ELb0EPfSB_N6thrust23THRUST_200600_302600_NS4plusIfEEEE10hipError_tPvRmT2_T3_mT4_P12ihipStream_tbEUlmE_fEESB_NS0_8identityIvEEEESG_SJ_SK_mSL_SN_bEUlT_E_NS1_11comp_targetILNS1_3genE10ELNS1_11target_archE1201ELNS1_3gpuE5ELNS1_3repE0EEENS1_30default_config_static_selectorELNS0_4arch9wavefront6targetE1EEEvT1_,comdat
.Lfunc_end91:
	.size	_ZN7rocprim17ROCPRIM_400000_NS6detail17trampoline_kernelINS0_14default_configENS1_25transform_config_selectorIfLb0EEEZNS1_14transform_implILb0ES3_S5_NS0_18transform_iteratorINS0_17counting_iteratorImlEEZNS1_24adjacent_difference_implIS3_Lb1ELb0EPfSB_N6thrust23THRUST_200600_302600_NS4plusIfEEEE10hipError_tPvRmT2_T3_mT4_P12ihipStream_tbEUlmE_fEESB_NS0_8identityIvEEEESG_SJ_SK_mSL_SN_bEUlT_E_NS1_11comp_targetILNS1_3genE10ELNS1_11target_archE1201ELNS1_3gpuE5ELNS1_3repE0EEENS1_30default_config_static_selectorELNS0_4arch9wavefront6targetE1EEEvT1_, .Lfunc_end91-_ZN7rocprim17ROCPRIM_400000_NS6detail17trampoline_kernelINS0_14default_configENS1_25transform_config_selectorIfLb0EEEZNS1_14transform_implILb0ES3_S5_NS0_18transform_iteratorINS0_17counting_iteratorImlEEZNS1_24adjacent_difference_implIS3_Lb1ELb0EPfSB_N6thrust23THRUST_200600_302600_NS4plusIfEEEE10hipError_tPvRmT2_T3_mT4_P12ihipStream_tbEUlmE_fEESB_NS0_8identityIvEEEESG_SJ_SK_mSL_SN_bEUlT_E_NS1_11comp_targetILNS1_3genE10ELNS1_11target_archE1201ELNS1_3gpuE5ELNS1_3repE0EEENS1_30default_config_static_selectorELNS0_4arch9wavefront6targetE1EEEvT1_
                                        ; -- End function
	.set _ZN7rocprim17ROCPRIM_400000_NS6detail17trampoline_kernelINS0_14default_configENS1_25transform_config_selectorIfLb0EEEZNS1_14transform_implILb0ES3_S5_NS0_18transform_iteratorINS0_17counting_iteratorImlEEZNS1_24adjacent_difference_implIS3_Lb1ELb0EPfSB_N6thrust23THRUST_200600_302600_NS4plusIfEEEE10hipError_tPvRmT2_T3_mT4_P12ihipStream_tbEUlmE_fEESB_NS0_8identityIvEEEESG_SJ_SK_mSL_SN_bEUlT_E_NS1_11comp_targetILNS1_3genE10ELNS1_11target_archE1201ELNS1_3gpuE5ELNS1_3repE0EEENS1_30default_config_static_selectorELNS0_4arch9wavefront6targetE1EEEvT1_.num_vgpr, 0
	.set _ZN7rocprim17ROCPRIM_400000_NS6detail17trampoline_kernelINS0_14default_configENS1_25transform_config_selectorIfLb0EEEZNS1_14transform_implILb0ES3_S5_NS0_18transform_iteratorINS0_17counting_iteratorImlEEZNS1_24adjacent_difference_implIS3_Lb1ELb0EPfSB_N6thrust23THRUST_200600_302600_NS4plusIfEEEE10hipError_tPvRmT2_T3_mT4_P12ihipStream_tbEUlmE_fEESB_NS0_8identityIvEEEESG_SJ_SK_mSL_SN_bEUlT_E_NS1_11comp_targetILNS1_3genE10ELNS1_11target_archE1201ELNS1_3gpuE5ELNS1_3repE0EEENS1_30default_config_static_selectorELNS0_4arch9wavefront6targetE1EEEvT1_.num_agpr, 0
	.set _ZN7rocprim17ROCPRIM_400000_NS6detail17trampoline_kernelINS0_14default_configENS1_25transform_config_selectorIfLb0EEEZNS1_14transform_implILb0ES3_S5_NS0_18transform_iteratorINS0_17counting_iteratorImlEEZNS1_24adjacent_difference_implIS3_Lb1ELb0EPfSB_N6thrust23THRUST_200600_302600_NS4plusIfEEEE10hipError_tPvRmT2_T3_mT4_P12ihipStream_tbEUlmE_fEESB_NS0_8identityIvEEEESG_SJ_SK_mSL_SN_bEUlT_E_NS1_11comp_targetILNS1_3genE10ELNS1_11target_archE1201ELNS1_3gpuE5ELNS1_3repE0EEENS1_30default_config_static_selectorELNS0_4arch9wavefront6targetE1EEEvT1_.numbered_sgpr, 0
	.set _ZN7rocprim17ROCPRIM_400000_NS6detail17trampoline_kernelINS0_14default_configENS1_25transform_config_selectorIfLb0EEEZNS1_14transform_implILb0ES3_S5_NS0_18transform_iteratorINS0_17counting_iteratorImlEEZNS1_24adjacent_difference_implIS3_Lb1ELb0EPfSB_N6thrust23THRUST_200600_302600_NS4plusIfEEEE10hipError_tPvRmT2_T3_mT4_P12ihipStream_tbEUlmE_fEESB_NS0_8identityIvEEEESG_SJ_SK_mSL_SN_bEUlT_E_NS1_11comp_targetILNS1_3genE10ELNS1_11target_archE1201ELNS1_3gpuE5ELNS1_3repE0EEENS1_30default_config_static_selectorELNS0_4arch9wavefront6targetE1EEEvT1_.num_named_barrier, 0
	.set _ZN7rocprim17ROCPRIM_400000_NS6detail17trampoline_kernelINS0_14default_configENS1_25transform_config_selectorIfLb0EEEZNS1_14transform_implILb0ES3_S5_NS0_18transform_iteratorINS0_17counting_iteratorImlEEZNS1_24adjacent_difference_implIS3_Lb1ELb0EPfSB_N6thrust23THRUST_200600_302600_NS4plusIfEEEE10hipError_tPvRmT2_T3_mT4_P12ihipStream_tbEUlmE_fEESB_NS0_8identityIvEEEESG_SJ_SK_mSL_SN_bEUlT_E_NS1_11comp_targetILNS1_3genE10ELNS1_11target_archE1201ELNS1_3gpuE5ELNS1_3repE0EEENS1_30default_config_static_selectorELNS0_4arch9wavefront6targetE1EEEvT1_.private_seg_size, 0
	.set _ZN7rocprim17ROCPRIM_400000_NS6detail17trampoline_kernelINS0_14default_configENS1_25transform_config_selectorIfLb0EEEZNS1_14transform_implILb0ES3_S5_NS0_18transform_iteratorINS0_17counting_iteratorImlEEZNS1_24adjacent_difference_implIS3_Lb1ELb0EPfSB_N6thrust23THRUST_200600_302600_NS4plusIfEEEE10hipError_tPvRmT2_T3_mT4_P12ihipStream_tbEUlmE_fEESB_NS0_8identityIvEEEESG_SJ_SK_mSL_SN_bEUlT_E_NS1_11comp_targetILNS1_3genE10ELNS1_11target_archE1201ELNS1_3gpuE5ELNS1_3repE0EEENS1_30default_config_static_selectorELNS0_4arch9wavefront6targetE1EEEvT1_.uses_vcc, 0
	.set _ZN7rocprim17ROCPRIM_400000_NS6detail17trampoline_kernelINS0_14default_configENS1_25transform_config_selectorIfLb0EEEZNS1_14transform_implILb0ES3_S5_NS0_18transform_iteratorINS0_17counting_iteratorImlEEZNS1_24adjacent_difference_implIS3_Lb1ELb0EPfSB_N6thrust23THRUST_200600_302600_NS4plusIfEEEE10hipError_tPvRmT2_T3_mT4_P12ihipStream_tbEUlmE_fEESB_NS0_8identityIvEEEESG_SJ_SK_mSL_SN_bEUlT_E_NS1_11comp_targetILNS1_3genE10ELNS1_11target_archE1201ELNS1_3gpuE5ELNS1_3repE0EEENS1_30default_config_static_selectorELNS0_4arch9wavefront6targetE1EEEvT1_.uses_flat_scratch, 0
	.set _ZN7rocprim17ROCPRIM_400000_NS6detail17trampoline_kernelINS0_14default_configENS1_25transform_config_selectorIfLb0EEEZNS1_14transform_implILb0ES3_S5_NS0_18transform_iteratorINS0_17counting_iteratorImlEEZNS1_24adjacent_difference_implIS3_Lb1ELb0EPfSB_N6thrust23THRUST_200600_302600_NS4plusIfEEEE10hipError_tPvRmT2_T3_mT4_P12ihipStream_tbEUlmE_fEESB_NS0_8identityIvEEEESG_SJ_SK_mSL_SN_bEUlT_E_NS1_11comp_targetILNS1_3genE10ELNS1_11target_archE1201ELNS1_3gpuE5ELNS1_3repE0EEENS1_30default_config_static_selectorELNS0_4arch9wavefront6targetE1EEEvT1_.has_dyn_sized_stack, 0
	.set _ZN7rocprim17ROCPRIM_400000_NS6detail17trampoline_kernelINS0_14default_configENS1_25transform_config_selectorIfLb0EEEZNS1_14transform_implILb0ES3_S5_NS0_18transform_iteratorINS0_17counting_iteratorImlEEZNS1_24adjacent_difference_implIS3_Lb1ELb0EPfSB_N6thrust23THRUST_200600_302600_NS4plusIfEEEE10hipError_tPvRmT2_T3_mT4_P12ihipStream_tbEUlmE_fEESB_NS0_8identityIvEEEESG_SJ_SK_mSL_SN_bEUlT_E_NS1_11comp_targetILNS1_3genE10ELNS1_11target_archE1201ELNS1_3gpuE5ELNS1_3repE0EEENS1_30default_config_static_selectorELNS0_4arch9wavefront6targetE1EEEvT1_.has_recursion, 0
	.set _ZN7rocprim17ROCPRIM_400000_NS6detail17trampoline_kernelINS0_14default_configENS1_25transform_config_selectorIfLb0EEEZNS1_14transform_implILb0ES3_S5_NS0_18transform_iteratorINS0_17counting_iteratorImlEEZNS1_24adjacent_difference_implIS3_Lb1ELb0EPfSB_N6thrust23THRUST_200600_302600_NS4plusIfEEEE10hipError_tPvRmT2_T3_mT4_P12ihipStream_tbEUlmE_fEESB_NS0_8identityIvEEEESG_SJ_SK_mSL_SN_bEUlT_E_NS1_11comp_targetILNS1_3genE10ELNS1_11target_archE1201ELNS1_3gpuE5ELNS1_3repE0EEENS1_30default_config_static_selectorELNS0_4arch9wavefront6targetE1EEEvT1_.has_indirect_call, 0
	.section	.AMDGPU.csdata,"",@progbits
; Kernel info:
; codeLenInByte = 0
; TotalNumSgprs: 4
; NumVgprs: 0
; ScratchSize: 0
; MemoryBound: 0
; FloatMode: 240
; IeeeMode: 1
; LDSByteSize: 0 bytes/workgroup (compile time only)
; SGPRBlocks: 0
; VGPRBlocks: 0
; NumSGPRsForWavesPerEU: 4
; NumVGPRsForWavesPerEU: 1
; Occupancy: 10
; WaveLimiterHint : 0
; COMPUTE_PGM_RSRC2:SCRATCH_EN: 0
; COMPUTE_PGM_RSRC2:USER_SGPR: 6
; COMPUTE_PGM_RSRC2:TRAP_HANDLER: 0
; COMPUTE_PGM_RSRC2:TGID_X_EN: 1
; COMPUTE_PGM_RSRC2:TGID_Y_EN: 0
; COMPUTE_PGM_RSRC2:TGID_Z_EN: 0
; COMPUTE_PGM_RSRC2:TIDIG_COMP_CNT: 0
	.section	.text._ZN7rocprim17ROCPRIM_400000_NS6detail17trampoline_kernelINS0_14default_configENS1_25transform_config_selectorIfLb0EEEZNS1_14transform_implILb0ES3_S5_NS0_18transform_iteratorINS0_17counting_iteratorImlEEZNS1_24adjacent_difference_implIS3_Lb1ELb0EPfSB_N6thrust23THRUST_200600_302600_NS4plusIfEEEE10hipError_tPvRmT2_T3_mT4_P12ihipStream_tbEUlmE_fEESB_NS0_8identityIvEEEESG_SJ_SK_mSL_SN_bEUlT_E_NS1_11comp_targetILNS1_3genE10ELNS1_11target_archE1200ELNS1_3gpuE4ELNS1_3repE0EEENS1_30default_config_static_selectorELNS0_4arch9wavefront6targetE1EEEvT1_,"axG",@progbits,_ZN7rocprim17ROCPRIM_400000_NS6detail17trampoline_kernelINS0_14default_configENS1_25transform_config_selectorIfLb0EEEZNS1_14transform_implILb0ES3_S5_NS0_18transform_iteratorINS0_17counting_iteratorImlEEZNS1_24adjacent_difference_implIS3_Lb1ELb0EPfSB_N6thrust23THRUST_200600_302600_NS4plusIfEEEE10hipError_tPvRmT2_T3_mT4_P12ihipStream_tbEUlmE_fEESB_NS0_8identityIvEEEESG_SJ_SK_mSL_SN_bEUlT_E_NS1_11comp_targetILNS1_3genE10ELNS1_11target_archE1200ELNS1_3gpuE4ELNS1_3repE0EEENS1_30default_config_static_selectorELNS0_4arch9wavefront6targetE1EEEvT1_,comdat
	.protected	_ZN7rocprim17ROCPRIM_400000_NS6detail17trampoline_kernelINS0_14default_configENS1_25transform_config_selectorIfLb0EEEZNS1_14transform_implILb0ES3_S5_NS0_18transform_iteratorINS0_17counting_iteratorImlEEZNS1_24adjacent_difference_implIS3_Lb1ELb0EPfSB_N6thrust23THRUST_200600_302600_NS4plusIfEEEE10hipError_tPvRmT2_T3_mT4_P12ihipStream_tbEUlmE_fEESB_NS0_8identityIvEEEESG_SJ_SK_mSL_SN_bEUlT_E_NS1_11comp_targetILNS1_3genE10ELNS1_11target_archE1200ELNS1_3gpuE4ELNS1_3repE0EEENS1_30default_config_static_selectorELNS0_4arch9wavefront6targetE1EEEvT1_ ; -- Begin function _ZN7rocprim17ROCPRIM_400000_NS6detail17trampoline_kernelINS0_14default_configENS1_25transform_config_selectorIfLb0EEEZNS1_14transform_implILb0ES3_S5_NS0_18transform_iteratorINS0_17counting_iteratorImlEEZNS1_24adjacent_difference_implIS3_Lb1ELb0EPfSB_N6thrust23THRUST_200600_302600_NS4plusIfEEEE10hipError_tPvRmT2_T3_mT4_P12ihipStream_tbEUlmE_fEESB_NS0_8identityIvEEEESG_SJ_SK_mSL_SN_bEUlT_E_NS1_11comp_targetILNS1_3genE10ELNS1_11target_archE1200ELNS1_3gpuE4ELNS1_3repE0EEENS1_30default_config_static_selectorELNS0_4arch9wavefront6targetE1EEEvT1_
	.globl	_ZN7rocprim17ROCPRIM_400000_NS6detail17trampoline_kernelINS0_14default_configENS1_25transform_config_selectorIfLb0EEEZNS1_14transform_implILb0ES3_S5_NS0_18transform_iteratorINS0_17counting_iteratorImlEEZNS1_24adjacent_difference_implIS3_Lb1ELb0EPfSB_N6thrust23THRUST_200600_302600_NS4plusIfEEEE10hipError_tPvRmT2_T3_mT4_P12ihipStream_tbEUlmE_fEESB_NS0_8identityIvEEEESG_SJ_SK_mSL_SN_bEUlT_E_NS1_11comp_targetILNS1_3genE10ELNS1_11target_archE1200ELNS1_3gpuE4ELNS1_3repE0EEENS1_30default_config_static_selectorELNS0_4arch9wavefront6targetE1EEEvT1_
	.p2align	8
	.type	_ZN7rocprim17ROCPRIM_400000_NS6detail17trampoline_kernelINS0_14default_configENS1_25transform_config_selectorIfLb0EEEZNS1_14transform_implILb0ES3_S5_NS0_18transform_iteratorINS0_17counting_iteratorImlEEZNS1_24adjacent_difference_implIS3_Lb1ELb0EPfSB_N6thrust23THRUST_200600_302600_NS4plusIfEEEE10hipError_tPvRmT2_T3_mT4_P12ihipStream_tbEUlmE_fEESB_NS0_8identityIvEEEESG_SJ_SK_mSL_SN_bEUlT_E_NS1_11comp_targetILNS1_3genE10ELNS1_11target_archE1200ELNS1_3gpuE4ELNS1_3repE0EEENS1_30default_config_static_selectorELNS0_4arch9wavefront6targetE1EEEvT1_,@function
_ZN7rocprim17ROCPRIM_400000_NS6detail17trampoline_kernelINS0_14default_configENS1_25transform_config_selectorIfLb0EEEZNS1_14transform_implILb0ES3_S5_NS0_18transform_iteratorINS0_17counting_iteratorImlEEZNS1_24adjacent_difference_implIS3_Lb1ELb0EPfSB_N6thrust23THRUST_200600_302600_NS4plusIfEEEE10hipError_tPvRmT2_T3_mT4_P12ihipStream_tbEUlmE_fEESB_NS0_8identityIvEEEESG_SJ_SK_mSL_SN_bEUlT_E_NS1_11comp_targetILNS1_3genE10ELNS1_11target_archE1200ELNS1_3gpuE4ELNS1_3repE0EEENS1_30default_config_static_selectorELNS0_4arch9wavefront6targetE1EEEvT1_: ; @_ZN7rocprim17ROCPRIM_400000_NS6detail17trampoline_kernelINS0_14default_configENS1_25transform_config_selectorIfLb0EEEZNS1_14transform_implILb0ES3_S5_NS0_18transform_iteratorINS0_17counting_iteratorImlEEZNS1_24adjacent_difference_implIS3_Lb1ELb0EPfSB_N6thrust23THRUST_200600_302600_NS4plusIfEEEE10hipError_tPvRmT2_T3_mT4_P12ihipStream_tbEUlmE_fEESB_NS0_8identityIvEEEESG_SJ_SK_mSL_SN_bEUlT_E_NS1_11comp_targetILNS1_3genE10ELNS1_11target_archE1200ELNS1_3gpuE4ELNS1_3repE0EEENS1_30default_config_static_selectorELNS0_4arch9wavefront6targetE1EEEvT1_
; %bb.0:
	.section	.rodata,"a",@progbits
	.p2align	6, 0x0
	.amdhsa_kernel _ZN7rocprim17ROCPRIM_400000_NS6detail17trampoline_kernelINS0_14default_configENS1_25transform_config_selectorIfLb0EEEZNS1_14transform_implILb0ES3_S5_NS0_18transform_iteratorINS0_17counting_iteratorImlEEZNS1_24adjacent_difference_implIS3_Lb1ELb0EPfSB_N6thrust23THRUST_200600_302600_NS4plusIfEEEE10hipError_tPvRmT2_T3_mT4_P12ihipStream_tbEUlmE_fEESB_NS0_8identityIvEEEESG_SJ_SK_mSL_SN_bEUlT_E_NS1_11comp_targetILNS1_3genE10ELNS1_11target_archE1200ELNS1_3gpuE4ELNS1_3repE0EEENS1_30default_config_static_selectorELNS0_4arch9wavefront6targetE1EEEvT1_
		.amdhsa_group_segment_fixed_size 0
		.amdhsa_private_segment_fixed_size 0
		.amdhsa_kernarg_size 56
		.amdhsa_user_sgpr_count 6
		.amdhsa_user_sgpr_private_segment_buffer 1
		.amdhsa_user_sgpr_dispatch_ptr 0
		.amdhsa_user_sgpr_queue_ptr 0
		.amdhsa_user_sgpr_kernarg_segment_ptr 1
		.amdhsa_user_sgpr_dispatch_id 0
		.amdhsa_user_sgpr_flat_scratch_init 0
		.amdhsa_user_sgpr_private_segment_size 0
		.amdhsa_uses_dynamic_stack 0
		.amdhsa_system_sgpr_private_segment_wavefront_offset 0
		.amdhsa_system_sgpr_workgroup_id_x 1
		.amdhsa_system_sgpr_workgroup_id_y 0
		.amdhsa_system_sgpr_workgroup_id_z 0
		.amdhsa_system_sgpr_workgroup_info 0
		.amdhsa_system_vgpr_workitem_id 0
		.amdhsa_next_free_vgpr 1
		.amdhsa_next_free_sgpr 0
		.amdhsa_reserve_vcc 0
		.amdhsa_reserve_flat_scratch 0
		.amdhsa_float_round_mode_32 0
		.amdhsa_float_round_mode_16_64 0
		.amdhsa_float_denorm_mode_32 3
		.amdhsa_float_denorm_mode_16_64 3
		.amdhsa_dx10_clamp 1
		.amdhsa_ieee_mode 1
		.amdhsa_fp16_overflow 0
		.amdhsa_exception_fp_ieee_invalid_op 0
		.amdhsa_exception_fp_denorm_src 0
		.amdhsa_exception_fp_ieee_div_zero 0
		.amdhsa_exception_fp_ieee_overflow 0
		.amdhsa_exception_fp_ieee_underflow 0
		.amdhsa_exception_fp_ieee_inexact 0
		.amdhsa_exception_int_div_zero 0
	.end_amdhsa_kernel
	.section	.text._ZN7rocprim17ROCPRIM_400000_NS6detail17trampoline_kernelINS0_14default_configENS1_25transform_config_selectorIfLb0EEEZNS1_14transform_implILb0ES3_S5_NS0_18transform_iteratorINS0_17counting_iteratorImlEEZNS1_24adjacent_difference_implIS3_Lb1ELb0EPfSB_N6thrust23THRUST_200600_302600_NS4plusIfEEEE10hipError_tPvRmT2_T3_mT4_P12ihipStream_tbEUlmE_fEESB_NS0_8identityIvEEEESG_SJ_SK_mSL_SN_bEUlT_E_NS1_11comp_targetILNS1_3genE10ELNS1_11target_archE1200ELNS1_3gpuE4ELNS1_3repE0EEENS1_30default_config_static_selectorELNS0_4arch9wavefront6targetE1EEEvT1_,"axG",@progbits,_ZN7rocprim17ROCPRIM_400000_NS6detail17trampoline_kernelINS0_14default_configENS1_25transform_config_selectorIfLb0EEEZNS1_14transform_implILb0ES3_S5_NS0_18transform_iteratorINS0_17counting_iteratorImlEEZNS1_24adjacent_difference_implIS3_Lb1ELb0EPfSB_N6thrust23THRUST_200600_302600_NS4plusIfEEEE10hipError_tPvRmT2_T3_mT4_P12ihipStream_tbEUlmE_fEESB_NS0_8identityIvEEEESG_SJ_SK_mSL_SN_bEUlT_E_NS1_11comp_targetILNS1_3genE10ELNS1_11target_archE1200ELNS1_3gpuE4ELNS1_3repE0EEENS1_30default_config_static_selectorELNS0_4arch9wavefront6targetE1EEEvT1_,comdat
.Lfunc_end92:
	.size	_ZN7rocprim17ROCPRIM_400000_NS6detail17trampoline_kernelINS0_14default_configENS1_25transform_config_selectorIfLb0EEEZNS1_14transform_implILb0ES3_S5_NS0_18transform_iteratorINS0_17counting_iteratorImlEEZNS1_24adjacent_difference_implIS3_Lb1ELb0EPfSB_N6thrust23THRUST_200600_302600_NS4plusIfEEEE10hipError_tPvRmT2_T3_mT4_P12ihipStream_tbEUlmE_fEESB_NS0_8identityIvEEEESG_SJ_SK_mSL_SN_bEUlT_E_NS1_11comp_targetILNS1_3genE10ELNS1_11target_archE1200ELNS1_3gpuE4ELNS1_3repE0EEENS1_30default_config_static_selectorELNS0_4arch9wavefront6targetE1EEEvT1_, .Lfunc_end92-_ZN7rocprim17ROCPRIM_400000_NS6detail17trampoline_kernelINS0_14default_configENS1_25transform_config_selectorIfLb0EEEZNS1_14transform_implILb0ES3_S5_NS0_18transform_iteratorINS0_17counting_iteratorImlEEZNS1_24adjacent_difference_implIS3_Lb1ELb0EPfSB_N6thrust23THRUST_200600_302600_NS4plusIfEEEE10hipError_tPvRmT2_T3_mT4_P12ihipStream_tbEUlmE_fEESB_NS0_8identityIvEEEESG_SJ_SK_mSL_SN_bEUlT_E_NS1_11comp_targetILNS1_3genE10ELNS1_11target_archE1200ELNS1_3gpuE4ELNS1_3repE0EEENS1_30default_config_static_selectorELNS0_4arch9wavefront6targetE1EEEvT1_
                                        ; -- End function
	.set _ZN7rocprim17ROCPRIM_400000_NS6detail17trampoline_kernelINS0_14default_configENS1_25transform_config_selectorIfLb0EEEZNS1_14transform_implILb0ES3_S5_NS0_18transform_iteratorINS0_17counting_iteratorImlEEZNS1_24adjacent_difference_implIS3_Lb1ELb0EPfSB_N6thrust23THRUST_200600_302600_NS4plusIfEEEE10hipError_tPvRmT2_T3_mT4_P12ihipStream_tbEUlmE_fEESB_NS0_8identityIvEEEESG_SJ_SK_mSL_SN_bEUlT_E_NS1_11comp_targetILNS1_3genE10ELNS1_11target_archE1200ELNS1_3gpuE4ELNS1_3repE0EEENS1_30default_config_static_selectorELNS0_4arch9wavefront6targetE1EEEvT1_.num_vgpr, 0
	.set _ZN7rocprim17ROCPRIM_400000_NS6detail17trampoline_kernelINS0_14default_configENS1_25transform_config_selectorIfLb0EEEZNS1_14transform_implILb0ES3_S5_NS0_18transform_iteratorINS0_17counting_iteratorImlEEZNS1_24adjacent_difference_implIS3_Lb1ELb0EPfSB_N6thrust23THRUST_200600_302600_NS4plusIfEEEE10hipError_tPvRmT2_T3_mT4_P12ihipStream_tbEUlmE_fEESB_NS0_8identityIvEEEESG_SJ_SK_mSL_SN_bEUlT_E_NS1_11comp_targetILNS1_3genE10ELNS1_11target_archE1200ELNS1_3gpuE4ELNS1_3repE0EEENS1_30default_config_static_selectorELNS0_4arch9wavefront6targetE1EEEvT1_.num_agpr, 0
	.set _ZN7rocprim17ROCPRIM_400000_NS6detail17trampoline_kernelINS0_14default_configENS1_25transform_config_selectorIfLb0EEEZNS1_14transform_implILb0ES3_S5_NS0_18transform_iteratorINS0_17counting_iteratorImlEEZNS1_24adjacent_difference_implIS3_Lb1ELb0EPfSB_N6thrust23THRUST_200600_302600_NS4plusIfEEEE10hipError_tPvRmT2_T3_mT4_P12ihipStream_tbEUlmE_fEESB_NS0_8identityIvEEEESG_SJ_SK_mSL_SN_bEUlT_E_NS1_11comp_targetILNS1_3genE10ELNS1_11target_archE1200ELNS1_3gpuE4ELNS1_3repE0EEENS1_30default_config_static_selectorELNS0_4arch9wavefront6targetE1EEEvT1_.numbered_sgpr, 0
	.set _ZN7rocprim17ROCPRIM_400000_NS6detail17trampoline_kernelINS0_14default_configENS1_25transform_config_selectorIfLb0EEEZNS1_14transform_implILb0ES3_S5_NS0_18transform_iteratorINS0_17counting_iteratorImlEEZNS1_24adjacent_difference_implIS3_Lb1ELb0EPfSB_N6thrust23THRUST_200600_302600_NS4plusIfEEEE10hipError_tPvRmT2_T3_mT4_P12ihipStream_tbEUlmE_fEESB_NS0_8identityIvEEEESG_SJ_SK_mSL_SN_bEUlT_E_NS1_11comp_targetILNS1_3genE10ELNS1_11target_archE1200ELNS1_3gpuE4ELNS1_3repE0EEENS1_30default_config_static_selectorELNS0_4arch9wavefront6targetE1EEEvT1_.num_named_barrier, 0
	.set _ZN7rocprim17ROCPRIM_400000_NS6detail17trampoline_kernelINS0_14default_configENS1_25transform_config_selectorIfLb0EEEZNS1_14transform_implILb0ES3_S5_NS0_18transform_iteratorINS0_17counting_iteratorImlEEZNS1_24adjacent_difference_implIS3_Lb1ELb0EPfSB_N6thrust23THRUST_200600_302600_NS4plusIfEEEE10hipError_tPvRmT2_T3_mT4_P12ihipStream_tbEUlmE_fEESB_NS0_8identityIvEEEESG_SJ_SK_mSL_SN_bEUlT_E_NS1_11comp_targetILNS1_3genE10ELNS1_11target_archE1200ELNS1_3gpuE4ELNS1_3repE0EEENS1_30default_config_static_selectorELNS0_4arch9wavefront6targetE1EEEvT1_.private_seg_size, 0
	.set _ZN7rocprim17ROCPRIM_400000_NS6detail17trampoline_kernelINS0_14default_configENS1_25transform_config_selectorIfLb0EEEZNS1_14transform_implILb0ES3_S5_NS0_18transform_iteratorINS0_17counting_iteratorImlEEZNS1_24adjacent_difference_implIS3_Lb1ELb0EPfSB_N6thrust23THRUST_200600_302600_NS4plusIfEEEE10hipError_tPvRmT2_T3_mT4_P12ihipStream_tbEUlmE_fEESB_NS0_8identityIvEEEESG_SJ_SK_mSL_SN_bEUlT_E_NS1_11comp_targetILNS1_3genE10ELNS1_11target_archE1200ELNS1_3gpuE4ELNS1_3repE0EEENS1_30default_config_static_selectorELNS0_4arch9wavefront6targetE1EEEvT1_.uses_vcc, 0
	.set _ZN7rocprim17ROCPRIM_400000_NS6detail17trampoline_kernelINS0_14default_configENS1_25transform_config_selectorIfLb0EEEZNS1_14transform_implILb0ES3_S5_NS0_18transform_iteratorINS0_17counting_iteratorImlEEZNS1_24adjacent_difference_implIS3_Lb1ELb0EPfSB_N6thrust23THRUST_200600_302600_NS4plusIfEEEE10hipError_tPvRmT2_T3_mT4_P12ihipStream_tbEUlmE_fEESB_NS0_8identityIvEEEESG_SJ_SK_mSL_SN_bEUlT_E_NS1_11comp_targetILNS1_3genE10ELNS1_11target_archE1200ELNS1_3gpuE4ELNS1_3repE0EEENS1_30default_config_static_selectorELNS0_4arch9wavefront6targetE1EEEvT1_.uses_flat_scratch, 0
	.set _ZN7rocprim17ROCPRIM_400000_NS6detail17trampoline_kernelINS0_14default_configENS1_25transform_config_selectorIfLb0EEEZNS1_14transform_implILb0ES3_S5_NS0_18transform_iteratorINS0_17counting_iteratorImlEEZNS1_24adjacent_difference_implIS3_Lb1ELb0EPfSB_N6thrust23THRUST_200600_302600_NS4plusIfEEEE10hipError_tPvRmT2_T3_mT4_P12ihipStream_tbEUlmE_fEESB_NS0_8identityIvEEEESG_SJ_SK_mSL_SN_bEUlT_E_NS1_11comp_targetILNS1_3genE10ELNS1_11target_archE1200ELNS1_3gpuE4ELNS1_3repE0EEENS1_30default_config_static_selectorELNS0_4arch9wavefront6targetE1EEEvT1_.has_dyn_sized_stack, 0
	.set _ZN7rocprim17ROCPRIM_400000_NS6detail17trampoline_kernelINS0_14default_configENS1_25transform_config_selectorIfLb0EEEZNS1_14transform_implILb0ES3_S5_NS0_18transform_iteratorINS0_17counting_iteratorImlEEZNS1_24adjacent_difference_implIS3_Lb1ELb0EPfSB_N6thrust23THRUST_200600_302600_NS4plusIfEEEE10hipError_tPvRmT2_T3_mT4_P12ihipStream_tbEUlmE_fEESB_NS0_8identityIvEEEESG_SJ_SK_mSL_SN_bEUlT_E_NS1_11comp_targetILNS1_3genE10ELNS1_11target_archE1200ELNS1_3gpuE4ELNS1_3repE0EEENS1_30default_config_static_selectorELNS0_4arch9wavefront6targetE1EEEvT1_.has_recursion, 0
	.set _ZN7rocprim17ROCPRIM_400000_NS6detail17trampoline_kernelINS0_14default_configENS1_25transform_config_selectorIfLb0EEEZNS1_14transform_implILb0ES3_S5_NS0_18transform_iteratorINS0_17counting_iteratorImlEEZNS1_24adjacent_difference_implIS3_Lb1ELb0EPfSB_N6thrust23THRUST_200600_302600_NS4plusIfEEEE10hipError_tPvRmT2_T3_mT4_P12ihipStream_tbEUlmE_fEESB_NS0_8identityIvEEEESG_SJ_SK_mSL_SN_bEUlT_E_NS1_11comp_targetILNS1_3genE10ELNS1_11target_archE1200ELNS1_3gpuE4ELNS1_3repE0EEENS1_30default_config_static_selectorELNS0_4arch9wavefront6targetE1EEEvT1_.has_indirect_call, 0
	.section	.AMDGPU.csdata,"",@progbits
; Kernel info:
; codeLenInByte = 0
; TotalNumSgprs: 4
; NumVgprs: 0
; ScratchSize: 0
; MemoryBound: 0
; FloatMode: 240
; IeeeMode: 1
; LDSByteSize: 0 bytes/workgroup (compile time only)
; SGPRBlocks: 0
; VGPRBlocks: 0
; NumSGPRsForWavesPerEU: 4
; NumVGPRsForWavesPerEU: 1
; Occupancy: 10
; WaveLimiterHint : 0
; COMPUTE_PGM_RSRC2:SCRATCH_EN: 0
; COMPUTE_PGM_RSRC2:USER_SGPR: 6
; COMPUTE_PGM_RSRC2:TRAP_HANDLER: 0
; COMPUTE_PGM_RSRC2:TGID_X_EN: 1
; COMPUTE_PGM_RSRC2:TGID_Y_EN: 0
; COMPUTE_PGM_RSRC2:TGID_Z_EN: 0
; COMPUTE_PGM_RSRC2:TIDIG_COMP_CNT: 0
	.section	.text._ZN7rocprim17ROCPRIM_400000_NS6detail17trampoline_kernelINS0_14default_configENS1_25transform_config_selectorIfLb0EEEZNS1_14transform_implILb0ES3_S5_NS0_18transform_iteratorINS0_17counting_iteratorImlEEZNS1_24adjacent_difference_implIS3_Lb1ELb0EPfSB_N6thrust23THRUST_200600_302600_NS4plusIfEEEE10hipError_tPvRmT2_T3_mT4_P12ihipStream_tbEUlmE_fEESB_NS0_8identityIvEEEESG_SJ_SK_mSL_SN_bEUlT_E_NS1_11comp_targetILNS1_3genE9ELNS1_11target_archE1100ELNS1_3gpuE3ELNS1_3repE0EEENS1_30default_config_static_selectorELNS0_4arch9wavefront6targetE1EEEvT1_,"axG",@progbits,_ZN7rocprim17ROCPRIM_400000_NS6detail17trampoline_kernelINS0_14default_configENS1_25transform_config_selectorIfLb0EEEZNS1_14transform_implILb0ES3_S5_NS0_18transform_iteratorINS0_17counting_iteratorImlEEZNS1_24adjacent_difference_implIS3_Lb1ELb0EPfSB_N6thrust23THRUST_200600_302600_NS4plusIfEEEE10hipError_tPvRmT2_T3_mT4_P12ihipStream_tbEUlmE_fEESB_NS0_8identityIvEEEESG_SJ_SK_mSL_SN_bEUlT_E_NS1_11comp_targetILNS1_3genE9ELNS1_11target_archE1100ELNS1_3gpuE3ELNS1_3repE0EEENS1_30default_config_static_selectorELNS0_4arch9wavefront6targetE1EEEvT1_,comdat
	.protected	_ZN7rocprim17ROCPRIM_400000_NS6detail17trampoline_kernelINS0_14default_configENS1_25transform_config_selectorIfLb0EEEZNS1_14transform_implILb0ES3_S5_NS0_18transform_iteratorINS0_17counting_iteratorImlEEZNS1_24adjacent_difference_implIS3_Lb1ELb0EPfSB_N6thrust23THRUST_200600_302600_NS4plusIfEEEE10hipError_tPvRmT2_T3_mT4_P12ihipStream_tbEUlmE_fEESB_NS0_8identityIvEEEESG_SJ_SK_mSL_SN_bEUlT_E_NS1_11comp_targetILNS1_3genE9ELNS1_11target_archE1100ELNS1_3gpuE3ELNS1_3repE0EEENS1_30default_config_static_selectorELNS0_4arch9wavefront6targetE1EEEvT1_ ; -- Begin function _ZN7rocprim17ROCPRIM_400000_NS6detail17trampoline_kernelINS0_14default_configENS1_25transform_config_selectorIfLb0EEEZNS1_14transform_implILb0ES3_S5_NS0_18transform_iteratorINS0_17counting_iteratorImlEEZNS1_24adjacent_difference_implIS3_Lb1ELb0EPfSB_N6thrust23THRUST_200600_302600_NS4plusIfEEEE10hipError_tPvRmT2_T3_mT4_P12ihipStream_tbEUlmE_fEESB_NS0_8identityIvEEEESG_SJ_SK_mSL_SN_bEUlT_E_NS1_11comp_targetILNS1_3genE9ELNS1_11target_archE1100ELNS1_3gpuE3ELNS1_3repE0EEENS1_30default_config_static_selectorELNS0_4arch9wavefront6targetE1EEEvT1_
	.globl	_ZN7rocprim17ROCPRIM_400000_NS6detail17trampoline_kernelINS0_14default_configENS1_25transform_config_selectorIfLb0EEEZNS1_14transform_implILb0ES3_S5_NS0_18transform_iteratorINS0_17counting_iteratorImlEEZNS1_24adjacent_difference_implIS3_Lb1ELb0EPfSB_N6thrust23THRUST_200600_302600_NS4plusIfEEEE10hipError_tPvRmT2_T3_mT4_P12ihipStream_tbEUlmE_fEESB_NS0_8identityIvEEEESG_SJ_SK_mSL_SN_bEUlT_E_NS1_11comp_targetILNS1_3genE9ELNS1_11target_archE1100ELNS1_3gpuE3ELNS1_3repE0EEENS1_30default_config_static_selectorELNS0_4arch9wavefront6targetE1EEEvT1_
	.p2align	8
	.type	_ZN7rocprim17ROCPRIM_400000_NS6detail17trampoline_kernelINS0_14default_configENS1_25transform_config_selectorIfLb0EEEZNS1_14transform_implILb0ES3_S5_NS0_18transform_iteratorINS0_17counting_iteratorImlEEZNS1_24adjacent_difference_implIS3_Lb1ELb0EPfSB_N6thrust23THRUST_200600_302600_NS4plusIfEEEE10hipError_tPvRmT2_T3_mT4_P12ihipStream_tbEUlmE_fEESB_NS0_8identityIvEEEESG_SJ_SK_mSL_SN_bEUlT_E_NS1_11comp_targetILNS1_3genE9ELNS1_11target_archE1100ELNS1_3gpuE3ELNS1_3repE0EEENS1_30default_config_static_selectorELNS0_4arch9wavefront6targetE1EEEvT1_,@function
_ZN7rocprim17ROCPRIM_400000_NS6detail17trampoline_kernelINS0_14default_configENS1_25transform_config_selectorIfLb0EEEZNS1_14transform_implILb0ES3_S5_NS0_18transform_iteratorINS0_17counting_iteratorImlEEZNS1_24adjacent_difference_implIS3_Lb1ELb0EPfSB_N6thrust23THRUST_200600_302600_NS4plusIfEEEE10hipError_tPvRmT2_T3_mT4_P12ihipStream_tbEUlmE_fEESB_NS0_8identityIvEEEESG_SJ_SK_mSL_SN_bEUlT_E_NS1_11comp_targetILNS1_3genE9ELNS1_11target_archE1100ELNS1_3gpuE3ELNS1_3repE0EEENS1_30default_config_static_selectorELNS0_4arch9wavefront6targetE1EEEvT1_: ; @_ZN7rocprim17ROCPRIM_400000_NS6detail17trampoline_kernelINS0_14default_configENS1_25transform_config_selectorIfLb0EEEZNS1_14transform_implILb0ES3_S5_NS0_18transform_iteratorINS0_17counting_iteratorImlEEZNS1_24adjacent_difference_implIS3_Lb1ELb0EPfSB_N6thrust23THRUST_200600_302600_NS4plusIfEEEE10hipError_tPvRmT2_T3_mT4_P12ihipStream_tbEUlmE_fEESB_NS0_8identityIvEEEESG_SJ_SK_mSL_SN_bEUlT_E_NS1_11comp_targetILNS1_3genE9ELNS1_11target_archE1100ELNS1_3gpuE3ELNS1_3repE0EEENS1_30default_config_static_selectorELNS0_4arch9wavefront6targetE1EEEvT1_
; %bb.0:
	.section	.rodata,"a",@progbits
	.p2align	6, 0x0
	.amdhsa_kernel _ZN7rocprim17ROCPRIM_400000_NS6detail17trampoline_kernelINS0_14default_configENS1_25transform_config_selectorIfLb0EEEZNS1_14transform_implILb0ES3_S5_NS0_18transform_iteratorINS0_17counting_iteratorImlEEZNS1_24adjacent_difference_implIS3_Lb1ELb0EPfSB_N6thrust23THRUST_200600_302600_NS4plusIfEEEE10hipError_tPvRmT2_T3_mT4_P12ihipStream_tbEUlmE_fEESB_NS0_8identityIvEEEESG_SJ_SK_mSL_SN_bEUlT_E_NS1_11comp_targetILNS1_3genE9ELNS1_11target_archE1100ELNS1_3gpuE3ELNS1_3repE0EEENS1_30default_config_static_selectorELNS0_4arch9wavefront6targetE1EEEvT1_
		.amdhsa_group_segment_fixed_size 0
		.amdhsa_private_segment_fixed_size 0
		.amdhsa_kernarg_size 56
		.amdhsa_user_sgpr_count 6
		.amdhsa_user_sgpr_private_segment_buffer 1
		.amdhsa_user_sgpr_dispatch_ptr 0
		.amdhsa_user_sgpr_queue_ptr 0
		.amdhsa_user_sgpr_kernarg_segment_ptr 1
		.amdhsa_user_sgpr_dispatch_id 0
		.amdhsa_user_sgpr_flat_scratch_init 0
		.amdhsa_user_sgpr_private_segment_size 0
		.amdhsa_uses_dynamic_stack 0
		.amdhsa_system_sgpr_private_segment_wavefront_offset 0
		.amdhsa_system_sgpr_workgroup_id_x 1
		.amdhsa_system_sgpr_workgroup_id_y 0
		.amdhsa_system_sgpr_workgroup_id_z 0
		.amdhsa_system_sgpr_workgroup_info 0
		.amdhsa_system_vgpr_workitem_id 0
		.amdhsa_next_free_vgpr 1
		.amdhsa_next_free_sgpr 0
		.amdhsa_reserve_vcc 0
		.amdhsa_reserve_flat_scratch 0
		.amdhsa_float_round_mode_32 0
		.amdhsa_float_round_mode_16_64 0
		.amdhsa_float_denorm_mode_32 3
		.amdhsa_float_denorm_mode_16_64 3
		.amdhsa_dx10_clamp 1
		.amdhsa_ieee_mode 1
		.amdhsa_fp16_overflow 0
		.amdhsa_exception_fp_ieee_invalid_op 0
		.amdhsa_exception_fp_denorm_src 0
		.amdhsa_exception_fp_ieee_div_zero 0
		.amdhsa_exception_fp_ieee_overflow 0
		.amdhsa_exception_fp_ieee_underflow 0
		.amdhsa_exception_fp_ieee_inexact 0
		.amdhsa_exception_int_div_zero 0
	.end_amdhsa_kernel
	.section	.text._ZN7rocprim17ROCPRIM_400000_NS6detail17trampoline_kernelINS0_14default_configENS1_25transform_config_selectorIfLb0EEEZNS1_14transform_implILb0ES3_S5_NS0_18transform_iteratorINS0_17counting_iteratorImlEEZNS1_24adjacent_difference_implIS3_Lb1ELb0EPfSB_N6thrust23THRUST_200600_302600_NS4plusIfEEEE10hipError_tPvRmT2_T3_mT4_P12ihipStream_tbEUlmE_fEESB_NS0_8identityIvEEEESG_SJ_SK_mSL_SN_bEUlT_E_NS1_11comp_targetILNS1_3genE9ELNS1_11target_archE1100ELNS1_3gpuE3ELNS1_3repE0EEENS1_30default_config_static_selectorELNS0_4arch9wavefront6targetE1EEEvT1_,"axG",@progbits,_ZN7rocprim17ROCPRIM_400000_NS6detail17trampoline_kernelINS0_14default_configENS1_25transform_config_selectorIfLb0EEEZNS1_14transform_implILb0ES3_S5_NS0_18transform_iteratorINS0_17counting_iteratorImlEEZNS1_24adjacent_difference_implIS3_Lb1ELb0EPfSB_N6thrust23THRUST_200600_302600_NS4plusIfEEEE10hipError_tPvRmT2_T3_mT4_P12ihipStream_tbEUlmE_fEESB_NS0_8identityIvEEEESG_SJ_SK_mSL_SN_bEUlT_E_NS1_11comp_targetILNS1_3genE9ELNS1_11target_archE1100ELNS1_3gpuE3ELNS1_3repE0EEENS1_30default_config_static_selectorELNS0_4arch9wavefront6targetE1EEEvT1_,comdat
.Lfunc_end93:
	.size	_ZN7rocprim17ROCPRIM_400000_NS6detail17trampoline_kernelINS0_14default_configENS1_25transform_config_selectorIfLb0EEEZNS1_14transform_implILb0ES3_S5_NS0_18transform_iteratorINS0_17counting_iteratorImlEEZNS1_24adjacent_difference_implIS3_Lb1ELb0EPfSB_N6thrust23THRUST_200600_302600_NS4plusIfEEEE10hipError_tPvRmT2_T3_mT4_P12ihipStream_tbEUlmE_fEESB_NS0_8identityIvEEEESG_SJ_SK_mSL_SN_bEUlT_E_NS1_11comp_targetILNS1_3genE9ELNS1_11target_archE1100ELNS1_3gpuE3ELNS1_3repE0EEENS1_30default_config_static_selectorELNS0_4arch9wavefront6targetE1EEEvT1_, .Lfunc_end93-_ZN7rocprim17ROCPRIM_400000_NS6detail17trampoline_kernelINS0_14default_configENS1_25transform_config_selectorIfLb0EEEZNS1_14transform_implILb0ES3_S5_NS0_18transform_iteratorINS0_17counting_iteratorImlEEZNS1_24adjacent_difference_implIS3_Lb1ELb0EPfSB_N6thrust23THRUST_200600_302600_NS4plusIfEEEE10hipError_tPvRmT2_T3_mT4_P12ihipStream_tbEUlmE_fEESB_NS0_8identityIvEEEESG_SJ_SK_mSL_SN_bEUlT_E_NS1_11comp_targetILNS1_3genE9ELNS1_11target_archE1100ELNS1_3gpuE3ELNS1_3repE0EEENS1_30default_config_static_selectorELNS0_4arch9wavefront6targetE1EEEvT1_
                                        ; -- End function
	.set _ZN7rocprim17ROCPRIM_400000_NS6detail17trampoline_kernelINS0_14default_configENS1_25transform_config_selectorIfLb0EEEZNS1_14transform_implILb0ES3_S5_NS0_18transform_iteratorINS0_17counting_iteratorImlEEZNS1_24adjacent_difference_implIS3_Lb1ELb0EPfSB_N6thrust23THRUST_200600_302600_NS4plusIfEEEE10hipError_tPvRmT2_T3_mT4_P12ihipStream_tbEUlmE_fEESB_NS0_8identityIvEEEESG_SJ_SK_mSL_SN_bEUlT_E_NS1_11comp_targetILNS1_3genE9ELNS1_11target_archE1100ELNS1_3gpuE3ELNS1_3repE0EEENS1_30default_config_static_selectorELNS0_4arch9wavefront6targetE1EEEvT1_.num_vgpr, 0
	.set _ZN7rocprim17ROCPRIM_400000_NS6detail17trampoline_kernelINS0_14default_configENS1_25transform_config_selectorIfLb0EEEZNS1_14transform_implILb0ES3_S5_NS0_18transform_iteratorINS0_17counting_iteratorImlEEZNS1_24adjacent_difference_implIS3_Lb1ELb0EPfSB_N6thrust23THRUST_200600_302600_NS4plusIfEEEE10hipError_tPvRmT2_T3_mT4_P12ihipStream_tbEUlmE_fEESB_NS0_8identityIvEEEESG_SJ_SK_mSL_SN_bEUlT_E_NS1_11comp_targetILNS1_3genE9ELNS1_11target_archE1100ELNS1_3gpuE3ELNS1_3repE0EEENS1_30default_config_static_selectorELNS0_4arch9wavefront6targetE1EEEvT1_.num_agpr, 0
	.set _ZN7rocprim17ROCPRIM_400000_NS6detail17trampoline_kernelINS0_14default_configENS1_25transform_config_selectorIfLb0EEEZNS1_14transform_implILb0ES3_S5_NS0_18transform_iteratorINS0_17counting_iteratorImlEEZNS1_24adjacent_difference_implIS3_Lb1ELb0EPfSB_N6thrust23THRUST_200600_302600_NS4plusIfEEEE10hipError_tPvRmT2_T3_mT4_P12ihipStream_tbEUlmE_fEESB_NS0_8identityIvEEEESG_SJ_SK_mSL_SN_bEUlT_E_NS1_11comp_targetILNS1_3genE9ELNS1_11target_archE1100ELNS1_3gpuE3ELNS1_3repE0EEENS1_30default_config_static_selectorELNS0_4arch9wavefront6targetE1EEEvT1_.numbered_sgpr, 0
	.set _ZN7rocprim17ROCPRIM_400000_NS6detail17trampoline_kernelINS0_14default_configENS1_25transform_config_selectorIfLb0EEEZNS1_14transform_implILb0ES3_S5_NS0_18transform_iteratorINS0_17counting_iteratorImlEEZNS1_24adjacent_difference_implIS3_Lb1ELb0EPfSB_N6thrust23THRUST_200600_302600_NS4plusIfEEEE10hipError_tPvRmT2_T3_mT4_P12ihipStream_tbEUlmE_fEESB_NS0_8identityIvEEEESG_SJ_SK_mSL_SN_bEUlT_E_NS1_11comp_targetILNS1_3genE9ELNS1_11target_archE1100ELNS1_3gpuE3ELNS1_3repE0EEENS1_30default_config_static_selectorELNS0_4arch9wavefront6targetE1EEEvT1_.num_named_barrier, 0
	.set _ZN7rocprim17ROCPRIM_400000_NS6detail17trampoline_kernelINS0_14default_configENS1_25transform_config_selectorIfLb0EEEZNS1_14transform_implILb0ES3_S5_NS0_18transform_iteratorINS0_17counting_iteratorImlEEZNS1_24adjacent_difference_implIS3_Lb1ELb0EPfSB_N6thrust23THRUST_200600_302600_NS4plusIfEEEE10hipError_tPvRmT2_T3_mT4_P12ihipStream_tbEUlmE_fEESB_NS0_8identityIvEEEESG_SJ_SK_mSL_SN_bEUlT_E_NS1_11comp_targetILNS1_3genE9ELNS1_11target_archE1100ELNS1_3gpuE3ELNS1_3repE0EEENS1_30default_config_static_selectorELNS0_4arch9wavefront6targetE1EEEvT1_.private_seg_size, 0
	.set _ZN7rocprim17ROCPRIM_400000_NS6detail17trampoline_kernelINS0_14default_configENS1_25transform_config_selectorIfLb0EEEZNS1_14transform_implILb0ES3_S5_NS0_18transform_iteratorINS0_17counting_iteratorImlEEZNS1_24adjacent_difference_implIS3_Lb1ELb0EPfSB_N6thrust23THRUST_200600_302600_NS4plusIfEEEE10hipError_tPvRmT2_T3_mT4_P12ihipStream_tbEUlmE_fEESB_NS0_8identityIvEEEESG_SJ_SK_mSL_SN_bEUlT_E_NS1_11comp_targetILNS1_3genE9ELNS1_11target_archE1100ELNS1_3gpuE3ELNS1_3repE0EEENS1_30default_config_static_selectorELNS0_4arch9wavefront6targetE1EEEvT1_.uses_vcc, 0
	.set _ZN7rocprim17ROCPRIM_400000_NS6detail17trampoline_kernelINS0_14default_configENS1_25transform_config_selectorIfLb0EEEZNS1_14transform_implILb0ES3_S5_NS0_18transform_iteratorINS0_17counting_iteratorImlEEZNS1_24adjacent_difference_implIS3_Lb1ELb0EPfSB_N6thrust23THRUST_200600_302600_NS4plusIfEEEE10hipError_tPvRmT2_T3_mT4_P12ihipStream_tbEUlmE_fEESB_NS0_8identityIvEEEESG_SJ_SK_mSL_SN_bEUlT_E_NS1_11comp_targetILNS1_3genE9ELNS1_11target_archE1100ELNS1_3gpuE3ELNS1_3repE0EEENS1_30default_config_static_selectorELNS0_4arch9wavefront6targetE1EEEvT1_.uses_flat_scratch, 0
	.set _ZN7rocprim17ROCPRIM_400000_NS6detail17trampoline_kernelINS0_14default_configENS1_25transform_config_selectorIfLb0EEEZNS1_14transform_implILb0ES3_S5_NS0_18transform_iteratorINS0_17counting_iteratorImlEEZNS1_24adjacent_difference_implIS3_Lb1ELb0EPfSB_N6thrust23THRUST_200600_302600_NS4plusIfEEEE10hipError_tPvRmT2_T3_mT4_P12ihipStream_tbEUlmE_fEESB_NS0_8identityIvEEEESG_SJ_SK_mSL_SN_bEUlT_E_NS1_11comp_targetILNS1_3genE9ELNS1_11target_archE1100ELNS1_3gpuE3ELNS1_3repE0EEENS1_30default_config_static_selectorELNS0_4arch9wavefront6targetE1EEEvT1_.has_dyn_sized_stack, 0
	.set _ZN7rocprim17ROCPRIM_400000_NS6detail17trampoline_kernelINS0_14default_configENS1_25transform_config_selectorIfLb0EEEZNS1_14transform_implILb0ES3_S5_NS0_18transform_iteratorINS0_17counting_iteratorImlEEZNS1_24adjacent_difference_implIS3_Lb1ELb0EPfSB_N6thrust23THRUST_200600_302600_NS4plusIfEEEE10hipError_tPvRmT2_T3_mT4_P12ihipStream_tbEUlmE_fEESB_NS0_8identityIvEEEESG_SJ_SK_mSL_SN_bEUlT_E_NS1_11comp_targetILNS1_3genE9ELNS1_11target_archE1100ELNS1_3gpuE3ELNS1_3repE0EEENS1_30default_config_static_selectorELNS0_4arch9wavefront6targetE1EEEvT1_.has_recursion, 0
	.set _ZN7rocprim17ROCPRIM_400000_NS6detail17trampoline_kernelINS0_14default_configENS1_25transform_config_selectorIfLb0EEEZNS1_14transform_implILb0ES3_S5_NS0_18transform_iteratorINS0_17counting_iteratorImlEEZNS1_24adjacent_difference_implIS3_Lb1ELb0EPfSB_N6thrust23THRUST_200600_302600_NS4plusIfEEEE10hipError_tPvRmT2_T3_mT4_P12ihipStream_tbEUlmE_fEESB_NS0_8identityIvEEEESG_SJ_SK_mSL_SN_bEUlT_E_NS1_11comp_targetILNS1_3genE9ELNS1_11target_archE1100ELNS1_3gpuE3ELNS1_3repE0EEENS1_30default_config_static_selectorELNS0_4arch9wavefront6targetE1EEEvT1_.has_indirect_call, 0
	.section	.AMDGPU.csdata,"",@progbits
; Kernel info:
; codeLenInByte = 0
; TotalNumSgprs: 4
; NumVgprs: 0
; ScratchSize: 0
; MemoryBound: 0
; FloatMode: 240
; IeeeMode: 1
; LDSByteSize: 0 bytes/workgroup (compile time only)
; SGPRBlocks: 0
; VGPRBlocks: 0
; NumSGPRsForWavesPerEU: 4
; NumVGPRsForWavesPerEU: 1
; Occupancy: 10
; WaveLimiterHint : 0
; COMPUTE_PGM_RSRC2:SCRATCH_EN: 0
; COMPUTE_PGM_RSRC2:USER_SGPR: 6
; COMPUTE_PGM_RSRC2:TRAP_HANDLER: 0
; COMPUTE_PGM_RSRC2:TGID_X_EN: 1
; COMPUTE_PGM_RSRC2:TGID_Y_EN: 0
; COMPUTE_PGM_RSRC2:TGID_Z_EN: 0
; COMPUTE_PGM_RSRC2:TIDIG_COMP_CNT: 0
	.section	.text._ZN7rocprim17ROCPRIM_400000_NS6detail17trampoline_kernelINS0_14default_configENS1_25transform_config_selectorIfLb0EEEZNS1_14transform_implILb0ES3_S5_NS0_18transform_iteratorINS0_17counting_iteratorImlEEZNS1_24adjacent_difference_implIS3_Lb1ELb0EPfSB_N6thrust23THRUST_200600_302600_NS4plusIfEEEE10hipError_tPvRmT2_T3_mT4_P12ihipStream_tbEUlmE_fEESB_NS0_8identityIvEEEESG_SJ_SK_mSL_SN_bEUlT_E_NS1_11comp_targetILNS1_3genE8ELNS1_11target_archE1030ELNS1_3gpuE2ELNS1_3repE0EEENS1_30default_config_static_selectorELNS0_4arch9wavefront6targetE1EEEvT1_,"axG",@progbits,_ZN7rocprim17ROCPRIM_400000_NS6detail17trampoline_kernelINS0_14default_configENS1_25transform_config_selectorIfLb0EEEZNS1_14transform_implILb0ES3_S5_NS0_18transform_iteratorINS0_17counting_iteratorImlEEZNS1_24adjacent_difference_implIS3_Lb1ELb0EPfSB_N6thrust23THRUST_200600_302600_NS4plusIfEEEE10hipError_tPvRmT2_T3_mT4_P12ihipStream_tbEUlmE_fEESB_NS0_8identityIvEEEESG_SJ_SK_mSL_SN_bEUlT_E_NS1_11comp_targetILNS1_3genE8ELNS1_11target_archE1030ELNS1_3gpuE2ELNS1_3repE0EEENS1_30default_config_static_selectorELNS0_4arch9wavefront6targetE1EEEvT1_,comdat
	.protected	_ZN7rocprim17ROCPRIM_400000_NS6detail17trampoline_kernelINS0_14default_configENS1_25transform_config_selectorIfLb0EEEZNS1_14transform_implILb0ES3_S5_NS0_18transform_iteratorINS0_17counting_iteratorImlEEZNS1_24adjacent_difference_implIS3_Lb1ELb0EPfSB_N6thrust23THRUST_200600_302600_NS4plusIfEEEE10hipError_tPvRmT2_T3_mT4_P12ihipStream_tbEUlmE_fEESB_NS0_8identityIvEEEESG_SJ_SK_mSL_SN_bEUlT_E_NS1_11comp_targetILNS1_3genE8ELNS1_11target_archE1030ELNS1_3gpuE2ELNS1_3repE0EEENS1_30default_config_static_selectorELNS0_4arch9wavefront6targetE1EEEvT1_ ; -- Begin function _ZN7rocprim17ROCPRIM_400000_NS6detail17trampoline_kernelINS0_14default_configENS1_25transform_config_selectorIfLb0EEEZNS1_14transform_implILb0ES3_S5_NS0_18transform_iteratorINS0_17counting_iteratorImlEEZNS1_24adjacent_difference_implIS3_Lb1ELb0EPfSB_N6thrust23THRUST_200600_302600_NS4plusIfEEEE10hipError_tPvRmT2_T3_mT4_P12ihipStream_tbEUlmE_fEESB_NS0_8identityIvEEEESG_SJ_SK_mSL_SN_bEUlT_E_NS1_11comp_targetILNS1_3genE8ELNS1_11target_archE1030ELNS1_3gpuE2ELNS1_3repE0EEENS1_30default_config_static_selectorELNS0_4arch9wavefront6targetE1EEEvT1_
	.globl	_ZN7rocprim17ROCPRIM_400000_NS6detail17trampoline_kernelINS0_14default_configENS1_25transform_config_selectorIfLb0EEEZNS1_14transform_implILb0ES3_S5_NS0_18transform_iteratorINS0_17counting_iteratorImlEEZNS1_24adjacent_difference_implIS3_Lb1ELb0EPfSB_N6thrust23THRUST_200600_302600_NS4plusIfEEEE10hipError_tPvRmT2_T3_mT4_P12ihipStream_tbEUlmE_fEESB_NS0_8identityIvEEEESG_SJ_SK_mSL_SN_bEUlT_E_NS1_11comp_targetILNS1_3genE8ELNS1_11target_archE1030ELNS1_3gpuE2ELNS1_3repE0EEENS1_30default_config_static_selectorELNS0_4arch9wavefront6targetE1EEEvT1_
	.p2align	8
	.type	_ZN7rocprim17ROCPRIM_400000_NS6detail17trampoline_kernelINS0_14default_configENS1_25transform_config_selectorIfLb0EEEZNS1_14transform_implILb0ES3_S5_NS0_18transform_iteratorINS0_17counting_iteratorImlEEZNS1_24adjacent_difference_implIS3_Lb1ELb0EPfSB_N6thrust23THRUST_200600_302600_NS4plusIfEEEE10hipError_tPvRmT2_T3_mT4_P12ihipStream_tbEUlmE_fEESB_NS0_8identityIvEEEESG_SJ_SK_mSL_SN_bEUlT_E_NS1_11comp_targetILNS1_3genE8ELNS1_11target_archE1030ELNS1_3gpuE2ELNS1_3repE0EEENS1_30default_config_static_selectorELNS0_4arch9wavefront6targetE1EEEvT1_,@function
_ZN7rocprim17ROCPRIM_400000_NS6detail17trampoline_kernelINS0_14default_configENS1_25transform_config_selectorIfLb0EEEZNS1_14transform_implILb0ES3_S5_NS0_18transform_iteratorINS0_17counting_iteratorImlEEZNS1_24adjacent_difference_implIS3_Lb1ELb0EPfSB_N6thrust23THRUST_200600_302600_NS4plusIfEEEE10hipError_tPvRmT2_T3_mT4_P12ihipStream_tbEUlmE_fEESB_NS0_8identityIvEEEESG_SJ_SK_mSL_SN_bEUlT_E_NS1_11comp_targetILNS1_3genE8ELNS1_11target_archE1030ELNS1_3gpuE2ELNS1_3repE0EEENS1_30default_config_static_selectorELNS0_4arch9wavefront6targetE1EEEvT1_: ; @_ZN7rocprim17ROCPRIM_400000_NS6detail17trampoline_kernelINS0_14default_configENS1_25transform_config_selectorIfLb0EEEZNS1_14transform_implILb0ES3_S5_NS0_18transform_iteratorINS0_17counting_iteratorImlEEZNS1_24adjacent_difference_implIS3_Lb1ELb0EPfSB_N6thrust23THRUST_200600_302600_NS4plusIfEEEE10hipError_tPvRmT2_T3_mT4_P12ihipStream_tbEUlmE_fEESB_NS0_8identityIvEEEESG_SJ_SK_mSL_SN_bEUlT_E_NS1_11comp_targetILNS1_3genE8ELNS1_11target_archE1030ELNS1_3gpuE2ELNS1_3repE0EEENS1_30default_config_static_selectorELNS0_4arch9wavefront6targetE1EEEvT1_
; %bb.0:
	.section	.rodata,"a",@progbits
	.p2align	6, 0x0
	.amdhsa_kernel _ZN7rocprim17ROCPRIM_400000_NS6detail17trampoline_kernelINS0_14default_configENS1_25transform_config_selectorIfLb0EEEZNS1_14transform_implILb0ES3_S5_NS0_18transform_iteratorINS0_17counting_iteratorImlEEZNS1_24adjacent_difference_implIS3_Lb1ELb0EPfSB_N6thrust23THRUST_200600_302600_NS4plusIfEEEE10hipError_tPvRmT2_T3_mT4_P12ihipStream_tbEUlmE_fEESB_NS0_8identityIvEEEESG_SJ_SK_mSL_SN_bEUlT_E_NS1_11comp_targetILNS1_3genE8ELNS1_11target_archE1030ELNS1_3gpuE2ELNS1_3repE0EEENS1_30default_config_static_selectorELNS0_4arch9wavefront6targetE1EEEvT1_
		.amdhsa_group_segment_fixed_size 0
		.amdhsa_private_segment_fixed_size 0
		.amdhsa_kernarg_size 56
		.amdhsa_user_sgpr_count 6
		.amdhsa_user_sgpr_private_segment_buffer 1
		.amdhsa_user_sgpr_dispatch_ptr 0
		.amdhsa_user_sgpr_queue_ptr 0
		.amdhsa_user_sgpr_kernarg_segment_ptr 1
		.amdhsa_user_sgpr_dispatch_id 0
		.amdhsa_user_sgpr_flat_scratch_init 0
		.amdhsa_user_sgpr_private_segment_size 0
		.amdhsa_uses_dynamic_stack 0
		.amdhsa_system_sgpr_private_segment_wavefront_offset 0
		.amdhsa_system_sgpr_workgroup_id_x 1
		.amdhsa_system_sgpr_workgroup_id_y 0
		.amdhsa_system_sgpr_workgroup_id_z 0
		.amdhsa_system_sgpr_workgroup_info 0
		.amdhsa_system_vgpr_workitem_id 0
		.amdhsa_next_free_vgpr 1
		.amdhsa_next_free_sgpr 0
		.amdhsa_reserve_vcc 0
		.amdhsa_reserve_flat_scratch 0
		.amdhsa_float_round_mode_32 0
		.amdhsa_float_round_mode_16_64 0
		.amdhsa_float_denorm_mode_32 3
		.amdhsa_float_denorm_mode_16_64 3
		.amdhsa_dx10_clamp 1
		.amdhsa_ieee_mode 1
		.amdhsa_fp16_overflow 0
		.amdhsa_exception_fp_ieee_invalid_op 0
		.amdhsa_exception_fp_denorm_src 0
		.amdhsa_exception_fp_ieee_div_zero 0
		.amdhsa_exception_fp_ieee_overflow 0
		.amdhsa_exception_fp_ieee_underflow 0
		.amdhsa_exception_fp_ieee_inexact 0
		.amdhsa_exception_int_div_zero 0
	.end_amdhsa_kernel
	.section	.text._ZN7rocprim17ROCPRIM_400000_NS6detail17trampoline_kernelINS0_14default_configENS1_25transform_config_selectorIfLb0EEEZNS1_14transform_implILb0ES3_S5_NS0_18transform_iteratorINS0_17counting_iteratorImlEEZNS1_24adjacent_difference_implIS3_Lb1ELb0EPfSB_N6thrust23THRUST_200600_302600_NS4plusIfEEEE10hipError_tPvRmT2_T3_mT4_P12ihipStream_tbEUlmE_fEESB_NS0_8identityIvEEEESG_SJ_SK_mSL_SN_bEUlT_E_NS1_11comp_targetILNS1_3genE8ELNS1_11target_archE1030ELNS1_3gpuE2ELNS1_3repE0EEENS1_30default_config_static_selectorELNS0_4arch9wavefront6targetE1EEEvT1_,"axG",@progbits,_ZN7rocprim17ROCPRIM_400000_NS6detail17trampoline_kernelINS0_14default_configENS1_25transform_config_selectorIfLb0EEEZNS1_14transform_implILb0ES3_S5_NS0_18transform_iteratorINS0_17counting_iteratorImlEEZNS1_24adjacent_difference_implIS3_Lb1ELb0EPfSB_N6thrust23THRUST_200600_302600_NS4plusIfEEEE10hipError_tPvRmT2_T3_mT4_P12ihipStream_tbEUlmE_fEESB_NS0_8identityIvEEEESG_SJ_SK_mSL_SN_bEUlT_E_NS1_11comp_targetILNS1_3genE8ELNS1_11target_archE1030ELNS1_3gpuE2ELNS1_3repE0EEENS1_30default_config_static_selectorELNS0_4arch9wavefront6targetE1EEEvT1_,comdat
.Lfunc_end94:
	.size	_ZN7rocprim17ROCPRIM_400000_NS6detail17trampoline_kernelINS0_14default_configENS1_25transform_config_selectorIfLb0EEEZNS1_14transform_implILb0ES3_S5_NS0_18transform_iteratorINS0_17counting_iteratorImlEEZNS1_24adjacent_difference_implIS3_Lb1ELb0EPfSB_N6thrust23THRUST_200600_302600_NS4plusIfEEEE10hipError_tPvRmT2_T3_mT4_P12ihipStream_tbEUlmE_fEESB_NS0_8identityIvEEEESG_SJ_SK_mSL_SN_bEUlT_E_NS1_11comp_targetILNS1_3genE8ELNS1_11target_archE1030ELNS1_3gpuE2ELNS1_3repE0EEENS1_30default_config_static_selectorELNS0_4arch9wavefront6targetE1EEEvT1_, .Lfunc_end94-_ZN7rocprim17ROCPRIM_400000_NS6detail17trampoline_kernelINS0_14default_configENS1_25transform_config_selectorIfLb0EEEZNS1_14transform_implILb0ES3_S5_NS0_18transform_iteratorINS0_17counting_iteratorImlEEZNS1_24adjacent_difference_implIS3_Lb1ELb0EPfSB_N6thrust23THRUST_200600_302600_NS4plusIfEEEE10hipError_tPvRmT2_T3_mT4_P12ihipStream_tbEUlmE_fEESB_NS0_8identityIvEEEESG_SJ_SK_mSL_SN_bEUlT_E_NS1_11comp_targetILNS1_3genE8ELNS1_11target_archE1030ELNS1_3gpuE2ELNS1_3repE0EEENS1_30default_config_static_selectorELNS0_4arch9wavefront6targetE1EEEvT1_
                                        ; -- End function
	.set _ZN7rocprim17ROCPRIM_400000_NS6detail17trampoline_kernelINS0_14default_configENS1_25transform_config_selectorIfLb0EEEZNS1_14transform_implILb0ES3_S5_NS0_18transform_iteratorINS0_17counting_iteratorImlEEZNS1_24adjacent_difference_implIS3_Lb1ELb0EPfSB_N6thrust23THRUST_200600_302600_NS4plusIfEEEE10hipError_tPvRmT2_T3_mT4_P12ihipStream_tbEUlmE_fEESB_NS0_8identityIvEEEESG_SJ_SK_mSL_SN_bEUlT_E_NS1_11comp_targetILNS1_3genE8ELNS1_11target_archE1030ELNS1_3gpuE2ELNS1_3repE0EEENS1_30default_config_static_selectorELNS0_4arch9wavefront6targetE1EEEvT1_.num_vgpr, 0
	.set _ZN7rocprim17ROCPRIM_400000_NS6detail17trampoline_kernelINS0_14default_configENS1_25transform_config_selectorIfLb0EEEZNS1_14transform_implILb0ES3_S5_NS0_18transform_iteratorINS0_17counting_iteratorImlEEZNS1_24adjacent_difference_implIS3_Lb1ELb0EPfSB_N6thrust23THRUST_200600_302600_NS4plusIfEEEE10hipError_tPvRmT2_T3_mT4_P12ihipStream_tbEUlmE_fEESB_NS0_8identityIvEEEESG_SJ_SK_mSL_SN_bEUlT_E_NS1_11comp_targetILNS1_3genE8ELNS1_11target_archE1030ELNS1_3gpuE2ELNS1_3repE0EEENS1_30default_config_static_selectorELNS0_4arch9wavefront6targetE1EEEvT1_.num_agpr, 0
	.set _ZN7rocprim17ROCPRIM_400000_NS6detail17trampoline_kernelINS0_14default_configENS1_25transform_config_selectorIfLb0EEEZNS1_14transform_implILb0ES3_S5_NS0_18transform_iteratorINS0_17counting_iteratorImlEEZNS1_24adjacent_difference_implIS3_Lb1ELb0EPfSB_N6thrust23THRUST_200600_302600_NS4plusIfEEEE10hipError_tPvRmT2_T3_mT4_P12ihipStream_tbEUlmE_fEESB_NS0_8identityIvEEEESG_SJ_SK_mSL_SN_bEUlT_E_NS1_11comp_targetILNS1_3genE8ELNS1_11target_archE1030ELNS1_3gpuE2ELNS1_3repE0EEENS1_30default_config_static_selectorELNS0_4arch9wavefront6targetE1EEEvT1_.numbered_sgpr, 0
	.set _ZN7rocprim17ROCPRIM_400000_NS6detail17trampoline_kernelINS0_14default_configENS1_25transform_config_selectorIfLb0EEEZNS1_14transform_implILb0ES3_S5_NS0_18transform_iteratorINS0_17counting_iteratorImlEEZNS1_24adjacent_difference_implIS3_Lb1ELb0EPfSB_N6thrust23THRUST_200600_302600_NS4plusIfEEEE10hipError_tPvRmT2_T3_mT4_P12ihipStream_tbEUlmE_fEESB_NS0_8identityIvEEEESG_SJ_SK_mSL_SN_bEUlT_E_NS1_11comp_targetILNS1_3genE8ELNS1_11target_archE1030ELNS1_3gpuE2ELNS1_3repE0EEENS1_30default_config_static_selectorELNS0_4arch9wavefront6targetE1EEEvT1_.num_named_barrier, 0
	.set _ZN7rocprim17ROCPRIM_400000_NS6detail17trampoline_kernelINS0_14default_configENS1_25transform_config_selectorIfLb0EEEZNS1_14transform_implILb0ES3_S5_NS0_18transform_iteratorINS0_17counting_iteratorImlEEZNS1_24adjacent_difference_implIS3_Lb1ELb0EPfSB_N6thrust23THRUST_200600_302600_NS4plusIfEEEE10hipError_tPvRmT2_T3_mT4_P12ihipStream_tbEUlmE_fEESB_NS0_8identityIvEEEESG_SJ_SK_mSL_SN_bEUlT_E_NS1_11comp_targetILNS1_3genE8ELNS1_11target_archE1030ELNS1_3gpuE2ELNS1_3repE0EEENS1_30default_config_static_selectorELNS0_4arch9wavefront6targetE1EEEvT1_.private_seg_size, 0
	.set _ZN7rocprim17ROCPRIM_400000_NS6detail17trampoline_kernelINS0_14default_configENS1_25transform_config_selectorIfLb0EEEZNS1_14transform_implILb0ES3_S5_NS0_18transform_iteratorINS0_17counting_iteratorImlEEZNS1_24adjacent_difference_implIS3_Lb1ELb0EPfSB_N6thrust23THRUST_200600_302600_NS4plusIfEEEE10hipError_tPvRmT2_T3_mT4_P12ihipStream_tbEUlmE_fEESB_NS0_8identityIvEEEESG_SJ_SK_mSL_SN_bEUlT_E_NS1_11comp_targetILNS1_3genE8ELNS1_11target_archE1030ELNS1_3gpuE2ELNS1_3repE0EEENS1_30default_config_static_selectorELNS0_4arch9wavefront6targetE1EEEvT1_.uses_vcc, 0
	.set _ZN7rocprim17ROCPRIM_400000_NS6detail17trampoline_kernelINS0_14default_configENS1_25transform_config_selectorIfLb0EEEZNS1_14transform_implILb0ES3_S5_NS0_18transform_iteratorINS0_17counting_iteratorImlEEZNS1_24adjacent_difference_implIS3_Lb1ELb0EPfSB_N6thrust23THRUST_200600_302600_NS4plusIfEEEE10hipError_tPvRmT2_T3_mT4_P12ihipStream_tbEUlmE_fEESB_NS0_8identityIvEEEESG_SJ_SK_mSL_SN_bEUlT_E_NS1_11comp_targetILNS1_3genE8ELNS1_11target_archE1030ELNS1_3gpuE2ELNS1_3repE0EEENS1_30default_config_static_selectorELNS0_4arch9wavefront6targetE1EEEvT1_.uses_flat_scratch, 0
	.set _ZN7rocprim17ROCPRIM_400000_NS6detail17trampoline_kernelINS0_14default_configENS1_25transform_config_selectorIfLb0EEEZNS1_14transform_implILb0ES3_S5_NS0_18transform_iteratorINS0_17counting_iteratorImlEEZNS1_24adjacent_difference_implIS3_Lb1ELb0EPfSB_N6thrust23THRUST_200600_302600_NS4plusIfEEEE10hipError_tPvRmT2_T3_mT4_P12ihipStream_tbEUlmE_fEESB_NS0_8identityIvEEEESG_SJ_SK_mSL_SN_bEUlT_E_NS1_11comp_targetILNS1_3genE8ELNS1_11target_archE1030ELNS1_3gpuE2ELNS1_3repE0EEENS1_30default_config_static_selectorELNS0_4arch9wavefront6targetE1EEEvT1_.has_dyn_sized_stack, 0
	.set _ZN7rocprim17ROCPRIM_400000_NS6detail17trampoline_kernelINS0_14default_configENS1_25transform_config_selectorIfLb0EEEZNS1_14transform_implILb0ES3_S5_NS0_18transform_iteratorINS0_17counting_iteratorImlEEZNS1_24adjacent_difference_implIS3_Lb1ELb0EPfSB_N6thrust23THRUST_200600_302600_NS4plusIfEEEE10hipError_tPvRmT2_T3_mT4_P12ihipStream_tbEUlmE_fEESB_NS0_8identityIvEEEESG_SJ_SK_mSL_SN_bEUlT_E_NS1_11comp_targetILNS1_3genE8ELNS1_11target_archE1030ELNS1_3gpuE2ELNS1_3repE0EEENS1_30default_config_static_selectorELNS0_4arch9wavefront6targetE1EEEvT1_.has_recursion, 0
	.set _ZN7rocprim17ROCPRIM_400000_NS6detail17trampoline_kernelINS0_14default_configENS1_25transform_config_selectorIfLb0EEEZNS1_14transform_implILb0ES3_S5_NS0_18transform_iteratorINS0_17counting_iteratorImlEEZNS1_24adjacent_difference_implIS3_Lb1ELb0EPfSB_N6thrust23THRUST_200600_302600_NS4plusIfEEEE10hipError_tPvRmT2_T3_mT4_P12ihipStream_tbEUlmE_fEESB_NS0_8identityIvEEEESG_SJ_SK_mSL_SN_bEUlT_E_NS1_11comp_targetILNS1_3genE8ELNS1_11target_archE1030ELNS1_3gpuE2ELNS1_3repE0EEENS1_30default_config_static_selectorELNS0_4arch9wavefront6targetE1EEEvT1_.has_indirect_call, 0
	.section	.AMDGPU.csdata,"",@progbits
; Kernel info:
; codeLenInByte = 0
; TotalNumSgprs: 4
; NumVgprs: 0
; ScratchSize: 0
; MemoryBound: 0
; FloatMode: 240
; IeeeMode: 1
; LDSByteSize: 0 bytes/workgroup (compile time only)
; SGPRBlocks: 0
; VGPRBlocks: 0
; NumSGPRsForWavesPerEU: 4
; NumVGPRsForWavesPerEU: 1
; Occupancy: 10
; WaveLimiterHint : 0
; COMPUTE_PGM_RSRC2:SCRATCH_EN: 0
; COMPUTE_PGM_RSRC2:USER_SGPR: 6
; COMPUTE_PGM_RSRC2:TRAP_HANDLER: 0
; COMPUTE_PGM_RSRC2:TGID_X_EN: 1
; COMPUTE_PGM_RSRC2:TGID_Y_EN: 0
; COMPUTE_PGM_RSRC2:TGID_Z_EN: 0
; COMPUTE_PGM_RSRC2:TIDIG_COMP_CNT: 0
	.section	.text._ZN7rocprim17ROCPRIM_400000_NS6detail17trampoline_kernelINS0_14default_configENS1_35adjacent_difference_config_selectorILb1EfEEZNS1_24adjacent_difference_implIS3_Lb1ELb0EPfS7_N6thrust23THRUST_200600_302600_NS4plusIfEEEE10hipError_tPvRmT2_T3_mT4_P12ihipStream_tbEUlT_E_NS1_11comp_targetILNS1_3genE0ELNS1_11target_archE4294967295ELNS1_3gpuE0ELNS1_3repE0EEENS1_30default_config_static_selectorELNS0_4arch9wavefront6targetE1EEEvT1_,"axG",@progbits,_ZN7rocprim17ROCPRIM_400000_NS6detail17trampoline_kernelINS0_14default_configENS1_35adjacent_difference_config_selectorILb1EfEEZNS1_24adjacent_difference_implIS3_Lb1ELb0EPfS7_N6thrust23THRUST_200600_302600_NS4plusIfEEEE10hipError_tPvRmT2_T3_mT4_P12ihipStream_tbEUlT_E_NS1_11comp_targetILNS1_3genE0ELNS1_11target_archE4294967295ELNS1_3gpuE0ELNS1_3repE0EEENS1_30default_config_static_selectorELNS0_4arch9wavefront6targetE1EEEvT1_,comdat
	.protected	_ZN7rocprim17ROCPRIM_400000_NS6detail17trampoline_kernelINS0_14default_configENS1_35adjacent_difference_config_selectorILb1EfEEZNS1_24adjacent_difference_implIS3_Lb1ELb0EPfS7_N6thrust23THRUST_200600_302600_NS4plusIfEEEE10hipError_tPvRmT2_T3_mT4_P12ihipStream_tbEUlT_E_NS1_11comp_targetILNS1_3genE0ELNS1_11target_archE4294967295ELNS1_3gpuE0ELNS1_3repE0EEENS1_30default_config_static_selectorELNS0_4arch9wavefront6targetE1EEEvT1_ ; -- Begin function _ZN7rocprim17ROCPRIM_400000_NS6detail17trampoline_kernelINS0_14default_configENS1_35adjacent_difference_config_selectorILb1EfEEZNS1_24adjacent_difference_implIS3_Lb1ELb0EPfS7_N6thrust23THRUST_200600_302600_NS4plusIfEEEE10hipError_tPvRmT2_T3_mT4_P12ihipStream_tbEUlT_E_NS1_11comp_targetILNS1_3genE0ELNS1_11target_archE4294967295ELNS1_3gpuE0ELNS1_3repE0EEENS1_30default_config_static_selectorELNS0_4arch9wavefront6targetE1EEEvT1_
	.globl	_ZN7rocprim17ROCPRIM_400000_NS6detail17trampoline_kernelINS0_14default_configENS1_35adjacent_difference_config_selectorILb1EfEEZNS1_24adjacent_difference_implIS3_Lb1ELb0EPfS7_N6thrust23THRUST_200600_302600_NS4plusIfEEEE10hipError_tPvRmT2_T3_mT4_P12ihipStream_tbEUlT_E_NS1_11comp_targetILNS1_3genE0ELNS1_11target_archE4294967295ELNS1_3gpuE0ELNS1_3repE0EEENS1_30default_config_static_selectorELNS0_4arch9wavefront6targetE1EEEvT1_
	.p2align	8
	.type	_ZN7rocprim17ROCPRIM_400000_NS6detail17trampoline_kernelINS0_14default_configENS1_35adjacent_difference_config_selectorILb1EfEEZNS1_24adjacent_difference_implIS3_Lb1ELb0EPfS7_N6thrust23THRUST_200600_302600_NS4plusIfEEEE10hipError_tPvRmT2_T3_mT4_P12ihipStream_tbEUlT_E_NS1_11comp_targetILNS1_3genE0ELNS1_11target_archE4294967295ELNS1_3gpuE0ELNS1_3repE0EEENS1_30default_config_static_selectorELNS0_4arch9wavefront6targetE1EEEvT1_,@function
_ZN7rocprim17ROCPRIM_400000_NS6detail17trampoline_kernelINS0_14default_configENS1_35adjacent_difference_config_selectorILb1EfEEZNS1_24adjacent_difference_implIS3_Lb1ELb0EPfS7_N6thrust23THRUST_200600_302600_NS4plusIfEEEE10hipError_tPvRmT2_T3_mT4_P12ihipStream_tbEUlT_E_NS1_11comp_targetILNS1_3genE0ELNS1_11target_archE4294967295ELNS1_3gpuE0ELNS1_3repE0EEENS1_30default_config_static_selectorELNS0_4arch9wavefront6targetE1EEEvT1_: ; @_ZN7rocprim17ROCPRIM_400000_NS6detail17trampoline_kernelINS0_14default_configENS1_35adjacent_difference_config_selectorILb1EfEEZNS1_24adjacent_difference_implIS3_Lb1ELb0EPfS7_N6thrust23THRUST_200600_302600_NS4plusIfEEEE10hipError_tPvRmT2_T3_mT4_P12ihipStream_tbEUlT_E_NS1_11comp_targetILNS1_3genE0ELNS1_11target_archE4294967295ELNS1_3gpuE0ELNS1_3repE0EEENS1_30default_config_static_selectorELNS0_4arch9wavefront6targetE1EEEvT1_
; %bb.0:
	.section	.rodata,"a",@progbits
	.p2align	6, 0x0
	.amdhsa_kernel _ZN7rocprim17ROCPRIM_400000_NS6detail17trampoline_kernelINS0_14default_configENS1_35adjacent_difference_config_selectorILb1EfEEZNS1_24adjacent_difference_implIS3_Lb1ELb0EPfS7_N6thrust23THRUST_200600_302600_NS4plusIfEEEE10hipError_tPvRmT2_T3_mT4_P12ihipStream_tbEUlT_E_NS1_11comp_targetILNS1_3genE0ELNS1_11target_archE4294967295ELNS1_3gpuE0ELNS1_3repE0EEENS1_30default_config_static_selectorELNS0_4arch9wavefront6targetE1EEEvT1_
		.amdhsa_group_segment_fixed_size 0
		.amdhsa_private_segment_fixed_size 0
		.amdhsa_kernarg_size 56
		.amdhsa_user_sgpr_count 6
		.amdhsa_user_sgpr_private_segment_buffer 1
		.amdhsa_user_sgpr_dispatch_ptr 0
		.amdhsa_user_sgpr_queue_ptr 0
		.amdhsa_user_sgpr_kernarg_segment_ptr 1
		.amdhsa_user_sgpr_dispatch_id 0
		.amdhsa_user_sgpr_flat_scratch_init 0
		.amdhsa_user_sgpr_private_segment_size 0
		.amdhsa_uses_dynamic_stack 0
		.amdhsa_system_sgpr_private_segment_wavefront_offset 0
		.amdhsa_system_sgpr_workgroup_id_x 1
		.amdhsa_system_sgpr_workgroup_id_y 0
		.amdhsa_system_sgpr_workgroup_id_z 0
		.amdhsa_system_sgpr_workgroup_info 0
		.amdhsa_system_vgpr_workitem_id 0
		.amdhsa_next_free_vgpr 1
		.amdhsa_next_free_sgpr 0
		.amdhsa_reserve_vcc 0
		.amdhsa_reserve_flat_scratch 0
		.amdhsa_float_round_mode_32 0
		.amdhsa_float_round_mode_16_64 0
		.amdhsa_float_denorm_mode_32 3
		.amdhsa_float_denorm_mode_16_64 3
		.amdhsa_dx10_clamp 1
		.amdhsa_ieee_mode 1
		.amdhsa_fp16_overflow 0
		.amdhsa_exception_fp_ieee_invalid_op 0
		.amdhsa_exception_fp_denorm_src 0
		.amdhsa_exception_fp_ieee_div_zero 0
		.amdhsa_exception_fp_ieee_overflow 0
		.amdhsa_exception_fp_ieee_underflow 0
		.amdhsa_exception_fp_ieee_inexact 0
		.amdhsa_exception_int_div_zero 0
	.end_amdhsa_kernel
	.section	.text._ZN7rocprim17ROCPRIM_400000_NS6detail17trampoline_kernelINS0_14default_configENS1_35adjacent_difference_config_selectorILb1EfEEZNS1_24adjacent_difference_implIS3_Lb1ELb0EPfS7_N6thrust23THRUST_200600_302600_NS4plusIfEEEE10hipError_tPvRmT2_T3_mT4_P12ihipStream_tbEUlT_E_NS1_11comp_targetILNS1_3genE0ELNS1_11target_archE4294967295ELNS1_3gpuE0ELNS1_3repE0EEENS1_30default_config_static_selectorELNS0_4arch9wavefront6targetE1EEEvT1_,"axG",@progbits,_ZN7rocprim17ROCPRIM_400000_NS6detail17trampoline_kernelINS0_14default_configENS1_35adjacent_difference_config_selectorILb1EfEEZNS1_24adjacent_difference_implIS3_Lb1ELb0EPfS7_N6thrust23THRUST_200600_302600_NS4plusIfEEEE10hipError_tPvRmT2_T3_mT4_P12ihipStream_tbEUlT_E_NS1_11comp_targetILNS1_3genE0ELNS1_11target_archE4294967295ELNS1_3gpuE0ELNS1_3repE0EEENS1_30default_config_static_selectorELNS0_4arch9wavefront6targetE1EEEvT1_,comdat
.Lfunc_end95:
	.size	_ZN7rocprim17ROCPRIM_400000_NS6detail17trampoline_kernelINS0_14default_configENS1_35adjacent_difference_config_selectorILb1EfEEZNS1_24adjacent_difference_implIS3_Lb1ELb0EPfS7_N6thrust23THRUST_200600_302600_NS4plusIfEEEE10hipError_tPvRmT2_T3_mT4_P12ihipStream_tbEUlT_E_NS1_11comp_targetILNS1_3genE0ELNS1_11target_archE4294967295ELNS1_3gpuE0ELNS1_3repE0EEENS1_30default_config_static_selectorELNS0_4arch9wavefront6targetE1EEEvT1_, .Lfunc_end95-_ZN7rocprim17ROCPRIM_400000_NS6detail17trampoline_kernelINS0_14default_configENS1_35adjacent_difference_config_selectorILb1EfEEZNS1_24adjacent_difference_implIS3_Lb1ELb0EPfS7_N6thrust23THRUST_200600_302600_NS4plusIfEEEE10hipError_tPvRmT2_T3_mT4_P12ihipStream_tbEUlT_E_NS1_11comp_targetILNS1_3genE0ELNS1_11target_archE4294967295ELNS1_3gpuE0ELNS1_3repE0EEENS1_30default_config_static_selectorELNS0_4arch9wavefront6targetE1EEEvT1_
                                        ; -- End function
	.set _ZN7rocprim17ROCPRIM_400000_NS6detail17trampoline_kernelINS0_14default_configENS1_35adjacent_difference_config_selectorILb1EfEEZNS1_24adjacent_difference_implIS3_Lb1ELb0EPfS7_N6thrust23THRUST_200600_302600_NS4plusIfEEEE10hipError_tPvRmT2_T3_mT4_P12ihipStream_tbEUlT_E_NS1_11comp_targetILNS1_3genE0ELNS1_11target_archE4294967295ELNS1_3gpuE0ELNS1_3repE0EEENS1_30default_config_static_selectorELNS0_4arch9wavefront6targetE1EEEvT1_.num_vgpr, 0
	.set _ZN7rocprim17ROCPRIM_400000_NS6detail17trampoline_kernelINS0_14default_configENS1_35adjacent_difference_config_selectorILb1EfEEZNS1_24adjacent_difference_implIS3_Lb1ELb0EPfS7_N6thrust23THRUST_200600_302600_NS4plusIfEEEE10hipError_tPvRmT2_T3_mT4_P12ihipStream_tbEUlT_E_NS1_11comp_targetILNS1_3genE0ELNS1_11target_archE4294967295ELNS1_3gpuE0ELNS1_3repE0EEENS1_30default_config_static_selectorELNS0_4arch9wavefront6targetE1EEEvT1_.num_agpr, 0
	.set _ZN7rocprim17ROCPRIM_400000_NS6detail17trampoline_kernelINS0_14default_configENS1_35adjacent_difference_config_selectorILb1EfEEZNS1_24adjacent_difference_implIS3_Lb1ELb0EPfS7_N6thrust23THRUST_200600_302600_NS4plusIfEEEE10hipError_tPvRmT2_T3_mT4_P12ihipStream_tbEUlT_E_NS1_11comp_targetILNS1_3genE0ELNS1_11target_archE4294967295ELNS1_3gpuE0ELNS1_3repE0EEENS1_30default_config_static_selectorELNS0_4arch9wavefront6targetE1EEEvT1_.numbered_sgpr, 0
	.set _ZN7rocprim17ROCPRIM_400000_NS6detail17trampoline_kernelINS0_14default_configENS1_35adjacent_difference_config_selectorILb1EfEEZNS1_24adjacent_difference_implIS3_Lb1ELb0EPfS7_N6thrust23THRUST_200600_302600_NS4plusIfEEEE10hipError_tPvRmT2_T3_mT4_P12ihipStream_tbEUlT_E_NS1_11comp_targetILNS1_3genE0ELNS1_11target_archE4294967295ELNS1_3gpuE0ELNS1_3repE0EEENS1_30default_config_static_selectorELNS0_4arch9wavefront6targetE1EEEvT1_.num_named_barrier, 0
	.set _ZN7rocprim17ROCPRIM_400000_NS6detail17trampoline_kernelINS0_14default_configENS1_35adjacent_difference_config_selectorILb1EfEEZNS1_24adjacent_difference_implIS3_Lb1ELb0EPfS7_N6thrust23THRUST_200600_302600_NS4plusIfEEEE10hipError_tPvRmT2_T3_mT4_P12ihipStream_tbEUlT_E_NS1_11comp_targetILNS1_3genE0ELNS1_11target_archE4294967295ELNS1_3gpuE0ELNS1_3repE0EEENS1_30default_config_static_selectorELNS0_4arch9wavefront6targetE1EEEvT1_.private_seg_size, 0
	.set _ZN7rocprim17ROCPRIM_400000_NS6detail17trampoline_kernelINS0_14default_configENS1_35adjacent_difference_config_selectorILb1EfEEZNS1_24adjacent_difference_implIS3_Lb1ELb0EPfS7_N6thrust23THRUST_200600_302600_NS4plusIfEEEE10hipError_tPvRmT2_T3_mT4_P12ihipStream_tbEUlT_E_NS1_11comp_targetILNS1_3genE0ELNS1_11target_archE4294967295ELNS1_3gpuE0ELNS1_3repE0EEENS1_30default_config_static_selectorELNS0_4arch9wavefront6targetE1EEEvT1_.uses_vcc, 0
	.set _ZN7rocprim17ROCPRIM_400000_NS6detail17trampoline_kernelINS0_14default_configENS1_35adjacent_difference_config_selectorILb1EfEEZNS1_24adjacent_difference_implIS3_Lb1ELb0EPfS7_N6thrust23THRUST_200600_302600_NS4plusIfEEEE10hipError_tPvRmT2_T3_mT4_P12ihipStream_tbEUlT_E_NS1_11comp_targetILNS1_3genE0ELNS1_11target_archE4294967295ELNS1_3gpuE0ELNS1_3repE0EEENS1_30default_config_static_selectorELNS0_4arch9wavefront6targetE1EEEvT1_.uses_flat_scratch, 0
	.set _ZN7rocprim17ROCPRIM_400000_NS6detail17trampoline_kernelINS0_14default_configENS1_35adjacent_difference_config_selectorILb1EfEEZNS1_24adjacent_difference_implIS3_Lb1ELb0EPfS7_N6thrust23THRUST_200600_302600_NS4plusIfEEEE10hipError_tPvRmT2_T3_mT4_P12ihipStream_tbEUlT_E_NS1_11comp_targetILNS1_3genE0ELNS1_11target_archE4294967295ELNS1_3gpuE0ELNS1_3repE0EEENS1_30default_config_static_selectorELNS0_4arch9wavefront6targetE1EEEvT1_.has_dyn_sized_stack, 0
	.set _ZN7rocprim17ROCPRIM_400000_NS6detail17trampoline_kernelINS0_14default_configENS1_35adjacent_difference_config_selectorILb1EfEEZNS1_24adjacent_difference_implIS3_Lb1ELb0EPfS7_N6thrust23THRUST_200600_302600_NS4plusIfEEEE10hipError_tPvRmT2_T3_mT4_P12ihipStream_tbEUlT_E_NS1_11comp_targetILNS1_3genE0ELNS1_11target_archE4294967295ELNS1_3gpuE0ELNS1_3repE0EEENS1_30default_config_static_selectorELNS0_4arch9wavefront6targetE1EEEvT1_.has_recursion, 0
	.set _ZN7rocprim17ROCPRIM_400000_NS6detail17trampoline_kernelINS0_14default_configENS1_35adjacent_difference_config_selectorILb1EfEEZNS1_24adjacent_difference_implIS3_Lb1ELb0EPfS7_N6thrust23THRUST_200600_302600_NS4plusIfEEEE10hipError_tPvRmT2_T3_mT4_P12ihipStream_tbEUlT_E_NS1_11comp_targetILNS1_3genE0ELNS1_11target_archE4294967295ELNS1_3gpuE0ELNS1_3repE0EEENS1_30default_config_static_selectorELNS0_4arch9wavefront6targetE1EEEvT1_.has_indirect_call, 0
	.section	.AMDGPU.csdata,"",@progbits
; Kernel info:
; codeLenInByte = 0
; TotalNumSgprs: 4
; NumVgprs: 0
; ScratchSize: 0
; MemoryBound: 0
; FloatMode: 240
; IeeeMode: 1
; LDSByteSize: 0 bytes/workgroup (compile time only)
; SGPRBlocks: 0
; VGPRBlocks: 0
; NumSGPRsForWavesPerEU: 4
; NumVGPRsForWavesPerEU: 1
; Occupancy: 10
; WaveLimiterHint : 0
; COMPUTE_PGM_RSRC2:SCRATCH_EN: 0
; COMPUTE_PGM_RSRC2:USER_SGPR: 6
; COMPUTE_PGM_RSRC2:TRAP_HANDLER: 0
; COMPUTE_PGM_RSRC2:TGID_X_EN: 1
; COMPUTE_PGM_RSRC2:TGID_Y_EN: 0
; COMPUTE_PGM_RSRC2:TGID_Z_EN: 0
; COMPUTE_PGM_RSRC2:TIDIG_COMP_CNT: 0
	.section	.text._ZN7rocprim17ROCPRIM_400000_NS6detail17trampoline_kernelINS0_14default_configENS1_35adjacent_difference_config_selectorILb1EfEEZNS1_24adjacent_difference_implIS3_Lb1ELb0EPfS7_N6thrust23THRUST_200600_302600_NS4plusIfEEEE10hipError_tPvRmT2_T3_mT4_P12ihipStream_tbEUlT_E_NS1_11comp_targetILNS1_3genE10ELNS1_11target_archE1201ELNS1_3gpuE5ELNS1_3repE0EEENS1_30default_config_static_selectorELNS0_4arch9wavefront6targetE1EEEvT1_,"axG",@progbits,_ZN7rocprim17ROCPRIM_400000_NS6detail17trampoline_kernelINS0_14default_configENS1_35adjacent_difference_config_selectorILb1EfEEZNS1_24adjacent_difference_implIS3_Lb1ELb0EPfS7_N6thrust23THRUST_200600_302600_NS4plusIfEEEE10hipError_tPvRmT2_T3_mT4_P12ihipStream_tbEUlT_E_NS1_11comp_targetILNS1_3genE10ELNS1_11target_archE1201ELNS1_3gpuE5ELNS1_3repE0EEENS1_30default_config_static_selectorELNS0_4arch9wavefront6targetE1EEEvT1_,comdat
	.protected	_ZN7rocprim17ROCPRIM_400000_NS6detail17trampoline_kernelINS0_14default_configENS1_35adjacent_difference_config_selectorILb1EfEEZNS1_24adjacent_difference_implIS3_Lb1ELb0EPfS7_N6thrust23THRUST_200600_302600_NS4plusIfEEEE10hipError_tPvRmT2_T3_mT4_P12ihipStream_tbEUlT_E_NS1_11comp_targetILNS1_3genE10ELNS1_11target_archE1201ELNS1_3gpuE5ELNS1_3repE0EEENS1_30default_config_static_selectorELNS0_4arch9wavefront6targetE1EEEvT1_ ; -- Begin function _ZN7rocprim17ROCPRIM_400000_NS6detail17trampoline_kernelINS0_14default_configENS1_35adjacent_difference_config_selectorILb1EfEEZNS1_24adjacent_difference_implIS3_Lb1ELb0EPfS7_N6thrust23THRUST_200600_302600_NS4plusIfEEEE10hipError_tPvRmT2_T3_mT4_P12ihipStream_tbEUlT_E_NS1_11comp_targetILNS1_3genE10ELNS1_11target_archE1201ELNS1_3gpuE5ELNS1_3repE0EEENS1_30default_config_static_selectorELNS0_4arch9wavefront6targetE1EEEvT1_
	.globl	_ZN7rocprim17ROCPRIM_400000_NS6detail17trampoline_kernelINS0_14default_configENS1_35adjacent_difference_config_selectorILb1EfEEZNS1_24adjacent_difference_implIS3_Lb1ELb0EPfS7_N6thrust23THRUST_200600_302600_NS4plusIfEEEE10hipError_tPvRmT2_T3_mT4_P12ihipStream_tbEUlT_E_NS1_11comp_targetILNS1_3genE10ELNS1_11target_archE1201ELNS1_3gpuE5ELNS1_3repE0EEENS1_30default_config_static_selectorELNS0_4arch9wavefront6targetE1EEEvT1_
	.p2align	8
	.type	_ZN7rocprim17ROCPRIM_400000_NS6detail17trampoline_kernelINS0_14default_configENS1_35adjacent_difference_config_selectorILb1EfEEZNS1_24adjacent_difference_implIS3_Lb1ELb0EPfS7_N6thrust23THRUST_200600_302600_NS4plusIfEEEE10hipError_tPvRmT2_T3_mT4_P12ihipStream_tbEUlT_E_NS1_11comp_targetILNS1_3genE10ELNS1_11target_archE1201ELNS1_3gpuE5ELNS1_3repE0EEENS1_30default_config_static_selectorELNS0_4arch9wavefront6targetE1EEEvT1_,@function
_ZN7rocprim17ROCPRIM_400000_NS6detail17trampoline_kernelINS0_14default_configENS1_35adjacent_difference_config_selectorILb1EfEEZNS1_24adjacent_difference_implIS3_Lb1ELb0EPfS7_N6thrust23THRUST_200600_302600_NS4plusIfEEEE10hipError_tPvRmT2_T3_mT4_P12ihipStream_tbEUlT_E_NS1_11comp_targetILNS1_3genE10ELNS1_11target_archE1201ELNS1_3gpuE5ELNS1_3repE0EEENS1_30default_config_static_selectorELNS0_4arch9wavefront6targetE1EEEvT1_: ; @_ZN7rocprim17ROCPRIM_400000_NS6detail17trampoline_kernelINS0_14default_configENS1_35adjacent_difference_config_selectorILb1EfEEZNS1_24adjacent_difference_implIS3_Lb1ELb0EPfS7_N6thrust23THRUST_200600_302600_NS4plusIfEEEE10hipError_tPvRmT2_T3_mT4_P12ihipStream_tbEUlT_E_NS1_11comp_targetILNS1_3genE10ELNS1_11target_archE1201ELNS1_3gpuE5ELNS1_3repE0EEENS1_30default_config_static_selectorELNS0_4arch9wavefront6targetE1EEEvT1_
; %bb.0:
	.section	.rodata,"a",@progbits
	.p2align	6, 0x0
	.amdhsa_kernel _ZN7rocprim17ROCPRIM_400000_NS6detail17trampoline_kernelINS0_14default_configENS1_35adjacent_difference_config_selectorILb1EfEEZNS1_24adjacent_difference_implIS3_Lb1ELb0EPfS7_N6thrust23THRUST_200600_302600_NS4plusIfEEEE10hipError_tPvRmT2_T3_mT4_P12ihipStream_tbEUlT_E_NS1_11comp_targetILNS1_3genE10ELNS1_11target_archE1201ELNS1_3gpuE5ELNS1_3repE0EEENS1_30default_config_static_selectorELNS0_4arch9wavefront6targetE1EEEvT1_
		.amdhsa_group_segment_fixed_size 0
		.amdhsa_private_segment_fixed_size 0
		.amdhsa_kernarg_size 56
		.amdhsa_user_sgpr_count 6
		.amdhsa_user_sgpr_private_segment_buffer 1
		.amdhsa_user_sgpr_dispatch_ptr 0
		.amdhsa_user_sgpr_queue_ptr 0
		.amdhsa_user_sgpr_kernarg_segment_ptr 1
		.amdhsa_user_sgpr_dispatch_id 0
		.amdhsa_user_sgpr_flat_scratch_init 0
		.amdhsa_user_sgpr_private_segment_size 0
		.amdhsa_uses_dynamic_stack 0
		.amdhsa_system_sgpr_private_segment_wavefront_offset 0
		.amdhsa_system_sgpr_workgroup_id_x 1
		.amdhsa_system_sgpr_workgroup_id_y 0
		.amdhsa_system_sgpr_workgroup_id_z 0
		.amdhsa_system_sgpr_workgroup_info 0
		.amdhsa_system_vgpr_workitem_id 0
		.amdhsa_next_free_vgpr 1
		.amdhsa_next_free_sgpr 0
		.amdhsa_reserve_vcc 0
		.amdhsa_reserve_flat_scratch 0
		.amdhsa_float_round_mode_32 0
		.amdhsa_float_round_mode_16_64 0
		.amdhsa_float_denorm_mode_32 3
		.amdhsa_float_denorm_mode_16_64 3
		.amdhsa_dx10_clamp 1
		.amdhsa_ieee_mode 1
		.amdhsa_fp16_overflow 0
		.amdhsa_exception_fp_ieee_invalid_op 0
		.amdhsa_exception_fp_denorm_src 0
		.amdhsa_exception_fp_ieee_div_zero 0
		.amdhsa_exception_fp_ieee_overflow 0
		.amdhsa_exception_fp_ieee_underflow 0
		.amdhsa_exception_fp_ieee_inexact 0
		.amdhsa_exception_int_div_zero 0
	.end_amdhsa_kernel
	.section	.text._ZN7rocprim17ROCPRIM_400000_NS6detail17trampoline_kernelINS0_14default_configENS1_35adjacent_difference_config_selectorILb1EfEEZNS1_24adjacent_difference_implIS3_Lb1ELb0EPfS7_N6thrust23THRUST_200600_302600_NS4plusIfEEEE10hipError_tPvRmT2_T3_mT4_P12ihipStream_tbEUlT_E_NS1_11comp_targetILNS1_3genE10ELNS1_11target_archE1201ELNS1_3gpuE5ELNS1_3repE0EEENS1_30default_config_static_selectorELNS0_4arch9wavefront6targetE1EEEvT1_,"axG",@progbits,_ZN7rocprim17ROCPRIM_400000_NS6detail17trampoline_kernelINS0_14default_configENS1_35adjacent_difference_config_selectorILb1EfEEZNS1_24adjacent_difference_implIS3_Lb1ELb0EPfS7_N6thrust23THRUST_200600_302600_NS4plusIfEEEE10hipError_tPvRmT2_T3_mT4_P12ihipStream_tbEUlT_E_NS1_11comp_targetILNS1_3genE10ELNS1_11target_archE1201ELNS1_3gpuE5ELNS1_3repE0EEENS1_30default_config_static_selectorELNS0_4arch9wavefront6targetE1EEEvT1_,comdat
.Lfunc_end96:
	.size	_ZN7rocprim17ROCPRIM_400000_NS6detail17trampoline_kernelINS0_14default_configENS1_35adjacent_difference_config_selectorILb1EfEEZNS1_24adjacent_difference_implIS3_Lb1ELb0EPfS7_N6thrust23THRUST_200600_302600_NS4plusIfEEEE10hipError_tPvRmT2_T3_mT4_P12ihipStream_tbEUlT_E_NS1_11comp_targetILNS1_3genE10ELNS1_11target_archE1201ELNS1_3gpuE5ELNS1_3repE0EEENS1_30default_config_static_selectorELNS0_4arch9wavefront6targetE1EEEvT1_, .Lfunc_end96-_ZN7rocprim17ROCPRIM_400000_NS6detail17trampoline_kernelINS0_14default_configENS1_35adjacent_difference_config_selectorILb1EfEEZNS1_24adjacent_difference_implIS3_Lb1ELb0EPfS7_N6thrust23THRUST_200600_302600_NS4plusIfEEEE10hipError_tPvRmT2_T3_mT4_P12ihipStream_tbEUlT_E_NS1_11comp_targetILNS1_3genE10ELNS1_11target_archE1201ELNS1_3gpuE5ELNS1_3repE0EEENS1_30default_config_static_selectorELNS0_4arch9wavefront6targetE1EEEvT1_
                                        ; -- End function
	.set _ZN7rocprim17ROCPRIM_400000_NS6detail17trampoline_kernelINS0_14default_configENS1_35adjacent_difference_config_selectorILb1EfEEZNS1_24adjacent_difference_implIS3_Lb1ELb0EPfS7_N6thrust23THRUST_200600_302600_NS4plusIfEEEE10hipError_tPvRmT2_T3_mT4_P12ihipStream_tbEUlT_E_NS1_11comp_targetILNS1_3genE10ELNS1_11target_archE1201ELNS1_3gpuE5ELNS1_3repE0EEENS1_30default_config_static_selectorELNS0_4arch9wavefront6targetE1EEEvT1_.num_vgpr, 0
	.set _ZN7rocprim17ROCPRIM_400000_NS6detail17trampoline_kernelINS0_14default_configENS1_35adjacent_difference_config_selectorILb1EfEEZNS1_24adjacent_difference_implIS3_Lb1ELb0EPfS7_N6thrust23THRUST_200600_302600_NS4plusIfEEEE10hipError_tPvRmT2_T3_mT4_P12ihipStream_tbEUlT_E_NS1_11comp_targetILNS1_3genE10ELNS1_11target_archE1201ELNS1_3gpuE5ELNS1_3repE0EEENS1_30default_config_static_selectorELNS0_4arch9wavefront6targetE1EEEvT1_.num_agpr, 0
	.set _ZN7rocprim17ROCPRIM_400000_NS6detail17trampoline_kernelINS0_14default_configENS1_35adjacent_difference_config_selectorILb1EfEEZNS1_24adjacent_difference_implIS3_Lb1ELb0EPfS7_N6thrust23THRUST_200600_302600_NS4plusIfEEEE10hipError_tPvRmT2_T3_mT4_P12ihipStream_tbEUlT_E_NS1_11comp_targetILNS1_3genE10ELNS1_11target_archE1201ELNS1_3gpuE5ELNS1_3repE0EEENS1_30default_config_static_selectorELNS0_4arch9wavefront6targetE1EEEvT1_.numbered_sgpr, 0
	.set _ZN7rocprim17ROCPRIM_400000_NS6detail17trampoline_kernelINS0_14default_configENS1_35adjacent_difference_config_selectorILb1EfEEZNS1_24adjacent_difference_implIS3_Lb1ELb0EPfS7_N6thrust23THRUST_200600_302600_NS4plusIfEEEE10hipError_tPvRmT2_T3_mT4_P12ihipStream_tbEUlT_E_NS1_11comp_targetILNS1_3genE10ELNS1_11target_archE1201ELNS1_3gpuE5ELNS1_3repE0EEENS1_30default_config_static_selectorELNS0_4arch9wavefront6targetE1EEEvT1_.num_named_barrier, 0
	.set _ZN7rocprim17ROCPRIM_400000_NS6detail17trampoline_kernelINS0_14default_configENS1_35adjacent_difference_config_selectorILb1EfEEZNS1_24adjacent_difference_implIS3_Lb1ELb0EPfS7_N6thrust23THRUST_200600_302600_NS4plusIfEEEE10hipError_tPvRmT2_T3_mT4_P12ihipStream_tbEUlT_E_NS1_11comp_targetILNS1_3genE10ELNS1_11target_archE1201ELNS1_3gpuE5ELNS1_3repE0EEENS1_30default_config_static_selectorELNS0_4arch9wavefront6targetE1EEEvT1_.private_seg_size, 0
	.set _ZN7rocprim17ROCPRIM_400000_NS6detail17trampoline_kernelINS0_14default_configENS1_35adjacent_difference_config_selectorILb1EfEEZNS1_24adjacent_difference_implIS3_Lb1ELb0EPfS7_N6thrust23THRUST_200600_302600_NS4plusIfEEEE10hipError_tPvRmT2_T3_mT4_P12ihipStream_tbEUlT_E_NS1_11comp_targetILNS1_3genE10ELNS1_11target_archE1201ELNS1_3gpuE5ELNS1_3repE0EEENS1_30default_config_static_selectorELNS0_4arch9wavefront6targetE1EEEvT1_.uses_vcc, 0
	.set _ZN7rocprim17ROCPRIM_400000_NS6detail17trampoline_kernelINS0_14default_configENS1_35adjacent_difference_config_selectorILb1EfEEZNS1_24adjacent_difference_implIS3_Lb1ELb0EPfS7_N6thrust23THRUST_200600_302600_NS4plusIfEEEE10hipError_tPvRmT2_T3_mT4_P12ihipStream_tbEUlT_E_NS1_11comp_targetILNS1_3genE10ELNS1_11target_archE1201ELNS1_3gpuE5ELNS1_3repE0EEENS1_30default_config_static_selectorELNS0_4arch9wavefront6targetE1EEEvT1_.uses_flat_scratch, 0
	.set _ZN7rocprim17ROCPRIM_400000_NS6detail17trampoline_kernelINS0_14default_configENS1_35adjacent_difference_config_selectorILb1EfEEZNS1_24adjacent_difference_implIS3_Lb1ELb0EPfS7_N6thrust23THRUST_200600_302600_NS4plusIfEEEE10hipError_tPvRmT2_T3_mT4_P12ihipStream_tbEUlT_E_NS1_11comp_targetILNS1_3genE10ELNS1_11target_archE1201ELNS1_3gpuE5ELNS1_3repE0EEENS1_30default_config_static_selectorELNS0_4arch9wavefront6targetE1EEEvT1_.has_dyn_sized_stack, 0
	.set _ZN7rocprim17ROCPRIM_400000_NS6detail17trampoline_kernelINS0_14default_configENS1_35adjacent_difference_config_selectorILb1EfEEZNS1_24adjacent_difference_implIS3_Lb1ELb0EPfS7_N6thrust23THRUST_200600_302600_NS4plusIfEEEE10hipError_tPvRmT2_T3_mT4_P12ihipStream_tbEUlT_E_NS1_11comp_targetILNS1_3genE10ELNS1_11target_archE1201ELNS1_3gpuE5ELNS1_3repE0EEENS1_30default_config_static_selectorELNS0_4arch9wavefront6targetE1EEEvT1_.has_recursion, 0
	.set _ZN7rocprim17ROCPRIM_400000_NS6detail17trampoline_kernelINS0_14default_configENS1_35adjacent_difference_config_selectorILb1EfEEZNS1_24adjacent_difference_implIS3_Lb1ELb0EPfS7_N6thrust23THRUST_200600_302600_NS4plusIfEEEE10hipError_tPvRmT2_T3_mT4_P12ihipStream_tbEUlT_E_NS1_11comp_targetILNS1_3genE10ELNS1_11target_archE1201ELNS1_3gpuE5ELNS1_3repE0EEENS1_30default_config_static_selectorELNS0_4arch9wavefront6targetE1EEEvT1_.has_indirect_call, 0
	.section	.AMDGPU.csdata,"",@progbits
; Kernel info:
; codeLenInByte = 0
; TotalNumSgprs: 4
; NumVgprs: 0
; ScratchSize: 0
; MemoryBound: 0
; FloatMode: 240
; IeeeMode: 1
; LDSByteSize: 0 bytes/workgroup (compile time only)
; SGPRBlocks: 0
; VGPRBlocks: 0
; NumSGPRsForWavesPerEU: 4
; NumVGPRsForWavesPerEU: 1
; Occupancy: 10
; WaveLimiterHint : 0
; COMPUTE_PGM_RSRC2:SCRATCH_EN: 0
; COMPUTE_PGM_RSRC2:USER_SGPR: 6
; COMPUTE_PGM_RSRC2:TRAP_HANDLER: 0
; COMPUTE_PGM_RSRC2:TGID_X_EN: 1
; COMPUTE_PGM_RSRC2:TGID_Y_EN: 0
; COMPUTE_PGM_RSRC2:TGID_Z_EN: 0
; COMPUTE_PGM_RSRC2:TIDIG_COMP_CNT: 0
	.section	.text._ZN7rocprim17ROCPRIM_400000_NS6detail17trampoline_kernelINS0_14default_configENS1_35adjacent_difference_config_selectorILb1EfEEZNS1_24adjacent_difference_implIS3_Lb1ELb0EPfS7_N6thrust23THRUST_200600_302600_NS4plusIfEEEE10hipError_tPvRmT2_T3_mT4_P12ihipStream_tbEUlT_E_NS1_11comp_targetILNS1_3genE5ELNS1_11target_archE942ELNS1_3gpuE9ELNS1_3repE0EEENS1_30default_config_static_selectorELNS0_4arch9wavefront6targetE1EEEvT1_,"axG",@progbits,_ZN7rocprim17ROCPRIM_400000_NS6detail17trampoline_kernelINS0_14default_configENS1_35adjacent_difference_config_selectorILb1EfEEZNS1_24adjacent_difference_implIS3_Lb1ELb0EPfS7_N6thrust23THRUST_200600_302600_NS4plusIfEEEE10hipError_tPvRmT2_T3_mT4_P12ihipStream_tbEUlT_E_NS1_11comp_targetILNS1_3genE5ELNS1_11target_archE942ELNS1_3gpuE9ELNS1_3repE0EEENS1_30default_config_static_selectorELNS0_4arch9wavefront6targetE1EEEvT1_,comdat
	.protected	_ZN7rocprim17ROCPRIM_400000_NS6detail17trampoline_kernelINS0_14default_configENS1_35adjacent_difference_config_selectorILb1EfEEZNS1_24adjacent_difference_implIS3_Lb1ELb0EPfS7_N6thrust23THRUST_200600_302600_NS4plusIfEEEE10hipError_tPvRmT2_T3_mT4_P12ihipStream_tbEUlT_E_NS1_11comp_targetILNS1_3genE5ELNS1_11target_archE942ELNS1_3gpuE9ELNS1_3repE0EEENS1_30default_config_static_selectorELNS0_4arch9wavefront6targetE1EEEvT1_ ; -- Begin function _ZN7rocprim17ROCPRIM_400000_NS6detail17trampoline_kernelINS0_14default_configENS1_35adjacent_difference_config_selectorILb1EfEEZNS1_24adjacent_difference_implIS3_Lb1ELb0EPfS7_N6thrust23THRUST_200600_302600_NS4plusIfEEEE10hipError_tPvRmT2_T3_mT4_P12ihipStream_tbEUlT_E_NS1_11comp_targetILNS1_3genE5ELNS1_11target_archE942ELNS1_3gpuE9ELNS1_3repE0EEENS1_30default_config_static_selectorELNS0_4arch9wavefront6targetE1EEEvT1_
	.globl	_ZN7rocprim17ROCPRIM_400000_NS6detail17trampoline_kernelINS0_14default_configENS1_35adjacent_difference_config_selectorILb1EfEEZNS1_24adjacent_difference_implIS3_Lb1ELb0EPfS7_N6thrust23THRUST_200600_302600_NS4plusIfEEEE10hipError_tPvRmT2_T3_mT4_P12ihipStream_tbEUlT_E_NS1_11comp_targetILNS1_3genE5ELNS1_11target_archE942ELNS1_3gpuE9ELNS1_3repE0EEENS1_30default_config_static_selectorELNS0_4arch9wavefront6targetE1EEEvT1_
	.p2align	8
	.type	_ZN7rocprim17ROCPRIM_400000_NS6detail17trampoline_kernelINS0_14default_configENS1_35adjacent_difference_config_selectorILb1EfEEZNS1_24adjacent_difference_implIS3_Lb1ELb0EPfS7_N6thrust23THRUST_200600_302600_NS4plusIfEEEE10hipError_tPvRmT2_T3_mT4_P12ihipStream_tbEUlT_E_NS1_11comp_targetILNS1_3genE5ELNS1_11target_archE942ELNS1_3gpuE9ELNS1_3repE0EEENS1_30default_config_static_selectorELNS0_4arch9wavefront6targetE1EEEvT1_,@function
_ZN7rocprim17ROCPRIM_400000_NS6detail17trampoline_kernelINS0_14default_configENS1_35adjacent_difference_config_selectorILb1EfEEZNS1_24adjacent_difference_implIS3_Lb1ELb0EPfS7_N6thrust23THRUST_200600_302600_NS4plusIfEEEE10hipError_tPvRmT2_T3_mT4_P12ihipStream_tbEUlT_E_NS1_11comp_targetILNS1_3genE5ELNS1_11target_archE942ELNS1_3gpuE9ELNS1_3repE0EEENS1_30default_config_static_selectorELNS0_4arch9wavefront6targetE1EEEvT1_: ; @_ZN7rocprim17ROCPRIM_400000_NS6detail17trampoline_kernelINS0_14default_configENS1_35adjacent_difference_config_selectorILb1EfEEZNS1_24adjacent_difference_implIS3_Lb1ELb0EPfS7_N6thrust23THRUST_200600_302600_NS4plusIfEEEE10hipError_tPvRmT2_T3_mT4_P12ihipStream_tbEUlT_E_NS1_11comp_targetILNS1_3genE5ELNS1_11target_archE942ELNS1_3gpuE9ELNS1_3repE0EEENS1_30default_config_static_selectorELNS0_4arch9wavefront6targetE1EEEvT1_
; %bb.0:
	.section	.rodata,"a",@progbits
	.p2align	6, 0x0
	.amdhsa_kernel _ZN7rocprim17ROCPRIM_400000_NS6detail17trampoline_kernelINS0_14default_configENS1_35adjacent_difference_config_selectorILb1EfEEZNS1_24adjacent_difference_implIS3_Lb1ELb0EPfS7_N6thrust23THRUST_200600_302600_NS4plusIfEEEE10hipError_tPvRmT2_T3_mT4_P12ihipStream_tbEUlT_E_NS1_11comp_targetILNS1_3genE5ELNS1_11target_archE942ELNS1_3gpuE9ELNS1_3repE0EEENS1_30default_config_static_selectorELNS0_4arch9wavefront6targetE1EEEvT1_
		.amdhsa_group_segment_fixed_size 0
		.amdhsa_private_segment_fixed_size 0
		.amdhsa_kernarg_size 56
		.amdhsa_user_sgpr_count 6
		.amdhsa_user_sgpr_private_segment_buffer 1
		.amdhsa_user_sgpr_dispatch_ptr 0
		.amdhsa_user_sgpr_queue_ptr 0
		.amdhsa_user_sgpr_kernarg_segment_ptr 1
		.amdhsa_user_sgpr_dispatch_id 0
		.amdhsa_user_sgpr_flat_scratch_init 0
		.amdhsa_user_sgpr_private_segment_size 0
		.amdhsa_uses_dynamic_stack 0
		.amdhsa_system_sgpr_private_segment_wavefront_offset 0
		.amdhsa_system_sgpr_workgroup_id_x 1
		.amdhsa_system_sgpr_workgroup_id_y 0
		.amdhsa_system_sgpr_workgroup_id_z 0
		.amdhsa_system_sgpr_workgroup_info 0
		.amdhsa_system_vgpr_workitem_id 0
		.amdhsa_next_free_vgpr 1
		.amdhsa_next_free_sgpr 0
		.amdhsa_reserve_vcc 0
		.amdhsa_reserve_flat_scratch 0
		.amdhsa_float_round_mode_32 0
		.amdhsa_float_round_mode_16_64 0
		.amdhsa_float_denorm_mode_32 3
		.amdhsa_float_denorm_mode_16_64 3
		.amdhsa_dx10_clamp 1
		.amdhsa_ieee_mode 1
		.amdhsa_fp16_overflow 0
		.amdhsa_exception_fp_ieee_invalid_op 0
		.amdhsa_exception_fp_denorm_src 0
		.amdhsa_exception_fp_ieee_div_zero 0
		.amdhsa_exception_fp_ieee_overflow 0
		.amdhsa_exception_fp_ieee_underflow 0
		.amdhsa_exception_fp_ieee_inexact 0
		.amdhsa_exception_int_div_zero 0
	.end_amdhsa_kernel
	.section	.text._ZN7rocprim17ROCPRIM_400000_NS6detail17trampoline_kernelINS0_14default_configENS1_35adjacent_difference_config_selectorILb1EfEEZNS1_24adjacent_difference_implIS3_Lb1ELb0EPfS7_N6thrust23THRUST_200600_302600_NS4plusIfEEEE10hipError_tPvRmT2_T3_mT4_P12ihipStream_tbEUlT_E_NS1_11comp_targetILNS1_3genE5ELNS1_11target_archE942ELNS1_3gpuE9ELNS1_3repE0EEENS1_30default_config_static_selectorELNS0_4arch9wavefront6targetE1EEEvT1_,"axG",@progbits,_ZN7rocprim17ROCPRIM_400000_NS6detail17trampoline_kernelINS0_14default_configENS1_35adjacent_difference_config_selectorILb1EfEEZNS1_24adjacent_difference_implIS3_Lb1ELb0EPfS7_N6thrust23THRUST_200600_302600_NS4plusIfEEEE10hipError_tPvRmT2_T3_mT4_P12ihipStream_tbEUlT_E_NS1_11comp_targetILNS1_3genE5ELNS1_11target_archE942ELNS1_3gpuE9ELNS1_3repE0EEENS1_30default_config_static_selectorELNS0_4arch9wavefront6targetE1EEEvT1_,comdat
.Lfunc_end97:
	.size	_ZN7rocprim17ROCPRIM_400000_NS6detail17trampoline_kernelINS0_14default_configENS1_35adjacent_difference_config_selectorILb1EfEEZNS1_24adjacent_difference_implIS3_Lb1ELb0EPfS7_N6thrust23THRUST_200600_302600_NS4plusIfEEEE10hipError_tPvRmT2_T3_mT4_P12ihipStream_tbEUlT_E_NS1_11comp_targetILNS1_3genE5ELNS1_11target_archE942ELNS1_3gpuE9ELNS1_3repE0EEENS1_30default_config_static_selectorELNS0_4arch9wavefront6targetE1EEEvT1_, .Lfunc_end97-_ZN7rocprim17ROCPRIM_400000_NS6detail17trampoline_kernelINS0_14default_configENS1_35adjacent_difference_config_selectorILb1EfEEZNS1_24adjacent_difference_implIS3_Lb1ELb0EPfS7_N6thrust23THRUST_200600_302600_NS4plusIfEEEE10hipError_tPvRmT2_T3_mT4_P12ihipStream_tbEUlT_E_NS1_11comp_targetILNS1_3genE5ELNS1_11target_archE942ELNS1_3gpuE9ELNS1_3repE0EEENS1_30default_config_static_selectorELNS0_4arch9wavefront6targetE1EEEvT1_
                                        ; -- End function
	.set _ZN7rocprim17ROCPRIM_400000_NS6detail17trampoline_kernelINS0_14default_configENS1_35adjacent_difference_config_selectorILb1EfEEZNS1_24adjacent_difference_implIS3_Lb1ELb0EPfS7_N6thrust23THRUST_200600_302600_NS4plusIfEEEE10hipError_tPvRmT2_T3_mT4_P12ihipStream_tbEUlT_E_NS1_11comp_targetILNS1_3genE5ELNS1_11target_archE942ELNS1_3gpuE9ELNS1_3repE0EEENS1_30default_config_static_selectorELNS0_4arch9wavefront6targetE1EEEvT1_.num_vgpr, 0
	.set _ZN7rocprim17ROCPRIM_400000_NS6detail17trampoline_kernelINS0_14default_configENS1_35adjacent_difference_config_selectorILb1EfEEZNS1_24adjacent_difference_implIS3_Lb1ELb0EPfS7_N6thrust23THRUST_200600_302600_NS4plusIfEEEE10hipError_tPvRmT2_T3_mT4_P12ihipStream_tbEUlT_E_NS1_11comp_targetILNS1_3genE5ELNS1_11target_archE942ELNS1_3gpuE9ELNS1_3repE0EEENS1_30default_config_static_selectorELNS0_4arch9wavefront6targetE1EEEvT1_.num_agpr, 0
	.set _ZN7rocprim17ROCPRIM_400000_NS6detail17trampoline_kernelINS0_14default_configENS1_35adjacent_difference_config_selectorILb1EfEEZNS1_24adjacent_difference_implIS3_Lb1ELb0EPfS7_N6thrust23THRUST_200600_302600_NS4plusIfEEEE10hipError_tPvRmT2_T3_mT4_P12ihipStream_tbEUlT_E_NS1_11comp_targetILNS1_3genE5ELNS1_11target_archE942ELNS1_3gpuE9ELNS1_3repE0EEENS1_30default_config_static_selectorELNS0_4arch9wavefront6targetE1EEEvT1_.numbered_sgpr, 0
	.set _ZN7rocprim17ROCPRIM_400000_NS6detail17trampoline_kernelINS0_14default_configENS1_35adjacent_difference_config_selectorILb1EfEEZNS1_24adjacent_difference_implIS3_Lb1ELb0EPfS7_N6thrust23THRUST_200600_302600_NS4plusIfEEEE10hipError_tPvRmT2_T3_mT4_P12ihipStream_tbEUlT_E_NS1_11comp_targetILNS1_3genE5ELNS1_11target_archE942ELNS1_3gpuE9ELNS1_3repE0EEENS1_30default_config_static_selectorELNS0_4arch9wavefront6targetE1EEEvT1_.num_named_barrier, 0
	.set _ZN7rocprim17ROCPRIM_400000_NS6detail17trampoline_kernelINS0_14default_configENS1_35adjacent_difference_config_selectorILb1EfEEZNS1_24adjacent_difference_implIS3_Lb1ELb0EPfS7_N6thrust23THRUST_200600_302600_NS4plusIfEEEE10hipError_tPvRmT2_T3_mT4_P12ihipStream_tbEUlT_E_NS1_11comp_targetILNS1_3genE5ELNS1_11target_archE942ELNS1_3gpuE9ELNS1_3repE0EEENS1_30default_config_static_selectorELNS0_4arch9wavefront6targetE1EEEvT1_.private_seg_size, 0
	.set _ZN7rocprim17ROCPRIM_400000_NS6detail17trampoline_kernelINS0_14default_configENS1_35adjacent_difference_config_selectorILb1EfEEZNS1_24adjacent_difference_implIS3_Lb1ELb0EPfS7_N6thrust23THRUST_200600_302600_NS4plusIfEEEE10hipError_tPvRmT2_T3_mT4_P12ihipStream_tbEUlT_E_NS1_11comp_targetILNS1_3genE5ELNS1_11target_archE942ELNS1_3gpuE9ELNS1_3repE0EEENS1_30default_config_static_selectorELNS0_4arch9wavefront6targetE1EEEvT1_.uses_vcc, 0
	.set _ZN7rocprim17ROCPRIM_400000_NS6detail17trampoline_kernelINS0_14default_configENS1_35adjacent_difference_config_selectorILb1EfEEZNS1_24adjacent_difference_implIS3_Lb1ELb0EPfS7_N6thrust23THRUST_200600_302600_NS4plusIfEEEE10hipError_tPvRmT2_T3_mT4_P12ihipStream_tbEUlT_E_NS1_11comp_targetILNS1_3genE5ELNS1_11target_archE942ELNS1_3gpuE9ELNS1_3repE0EEENS1_30default_config_static_selectorELNS0_4arch9wavefront6targetE1EEEvT1_.uses_flat_scratch, 0
	.set _ZN7rocprim17ROCPRIM_400000_NS6detail17trampoline_kernelINS0_14default_configENS1_35adjacent_difference_config_selectorILb1EfEEZNS1_24adjacent_difference_implIS3_Lb1ELb0EPfS7_N6thrust23THRUST_200600_302600_NS4plusIfEEEE10hipError_tPvRmT2_T3_mT4_P12ihipStream_tbEUlT_E_NS1_11comp_targetILNS1_3genE5ELNS1_11target_archE942ELNS1_3gpuE9ELNS1_3repE0EEENS1_30default_config_static_selectorELNS0_4arch9wavefront6targetE1EEEvT1_.has_dyn_sized_stack, 0
	.set _ZN7rocprim17ROCPRIM_400000_NS6detail17trampoline_kernelINS0_14default_configENS1_35adjacent_difference_config_selectorILb1EfEEZNS1_24adjacent_difference_implIS3_Lb1ELb0EPfS7_N6thrust23THRUST_200600_302600_NS4plusIfEEEE10hipError_tPvRmT2_T3_mT4_P12ihipStream_tbEUlT_E_NS1_11comp_targetILNS1_3genE5ELNS1_11target_archE942ELNS1_3gpuE9ELNS1_3repE0EEENS1_30default_config_static_selectorELNS0_4arch9wavefront6targetE1EEEvT1_.has_recursion, 0
	.set _ZN7rocprim17ROCPRIM_400000_NS6detail17trampoline_kernelINS0_14default_configENS1_35adjacent_difference_config_selectorILb1EfEEZNS1_24adjacent_difference_implIS3_Lb1ELb0EPfS7_N6thrust23THRUST_200600_302600_NS4plusIfEEEE10hipError_tPvRmT2_T3_mT4_P12ihipStream_tbEUlT_E_NS1_11comp_targetILNS1_3genE5ELNS1_11target_archE942ELNS1_3gpuE9ELNS1_3repE0EEENS1_30default_config_static_selectorELNS0_4arch9wavefront6targetE1EEEvT1_.has_indirect_call, 0
	.section	.AMDGPU.csdata,"",@progbits
; Kernel info:
; codeLenInByte = 0
; TotalNumSgprs: 4
; NumVgprs: 0
; ScratchSize: 0
; MemoryBound: 0
; FloatMode: 240
; IeeeMode: 1
; LDSByteSize: 0 bytes/workgroup (compile time only)
; SGPRBlocks: 0
; VGPRBlocks: 0
; NumSGPRsForWavesPerEU: 4
; NumVGPRsForWavesPerEU: 1
; Occupancy: 10
; WaveLimiterHint : 0
; COMPUTE_PGM_RSRC2:SCRATCH_EN: 0
; COMPUTE_PGM_RSRC2:USER_SGPR: 6
; COMPUTE_PGM_RSRC2:TRAP_HANDLER: 0
; COMPUTE_PGM_RSRC2:TGID_X_EN: 1
; COMPUTE_PGM_RSRC2:TGID_Y_EN: 0
; COMPUTE_PGM_RSRC2:TGID_Z_EN: 0
; COMPUTE_PGM_RSRC2:TIDIG_COMP_CNT: 0
	.section	.text._ZN7rocprim17ROCPRIM_400000_NS6detail17trampoline_kernelINS0_14default_configENS1_35adjacent_difference_config_selectorILb1EfEEZNS1_24adjacent_difference_implIS3_Lb1ELb0EPfS7_N6thrust23THRUST_200600_302600_NS4plusIfEEEE10hipError_tPvRmT2_T3_mT4_P12ihipStream_tbEUlT_E_NS1_11comp_targetILNS1_3genE4ELNS1_11target_archE910ELNS1_3gpuE8ELNS1_3repE0EEENS1_30default_config_static_selectorELNS0_4arch9wavefront6targetE1EEEvT1_,"axG",@progbits,_ZN7rocprim17ROCPRIM_400000_NS6detail17trampoline_kernelINS0_14default_configENS1_35adjacent_difference_config_selectorILb1EfEEZNS1_24adjacent_difference_implIS3_Lb1ELb0EPfS7_N6thrust23THRUST_200600_302600_NS4plusIfEEEE10hipError_tPvRmT2_T3_mT4_P12ihipStream_tbEUlT_E_NS1_11comp_targetILNS1_3genE4ELNS1_11target_archE910ELNS1_3gpuE8ELNS1_3repE0EEENS1_30default_config_static_selectorELNS0_4arch9wavefront6targetE1EEEvT1_,comdat
	.protected	_ZN7rocprim17ROCPRIM_400000_NS6detail17trampoline_kernelINS0_14default_configENS1_35adjacent_difference_config_selectorILb1EfEEZNS1_24adjacent_difference_implIS3_Lb1ELb0EPfS7_N6thrust23THRUST_200600_302600_NS4plusIfEEEE10hipError_tPvRmT2_T3_mT4_P12ihipStream_tbEUlT_E_NS1_11comp_targetILNS1_3genE4ELNS1_11target_archE910ELNS1_3gpuE8ELNS1_3repE0EEENS1_30default_config_static_selectorELNS0_4arch9wavefront6targetE1EEEvT1_ ; -- Begin function _ZN7rocprim17ROCPRIM_400000_NS6detail17trampoline_kernelINS0_14default_configENS1_35adjacent_difference_config_selectorILb1EfEEZNS1_24adjacent_difference_implIS3_Lb1ELb0EPfS7_N6thrust23THRUST_200600_302600_NS4plusIfEEEE10hipError_tPvRmT2_T3_mT4_P12ihipStream_tbEUlT_E_NS1_11comp_targetILNS1_3genE4ELNS1_11target_archE910ELNS1_3gpuE8ELNS1_3repE0EEENS1_30default_config_static_selectorELNS0_4arch9wavefront6targetE1EEEvT1_
	.globl	_ZN7rocprim17ROCPRIM_400000_NS6detail17trampoline_kernelINS0_14default_configENS1_35adjacent_difference_config_selectorILb1EfEEZNS1_24adjacent_difference_implIS3_Lb1ELb0EPfS7_N6thrust23THRUST_200600_302600_NS4plusIfEEEE10hipError_tPvRmT2_T3_mT4_P12ihipStream_tbEUlT_E_NS1_11comp_targetILNS1_3genE4ELNS1_11target_archE910ELNS1_3gpuE8ELNS1_3repE0EEENS1_30default_config_static_selectorELNS0_4arch9wavefront6targetE1EEEvT1_
	.p2align	8
	.type	_ZN7rocprim17ROCPRIM_400000_NS6detail17trampoline_kernelINS0_14default_configENS1_35adjacent_difference_config_selectorILb1EfEEZNS1_24adjacent_difference_implIS3_Lb1ELb0EPfS7_N6thrust23THRUST_200600_302600_NS4plusIfEEEE10hipError_tPvRmT2_T3_mT4_P12ihipStream_tbEUlT_E_NS1_11comp_targetILNS1_3genE4ELNS1_11target_archE910ELNS1_3gpuE8ELNS1_3repE0EEENS1_30default_config_static_selectorELNS0_4arch9wavefront6targetE1EEEvT1_,@function
_ZN7rocprim17ROCPRIM_400000_NS6detail17trampoline_kernelINS0_14default_configENS1_35adjacent_difference_config_selectorILb1EfEEZNS1_24adjacent_difference_implIS3_Lb1ELb0EPfS7_N6thrust23THRUST_200600_302600_NS4plusIfEEEE10hipError_tPvRmT2_T3_mT4_P12ihipStream_tbEUlT_E_NS1_11comp_targetILNS1_3genE4ELNS1_11target_archE910ELNS1_3gpuE8ELNS1_3repE0EEENS1_30default_config_static_selectorELNS0_4arch9wavefront6targetE1EEEvT1_: ; @_ZN7rocprim17ROCPRIM_400000_NS6detail17trampoline_kernelINS0_14default_configENS1_35adjacent_difference_config_selectorILb1EfEEZNS1_24adjacent_difference_implIS3_Lb1ELb0EPfS7_N6thrust23THRUST_200600_302600_NS4plusIfEEEE10hipError_tPvRmT2_T3_mT4_P12ihipStream_tbEUlT_E_NS1_11comp_targetILNS1_3genE4ELNS1_11target_archE910ELNS1_3gpuE8ELNS1_3repE0EEENS1_30default_config_static_selectorELNS0_4arch9wavefront6targetE1EEEvT1_
; %bb.0:
	.section	.rodata,"a",@progbits
	.p2align	6, 0x0
	.amdhsa_kernel _ZN7rocprim17ROCPRIM_400000_NS6detail17trampoline_kernelINS0_14default_configENS1_35adjacent_difference_config_selectorILb1EfEEZNS1_24adjacent_difference_implIS3_Lb1ELb0EPfS7_N6thrust23THRUST_200600_302600_NS4plusIfEEEE10hipError_tPvRmT2_T3_mT4_P12ihipStream_tbEUlT_E_NS1_11comp_targetILNS1_3genE4ELNS1_11target_archE910ELNS1_3gpuE8ELNS1_3repE0EEENS1_30default_config_static_selectorELNS0_4arch9wavefront6targetE1EEEvT1_
		.amdhsa_group_segment_fixed_size 0
		.amdhsa_private_segment_fixed_size 0
		.amdhsa_kernarg_size 56
		.amdhsa_user_sgpr_count 6
		.amdhsa_user_sgpr_private_segment_buffer 1
		.amdhsa_user_sgpr_dispatch_ptr 0
		.amdhsa_user_sgpr_queue_ptr 0
		.amdhsa_user_sgpr_kernarg_segment_ptr 1
		.amdhsa_user_sgpr_dispatch_id 0
		.amdhsa_user_sgpr_flat_scratch_init 0
		.amdhsa_user_sgpr_private_segment_size 0
		.amdhsa_uses_dynamic_stack 0
		.amdhsa_system_sgpr_private_segment_wavefront_offset 0
		.amdhsa_system_sgpr_workgroup_id_x 1
		.amdhsa_system_sgpr_workgroup_id_y 0
		.amdhsa_system_sgpr_workgroup_id_z 0
		.amdhsa_system_sgpr_workgroup_info 0
		.amdhsa_system_vgpr_workitem_id 0
		.amdhsa_next_free_vgpr 1
		.amdhsa_next_free_sgpr 0
		.amdhsa_reserve_vcc 0
		.amdhsa_reserve_flat_scratch 0
		.amdhsa_float_round_mode_32 0
		.amdhsa_float_round_mode_16_64 0
		.amdhsa_float_denorm_mode_32 3
		.amdhsa_float_denorm_mode_16_64 3
		.amdhsa_dx10_clamp 1
		.amdhsa_ieee_mode 1
		.amdhsa_fp16_overflow 0
		.amdhsa_exception_fp_ieee_invalid_op 0
		.amdhsa_exception_fp_denorm_src 0
		.amdhsa_exception_fp_ieee_div_zero 0
		.amdhsa_exception_fp_ieee_overflow 0
		.amdhsa_exception_fp_ieee_underflow 0
		.amdhsa_exception_fp_ieee_inexact 0
		.amdhsa_exception_int_div_zero 0
	.end_amdhsa_kernel
	.section	.text._ZN7rocprim17ROCPRIM_400000_NS6detail17trampoline_kernelINS0_14default_configENS1_35adjacent_difference_config_selectorILb1EfEEZNS1_24adjacent_difference_implIS3_Lb1ELb0EPfS7_N6thrust23THRUST_200600_302600_NS4plusIfEEEE10hipError_tPvRmT2_T3_mT4_P12ihipStream_tbEUlT_E_NS1_11comp_targetILNS1_3genE4ELNS1_11target_archE910ELNS1_3gpuE8ELNS1_3repE0EEENS1_30default_config_static_selectorELNS0_4arch9wavefront6targetE1EEEvT1_,"axG",@progbits,_ZN7rocprim17ROCPRIM_400000_NS6detail17trampoline_kernelINS0_14default_configENS1_35adjacent_difference_config_selectorILb1EfEEZNS1_24adjacent_difference_implIS3_Lb1ELb0EPfS7_N6thrust23THRUST_200600_302600_NS4plusIfEEEE10hipError_tPvRmT2_T3_mT4_P12ihipStream_tbEUlT_E_NS1_11comp_targetILNS1_3genE4ELNS1_11target_archE910ELNS1_3gpuE8ELNS1_3repE0EEENS1_30default_config_static_selectorELNS0_4arch9wavefront6targetE1EEEvT1_,comdat
.Lfunc_end98:
	.size	_ZN7rocprim17ROCPRIM_400000_NS6detail17trampoline_kernelINS0_14default_configENS1_35adjacent_difference_config_selectorILb1EfEEZNS1_24adjacent_difference_implIS3_Lb1ELb0EPfS7_N6thrust23THRUST_200600_302600_NS4plusIfEEEE10hipError_tPvRmT2_T3_mT4_P12ihipStream_tbEUlT_E_NS1_11comp_targetILNS1_3genE4ELNS1_11target_archE910ELNS1_3gpuE8ELNS1_3repE0EEENS1_30default_config_static_selectorELNS0_4arch9wavefront6targetE1EEEvT1_, .Lfunc_end98-_ZN7rocprim17ROCPRIM_400000_NS6detail17trampoline_kernelINS0_14default_configENS1_35adjacent_difference_config_selectorILb1EfEEZNS1_24adjacent_difference_implIS3_Lb1ELb0EPfS7_N6thrust23THRUST_200600_302600_NS4plusIfEEEE10hipError_tPvRmT2_T3_mT4_P12ihipStream_tbEUlT_E_NS1_11comp_targetILNS1_3genE4ELNS1_11target_archE910ELNS1_3gpuE8ELNS1_3repE0EEENS1_30default_config_static_selectorELNS0_4arch9wavefront6targetE1EEEvT1_
                                        ; -- End function
	.set _ZN7rocprim17ROCPRIM_400000_NS6detail17trampoline_kernelINS0_14default_configENS1_35adjacent_difference_config_selectorILb1EfEEZNS1_24adjacent_difference_implIS3_Lb1ELb0EPfS7_N6thrust23THRUST_200600_302600_NS4plusIfEEEE10hipError_tPvRmT2_T3_mT4_P12ihipStream_tbEUlT_E_NS1_11comp_targetILNS1_3genE4ELNS1_11target_archE910ELNS1_3gpuE8ELNS1_3repE0EEENS1_30default_config_static_selectorELNS0_4arch9wavefront6targetE1EEEvT1_.num_vgpr, 0
	.set _ZN7rocprim17ROCPRIM_400000_NS6detail17trampoline_kernelINS0_14default_configENS1_35adjacent_difference_config_selectorILb1EfEEZNS1_24adjacent_difference_implIS3_Lb1ELb0EPfS7_N6thrust23THRUST_200600_302600_NS4plusIfEEEE10hipError_tPvRmT2_T3_mT4_P12ihipStream_tbEUlT_E_NS1_11comp_targetILNS1_3genE4ELNS1_11target_archE910ELNS1_3gpuE8ELNS1_3repE0EEENS1_30default_config_static_selectorELNS0_4arch9wavefront6targetE1EEEvT1_.num_agpr, 0
	.set _ZN7rocprim17ROCPRIM_400000_NS6detail17trampoline_kernelINS0_14default_configENS1_35adjacent_difference_config_selectorILb1EfEEZNS1_24adjacent_difference_implIS3_Lb1ELb0EPfS7_N6thrust23THRUST_200600_302600_NS4plusIfEEEE10hipError_tPvRmT2_T3_mT4_P12ihipStream_tbEUlT_E_NS1_11comp_targetILNS1_3genE4ELNS1_11target_archE910ELNS1_3gpuE8ELNS1_3repE0EEENS1_30default_config_static_selectorELNS0_4arch9wavefront6targetE1EEEvT1_.numbered_sgpr, 0
	.set _ZN7rocprim17ROCPRIM_400000_NS6detail17trampoline_kernelINS0_14default_configENS1_35adjacent_difference_config_selectorILb1EfEEZNS1_24adjacent_difference_implIS3_Lb1ELb0EPfS7_N6thrust23THRUST_200600_302600_NS4plusIfEEEE10hipError_tPvRmT2_T3_mT4_P12ihipStream_tbEUlT_E_NS1_11comp_targetILNS1_3genE4ELNS1_11target_archE910ELNS1_3gpuE8ELNS1_3repE0EEENS1_30default_config_static_selectorELNS0_4arch9wavefront6targetE1EEEvT1_.num_named_barrier, 0
	.set _ZN7rocprim17ROCPRIM_400000_NS6detail17trampoline_kernelINS0_14default_configENS1_35adjacent_difference_config_selectorILb1EfEEZNS1_24adjacent_difference_implIS3_Lb1ELb0EPfS7_N6thrust23THRUST_200600_302600_NS4plusIfEEEE10hipError_tPvRmT2_T3_mT4_P12ihipStream_tbEUlT_E_NS1_11comp_targetILNS1_3genE4ELNS1_11target_archE910ELNS1_3gpuE8ELNS1_3repE0EEENS1_30default_config_static_selectorELNS0_4arch9wavefront6targetE1EEEvT1_.private_seg_size, 0
	.set _ZN7rocprim17ROCPRIM_400000_NS6detail17trampoline_kernelINS0_14default_configENS1_35adjacent_difference_config_selectorILb1EfEEZNS1_24adjacent_difference_implIS3_Lb1ELb0EPfS7_N6thrust23THRUST_200600_302600_NS4plusIfEEEE10hipError_tPvRmT2_T3_mT4_P12ihipStream_tbEUlT_E_NS1_11comp_targetILNS1_3genE4ELNS1_11target_archE910ELNS1_3gpuE8ELNS1_3repE0EEENS1_30default_config_static_selectorELNS0_4arch9wavefront6targetE1EEEvT1_.uses_vcc, 0
	.set _ZN7rocprim17ROCPRIM_400000_NS6detail17trampoline_kernelINS0_14default_configENS1_35adjacent_difference_config_selectorILb1EfEEZNS1_24adjacent_difference_implIS3_Lb1ELb0EPfS7_N6thrust23THRUST_200600_302600_NS4plusIfEEEE10hipError_tPvRmT2_T3_mT4_P12ihipStream_tbEUlT_E_NS1_11comp_targetILNS1_3genE4ELNS1_11target_archE910ELNS1_3gpuE8ELNS1_3repE0EEENS1_30default_config_static_selectorELNS0_4arch9wavefront6targetE1EEEvT1_.uses_flat_scratch, 0
	.set _ZN7rocprim17ROCPRIM_400000_NS6detail17trampoline_kernelINS0_14default_configENS1_35adjacent_difference_config_selectorILb1EfEEZNS1_24adjacent_difference_implIS3_Lb1ELb0EPfS7_N6thrust23THRUST_200600_302600_NS4plusIfEEEE10hipError_tPvRmT2_T3_mT4_P12ihipStream_tbEUlT_E_NS1_11comp_targetILNS1_3genE4ELNS1_11target_archE910ELNS1_3gpuE8ELNS1_3repE0EEENS1_30default_config_static_selectorELNS0_4arch9wavefront6targetE1EEEvT1_.has_dyn_sized_stack, 0
	.set _ZN7rocprim17ROCPRIM_400000_NS6detail17trampoline_kernelINS0_14default_configENS1_35adjacent_difference_config_selectorILb1EfEEZNS1_24adjacent_difference_implIS3_Lb1ELb0EPfS7_N6thrust23THRUST_200600_302600_NS4plusIfEEEE10hipError_tPvRmT2_T3_mT4_P12ihipStream_tbEUlT_E_NS1_11comp_targetILNS1_3genE4ELNS1_11target_archE910ELNS1_3gpuE8ELNS1_3repE0EEENS1_30default_config_static_selectorELNS0_4arch9wavefront6targetE1EEEvT1_.has_recursion, 0
	.set _ZN7rocprim17ROCPRIM_400000_NS6detail17trampoline_kernelINS0_14default_configENS1_35adjacent_difference_config_selectorILb1EfEEZNS1_24adjacent_difference_implIS3_Lb1ELb0EPfS7_N6thrust23THRUST_200600_302600_NS4plusIfEEEE10hipError_tPvRmT2_T3_mT4_P12ihipStream_tbEUlT_E_NS1_11comp_targetILNS1_3genE4ELNS1_11target_archE910ELNS1_3gpuE8ELNS1_3repE0EEENS1_30default_config_static_selectorELNS0_4arch9wavefront6targetE1EEEvT1_.has_indirect_call, 0
	.section	.AMDGPU.csdata,"",@progbits
; Kernel info:
; codeLenInByte = 0
; TotalNumSgprs: 4
; NumVgprs: 0
; ScratchSize: 0
; MemoryBound: 0
; FloatMode: 240
; IeeeMode: 1
; LDSByteSize: 0 bytes/workgroup (compile time only)
; SGPRBlocks: 0
; VGPRBlocks: 0
; NumSGPRsForWavesPerEU: 4
; NumVGPRsForWavesPerEU: 1
; Occupancy: 10
; WaveLimiterHint : 0
; COMPUTE_PGM_RSRC2:SCRATCH_EN: 0
; COMPUTE_PGM_RSRC2:USER_SGPR: 6
; COMPUTE_PGM_RSRC2:TRAP_HANDLER: 0
; COMPUTE_PGM_RSRC2:TGID_X_EN: 1
; COMPUTE_PGM_RSRC2:TGID_Y_EN: 0
; COMPUTE_PGM_RSRC2:TGID_Z_EN: 0
; COMPUTE_PGM_RSRC2:TIDIG_COMP_CNT: 0
	.section	.text._ZN7rocprim17ROCPRIM_400000_NS6detail17trampoline_kernelINS0_14default_configENS1_35adjacent_difference_config_selectorILb1EfEEZNS1_24adjacent_difference_implIS3_Lb1ELb0EPfS7_N6thrust23THRUST_200600_302600_NS4plusIfEEEE10hipError_tPvRmT2_T3_mT4_P12ihipStream_tbEUlT_E_NS1_11comp_targetILNS1_3genE3ELNS1_11target_archE908ELNS1_3gpuE7ELNS1_3repE0EEENS1_30default_config_static_selectorELNS0_4arch9wavefront6targetE1EEEvT1_,"axG",@progbits,_ZN7rocprim17ROCPRIM_400000_NS6detail17trampoline_kernelINS0_14default_configENS1_35adjacent_difference_config_selectorILb1EfEEZNS1_24adjacent_difference_implIS3_Lb1ELb0EPfS7_N6thrust23THRUST_200600_302600_NS4plusIfEEEE10hipError_tPvRmT2_T3_mT4_P12ihipStream_tbEUlT_E_NS1_11comp_targetILNS1_3genE3ELNS1_11target_archE908ELNS1_3gpuE7ELNS1_3repE0EEENS1_30default_config_static_selectorELNS0_4arch9wavefront6targetE1EEEvT1_,comdat
	.protected	_ZN7rocprim17ROCPRIM_400000_NS6detail17trampoline_kernelINS0_14default_configENS1_35adjacent_difference_config_selectorILb1EfEEZNS1_24adjacent_difference_implIS3_Lb1ELb0EPfS7_N6thrust23THRUST_200600_302600_NS4plusIfEEEE10hipError_tPvRmT2_T3_mT4_P12ihipStream_tbEUlT_E_NS1_11comp_targetILNS1_3genE3ELNS1_11target_archE908ELNS1_3gpuE7ELNS1_3repE0EEENS1_30default_config_static_selectorELNS0_4arch9wavefront6targetE1EEEvT1_ ; -- Begin function _ZN7rocprim17ROCPRIM_400000_NS6detail17trampoline_kernelINS0_14default_configENS1_35adjacent_difference_config_selectorILb1EfEEZNS1_24adjacent_difference_implIS3_Lb1ELb0EPfS7_N6thrust23THRUST_200600_302600_NS4plusIfEEEE10hipError_tPvRmT2_T3_mT4_P12ihipStream_tbEUlT_E_NS1_11comp_targetILNS1_3genE3ELNS1_11target_archE908ELNS1_3gpuE7ELNS1_3repE0EEENS1_30default_config_static_selectorELNS0_4arch9wavefront6targetE1EEEvT1_
	.globl	_ZN7rocprim17ROCPRIM_400000_NS6detail17trampoline_kernelINS0_14default_configENS1_35adjacent_difference_config_selectorILb1EfEEZNS1_24adjacent_difference_implIS3_Lb1ELb0EPfS7_N6thrust23THRUST_200600_302600_NS4plusIfEEEE10hipError_tPvRmT2_T3_mT4_P12ihipStream_tbEUlT_E_NS1_11comp_targetILNS1_3genE3ELNS1_11target_archE908ELNS1_3gpuE7ELNS1_3repE0EEENS1_30default_config_static_selectorELNS0_4arch9wavefront6targetE1EEEvT1_
	.p2align	8
	.type	_ZN7rocprim17ROCPRIM_400000_NS6detail17trampoline_kernelINS0_14default_configENS1_35adjacent_difference_config_selectorILb1EfEEZNS1_24adjacent_difference_implIS3_Lb1ELb0EPfS7_N6thrust23THRUST_200600_302600_NS4plusIfEEEE10hipError_tPvRmT2_T3_mT4_P12ihipStream_tbEUlT_E_NS1_11comp_targetILNS1_3genE3ELNS1_11target_archE908ELNS1_3gpuE7ELNS1_3repE0EEENS1_30default_config_static_selectorELNS0_4arch9wavefront6targetE1EEEvT1_,@function
_ZN7rocprim17ROCPRIM_400000_NS6detail17trampoline_kernelINS0_14default_configENS1_35adjacent_difference_config_selectorILb1EfEEZNS1_24adjacent_difference_implIS3_Lb1ELb0EPfS7_N6thrust23THRUST_200600_302600_NS4plusIfEEEE10hipError_tPvRmT2_T3_mT4_P12ihipStream_tbEUlT_E_NS1_11comp_targetILNS1_3genE3ELNS1_11target_archE908ELNS1_3gpuE7ELNS1_3repE0EEENS1_30default_config_static_selectorELNS0_4arch9wavefront6targetE1EEEvT1_: ; @_ZN7rocprim17ROCPRIM_400000_NS6detail17trampoline_kernelINS0_14default_configENS1_35adjacent_difference_config_selectorILb1EfEEZNS1_24adjacent_difference_implIS3_Lb1ELb0EPfS7_N6thrust23THRUST_200600_302600_NS4plusIfEEEE10hipError_tPvRmT2_T3_mT4_P12ihipStream_tbEUlT_E_NS1_11comp_targetILNS1_3genE3ELNS1_11target_archE908ELNS1_3gpuE7ELNS1_3repE0EEENS1_30default_config_static_selectorELNS0_4arch9wavefront6targetE1EEEvT1_
; %bb.0:
	.section	.rodata,"a",@progbits
	.p2align	6, 0x0
	.amdhsa_kernel _ZN7rocprim17ROCPRIM_400000_NS6detail17trampoline_kernelINS0_14default_configENS1_35adjacent_difference_config_selectorILb1EfEEZNS1_24adjacent_difference_implIS3_Lb1ELb0EPfS7_N6thrust23THRUST_200600_302600_NS4plusIfEEEE10hipError_tPvRmT2_T3_mT4_P12ihipStream_tbEUlT_E_NS1_11comp_targetILNS1_3genE3ELNS1_11target_archE908ELNS1_3gpuE7ELNS1_3repE0EEENS1_30default_config_static_selectorELNS0_4arch9wavefront6targetE1EEEvT1_
		.amdhsa_group_segment_fixed_size 0
		.amdhsa_private_segment_fixed_size 0
		.amdhsa_kernarg_size 56
		.amdhsa_user_sgpr_count 6
		.amdhsa_user_sgpr_private_segment_buffer 1
		.amdhsa_user_sgpr_dispatch_ptr 0
		.amdhsa_user_sgpr_queue_ptr 0
		.amdhsa_user_sgpr_kernarg_segment_ptr 1
		.amdhsa_user_sgpr_dispatch_id 0
		.amdhsa_user_sgpr_flat_scratch_init 0
		.amdhsa_user_sgpr_private_segment_size 0
		.amdhsa_uses_dynamic_stack 0
		.amdhsa_system_sgpr_private_segment_wavefront_offset 0
		.amdhsa_system_sgpr_workgroup_id_x 1
		.amdhsa_system_sgpr_workgroup_id_y 0
		.amdhsa_system_sgpr_workgroup_id_z 0
		.amdhsa_system_sgpr_workgroup_info 0
		.amdhsa_system_vgpr_workitem_id 0
		.amdhsa_next_free_vgpr 1
		.amdhsa_next_free_sgpr 0
		.amdhsa_reserve_vcc 0
		.amdhsa_reserve_flat_scratch 0
		.amdhsa_float_round_mode_32 0
		.amdhsa_float_round_mode_16_64 0
		.amdhsa_float_denorm_mode_32 3
		.amdhsa_float_denorm_mode_16_64 3
		.amdhsa_dx10_clamp 1
		.amdhsa_ieee_mode 1
		.amdhsa_fp16_overflow 0
		.amdhsa_exception_fp_ieee_invalid_op 0
		.amdhsa_exception_fp_denorm_src 0
		.amdhsa_exception_fp_ieee_div_zero 0
		.amdhsa_exception_fp_ieee_overflow 0
		.amdhsa_exception_fp_ieee_underflow 0
		.amdhsa_exception_fp_ieee_inexact 0
		.amdhsa_exception_int_div_zero 0
	.end_amdhsa_kernel
	.section	.text._ZN7rocprim17ROCPRIM_400000_NS6detail17trampoline_kernelINS0_14default_configENS1_35adjacent_difference_config_selectorILb1EfEEZNS1_24adjacent_difference_implIS3_Lb1ELb0EPfS7_N6thrust23THRUST_200600_302600_NS4plusIfEEEE10hipError_tPvRmT2_T3_mT4_P12ihipStream_tbEUlT_E_NS1_11comp_targetILNS1_3genE3ELNS1_11target_archE908ELNS1_3gpuE7ELNS1_3repE0EEENS1_30default_config_static_selectorELNS0_4arch9wavefront6targetE1EEEvT1_,"axG",@progbits,_ZN7rocprim17ROCPRIM_400000_NS6detail17trampoline_kernelINS0_14default_configENS1_35adjacent_difference_config_selectorILb1EfEEZNS1_24adjacent_difference_implIS3_Lb1ELb0EPfS7_N6thrust23THRUST_200600_302600_NS4plusIfEEEE10hipError_tPvRmT2_T3_mT4_P12ihipStream_tbEUlT_E_NS1_11comp_targetILNS1_3genE3ELNS1_11target_archE908ELNS1_3gpuE7ELNS1_3repE0EEENS1_30default_config_static_selectorELNS0_4arch9wavefront6targetE1EEEvT1_,comdat
.Lfunc_end99:
	.size	_ZN7rocprim17ROCPRIM_400000_NS6detail17trampoline_kernelINS0_14default_configENS1_35adjacent_difference_config_selectorILb1EfEEZNS1_24adjacent_difference_implIS3_Lb1ELb0EPfS7_N6thrust23THRUST_200600_302600_NS4plusIfEEEE10hipError_tPvRmT2_T3_mT4_P12ihipStream_tbEUlT_E_NS1_11comp_targetILNS1_3genE3ELNS1_11target_archE908ELNS1_3gpuE7ELNS1_3repE0EEENS1_30default_config_static_selectorELNS0_4arch9wavefront6targetE1EEEvT1_, .Lfunc_end99-_ZN7rocprim17ROCPRIM_400000_NS6detail17trampoline_kernelINS0_14default_configENS1_35adjacent_difference_config_selectorILb1EfEEZNS1_24adjacent_difference_implIS3_Lb1ELb0EPfS7_N6thrust23THRUST_200600_302600_NS4plusIfEEEE10hipError_tPvRmT2_T3_mT4_P12ihipStream_tbEUlT_E_NS1_11comp_targetILNS1_3genE3ELNS1_11target_archE908ELNS1_3gpuE7ELNS1_3repE0EEENS1_30default_config_static_selectorELNS0_4arch9wavefront6targetE1EEEvT1_
                                        ; -- End function
	.set _ZN7rocprim17ROCPRIM_400000_NS6detail17trampoline_kernelINS0_14default_configENS1_35adjacent_difference_config_selectorILb1EfEEZNS1_24adjacent_difference_implIS3_Lb1ELb0EPfS7_N6thrust23THRUST_200600_302600_NS4plusIfEEEE10hipError_tPvRmT2_T3_mT4_P12ihipStream_tbEUlT_E_NS1_11comp_targetILNS1_3genE3ELNS1_11target_archE908ELNS1_3gpuE7ELNS1_3repE0EEENS1_30default_config_static_selectorELNS0_4arch9wavefront6targetE1EEEvT1_.num_vgpr, 0
	.set _ZN7rocprim17ROCPRIM_400000_NS6detail17trampoline_kernelINS0_14default_configENS1_35adjacent_difference_config_selectorILb1EfEEZNS1_24adjacent_difference_implIS3_Lb1ELb0EPfS7_N6thrust23THRUST_200600_302600_NS4plusIfEEEE10hipError_tPvRmT2_T3_mT4_P12ihipStream_tbEUlT_E_NS1_11comp_targetILNS1_3genE3ELNS1_11target_archE908ELNS1_3gpuE7ELNS1_3repE0EEENS1_30default_config_static_selectorELNS0_4arch9wavefront6targetE1EEEvT1_.num_agpr, 0
	.set _ZN7rocprim17ROCPRIM_400000_NS6detail17trampoline_kernelINS0_14default_configENS1_35adjacent_difference_config_selectorILb1EfEEZNS1_24adjacent_difference_implIS3_Lb1ELb0EPfS7_N6thrust23THRUST_200600_302600_NS4plusIfEEEE10hipError_tPvRmT2_T3_mT4_P12ihipStream_tbEUlT_E_NS1_11comp_targetILNS1_3genE3ELNS1_11target_archE908ELNS1_3gpuE7ELNS1_3repE0EEENS1_30default_config_static_selectorELNS0_4arch9wavefront6targetE1EEEvT1_.numbered_sgpr, 0
	.set _ZN7rocprim17ROCPRIM_400000_NS6detail17trampoline_kernelINS0_14default_configENS1_35adjacent_difference_config_selectorILb1EfEEZNS1_24adjacent_difference_implIS3_Lb1ELb0EPfS7_N6thrust23THRUST_200600_302600_NS4plusIfEEEE10hipError_tPvRmT2_T3_mT4_P12ihipStream_tbEUlT_E_NS1_11comp_targetILNS1_3genE3ELNS1_11target_archE908ELNS1_3gpuE7ELNS1_3repE0EEENS1_30default_config_static_selectorELNS0_4arch9wavefront6targetE1EEEvT1_.num_named_barrier, 0
	.set _ZN7rocprim17ROCPRIM_400000_NS6detail17trampoline_kernelINS0_14default_configENS1_35adjacent_difference_config_selectorILb1EfEEZNS1_24adjacent_difference_implIS3_Lb1ELb0EPfS7_N6thrust23THRUST_200600_302600_NS4plusIfEEEE10hipError_tPvRmT2_T3_mT4_P12ihipStream_tbEUlT_E_NS1_11comp_targetILNS1_3genE3ELNS1_11target_archE908ELNS1_3gpuE7ELNS1_3repE0EEENS1_30default_config_static_selectorELNS0_4arch9wavefront6targetE1EEEvT1_.private_seg_size, 0
	.set _ZN7rocprim17ROCPRIM_400000_NS6detail17trampoline_kernelINS0_14default_configENS1_35adjacent_difference_config_selectorILb1EfEEZNS1_24adjacent_difference_implIS3_Lb1ELb0EPfS7_N6thrust23THRUST_200600_302600_NS4plusIfEEEE10hipError_tPvRmT2_T3_mT4_P12ihipStream_tbEUlT_E_NS1_11comp_targetILNS1_3genE3ELNS1_11target_archE908ELNS1_3gpuE7ELNS1_3repE0EEENS1_30default_config_static_selectorELNS0_4arch9wavefront6targetE1EEEvT1_.uses_vcc, 0
	.set _ZN7rocprim17ROCPRIM_400000_NS6detail17trampoline_kernelINS0_14default_configENS1_35adjacent_difference_config_selectorILb1EfEEZNS1_24adjacent_difference_implIS3_Lb1ELb0EPfS7_N6thrust23THRUST_200600_302600_NS4plusIfEEEE10hipError_tPvRmT2_T3_mT4_P12ihipStream_tbEUlT_E_NS1_11comp_targetILNS1_3genE3ELNS1_11target_archE908ELNS1_3gpuE7ELNS1_3repE0EEENS1_30default_config_static_selectorELNS0_4arch9wavefront6targetE1EEEvT1_.uses_flat_scratch, 0
	.set _ZN7rocprim17ROCPRIM_400000_NS6detail17trampoline_kernelINS0_14default_configENS1_35adjacent_difference_config_selectorILb1EfEEZNS1_24adjacent_difference_implIS3_Lb1ELb0EPfS7_N6thrust23THRUST_200600_302600_NS4plusIfEEEE10hipError_tPvRmT2_T3_mT4_P12ihipStream_tbEUlT_E_NS1_11comp_targetILNS1_3genE3ELNS1_11target_archE908ELNS1_3gpuE7ELNS1_3repE0EEENS1_30default_config_static_selectorELNS0_4arch9wavefront6targetE1EEEvT1_.has_dyn_sized_stack, 0
	.set _ZN7rocprim17ROCPRIM_400000_NS6detail17trampoline_kernelINS0_14default_configENS1_35adjacent_difference_config_selectorILb1EfEEZNS1_24adjacent_difference_implIS3_Lb1ELb0EPfS7_N6thrust23THRUST_200600_302600_NS4plusIfEEEE10hipError_tPvRmT2_T3_mT4_P12ihipStream_tbEUlT_E_NS1_11comp_targetILNS1_3genE3ELNS1_11target_archE908ELNS1_3gpuE7ELNS1_3repE0EEENS1_30default_config_static_selectorELNS0_4arch9wavefront6targetE1EEEvT1_.has_recursion, 0
	.set _ZN7rocprim17ROCPRIM_400000_NS6detail17trampoline_kernelINS0_14default_configENS1_35adjacent_difference_config_selectorILb1EfEEZNS1_24adjacent_difference_implIS3_Lb1ELb0EPfS7_N6thrust23THRUST_200600_302600_NS4plusIfEEEE10hipError_tPvRmT2_T3_mT4_P12ihipStream_tbEUlT_E_NS1_11comp_targetILNS1_3genE3ELNS1_11target_archE908ELNS1_3gpuE7ELNS1_3repE0EEENS1_30default_config_static_selectorELNS0_4arch9wavefront6targetE1EEEvT1_.has_indirect_call, 0
	.section	.AMDGPU.csdata,"",@progbits
; Kernel info:
; codeLenInByte = 0
; TotalNumSgprs: 4
; NumVgprs: 0
; ScratchSize: 0
; MemoryBound: 0
; FloatMode: 240
; IeeeMode: 1
; LDSByteSize: 0 bytes/workgroup (compile time only)
; SGPRBlocks: 0
; VGPRBlocks: 0
; NumSGPRsForWavesPerEU: 4
; NumVGPRsForWavesPerEU: 1
; Occupancy: 10
; WaveLimiterHint : 0
; COMPUTE_PGM_RSRC2:SCRATCH_EN: 0
; COMPUTE_PGM_RSRC2:USER_SGPR: 6
; COMPUTE_PGM_RSRC2:TRAP_HANDLER: 0
; COMPUTE_PGM_RSRC2:TGID_X_EN: 1
; COMPUTE_PGM_RSRC2:TGID_Y_EN: 0
; COMPUTE_PGM_RSRC2:TGID_Z_EN: 0
; COMPUTE_PGM_RSRC2:TIDIG_COMP_CNT: 0
	.section	.text._ZN7rocprim17ROCPRIM_400000_NS6detail17trampoline_kernelINS0_14default_configENS1_35adjacent_difference_config_selectorILb1EfEEZNS1_24adjacent_difference_implIS3_Lb1ELb0EPfS7_N6thrust23THRUST_200600_302600_NS4plusIfEEEE10hipError_tPvRmT2_T3_mT4_P12ihipStream_tbEUlT_E_NS1_11comp_targetILNS1_3genE2ELNS1_11target_archE906ELNS1_3gpuE6ELNS1_3repE0EEENS1_30default_config_static_selectorELNS0_4arch9wavefront6targetE1EEEvT1_,"axG",@progbits,_ZN7rocprim17ROCPRIM_400000_NS6detail17trampoline_kernelINS0_14default_configENS1_35adjacent_difference_config_selectorILb1EfEEZNS1_24adjacent_difference_implIS3_Lb1ELb0EPfS7_N6thrust23THRUST_200600_302600_NS4plusIfEEEE10hipError_tPvRmT2_T3_mT4_P12ihipStream_tbEUlT_E_NS1_11comp_targetILNS1_3genE2ELNS1_11target_archE906ELNS1_3gpuE6ELNS1_3repE0EEENS1_30default_config_static_selectorELNS0_4arch9wavefront6targetE1EEEvT1_,comdat
	.protected	_ZN7rocprim17ROCPRIM_400000_NS6detail17trampoline_kernelINS0_14default_configENS1_35adjacent_difference_config_selectorILb1EfEEZNS1_24adjacent_difference_implIS3_Lb1ELb0EPfS7_N6thrust23THRUST_200600_302600_NS4plusIfEEEE10hipError_tPvRmT2_T3_mT4_P12ihipStream_tbEUlT_E_NS1_11comp_targetILNS1_3genE2ELNS1_11target_archE906ELNS1_3gpuE6ELNS1_3repE0EEENS1_30default_config_static_selectorELNS0_4arch9wavefront6targetE1EEEvT1_ ; -- Begin function _ZN7rocprim17ROCPRIM_400000_NS6detail17trampoline_kernelINS0_14default_configENS1_35adjacent_difference_config_selectorILb1EfEEZNS1_24adjacent_difference_implIS3_Lb1ELb0EPfS7_N6thrust23THRUST_200600_302600_NS4plusIfEEEE10hipError_tPvRmT2_T3_mT4_P12ihipStream_tbEUlT_E_NS1_11comp_targetILNS1_3genE2ELNS1_11target_archE906ELNS1_3gpuE6ELNS1_3repE0EEENS1_30default_config_static_selectorELNS0_4arch9wavefront6targetE1EEEvT1_
	.globl	_ZN7rocprim17ROCPRIM_400000_NS6detail17trampoline_kernelINS0_14default_configENS1_35adjacent_difference_config_selectorILb1EfEEZNS1_24adjacent_difference_implIS3_Lb1ELb0EPfS7_N6thrust23THRUST_200600_302600_NS4plusIfEEEE10hipError_tPvRmT2_T3_mT4_P12ihipStream_tbEUlT_E_NS1_11comp_targetILNS1_3genE2ELNS1_11target_archE906ELNS1_3gpuE6ELNS1_3repE0EEENS1_30default_config_static_selectorELNS0_4arch9wavefront6targetE1EEEvT1_
	.p2align	8
	.type	_ZN7rocprim17ROCPRIM_400000_NS6detail17trampoline_kernelINS0_14default_configENS1_35adjacent_difference_config_selectorILb1EfEEZNS1_24adjacent_difference_implIS3_Lb1ELb0EPfS7_N6thrust23THRUST_200600_302600_NS4plusIfEEEE10hipError_tPvRmT2_T3_mT4_P12ihipStream_tbEUlT_E_NS1_11comp_targetILNS1_3genE2ELNS1_11target_archE906ELNS1_3gpuE6ELNS1_3repE0EEENS1_30default_config_static_selectorELNS0_4arch9wavefront6targetE1EEEvT1_,@function
_ZN7rocprim17ROCPRIM_400000_NS6detail17trampoline_kernelINS0_14default_configENS1_35adjacent_difference_config_selectorILb1EfEEZNS1_24adjacent_difference_implIS3_Lb1ELb0EPfS7_N6thrust23THRUST_200600_302600_NS4plusIfEEEE10hipError_tPvRmT2_T3_mT4_P12ihipStream_tbEUlT_E_NS1_11comp_targetILNS1_3genE2ELNS1_11target_archE906ELNS1_3gpuE6ELNS1_3repE0EEENS1_30default_config_static_selectorELNS0_4arch9wavefront6targetE1EEEvT1_: ; @_ZN7rocprim17ROCPRIM_400000_NS6detail17trampoline_kernelINS0_14default_configENS1_35adjacent_difference_config_selectorILb1EfEEZNS1_24adjacent_difference_implIS3_Lb1ELb0EPfS7_N6thrust23THRUST_200600_302600_NS4plusIfEEEE10hipError_tPvRmT2_T3_mT4_P12ihipStream_tbEUlT_E_NS1_11comp_targetILNS1_3genE2ELNS1_11target_archE906ELNS1_3gpuE6ELNS1_3repE0EEENS1_30default_config_static_selectorELNS0_4arch9wavefront6targetE1EEEvT1_
; %bb.0:
	s_load_dwordx8 s[20:27], s[4:5], 0x0
	s_load_dwordx4 s[8:11], s[4:5], 0x28
	s_mul_i32 s28, s6, 0xb00
	s_mov_b32 s7, 0
	s_mov_b64 s[14:15], -1
	s_waitcnt lgkmcnt(0)
	s_lshl_b64 s[30:31], s[22:23], 2
	s_add_u32 s18, s20, s30
	s_addc_u32 s19, s21, s31
	s_mul_i32 s3, s27, 0xba2e8ba3
	s_mul_hi_u32 s4, s26, 0xba2e8ba3
	s_mul_hi_u32 s2, s27, 0xba2e8ba3
	s_add_u32 s3, s3, s4
	s_mul_i32 s1, s26, 0x2e8ba2e8
	s_addc_u32 s2, s2, 0
	s_mul_hi_u32 s0, s26, 0x2e8ba2e8
	s_add_u32 s1, s1, s3
	s_addc_u32 s0, s0, 0
	s_add_u32 s0, s2, s0
	s_addc_u32 s1, 0, 0
	s_mul_i32 s3, s27, 0x2e8ba2e8
	s_mul_hi_u32 s2, s27, 0x2e8ba2e8
	s_add_u32 s0, s3, s0
	s_addc_u32 s1, s2, s1
	s_lshr_b64 s[2:3], s[0:1], 9
	s_lshr_b32 s0, s1, 9
	s_mulk_i32 s0, 0xb00
	s_mul_hi_u32 s1, s2, 0xb00
	s_add_i32 s1, s1, s0
	s_mul_i32 s0, s2, 0xb00
	s_sub_u32 s0, s26, s0
	s_subb_u32 s1, s27, s1
	s_cmp_lg_u64 s[0:1], 0
	s_cselect_b64 s[0:1], -1, 0
	v_cndmask_b32_e64 v1, 0, 1, s[0:1]
	v_readfirstlane_b32 s0, v1
	s_add_u32 s2, s2, s0
	s_addc_u32 s3, s3, 0
	s_add_u32 s4, s10, s6
	s_addc_u32 s5, s11, 0
	s_add_u32 s12, s2, -1
	s_addc_u32 s13, s3, -1
	v_mov_b32_e32 v1, s12
	v_mov_b32_e32 v2, s13
	v_cmp_ge_u64_e64 s[0:1], s[4:5], v[1:2]
	s_mul_i32 s27, s12, 0xfffff500
	s_and_b64 vcc, exec, s[0:1]
	s_cbranch_vccz .LBB100_24
; %bb.1:
	s_mov_b32 s29, s7
	s_add_i32 s20, s27, s26
	s_lshl_b64 s[14:15], s[28:29], 2
	s_add_u32 s14, s18, s14
	v_mov_b32_e32 v1, 0
	s_addc_u32 s15, s19, s15
	v_cmp_gt_u32_e32 vcc, s20, v0
	v_mov_b32_e32 v2, v1
	v_mov_b32_e32 v3, v1
	;; [unrolled: 1-line block ×10, first 2 shown]
	s_and_saveexec_b64 s[16:17], vcc
	s_cbranch_execz .LBB100_3
; %bb.2:
	v_lshlrev_b32_e32 v2, 2, v0
	global_load_dword v2, v2, s[14:15]
	v_mov_b32_e32 v3, v1
	v_mov_b32_e32 v4, v1
	;; [unrolled: 1-line block ×10, first 2 shown]
	s_waitcnt vmcnt(0)
	v_mov_b32_e32 v1, v2
	v_mov_b32_e32 v2, v3
	;; [unrolled: 1-line block ×11, first 2 shown]
.LBB100_3:
	s_or_b64 exec, exec, s[16:17]
	v_or_b32_e32 v12, 0x100, v0
	v_cmp_gt_u32_e32 vcc, s20, v12
	s_and_saveexec_b64 s[16:17], vcc
	s_cbranch_execz .LBB100_5
; %bb.4:
	v_lshlrev_b32_e32 v2, 2, v0
	global_load_dword v2, v2, s[14:15] offset:1024
.LBB100_5:
	s_or_b64 exec, exec, s[16:17]
	v_or_b32_e32 v12, 0x200, v0
	v_cmp_gt_u32_e32 vcc, s20, v12
	s_and_saveexec_b64 s[16:17], vcc
	s_cbranch_execz .LBB100_7
; %bb.6:
	v_lshlrev_b32_e32 v3, 2, v0
	global_load_dword v3, v3, s[14:15] offset:2048
.LBB100_7:
	;; [unrolled: 9-line block ×3, first 2 shown]
	s_or_b64 exec, exec, s[16:17]
	v_or_b32_e32 v12, 0x400, v0
	v_cmp_gt_u32_e32 vcc, s20, v12
	s_and_saveexec_b64 s[16:17], vcc
	s_cbranch_execz .LBB100_11
; %bb.10:
	v_lshlrev_b32_e32 v5, 2, v12
	global_load_dword v5, v5, s[14:15]
.LBB100_11:
	s_or_b64 exec, exec, s[16:17]
	v_or_b32_e32 v12, 0x500, v0
	v_cmp_gt_u32_e32 vcc, s20, v12
	s_and_saveexec_b64 s[16:17], vcc
	s_cbranch_execz .LBB100_13
; %bb.12:
	v_lshlrev_b32_e32 v6, 2, v12
	global_load_dword v6, v6, s[14:15]
.LBB100_13:
	;; [unrolled: 9-line block ×7, first 2 shown]
	s_or_b64 exec, exec, s[16:17]
	v_lshlrev_b32_e32 v12, 2, v0
	s_mov_b64 s[14:15], 0
	s_waitcnt vmcnt(0)
	ds_write2st64_b32 v12, v1, v2 offset1:4
	ds_write2st64_b32 v12, v3, v4 offset0:8 offset1:12
	ds_write2st64_b32 v12, v5, v6 offset0:16 offset1:20
	ds_write2st64_b32 v12, v7, v8 offset0:24 offset1:28
	ds_write2st64_b32 v12, v9, v10 offset0:32 offset1:36
	ds_write_b32 v12, v11 offset:10240
	s_waitcnt lgkmcnt(0)
	s_barrier
.LBB100_24:
	s_and_b64 vcc, exec, s[14:15]
	v_lshlrev_b32_e32 v13, 2, v0
	s_cbranch_vccz .LBB100_26
; %bb.25:
	s_mov_b32 s29, 0
	s_lshl_b64 s[14:15], s[28:29], 2
	s_add_u32 s14, s18, s14
	s_addc_u32 s15, s19, s15
	v_mov_b32_e32 v1, s15
	v_add_co_u32_e32 v3, vcc, s14, v13
	v_addc_co_u32_e32 v4, vcc, 0, v1, vcc
	v_add_co_u32_e32 v1, vcc, 0x1000, v3
	v_addc_co_u32_e32 v2, vcc, 0, v4, vcc
	v_add_co_u32_e32 v3, vcc, 0x2000, v3
	global_load_dword v5, v13, s[14:15] offset:1024
	global_load_dword v6, v13, s[14:15] offset:2048
	;; [unrolled: 1-line block ×3, first 2 shown]
	v_addc_co_u32_e32 v4, vcc, 0, v4, vcc
	global_load_dword v8, v13, s[14:15]
	global_load_dword v9, v[1:2], off
	global_load_dword v10, v[1:2], off offset:1024
	global_load_dword v11, v[1:2], off offset:2048
	;; [unrolled: 1-line block ×3, first 2 shown]
	global_load_dword v14, v[3:4], off
	global_load_dword v15, v[3:4], off offset:1024
	global_load_dword v16, v[3:4], off offset:2048
	s_waitcnt vmcnt(7)
	ds_write2st64_b32 v13, v8, v5 offset1:4
	ds_write2st64_b32 v13, v6, v7 offset0:8 offset1:12
	s_waitcnt vmcnt(5)
	ds_write2st64_b32 v13, v9, v10 offset0:16 offset1:20
	s_waitcnt vmcnt(3)
	;; [unrolled: 2-line block ×4, first 2 shown]
	ds_write_b32 v13, v16 offset:10240
	s_waitcnt lgkmcnt(0)
	s_barrier
.LBB100_26:
	v_mul_u32_u24_e32 v14, 44, v0
	ds_read2_b32 v[1:2], v14 offset1:1
	ds_read2_b32 v[3:4], v14 offset0:2 offset1:3
	ds_read2_b32 v[5:6], v14 offset0:4 offset1:5
	;; [unrolled: 1-line block ×4, first 2 shown]
	ds_read_b32 v11, v14 offset:40
	s_cmp_eq_u64 s[4:5], 0
	s_waitcnt lgkmcnt(0)
	s_barrier
	s_cbranch_scc1 .LBB100_31
; %bb.27:
	s_lshl_b64 s[10:11], s[10:11], 2
	s_add_u32 s8, s8, s10
	s_addc_u32 s9, s9, s11
	s_lshl_b64 s[6:7], s[6:7], 2
	s_add_u32 s6, s8, s6
	s_addc_u32 s7, s9, s7
	s_add_u32 s6, s6, -4
	s_addc_u32 s7, s7, -1
	s_load_dword s8, s[6:7], 0x0
	s_cmp_eq_u64 s[4:5], s[12:13]
	s_cbranch_scc1 .LBB100_32
; %bb.28:
	v_cmp_ne_u32_e32 vcc, 0, v0
	s_waitcnt lgkmcnt(0)
	v_mov_b32_e32 v12, s8
	ds_write_b32 v13, v11
	s_waitcnt lgkmcnt(0)
	s_barrier
	s_and_saveexec_b64 s[6:7], vcc
; %bb.29:
	v_add_u32_e32 v12, -4, v13
	ds_read_b32 v12, v12
; %bb.30:
	s_or_b64 exec, exec, s[6:7]
	v_add_f32_e32 v15, v10, v11
	v_add_f32_e32 v16, v9, v10
	;; [unrolled: 1-line block ×10, first 2 shown]
	s_waitcnt lgkmcnt(0)
	v_add_f32_e32 v25, v1, v12
	s_branch .LBB100_36
.LBB100_31:
                                        ; implicit-def: $vgpr15
                                        ; implicit-def: $vgpr16
                                        ; implicit-def: $vgpr17
                                        ; implicit-def: $vgpr25
                                        ; implicit-def: $vgpr24
                                        ; implicit-def: $vgpr23
                                        ; implicit-def: $vgpr22
                                        ; implicit-def: $vgpr21
                                        ; implicit-def: $vgpr20
                                        ; implicit-def: $vgpr19
                                        ; implicit-def: $vgpr18
	s_branch .LBB100_37
.LBB100_32:
                                        ; implicit-def: $vgpr15
                                        ; implicit-def: $vgpr16
                                        ; implicit-def: $vgpr17
                                        ; implicit-def: $vgpr25
                                        ; implicit-def: $vgpr24
                                        ; implicit-def: $vgpr23
                                        ; implicit-def: $vgpr22
                                        ; implicit-def: $vgpr21
                                        ; implicit-def: $vgpr20
                                        ; implicit-def: $vgpr19
                                        ; implicit-def: $vgpr18
	s_cbranch_execz .LBB100_36
; %bb.33:
	v_mul_u32_u24_e32 v12, 11, v0
	v_cmp_ne_u32_e32 vcc, 0, v0
	s_waitcnt lgkmcnt(0)
	v_mov_b32_e32 v25, s8
	ds_write_b32 v13, v11
	s_waitcnt lgkmcnt(0)
	s_barrier
	s_and_saveexec_b64 s[6:7], vcc
; %bb.34:
	v_add_u32_e32 v15, -4, v13
	ds_read_b32 v25, v15
; %bb.35:
	s_or_b64 exec, exec, s[6:7]
	s_mulk_i32 s4, 0xf500
	s_add_i32 s4, s4, s26
	v_add_u32_e32 v15, 10, v12
	v_add_f32_e32 v16, v10, v11
	v_cmp_gt_u32_e32 vcc, s4, v15
	v_cndmask_b32_e32 v15, v11, v16, vcc
	v_add_u32_e32 v16, 9, v12
	v_add_f32_e32 v17, v9, v10
	v_cmp_gt_u32_e32 vcc, s4, v16
	v_cndmask_b32_e32 v16, v10, v17, vcc
	v_add_u32_e32 v17, 8, v12
	v_add_f32_e32 v18, v8, v9
	v_cmp_gt_u32_e32 vcc, s4, v17
	v_cndmask_b32_e32 v17, v9, v18, vcc
	v_add_u32_e32 v18, 7, v12
	v_add_f32_e32 v19, v7, v8
	v_cmp_gt_u32_e32 vcc, s4, v18
	v_cndmask_b32_e32 v18, v8, v19, vcc
	v_add_u32_e32 v19, 6, v12
	v_add_f32_e32 v20, v6, v7
	v_cmp_gt_u32_e32 vcc, s4, v19
	v_cndmask_b32_e32 v19, v7, v20, vcc
	v_add_u32_e32 v20, 5, v12
	v_add_f32_e32 v21, v5, v6
	v_cmp_gt_u32_e32 vcc, s4, v20
	v_cndmask_b32_e32 v20, v6, v21, vcc
	v_add_u32_e32 v21, 4, v12
	v_add_f32_e32 v22, v4, v5
	v_cmp_gt_u32_e32 vcc, s4, v21
	v_cndmask_b32_e32 v21, v5, v22, vcc
	v_add_u32_e32 v22, 3, v12
	v_add_f32_e32 v23, v3, v4
	v_cmp_gt_u32_e32 vcc, s4, v22
	v_cndmask_b32_e32 v22, v4, v23, vcc
	v_add_u32_e32 v23, 2, v12
	v_add_f32_e32 v24, v2, v3
	v_cmp_gt_u32_e32 vcc, s4, v23
	v_cndmask_b32_e32 v23, v3, v24, vcc
	v_add_u32_e32 v24, 1, v12
	v_add_f32_e32 v26, v1, v2
	v_cmp_gt_u32_e32 vcc, s4, v24
	v_cndmask_b32_e32 v24, v2, v26, vcc
	s_waitcnt lgkmcnt(0)
	v_add_f32_e32 v25, v1, v25
	v_cmp_gt_u32_e32 vcc, s4, v12
	v_cndmask_b32_e32 v25, v1, v25, vcc
.LBB100_36:
	s_cbranch_execnz .LBB100_45
.LBB100_37:
	s_cmp_eq_u64 s[2:3], 1
	v_add_f32_e32 v15, v10, v11
	v_add_f32_e32 v16, v9, v10
	;; [unrolled: 1-line block ×10, first 2 shown]
	v_cmp_ne_u32_e32 vcc, 0, v0
	s_cbranch_scc1 .LBB100_41
; %bb.38:
	v_mov_b32_e32 v25, v1
	ds_write_b32 v13, v11
	s_waitcnt lgkmcnt(0)
	s_barrier
	s_and_saveexec_b64 s[2:3], vcc
	s_cbranch_execz .LBB100_40
; %bb.39:
	v_add_u32_e32 v12, -4, v13
	ds_read_b32 v12, v12
	s_waitcnt lgkmcnt(0)
	v_add_f32_e32 v25, v1, v12
.LBB100_40:
	s_or_b64 exec, exec, s[2:3]
	s_cbranch_execz .LBB100_42
	s_branch .LBB100_45
.LBB100_41:
                                        ; implicit-def: $vgpr25
.LBB100_42:
	v_mad_u32_u24 v25, v0, 11, 10
	v_cmp_gt_u32_e32 vcc, s26, v25
	v_mad_u32_u24 v25, v0, 11, 9
	v_cmp_gt_u32_e64 s[2:3], s26, v25
	v_mad_u32_u24 v25, v0, 11, 8
	v_cmp_gt_u32_e64 s[4:5], s26, v25
	;; [unrolled: 2-line block ×3, first 2 shown]
	v_mad_u32_u24 v25, v0, 11, 6
	s_waitcnt lgkmcnt(0)
	v_cmp_gt_u32_e64 s[8:9], s26, v25
	v_mad_u32_u24 v25, v0, 11, 5
	v_cmp_gt_u32_e64 s[10:11], s26, v25
	v_mad_u32_u24 v25, v0, 11, 4
	;; [unrolled: 2-line block ×3, first 2 shown]
	v_mul_u32_u24_e32 v12, 11, v0
	v_cmp_gt_u32_e64 s[14:15], s26, v25
	v_mad_u32_u24 v25, v0, 11, 2
	v_cmp_gt_u32_e64 s[16:17], s26, v25
	v_mad_u32_u24 v25, v0, 11, 1
	v_cmp_ne_u32_e64 s[20:21], 0, v0
	v_cmp_gt_u32_e64 s[22:23], s26, v12
	v_cmp_gt_u32_e64 s[18:19], s26, v25
	s_and_b64 s[22:23], s[20:21], s[22:23]
	ds_write_b32 v13, v11
	s_waitcnt lgkmcnt(0)
	s_barrier
	s_and_saveexec_b64 s[20:21], s[22:23]
	s_cbranch_execz .LBB100_44
; %bb.43:
	v_add_u32_e32 v12, -4, v13
	ds_read_b32 v12, v12
	s_waitcnt lgkmcnt(0)
	v_add_f32_e32 v1, v1, v12
.LBB100_44:
	s_or_b64 exec, exec, s[20:21]
	v_cndmask_b32_e32 v15, v11, v15, vcc
	v_cndmask_b32_e64 v16, v10, v16, s[2:3]
	v_cndmask_b32_e64 v17, v9, v17, s[4:5]
	;; [unrolled: 1-line block ×9, first 2 shown]
	v_mov_b32_e32 v25, v1
.LBB100_45:
	s_add_u32 s4, s24, s30
	s_addc_u32 s5, s25, s31
	s_and_b64 vcc, exec, s[0:1]
	s_waitcnt lgkmcnt(0)
	s_barrier
	s_cbranch_vccz .LBB100_67
; %bb.46:
	v_mul_i32_i24_e32 v26, 0xffffffd8, v0
	v_mad_u32_u24 v1, v0, 44, v26
	ds_write2_b32 v14, v25, v24 offset1:1
	ds_write2_b32 v14, v23, v22 offset0:2 offset1:3
	ds_write2_b32 v14, v21, v20 offset0:4 offset1:5
	;; [unrolled: 1-line block ×4, first 2 shown]
	ds_write_b32 v14, v15 offset:40
	s_waitcnt lgkmcnt(0)
	s_barrier
	ds_read2st64_b32 v[11:12], v1 offset0:4 offset1:8
	ds_read2st64_b32 v[9:10], v1 offset0:12 offset1:16
	;; [unrolled: 1-line block ×5, first 2 shown]
	s_mov_b32 s29, 0
	s_add_i32 s27, s27, s26
	s_lshl_b64 s[0:1], s[28:29], 2
	s_add_u32 s0, s4, s0
	s_addc_u32 s1, s5, s1
	v_mov_b32_e32 v4, s1
	v_add_co_u32_e32 v3, vcc, s0, v13
	v_addc_co_u32_e32 v4, vcc, 0, v4, vcc
	v_cmp_gt_u32_e32 vcc, s27, v0
	s_and_saveexec_b64 s[0:1], vcc
	s_cbranch_execz .LBB100_48
; %bb.47:
	v_add_u32_e32 v26, v14, v26
	ds_read_b32 v26, v26
	s_waitcnt lgkmcnt(0)
	global_store_dword v[3:4], v26, off
.LBB100_48:
	s_or_b64 exec, exec, s[0:1]
	v_or_b32_e32 v26, 0x100, v0
	v_cmp_gt_u32_e32 vcc, s27, v26
	s_and_saveexec_b64 s[0:1], vcc
	s_cbranch_execz .LBB100_50
; %bb.49:
	s_waitcnt lgkmcnt(4)
	global_store_dword v[3:4], v11, off offset:1024
.LBB100_50:
	s_or_b64 exec, exec, s[0:1]
	s_waitcnt lgkmcnt(4)
	v_or_b32_e32 v11, 0x200, v0
	v_cmp_gt_u32_e32 vcc, s27, v11
	s_and_saveexec_b64 s[0:1], vcc
	s_cbranch_execz .LBB100_52
; %bb.51:
	global_store_dword v[3:4], v12, off offset:2048
.LBB100_52:
	s_or_b64 exec, exec, s[0:1]
	v_or_b32_e32 v11, 0x300, v0
	v_cmp_gt_u32_e32 vcc, s27, v11
	s_and_saveexec_b64 s[0:1], vcc
	s_cbranch_execz .LBB100_54
; %bb.53:
	s_waitcnt lgkmcnt(3)
	global_store_dword v[3:4], v9, off offset:3072
.LBB100_54:
	s_or_b64 exec, exec, s[0:1]
	s_waitcnt lgkmcnt(3)
	v_or_b32_e32 v9, 0x400, v0
	v_cmp_gt_u32_e32 vcc, s27, v9
	s_and_saveexec_b64 s[0:1], vcc
	s_cbranch_execz .LBB100_56
; %bb.55:
	v_add_co_u32_e32 v11, vcc, 0x1000, v3
	v_addc_co_u32_e32 v12, vcc, 0, v4, vcc
	global_store_dword v[11:12], v10, off
.LBB100_56:
	s_or_b64 exec, exec, s[0:1]
	v_or_b32_e32 v9, 0x500, v0
	v_cmp_gt_u32_e32 vcc, s27, v9
	s_and_saveexec_b64 s[0:1], vcc
	s_cbranch_execz .LBB100_58
; %bb.57:
	v_add_co_u32_e32 v9, vcc, 0x1000, v3
	v_addc_co_u32_e32 v10, vcc, 0, v4, vcc
	s_waitcnt lgkmcnt(2)
	global_store_dword v[9:10], v7, off offset:1024
.LBB100_58:
	s_or_b64 exec, exec, s[0:1]
	s_waitcnt lgkmcnt(2)
	v_or_b32_e32 v7, 0x600, v0
	v_cmp_gt_u32_e32 vcc, s27, v7
	s_and_saveexec_b64 s[0:1], vcc
	s_cbranch_execz .LBB100_60
; %bb.59:
	v_add_co_u32_e32 v9, vcc, 0x1000, v3
	v_addc_co_u32_e32 v10, vcc, 0, v4, vcc
	global_store_dword v[9:10], v8, off offset:2048
.LBB100_60:
	s_or_b64 exec, exec, s[0:1]
	v_or_b32_e32 v7, 0x700, v0
	v_cmp_gt_u32_e32 vcc, s27, v7
	s_and_saveexec_b64 s[0:1], vcc
	s_cbranch_execz .LBB100_62
; %bb.61:
	v_add_co_u32_e32 v7, vcc, 0x1000, v3
	v_addc_co_u32_e32 v8, vcc, 0, v4, vcc
	s_waitcnt lgkmcnt(1)
	global_store_dword v[7:8], v5, off offset:3072
.LBB100_62:
	s_or_b64 exec, exec, s[0:1]
	s_waitcnt lgkmcnt(1)
	v_or_b32_e32 v5, 0x800, v0
	v_cmp_gt_u32_e32 vcc, s27, v5
	s_and_saveexec_b64 s[0:1], vcc
	s_cbranch_execz .LBB100_64
; %bb.63:
	v_add_co_u32_e32 v7, vcc, 0x2000, v3
	v_addc_co_u32_e32 v8, vcc, 0, v4, vcc
	global_store_dword v[7:8], v6, off
.LBB100_64:
	s_or_b64 exec, exec, s[0:1]
	v_or_b32_e32 v5, 0x900, v0
	v_cmp_gt_u32_e32 vcc, s27, v5
	s_and_saveexec_b64 s[0:1], vcc
	s_cbranch_execz .LBB100_66
; %bb.65:
	v_add_co_u32_e32 v5, vcc, 0x2000, v3
	v_addc_co_u32_e32 v6, vcc, 0, v4, vcc
	s_waitcnt lgkmcnt(0)
	global_store_dword v[5:6], v1, off offset:1024
.LBB100_66:
	s_or_b64 exec, exec, s[0:1]
	s_waitcnt lgkmcnt(0)
	v_or_b32_e32 v1, 0xa00, v0
	v_cmp_gt_u32_e64 s[0:1], s27, v1
	s_branch .LBB100_69
.LBB100_67:
	s_mov_b64 s[0:1], 0
                                        ; implicit-def: $vgpr2
                                        ; implicit-def: $vgpr3_vgpr4
	s_cbranch_execz .LBB100_69
; %bb.68:
	s_mov_b32 s29, 0
	s_lshl_b64 s[2:3], s[28:29], 2
	s_add_u32 s2, s4, s2
	v_mul_i32_i24_e32 v1, 0xffffffd8, v0
	s_addc_u32 s3, s5, s3
	v_mad_u32_u24 v2, v0, 44, v1
	ds_write2_b32 v14, v25, v24 offset1:1
	ds_write2_b32 v14, v23, v22 offset0:2 offset1:3
	ds_write2_b32 v14, v21, v20 offset0:4 offset1:5
	;; [unrolled: 1-line block ×4, first 2 shown]
	ds_write_b32 v14, v15 offset:40
	s_waitcnt vmcnt(0) lgkmcnt(0)
	s_barrier
	ds_read2st64_b32 v[0:1], v2 offset1:4
	ds_read2st64_b32 v[5:6], v2 offset0:8 offset1:12
	ds_read2st64_b32 v[7:8], v2 offset0:16 offset1:20
	;; [unrolled: 1-line block ×4, first 2 shown]
	ds_read_b32 v2, v2 offset:10240
	v_mov_b32_e32 v4, s3
	v_add_co_u32_e32 v3, vcc, s2, v13
	v_addc_co_u32_e32 v4, vcc, 0, v4, vcc
	s_waitcnt lgkmcnt(5)
	global_store_dword v13, v0, s[2:3]
	global_store_dword v13, v1, s[2:3] offset:1024
	s_waitcnt lgkmcnt(4)
	global_store_dword v13, v5, s[2:3] offset:2048
	global_store_dword v13, v6, s[2:3] offset:3072
	s_movk_i32 s2, 0x1000
	v_add_co_u32_e32 v0, vcc, s2, v3
	v_addc_co_u32_e32 v1, vcc, 0, v4, vcc
	s_waitcnt lgkmcnt(3)
	global_store_dword v[0:1], v7, off
	global_store_dword v[0:1], v8, off offset:1024
	s_waitcnt lgkmcnt(2)
	global_store_dword v[0:1], v9, off offset:2048
	global_store_dword v[0:1], v10, off offset:3072
	v_add_co_u32_e32 v0, vcc, 0x2000, v3
	v_addc_co_u32_e32 v1, vcc, 0, v4, vcc
	s_or_b64 s[0:1], s[0:1], exec
	s_waitcnt lgkmcnt(1)
	global_store_dword v[0:1], v11, off
	global_store_dword v[0:1], v12, off offset:1024
.LBB100_69:
	s_and_saveexec_b64 s[2:3], s[0:1]
	s_cbranch_execnz .LBB100_71
; %bb.70:
	s_endpgm
.LBB100_71:
	v_add_co_u32_e32 v0, vcc, 0x2000, v3
	v_addc_co_u32_e32 v1, vcc, 0, v4, vcc
	s_waitcnt lgkmcnt(0)
	global_store_dword v[0:1], v2, off offset:2048
	s_endpgm
	.section	.rodata,"a",@progbits
	.p2align	6, 0x0
	.amdhsa_kernel _ZN7rocprim17ROCPRIM_400000_NS6detail17trampoline_kernelINS0_14default_configENS1_35adjacent_difference_config_selectorILb1EfEEZNS1_24adjacent_difference_implIS3_Lb1ELb0EPfS7_N6thrust23THRUST_200600_302600_NS4plusIfEEEE10hipError_tPvRmT2_T3_mT4_P12ihipStream_tbEUlT_E_NS1_11comp_targetILNS1_3genE2ELNS1_11target_archE906ELNS1_3gpuE6ELNS1_3repE0EEENS1_30default_config_static_selectorELNS0_4arch9wavefront6targetE1EEEvT1_
		.amdhsa_group_segment_fixed_size 11264
		.amdhsa_private_segment_fixed_size 0
		.amdhsa_kernarg_size 56
		.amdhsa_user_sgpr_count 6
		.amdhsa_user_sgpr_private_segment_buffer 1
		.amdhsa_user_sgpr_dispatch_ptr 0
		.amdhsa_user_sgpr_queue_ptr 0
		.amdhsa_user_sgpr_kernarg_segment_ptr 1
		.amdhsa_user_sgpr_dispatch_id 0
		.amdhsa_user_sgpr_flat_scratch_init 0
		.amdhsa_user_sgpr_private_segment_size 0
		.amdhsa_uses_dynamic_stack 0
		.amdhsa_system_sgpr_private_segment_wavefront_offset 0
		.amdhsa_system_sgpr_workgroup_id_x 1
		.amdhsa_system_sgpr_workgroup_id_y 0
		.amdhsa_system_sgpr_workgroup_id_z 0
		.amdhsa_system_sgpr_workgroup_info 0
		.amdhsa_system_vgpr_workitem_id 0
		.amdhsa_next_free_vgpr 41
		.amdhsa_next_free_sgpr 98
		.amdhsa_reserve_vcc 1
		.amdhsa_reserve_flat_scratch 0
		.amdhsa_float_round_mode_32 0
		.amdhsa_float_round_mode_16_64 0
		.amdhsa_float_denorm_mode_32 3
		.amdhsa_float_denorm_mode_16_64 3
		.amdhsa_dx10_clamp 1
		.amdhsa_ieee_mode 1
		.amdhsa_fp16_overflow 0
		.amdhsa_exception_fp_ieee_invalid_op 0
		.amdhsa_exception_fp_denorm_src 0
		.amdhsa_exception_fp_ieee_div_zero 0
		.amdhsa_exception_fp_ieee_overflow 0
		.amdhsa_exception_fp_ieee_underflow 0
		.amdhsa_exception_fp_ieee_inexact 0
		.amdhsa_exception_int_div_zero 0
	.end_amdhsa_kernel
	.section	.text._ZN7rocprim17ROCPRIM_400000_NS6detail17trampoline_kernelINS0_14default_configENS1_35adjacent_difference_config_selectorILb1EfEEZNS1_24adjacent_difference_implIS3_Lb1ELb0EPfS7_N6thrust23THRUST_200600_302600_NS4plusIfEEEE10hipError_tPvRmT2_T3_mT4_P12ihipStream_tbEUlT_E_NS1_11comp_targetILNS1_3genE2ELNS1_11target_archE906ELNS1_3gpuE6ELNS1_3repE0EEENS1_30default_config_static_selectorELNS0_4arch9wavefront6targetE1EEEvT1_,"axG",@progbits,_ZN7rocprim17ROCPRIM_400000_NS6detail17trampoline_kernelINS0_14default_configENS1_35adjacent_difference_config_selectorILb1EfEEZNS1_24adjacent_difference_implIS3_Lb1ELb0EPfS7_N6thrust23THRUST_200600_302600_NS4plusIfEEEE10hipError_tPvRmT2_T3_mT4_P12ihipStream_tbEUlT_E_NS1_11comp_targetILNS1_3genE2ELNS1_11target_archE906ELNS1_3gpuE6ELNS1_3repE0EEENS1_30default_config_static_selectorELNS0_4arch9wavefront6targetE1EEEvT1_,comdat
.Lfunc_end100:
	.size	_ZN7rocprim17ROCPRIM_400000_NS6detail17trampoline_kernelINS0_14default_configENS1_35adjacent_difference_config_selectorILb1EfEEZNS1_24adjacent_difference_implIS3_Lb1ELb0EPfS7_N6thrust23THRUST_200600_302600_NS4plusIfEEEE10hipError_tPvRmT2_T3_mT4_P12ihipStream_tbEUlT_E_NS1_11comp_targetILNS1_3genE2ELNS1_11target_archE906ELNS1_3gpuE6ELNS1_3repE0EEENS1_30default_config_static_selectorELNS0_4arch9wavefront6targetE1EEEvT1_, .Lfunc_end100-_ZN7rocprim17ROCPRIM_400000_NS6detail17trampoline_kernelINS0_14default_configENS1_35adjacent_difference_config_selectorILb1EfEEZNS1_24adjacent_difference_implIS3_Lb1ELb0EPfS7_N6thrust23THRUST_200600_302600_NS4plusIfEEEE10hipError_tPvRmT2_T3_mT4_P12ihipStream_tbEUlT_E_NS1_11comp_targetILNS1_3genE2ELNS1_11target_archE906ELNS1_3gpuE6ELNS1_3repE0EEENS1_30default_config_static_selectorELNS0_4arch9wavefront6targetE1EEEvT1_
                                        ; -- End function
	.set _ZN7rocprim17ROCPRIM_400000_NS6detail17trampoline_kernelINS0_14default_configENS1_35adjacent_difference_config_selectorILb1EfEEZNS1_24adjacent_difference_implIS3_Lb1ELb0EPfS7_N6thrust23THRUST_200600_302600_NS4plusIfEEEE10hipError_tPvRmT2_T3_mT4_P12ihipStream_tbEUlT_E_NS1_11comp_targetILNS1_3genE2ELNS1_11target_archE906ELNS1_3gpuE6ELNS1_3repE0EEENS1_30default_config_static_selectorELNS0_4arch9wavefront6targetE1EEEvT1_.num_vgpr, 27
	.set _ZN7rocprim17ROCPRIM_400000_NS6detail17trampoline_kernelINS0_14default_configENS1_35adjacent_difference_config_selectorILb1EfEEZNS1_24adjacent_difference_implIS3_Lb1ELb0EPfS7_N6thrust23THRUST_200600_302600_NS4plusIfEEEE10hipError_tPvRmT2_T3_mT4_P12ihipStream_tbEUlT_E_NS1_11comp_targetILNS1_3genE2ELNS1_11target_archE906ELNS1_3gpuE6ELNS1_3repE0EEENS1_30default_config_static_selectorELNS0_4arch9wavefront6targetE1EEEvT1_.num_agpr, 0
	.set _ZN7rocprim17ROCPRIM_400000_NS6detail17trampoline_kernelINS0_14default_configENS1_35adjacent_difference_config_selectorILb1EfEEZNS1_24adjacent_difference_implIS3_Lb1ELb0EPfS7_N6thrust23THRUST_200600_302600_NS4plusIfEEEE10hipError_tPvRmT2_T3_mT4_P12ihipStream_tbEUlT_E_NS1_11comp_targetILNS1_3genE2ELNS1_11target_archE906ELNS1_3gpuE6ELNS1_3repE0EEENS1_30default_config_static_selectorELNS0_4arch9wavefront6targetE1EEEvT1_.numbered_sgpr, 32
	.set _ZN7rocprim17ROCPRIM_400000_NS6detail17trampoline_kernelINS0_14default_configENS1_35adjacent_difference_config_selectorILb1EfEEZNS1_24adjacent_difference_implIS3_Lb1ELb0EPfS7_N6thrust23THRUST_200600_302600_NS4plusIfEEEE10hipError_tPvRmT2_T3_mT4_P12ihipStream_tbEUlT_E_NS1_11comp_targetILNS1_3genE2ELNS1_11target_archE906ELNS1_3gpuE6ELNS1_3repE0EEENS1_30default_config_static_selectorELNS0_4arch9wavefront6targetE1EEEvT1_.num_named_barrier, 0
	.set _ZN7rocprim17ROCPRIM_400000_NS6detail17trampoline_kernelINS0_14default_configENS1_35adjacent_difference_config_selectorILb1EfEEZNS1_24adjacent_difference_implIS3_Lb1ELb0EPfS7_N6thrust23THRUST_200600_302600_NS4plusIfEEEE10hipError_tPvRmT2_T3_mT4_P12ihipStream_tbEUlT_E_NS1_11comp_targetILNS1_3genE2ELNS1_11target_archE906ELNS1_3gpuE6ELNS1_3repE0EEENS1_30default_config_static_selectorELNS0_4arch9wavefront6targetE1EEEvT1_.private_seg_size, 0
	.set _ZN7rocprim17ROCPRIM_400000_NS6detail17trampoline_kernelINS0_14default_configENS1_35adjacent_difference_config_selectorILb1EfEEZNS1_24adjacent_difference_implIS3_Lb1ELb0EPfS7_N6thrust23THRUST_200600_302600_NS4plusIfEEEE10hipError_tPvRmT2_T3_mT4_P12ihipStream_tbEUlT_E_NS1_11comp_targetILNS1_3genE2ELNS1_11target_archE906ELNS1_3gpuE6ELNS1_3repE0EEENS1_30default_config_static_selectorELNS0_4arch9wavefront6targetE1EEEvT1_.uses_vcc, 1
	.set _ZN7rocprim17ROCPRIM_400000_NS6detail17trampoline_kernelINS0_14default_configENS1_35adjacent_difference_config_selectorILb1EfEEZNS1_24adjacent_difference_implIS3_Lb1ELb0EPfS7_N6thrust23THRUST_200600_302600_NS4plusIfEEEE10hipError_tPvRmT2_T3_mT4_P12ihipStream_tbEUlT_E_NS1_11comp_targetILNS1_3genE2ELNS1_11target_archE906ELNS1_3gpuE6ELNS1_3repE0EEENS1_30default_config_static_selectorELNS0_4arch9wavefront6targetE1EEEvT1_.uses_flat_scratch, 0
	.set _ZN7rocprim17ROCPRIM_400000_NS6detail17trampoline_kernelINS0_14default_configENS1_35adjacent_difference_config_selectorILb1EfEEZNS1_24adjacent_difference_implIS3_Lb1ELb0EPfS7_N6thrust23THRUST_200600_302600_NS4plusIfEEEE10hipError_tPvRmT2_T3_mT4_P12ihipStream_tbEUlT_E_NS1_11comp_targetILNS1_3genE2ELNS1_11target_archE906ELNS1_3gpuE6ELNS1_3repE0EEENS1_30default_config_static_selectorELNS0_4arch9wavefront6targetE1EEEvT1_.has_dyn_sized_stack, 0
	.set _ZN7rocprim17ROCPRIM_400000_NS6detail17trampoline_kernelINS0_14default_configENS1_35adjacent_difference_config_selectorILb1EfEEZNS1_24adjacent_difference_implIS3_Lb1ELb0EPfS7_N6thrust23THRUST_200600_302600_NS4plusIfEEEE10hipError_tPvRmT2_T3_mT4_P12ihipStream_tbEUlT_E_NS1_11comp_targetILNS1_3genE2ELNS1_11target_archE906ELNS1_3gpuE6ELNS1_3repE0EEENS1_30default_config_static_selectorELNS0_4arch9wavefront6targetE1EEEvT1_.has_recursion, 0
	.set _ZN7rocprim17ROCPRIM_400000_NS6detail17trampoline_kernelINS0_14default_configENS1_35adjacent_difference_config_selectorILb1EfEEZNS1_24adjacent_difference_implIS3_Lb1ELb0EPfS7_N6thrust23THRUST_200600_302600_NS4plusIfEEEE10hipError_tPvRmT2_T3_mT4_P12ihipStream_tbEUlT_E_NS1_11comp_targetILNS1_3genE2ELNS1_11target_archE906ELNS1_3gpuE6ELNS1_3repE0EEENS1_30default_config_static_selectorELNS0_4arch9wavefront6targetE1EEEvT1_.has_indirect_call, 0
	.section	.AMDGPU.csdata,"",@progbits
; Kernel info:
; codeLenInByte = 2928
; TotalNumSgprs: 36
; NumVgprs: 27
; ScratchSize: 0
; MemoryBound: 0
; FloatMode: 240
; IeeeMode: 1
; LDSByteSize: 11264 bytes/workgroup (compile time only)
; SGPRBlocks: 12
; VGPRBlocks: 10
; NumSGPRsForWavesPerEU: 102
; NumVGPRsForWavesPerEU: 41
; Occupancy: 5
; WaveLimiterHint : 1
; COMPUTE_PGM_RSRC2:SCRATCH_EN: 0
; COMPUTE_PGM_RSRC2:USER_SGPR: 6
; COMPUTE_PGM_RSRC2:TRAP_HANDLER: 0
; COMPUTE_PGM_RSRC2:TGID_X_EN: 1
; COMPUTE_PGM_RSRC2:TGID_Y_EN: 0
; COMPUTE_PGM_RSRC2:TGID_Z_EN: 0
; COMPUTE_PGM_RSRC2:TIDIG_COMP_CNT: 0
	.section	.text._ZN7rocprim17ROCPRIM_400000_NS6detail17trampoline_kernelINS0_14default_configENS1_35adjacent_difference_config_selectorILb1EfEEZNS1_24adjacent_difference_implIS3_Lb1ELb0EPfS7_N6thrust23THRUST_200600_302600_NS4plusIfEEEE10hipError_tPvRmT2_T3_mT4_P12ihipStream_tbEUlT_E_NS1_11comp_targetILNS1_3genE9ELNS1_11target_archE1100ELNS1_3gpuE3ELNS1_3repE0EEENS1_30default_config_static_selectorELNS0_4arch9wavefront6targetE1EEEvT1_,"axG",@progbits,_ZN7rocprim17ROCPRIM_400000_NS6detail17trampoline_kernelINS0_14default_configENS1_35adjacent_difference_config_selectorILb1EfEEZNS1_24adjacent_difference_implIS3_Lb1ELb0EPfS7_N6thrust23THRUST_200600_302600_NS4plusIfEEEE10hipError_tPvRmT2_T3_mT4_P12ihipStream_tbEUlT_E_NS1_11comp_targetILNS1_3genE9ELNS1_11target_archE1100ELNS1_3gpuE3ELNS1_3repE0EEENS1_30default_config_static_selectorELNS0_4arch9wavefront6targetE1EEEvT1_,comdat
	.protected	_ZN7rocprim17ROCPRIM_400000_NS6detail17trampoline_kernelINS0_14default_configENS1_35adjacent_difference_config_selectorILb1EfEEZNS1_24adjacent_difference_implIS3_Lb1ELb0EPfS7_N6thrust23THRUST_200600_302600_NS4plusIfEEEE10hipError_tPvRmT2_T3_mT4_P12ihipStream_tbEUlT_E_NS1_11comp_targetILNS1_3genE9ELNS1_11target_archE1100ELNS1_3gpuE3ELNS1_3repE0EEENS1_30default_config_static_selectorELNS0_4arch9wavefront6targetE1EEEvT1_ ; -- Begin function _ZN7rocprim17ROCPRIM_400000_NS6detail17trampoline_kernelINS0_14default_configENS1_35adjacent_difference_config_selectorILb1EfEEZNS1_24adjacent_difference_implIS3_Lb1ELb0EPfS7_N6thrust23THRUST_200600_302600_NS4plusIfEEEE10hipError_tPvRmT2_T3_mT4_P12ihipStream_tbEUlT_E_NS1_11comp_targetILNS1_3genE9ELNS1_11target_archE1100ELNS1_3gpuE3ELNS1_3repE0EEENS1_30default_config_static_selectorELNS0_4arch9wavefront6targetE1EEEvT1_
	.globl	_ZN7rocprim17ROCPRIM_400000_NS6detail17trampoline_kernelINS0_14default_configENS1_35adjacent_difference_config_selectorILb1EfEEZNS1_24adjacent_difference_implIS3_Lb1ELb0EPfS7_N6thrust23THRUST_200600_302600_NS4plusIfEEEE10hipError_tPvRmT2_T3_mT4_P12ihipStream_tbEUlT_E_NS1_11comp_targetILNS1_3genE9ELNS1_11target_archE1100ELNS1_3gpuE3ELNS1_3repE0EEENS1_30default_config_static_selectorELNS0_4arch9wavefront6targetE1EEEvT1_
	.p2align	8
	.type	_ZN7rocprim17ROCPRIM_400000_NS6detail17trampoline_kernelINS0_14default_configENS1_35adjacent_difference_config_selectorILb1EfEEZNS1_24adjacent_difference_implIS3_Lb1ELb0EPfS7_N6thrust23THRUST_200600_302600_NS4plusIfEEEE10hipError_tPvRmT2_T3_mT4_P12ihipStream_tbEUlT_E_NS1_11comp_targetILNS1_3genE9ELNS1_11target_archE1100ELNS1_3gpuE3ELNS1_3repE0EEENS1_30default_config_static_selectorELNS0_4arch9wavefront6targetE1EEEvT1_,@function
_ZN7rocprim17ROCPRIM_400000_NS6detail17trampoline_kernelINS0_14default_configENS1_35adjacent_difference_config_selectorILb1EfEEZNS1_24adjacent_difference_implIS3_Lb1ELb0EPfS7_N6thrust23THRUST_200600_302600_NS4plusIfEEEE10hipError_tPvRmT2_T3_mT4_P12ihipStream_tbEUlT_E_NS1_11comp_targetILNS1_3genE9ELNS1_11target_archE1100ELNS1_3gpuE3ELNS1_3repE0EEENS1_30default_config_static_selectorELNS0_4arch9wavefront6targetE1EEEvT1_: ; @_ZN7rocprim17ROCPRIM_400000_NS6detail17trampoline_kernelINS0_14default_configENS1_35adjacent_difference_config_selectorILb1EfEEZNS1_24adjacent_difference_implIS3_Lb1ELb0EPfS7_N6thrust23THRUST_200600_302600_NS4plusIfEEEE10hipError_tPvRmT2_T3_mT4_P12ihipStream_tbEUlT_E_NS1_11comp_targetILNS1_3genE9ELNS1_11target_archE1100ELNS1_3gpuE3ELNS1_3repE0EEENS1_30default_config_static_selectorELNS0_4arch9wavefront6targetE1EEEvT1_
; %bb.0:
	.section	.rodata,"a",@progbits
	.p2align	6, 0x0
	.amdhsa_kernel _ZN7rocprim17ROCPRIM_400000_NS6detail17trampoline_kernelINS0_14default_configENS1_35adjacent_difference_config_selectorILb1EfEEZNS1_24adjacent_difference_implIS3_Lb1ELb0EPfS7_N6thrust23THRUST_200600_302600_NS4plusIfEEEE10hipError_tPvRmT2_T3_mT4_P12ihipStream_tbEUlT_E_NS1_11comp_targetILNS1_3genE9ELNS1_11target_archE1100ELNS1_3gpuE3ELNS1_3repE0EEENS1_30default_config_static_selectorELNS0_4arch9wavefront6targetE1EEEvT1_
		.amdhsa_group_segment_fixed_size 0
		.amdhsa_private_segment_fixed_size 0
		.amdhsa_kernarg_size 56
		.amdhsa_user_sgpr_count 6
		.amdhsa_user_sgpr_private_segment_buffer 1
		.amdhsa_user_sgpr_dispatch_ptr 0
		.amdhsa_user_sgpr_queue_ptr 0
		.amdhsa_user_sgpr_kernarg_segment_ptr 1
		.amdhsa_user_sgpr_dispatch_id 0
		.amdhsa_user_sgpr_flat_scratch_init 0
		.amdhsa_user_sgpr_private_segment_size 0
		.amdhsa_uses_dynamic_stack 0
		.amdhsa_system_sgpr_private_segment_wavefront_offset 0
		.amdhsa_system_sgpr_workgroup_id_x 1
		.amdhsa_system_sgpr_workgroup_id_y 0
		.amdhsa_system_sgpr_workgroup_id_z 0
		.amdhsa_system_sgpr_workgroup_info 0
		.amdhsa_system_vgpr_workitem_id 0
		.amdhsa_next_free_vgpr 1
		.amdhsa_next_free_sgpr 0
		.amdhsa_reserve_vcc 0
		.amdhsa_reserve_flat_scratch 0
		.amdhsa_float_round_mode_32 0
		.amdhsa_float_round_mode_16_64 0
		.amdhsa_float_denorm_mode_32 3
		.amdhsa_float_denorm_mode_16_64 3
		.amdhsa_dx10_clamp 1
		.amdhsa_ieee_mode 1
		.amdhsa_fp16_overflow 0
		.amdhsa_exception_fp_ieee_invalid_op 0
		.amdhsa_exception_fp_denorm_src 0
		.amdhsa_exception_fp_ieee_div_zero 0
		.amdhsa_exception_fp_ieee_overflow 0
		.amdhsa_exception_fp_ieee_underflow 0
		.amdhsa_exception_fp_ieee_inexact 0
		.amdhsa_exception_int_div_zero 0
	.end_amdhsa_kernel
	.section	.text._ZN7rocprim17ROCPRIM_400000_NS6detail17trampoline_kernelINS0_14default_configENS1_35adjacent_difference_config_selectorILb1EfEEZNS1_24adjacent_difference_implIS3_Lb1ELb0EPfS7_N6thrust23THRUST_200600_302600_NS4plusIfEEEE10hipError_tPvRmT2_T3_mT4_P12ihipStream_tbEUlT_E_NS1_11comp_targetILNS1_3genE9ELNS1_11target_archE1100ELNS1_3gpuE3ELNS1_3repE0EEENS1_30default_config_static_selectorELNS0_4arch9wavefront6targetE1EEEvT1_,"axG",@progbits,_ZN7rocprim17ROCPRIM_400000_NS6detail17trampoline_kernelINS0_14default_configENS1_35adjacent_difference_config_selectorILb1EfEEZNS1_24adjacent_difference_implIS3_Lb1ELb0EPfS7_N6thrust23THRUST_200600_302600_NS4plusIfEEEE10hipError_tPvRmT2_T3_mT4_P12ihipStream_tbEUlT_E_NS1_11comp_targetILNS1_3genE9ELNS1_11target_archE1100ELNS1_3gpuE3ELNS1_3repE0EEENS1_30default_config_static_selectorELNS0_4arch9wavefront6targetE1EEEvT1_,comdat
.Lfunc_end101:
	.size	_ZN7rocprim17ROCPRIM_400000_NS6detail17trampoline_kernelINS0_14default_configENS1_35adjacent_difference_config_selectorILb1EfEEZNS1_24adjacent_difference_implIS3_Lb1ELb0EPfS7_N6thrust23THRUST_200600_302600_NS4plusIfEEEE10hipError_tPvRmT2_T3_mT4_P12ihipStream_tbEUlT_E_NS1_11comp_targetILNS1_3genE9ELNS1_11target_archE1100ELNS1_3gpuE3ELNS1_3repE0EEENS1_30default_config_static_selectorELNS0_4arch9wavefront6targetE1EEEvT1_, .Lfunc_end101-_ZN7rocprim17ROCPRIM_400000_NS6detail17trampoline_kernelINS0_14default_configENS1_35adjacent_difference_config_selectorILb1EfEEZNS1_24adjacent_difference_implIS3_Lb1ELb0EPfS7_N6thrust23THRUST_200600_302600_NS4plusIfEEEE10hipError_tPvRmT2_T3_mT4_P12ihipStream_tbEUlT_E_NS1_11comp_targetILNS1_3genE9ELNS1_11target_archE1100ELNS1_3gpuE3ELNS1_3repE0EEENS1_30default_config_static_selectorELNS0_4arch9wavefront6targetE1EEEvT1_
                                        ; -- End function
	.set _ZN7rocprim17ROCPRIM_400000_NS6detail17trampoline_kernelINS0_14default_configENS1_35adjacent_difference_config_selectorILb1EfEEZNS1_24adjacent_difference_implIS3_Lb1ELb0EPfS7_N6thrust23THRUST_200600_302600_NS4plusIfEEEE10hipError_tPvRmT2_T3_mT4_P12ihipStream_tbEUlT_E_NS1_11comp_targetILNS1_3genE9ELNS1_11target_archE1100ELNS1_3gpuE3ELNS1_3repE0EEENS1_30default_config_static_selectorELNS0_4arch9wavefront6targetE1EEEvT1_.num_vgpr, 0
	.set _ZN7rocprim17ROCPRIM_400000_NS6detail17trampoline_kernelINS0_14default_configENS1_35adjacent_difference_config_selectorILb1EfEEZNS1_24adjacent_difference_implIS3_Lb1ELb0EPfS7_N6thrust23THRUST_200600_302600_NS4plusIfEEEE10hipError_tPvRmT2_T3_mT4_P12ihipStream_tbEUlT_E_NS1_11comp_targetILNS1_3genE9ELNS1_11target_archE1100ELNS1_3gpuE3ELNS1_3repE0EEENS1_30default_config_static_selectorELNS0_4arch9wavefront6targetE1EEEvT1_.num_agpr, 0
	.set _ZN7rocprim17ROCPRIM_400000_NS6detail17trampoline_kernelINS0_14default_configENS1_35adjacent_difference_config_selectorILb1EfEEZNS1_24adjacent_difference_implIS3_Lb1ELb0EPfS7_N6thrust23THRUST_200600_302600_NS4plusIfEEEE10hipError_tPvRmT2_T3_mT4_P12ihipStream_tbEUlT_E_NS1_11comp_targetILNS1_3genE9ELNS1_11target_archE1100ELNS1_3gpuE3ELNS1_3repE0EEENS1_30default_config_static_selectorELNS0_4arch9wavefront6targetE1EEEvT1_.numbered_sgpr, 0
	.set _ZN7rocprim17ROCPRIM_400000_NS6detail17trampoline_kernelINS0_14default_configENS1_35adjacent_difference_config_selectorILb1EfEEZNS1_24adjacent_difference_implIS3_Lb1ELb0EPfS7_N6thrust23THRUST_200600_302600_NS4plusIfEEEE10hipError_tPvRmT2_T3_mT4_P12ihipStream_tbEUlT_E_NS1_11comp_targetILNS1_3genE9ELNS1_11target_archE1100ELNS1_3gpuE3ELNS1_3repE0EEENS1_30default_config_static_selectorELNS0_4arch9wavefront6targetE1EEEvT1_.num_named_barrier, 0
	.set _ZN7rocprim17ROCPRIM_400000_NS6detail17trampoline_kernelINS0_14default_configENS1_35adjacent_difference_config_selectorILb1EfEEZNS1_24adjacent_difference_implIS3_Lb1ELb0EPfS7_N6thrust23THRUST_200600_302600_NS4plusIfEEEE10hipError_tPvRmT2_T3_mT4_P12ihipStream_tbEUlT_E_NS1_11comp_targetILNS1_3genE9ELNS1_11target_archE1100ELNS1_3gpuE3ELNS1_3repE0EEENS1_30default_config_static_selectorELNS0_4arch9wavefront6targetE1EEEvT1_.private_seg_size, 0
	.set _ZN7rocprim17ROCPRIM_400000_NS6detail17trampoline_kernelINS0_14default_configENS1_35adjacent_difference_config_selectorILb1EfEEZNS1_24adjacent_difference_implIS3_Lb1ELb0EPfS7_N6thrust23THRUST_200600_302600_NS4plusIfEEEE10hipError_tPvRmT2_T3_mT4_P12ihipStream_tbEUlT_E_NS1_11comp_targetILNS1_3genE9ELNS1_11target_archE1100ELNS1_3gpuE3ELNS1_3repE0EEENS1_30default_config_static_selectorELNS0_4arch9wavefront6targetE1EEEvT1_.uses_vcc, 0
	.set _ZN7rocprim17ROCPRIM_400000_NS6detail17trampoline_kernelINS0_14default_configENS1_35adjacent_difference_config_selectorILb1EfEEZNS1_24adjacent_difference_implIS3_Lb1ELb0EPfS7_N6thrust23THRUST_200600_302600_NS4plusIfEEEE10hipError_tPvRmT2_T3_mT4_P12ihipStream_tbEUlT_E_NS1_11comp_targetILNS1_3genE9ELNS1_11target_archE1100ELNS1_3gpuE3ELNS1_3repE0EEENS1_30default_config_static_selectorELNS0_4arch9wavefront6targetE1EEEvT1_.uses_flat_scratch, 0
	.set _ZN7rocprim17ROCPRIM_400000_NS6detail17trampoline_kernelINS0_14default_configENS1_35adjacent_difference_config_selectorILb1EfEEZNS1_24adjacent_difference_implIS3_Lb1ELb0EPfS7_N6thrust23THRUST_200600_302600_NS4plusIfEEEE10hipError_tPvRmT2_T3_mT4_P12ihipStream_tbEUlT_E_NS1_11comp_targetILNS1_3genE9ELNS1_11target_archE1100ELNS1_3gpuE3ELNS1_3repE0EEENS1_30default_config_static_selectorELNS0_4arch9wavefront6targetE1EEEvT1_.has_dyn_sized_stack, 0
	.set _ZN7rocprim17ROCPRIM_400000_NS6detail17trampoline_kernelINS0_14default_configENS1_35adjacent_difference_config_selectorILb1EfEEZNS1_24adjacent_difference_implIS3_Lb1ELb0EPfS7_N6thrust23THRUST_200600_302600_NS4plusIfEEEE10hipError_tPvRmT2_T3_mT4_P12ihipStream_tbEUlT_E_NS1_11comp_targetILNS1_3genE9ELNS1_11target_archE1100ELNS1_3gpuE3ELNS1_3repE0EEENS1_30default_config_static_selectorELNS0_4arch9wavefront6targetE1EEEvT1_.has_recursion, 0
	.set _ZN7rocprim17ROCPRIM_400000_NS6detail17trampoline_kernelINS0_14default_configENS1_35adjacent_difference_config_selectorILb1EfEEZNS1_24adjacent_difference_implIS3_Lb1ELb0EPfS7_N6thrust23THRUST_200600_302600_NS4plusIfEEEE10hipError_tPvRmT2_T3_mT4_P12ihipStream_tbEUlT_E_NS1_11comp_targetILNS1_3genE9ELNS1_11target_archE1100ELNS1_3gpuE3ELNS1_3repE0EEENS1_30default_config_static_selectorELNS0_4arch9wavefront6targetE1EEEvT1_.has_indirect_call, 0
	.section	.AMDGPU.csdata,"",@progbits
; Kernel info:
; codeLenInByte = 0
; TotalNumSgprs: 4
; NumVgprs: 0
; ScratchSize: 0
; MemoryBound: 0
; FloatMode: 240
; IeeeMode: 1
; LDSByteSize: 0 bytes/workgroup (compile time only)
; SGPRBlocks: 0
; VGPRBlocks: 0
; NumSGPRsForWavesPerEU: 4
; NumVGPRsForWavesPerEU: 1
; Occupancy: 10
; WaveLimiterHint : 0
; COMPUTE_PGM_RSRC2:SCRATCH_EN: 0
; COMPUTE_PGM_RSRC2:USER_SGPR: 6
; COMPUTE_PGM_RSRC2:TRAP_HANDLER: 0
; COMPUTE_PGM_RSRC2:TGID_X_EN: 1
; COMPUTE_PGM_RSRC2:TGID_Y_EN: 0
; COMPUTE_PGM_RSRC2:TGID_Z_EN: 0
; COMPUTE_PGM_RSRC2:TIDIG_COMP_CNT: 0
	.section	.text._ZN7rocprim17ROCPRIM_400000_NS6detail17trampoline_kernelINS0_14default_configENS1_35adjacent_difference_config_selectorILb1EfEEZNS1_24adjacent_difference_implIS3_Lb1ELb0EPfS7_N6thrust23THRUST_200600_302600_NS4plusIfEEEE10hipError_tPvRmT2_T3_mT4_P12ihipStream_tbEUlT_E_NS1_11comp_targetILNS1_3genE8ELNS1_11target_archE1030ELNS1_3gpuE2ELNS1_3repE0EEENS1_30default_config_static_selectorELNS0_4arch9wavefront6targetE1EEEvT1_,"axG",@progbits,_ZN7rocprim17ROCPRIM_400000_NS6detail17trampoline_kernelINS0_14default_configENS1_35adjacent_difference_config_selectorILb1EfEEZNS1_24adjacent_difference_implIS3_Lb1ELb0EPfS7_N6thrust23THRUST_200600_302600_NS4plusIfEEEE10hipError_tPvRmT2_T3_mT4_P12ihipStream_tbEUlT_E_NS1_11comp_targetILNS1_3genE8ELNS1_11target_archE1030ELNS1_3gpuE2ELNS1_3repE0EEENS1_30default_config_static_selectorELNS0_4arch9wavefront6targetE1EEEvT1_,comdat
	.protected	_ZN7rocprim17ROCPRIM_400000_NS6detail17trampoline_kernelINS0_14default_configENS1_35adjacent_difference_config_selectorILb1EfEEZNS1_24adjacent_difference_implIS3_Lb1ELb0EPfS7_N6thrust23THRUST_200600_302600_NS4plusIfEEEE10hipError_tPvRmT2_T3_mT4_P12ihipStream_tbEUlT_E_NS1_11comp_targetILNS1_3genE8ELNS1_11target_archE1030ELNS1_3gpuE2ELNS1_3repE0EEENS1_30default_config_static_selectorELNS0_4arch9wavefront6targetE1EEEvT1_ ; -- Begin function _ZN7rocprim17ROCPRIM_400000_NS6detail17trampoline_kernelINS0_14default_configENS1_35adjacent_difference_config_selectorILb1EfEEZNS1_24adjacent_difference_implIS3_Lb1ELb0EPfS7_N6thrust23THRUST_200600_302600_NS4plusIfEEEE10hipError_tPvRmT2_T3_mT4_P12ihipStream_tbEUlT_E_NS1_11comp_targetILNS1_3genE8ELNS1_11target_archE1030ELNS1_3gpuE2ELNS1_3repE0EEENS1_30default_config_static_selectorELNS0_4arch9wavefront6targetE1EEEvT1_
	.globl	_ZN7rocprim17ROCPRIM_400000_NS6detail17trampoline_kernelINS0_14default_configENS1_35adjacent_difference_config_selectorILb1EfEEZNS1_24adjacent_difference_implIS3_Lb1ELb0EPfS7_N6thrust23THRUST_200600_302600_NS4plusIfEEEE10hipError_tPvRmT2_T3_mT4_P12ihipStream_tbEUlT_E_NS1_11comp_targetILNS1_3genE8ELNS1_11target_archE1030ELNS1_3gpuE2ELNS1_3repE0EEENS1_30default_config_static_selectorELNS0_4arch9wavefront6targetE1EEEvT1_
	.p2align	8
	.type	_ZN7rocprim17ROCPRIM_400000_NS6detail17trampoline_kernelINS0_14default_configENS1_35adjacent_difference_config_selectorILb1EfEEZNS1_24adjacent_difference_implIS3_Lb1ELb0EPfS7_N6thrust23THRUST_200600_302600_NS4plusIfEEEE10hipError_tPvRmT2_T3_mT4_P12ihipStream_tbEUlT_E_NS1_11comp_targetILNS1_3genE8ELNS1_11target_archE1030ELNS1_3gpuE2ELNS1_3repE0EEENS1_30default_config_static_selectorELNS0_4arch9wavefront6targetE1EEEvT1_,@function
_ZN7rocprim17ROCPRIM_400000_NS6detail17trampoline_kernelINS0_14default_configENS1_35adjacent_difference_config_selectorILb1EfEEZNS1_24adjacent_difference_implIS3_Lb1ELb0EPfS7_N6thrust23THRUST_200600_302600_NS4plusIfEEEE10hipError_tPvRmT2_T3_mT4_P12ihipStream_tbEUlT_E_NS1_11comp_targetILNS1_3genE8ELNS1_11target_archE1030ELNS1_3gpuE2ELNS1_3repE0EEENS1_30default_config_static_selectorELNS0_4arch9wavefront6targetE1EEEvT1_: ; @_ZN7rocprim17ROCPRIM_400000_NS6detail17trampoline_kernelINS0_14default_configENS1_35adjacent_difference_config_selectorILb1EfEEZNS1_24adjacent_difference_implIS3_Lb1ELb0EPfS7_N6thrust23THRUST_200600_302600_NS4plusIfEEEE10hipError_tPvRmT2_T3_mT4_P12ihipStream_tbEUlT_E_NS1_11comp_targetILNS1_3genE8ELNS1_11target_archE1030ELNS1_3gpuE2ELNS1_3repE0EEENS1_30default_config_static_selectorELNS0_4arch9wavefront6targetE1EEEvT1_
; %bb.0:
	.section	.rodata,"a",@progbits
	.p2align	6, 0x0
	.amdhsa_kernel _ZN7rocprim17ROCPRIM_400000_NS6detail17trampoline_kernelINS0_14default_configENS1_35adjacent_difference_config_selectorILb1EfEEZNS1_24adjacent_difference_implIS3_Lb1ELb0EPfS7_N6thrust23THRUST_200600_302600_NS4plusIfEEEE10hipError_tPvRmT2_T3_mT4_P12ihipStream_tbEUlT_E_NS1_11comp_targetILNS1_3genE8ELNS1_11target_archE1030ELNS1_3gpuE2ELNS1_3repE0EEENS1_30default_config_static_selectorELNS0_4arch9wavefront6targetE1EEEvT1_
		.amdhsa_group_segment_fixed_size 0
		.amdhsa_private_segment_fixed_size 0
		.amdhsa_kernarg_size 56
		.amdhsa_user_sgpr_count 6
		.amdhsa_user_sgpr_private_segment_buffer 1
		.amdhsa_user_sgpr_dispatch_ptr 0
		.amdhsa_user_sgpr_queue_ptr 0
		.amdhsa_user_sgpr_kernarg_segment_ptr 1
		.amdhsa_user_sgpr_dispatch_id 0
		.amdhsa_user_sgpr_flat_scratch_init 0
		.amdhsa_user_sgpr_private_segment_size 0
		.amdhsa_uses_dynamic_stack 0
		.amdhsa_system_sgpr_private_segment_wavefront_offset 0
		.amdhsa_system_sgpr_workgroup_id_x 1
		.amdhsa_system_sgpr_workgroup_id_y 0
		.amdhsa_system_sgpr_workgroup_id_z 0
		.amdhsa_system_sgpr_workgroup_info 0
		.amdhsa_system_vgpr_workitem_id 0
		.amdhsa_next_free_vgpr 1
		.amdhsa_next_free_sgpr 0
		.amdhsa_reserve_vcc 0
		.amdhsa_reserve_flat_scratch 0
		.amdhsa_float_round_mode_32 0
		.amdhsa_float_round_mode_16_64 0
		.amdhsa_float_denorm_mode_32 3
		.amdhsa_float_denorm_mode_16_64 3
		.amdhsa_dx10_clamp 1
		.amdhsa_ieee_mode 1
		.amdhsa_fp16_overflow 0
		.amdhsa_exception_fp_ieee_invalid_op 0
		.amdhsa_exception_fp_denorm_src 0
		.amdhsa_exception_fp_ieee_div_zero 0
		.amdhsa_exception_fp_ieee_overflow 0
		.amdhsa_exception_fp_ieee_underflow 0
		.amdhsa_exception_fp_ieee_inexact 0
		.amdhsa_exception_int_div_zero 0
	.end_amdhsa_kernel
	.section	.text._ZN7rocprim17ROCPRIM_400000_NS6detail17trampoline_kernelINS0_14default_configENS1_35adjacent_difference_config_selectorILb1EfEEZNS1_24adjacent_difference_implIS3_Lb1ELb0EPfS7_N6thrust23THRUST_200600_302600_NS4plusIfEEEE10hipError_tPvRmT2_T3_mT4_P12ihipStream_tbEUlT_E_NS1_11comp_targetILNS1_3genE8ELNS1_11target_archE1030ELNS1_3gpuE2ELNS1_3repE0EEENS1_30default_config_static_selectorELNS0_4arch9wavefront6targetE1EEEvT1_,"axG",@progbits,_ZN7rocprim17ROCPRIM_400000_NS6detail17trampoline_kernelINS0_14default_configENS1_35adjacent_difference_config_selectorILb1EfEEZNS1_24adjacent_difference_implIS3_Lb1ELb0EPfS7_N6thrust23THRUST_200600_302600_NS4plusIfEEEE10hipError_tPvRmT2_T3_mT4_P12ihipStream_tbEUlT_E_NS1_11comp_targetILNS1_3genE8ELNS1_11target_archE1030ELNS1_3gpuE2ELNS1_3repE0EEENS1_30default_config_static_selectorELNS0_4arch9wavefront6targetE1EEEvT1_,comdat
.Lfunc_end102:
	.size	_ZN7rocprim17ROCPRIM_400000_NS6detail17trampoline_kernelINS0_14default_configENS1_35adjacent_difference_config_selectorILb1EfEEZNS1_24adjacent_difference_implIS3_Lb1ELb0EPfS7_N6thrust23THRUST_200600_302600_NS4plusIfEEEE10hipError_tPvRmT2_T3_mT4_P12ihipStream_tbEUlT_E_NS1_11comp_targetILNS1_3genE8ELNS1_11target_archE1030ELNS1_3gpuE2ELNS1_3repE0EEENS1_30default_config_static_selectorELNS0_4arch9wavefront6targetE1EEEvT1_, .Lfunc_end102-_ZN7rocprim17ROCPRIM_400000_NS6detail17trampoline_kernelINS0_14default_configENS1_35adjacent_difference_config_selectorILb1EfEEZNS1_24adjacent_difference_implIS3_Lb1ELb0EPfS7_N6thrust23THRUST_200600_302600_NS4plusIfEEEE10hipError_tPvRmT2_T3_mT4_P12ihipStream_tbEUlT_E_NS1_11comp_targetILNS1_3genE8ELNS1_11target_archE1030ELNS1_3gpuE2ELNS1_3repE0EEENS1_30default_config_static_selectorELNS0_4arch9wavefront6targetE1EEEvT1_
                                        ; -- End function
	.set _ZN7rocprim17ROCPRIM_400000_NS6detail17trampoline_kernelINS0_14default_configENS1_35adjacent_difference_config_selectorILb1EfEEZNS1_24adjacent_difference_implIS3_Lb1ELb0EPfS7_N6thrust23THRUST_200600_302600_NS4plusIfEEEE10hipError_tPvRmT2_T3_mT4_P12ihipStream_tbEUlT_E_NS1_11comp_targetILNS1_3genE8ELNS1_11target_archE1030ELNS1_3gpuE2ELNS1_3repE0EEENS1_30default_config_static_selectorELNS0_4arch9wavefront6targetE1EEEvT1_.num_vgpr, 0
	.set _ZN7rocprim17ROCPRIM_400000_NS6detail17trampoline_kernelINS0_14default_configENS1_35adjacent_difference_config_selectorILb1EfEEZNS1_24adjacent_difference_implIS3_Lb1ELb0EPfS7_N6thrust23THRUST_200600_302600_NS4plusIfEEEE10hipError_tPvRmT2_T3_mT4_P12ihipStream_tbEUlT_E_NS1_11comp_targetILNS1_3genE8ELNS1_11target_archE1030ELNS1_3gpuE2ELNS1_3repE0EEENS1_30default_config_static_selectorELNS0_4arch9wavefront6targetE1EEEvT1_.num_agpr, 0
	.set _ZN7rocprim17ROCPRIM_400000_NS6detail17trampoline_kernelINS0_14default_configENS1_35adjacent_difference_config_selectorILb1EfEEZNS1_24adjacent_difference_implIS3_Lb1ELb0EPfS7_N6thrust23THRUST_200600_302600_NS4plusIfEEEE10hipError_tPvRmT2_T3_mT4_P12ihipStream_tbEUlT_E_NS1_11comp_targetILNS1_3genE8ELNS1_11target_archE1030ELNS1_3gpuE2ELNS1_3repE0EEENS1_30default_config_static_selectorELNS0_4arch9wavefront6targetE1EEEvT1_.numbered_sgpr, 0
	.set _ZN7rocprim17ROCPRIM_400000_NS6detail17trampoline_kernelINS0_14default_configENS1_35adjacent_difference_config_selectorILb1EfEEZNS1_24adjacent_difference_implIS3_Lb1ELb0EPfS7_N6thrust23THRUST_200600_302600_NS4plusIfEEEE10hipError_tPvRmT2_T3_mT4_P12ihipStream_tbEUlT_E_NS1_11comp_targetILNS1_3genE8ELNS1_11target_archE1030ELNS1_3gpuE2ELNS1_3repE0EEENS1_30default_config_static_selectorELNS0_4arch9wavefront6targetE1EEEvT1_.num_named_barrier, 0
	.set _ZN7rocprim17ROCPRIM_400000_NS6detail17trampoline_kernelINS0_14default_configENS1_35adjacent_difference_config_selectorILb1EfEEZNS1_24adjacent_difference_implIS3_Lb1ELb0EPfS7_N6thrust23THRUST_200600_302600_NS4plusIfEEEE10hipError_tPvRmT2_T3_mT4_P12ihipStream_tbEUlT_E_NS1_11comp_targetILNS1_3genE8ELNS1_11target_archE1030ELNS1_3gpuE2ELNS1_3repE0EEENS1_30default_config_static_selectorELNS0_4arch9wavefront6targetE1EEEvT1_.private_seg_size, 0
	.set _ZN7rocprim17ROCPRIM_400000_NS6detail17trampoline_kernelINS0_14default_configENS1_35adjacent_difference_config_selectorILb1EfEEZNS1_24adjacent_difference_implIS3_Lb1ELb0EPfS7_N6thrust23THRUST_200600_302600_NS4plusIfEEEE10hipError_tPvRmT2_T3_mT4_P12ihipStream_tbEUlT_E_NS1_11comp_targetILNS1_3genE8ELNS1_11target_archE1030ELNS1_3gpuE2ELNS1_3repE0EEENS1_30default_config_static_selectorELNS0_4arch9wavefront6targetE1EEEvT1_.uses_vcc, 0
	.set _ZN7rocprim17ROCPRIM_400000_NS6detail17trampoline_kernelINS0_14default_configENS1_35adjacent_difference_config_selectorILb1EfEEZNS1_24adjacent_difference_implIS3_Lb1ELb0EPfS7_N6thrust23THRUST_200600_302600_NS4plusIfEEEE10hipError_tPvRmT2_T3_mT4_P12ihipStream_tbEUlT_E_NS1_11comp_targetILNS1_3genE8ELNS1_11target_archE1030ELNS1_3gpuE2ELNS1_3repE0EEENS1_30default_config_static_selectorELNS0_4arch9wavefront6targetE1EEEvT1_.uses_flat_scratch, 0
	.set _ZN7rocprim17ROCPRIM_400000_NS6detail17trampoline_kernelINS0_14default_configENS1_35adjacent_difference_config_selectorILb1EfEEZNS1_24adjacent_difference_implIS3_Lb1ELb0EPfS7_N6thrust23THRUST_200600_302600_NS4plusIfEEEE10hipError_tPvRmT2_T3_mT4_P12ihipStream_tbEUlT_E_NS1_11comp_targetILNS1_3genE8ELNS1_11target_archE1030ELNS1_3gpuE2ELNS1_3repE0EEENS1_30default_config_static_selectorELNS0_4arch9wavefront6targetE1EEEvT1_.has_dyn_sized_stack, 0
	.set _ZN7rocprim17ROCPRIM_400000_NS6detail17trampoline_kernelINS0_14default_configENS1_35adjacent_difference_config_selectorILb1EfEEZNS1_24adjacent_difference_implIS3_Lb1ELb0EPfS7_N6thrust23THRUST_200600_302600_NS4plusIfEEEE10hipError_tPvRmT2_T3_mT4_P12ihipStream_tbEUlT_E_NS1_11comp_targetILNS1_3genE8ELNS1_11target_archE1030ELNS1_3gpuE2ELNS1_3repE0EEENS1_30default_config_static_selectorELNS0_4arch9wavefront6targetE1EEEvT1_.has_recursion, 0
	.set _ZN7rocprim17ROCPRIM_400000_NS6detail17trampoline_kernelINS0_14default_configENS1_35adjacent_difference_config_selectorILb1EfEEZNS1_24adjacent_difference_implIS3_Lb1ELb0EPfS7_N6thrust23THRUST_200600_302600_NS4plusIfEEEE10hipError_tPvRmT2_T3_mT4_P12ihipStream_tbEUlT_E_NS1_11comp_targetILNS1_3genE8ELNS1_11target_archE1030ELNS1_3gpuE2ELNS1_3repE0EEENS1_30default_config_static_selectorELNS0_4arch9wavefront6targetE1EEEvT1_.has_indirect_call, 0
	.section	.AMDGPU.csdata,"",@progbits
; Kernel info:
; codeLenInByte = 0
; TotalNumSgprs: 4
; NumVgprs: 0
; ScratchSize: 0
; MemoryBound: 0
; FloatMode: 240
; IeeeMode: 1
; LDSByteSize: 0 bytes/workgroup (compile time only)
; SGPRBlocks: 0
; VGPRBlocks: 0
; NumSGPRsForWavesPerEU: 4
; NumVGPRsForWavesPerEU: 1
; Occupancy: 10
; WaveLimiterHint : 0
; COMPUTE_PGM_RSRC2:SCRATCH_EN: 0
; COMPUTE_PGM_RSRC2:USER_SGPR: 6
; COMPUTE_PGM_RSRC2:TRAP_HANDLER: 0
; COMPUTE_PGM_RSRC2:TGID_X_EN: 1
; COMPUTE_PGM_RSRC2:TGID_Y_EN: 0
; COMPUTE_PGM_RSRC2:TGID_Z_EN: 0
; COMPUTE_PGM_RSRC2:TIDIG_COMP_CNT: 0
	.section	.text._ZN6thrust23THRUST_200600_302600_NS11hip_rocprim14__parallel_for6kernelILj256ENS1_20__uninitialized_fill7functorINS0_10device_ptrIyEEyEEmLj1EEEvT0_T1_SA_,"axG",@progbits,_ZN6thrust23THRUST_200600_302600_NS11hip_rocprim14__parallel_for6kernelILj256ENS1_20__uninitialized_fill7functorINS0_10device_ptrIyEEyEEmLj1EEEvT0_T1_SA_,comdat
	.protected	_ZN6thrust23THRUST_200600_302600_NS11hip_rocprim14__parallel_for6kernelILj256ENS1_20__uninitialized_fill7functorINS0_10device_ptrIyEEyEEmLj1EEEvT0_T1_SA_ ; -- Begin function _ZN6thrust23THRUST_200600_302600_NS11hip_rocprim14__parallel_for6kernelILj256ENS1_20__uninitialized_fill7functorINS0_10device_ptrIyEEyEEmLj1EEEvT0_T1_SA_
	.globl	_ZN6thrust23THRUST_200600_302600_NS11hip_rocprim14__parallel_for6kernelILj256ENS1_20__uninitialized_fill7functorINS0_10device_ptrIyEEyEEmLj1EEEvT0_T1_SA_
	.p2align	8
	.type	_ZN6thrust23THRUST_200600_302600_NS11hip_rocprim14__parallel_for6kernelILj256ENS1_20__uninitialized_fill7functorINS0_10device_ptrIyEEyEEmLj1EEEvT0_T1_SA_,@function
_ZN6thrust23THRUST_200600_302600_NS11hip_rocprim14__parallel_for6kernelILj256ENS1_20__uninitialized_fill7functorINS0_10device_ptrIyEEyEEmLj1EEEvT0_T1_SA_: ; @_ZN6thrust23THRUST_200600_302600_NS11hip_rocprim14__parallel_for6kernelILj256ENS1_20__uninitialized_fill7functorINS0_10device_ptrIyEEyEEmLj1EEEvT0_T1_SA_
; %bb.0:
	s_load_dwordx8 s[8:15], s[4:5], 0x0
	s_lshl_b32 s0, s6, 8
	v_mov_b32_e32 v1, 0xff
	v_mov_b32_e32 v2, 0
	s_mov_b64 s[4:5], -1
	s_waitcnt lgkmcnt(0)
	s_add_u32 s0, s14, s0
	s_addc_u32 s1, s15, 0
	s_sub_u32 s2, s12, s0
	s_subb_u32 s3, s13, s1
	v_cmp_gt_u64_e32 vcc, s[2:3], v[1:2]
	s_cbranch_vccz .LBB103_3
; %bb.1:
	s_andn2_b64 vcc, exec, s[4:5]
	s_cbranch_vccz .LBB103_6
.LBB103_2:
	s_endpgm
.LBB103_3:
	v_cmp_gt_u32_e32 vcc, s2, v0
	s_and_saveexec_b64 s[2:3], vcc
	s_cbranch_execz .LBB103_5
; %bb.4:
	s_lshl_b64 s[4:5], s[0:1], 3
	s_add_u32 s4, s8, s4
	s_addc_u32 s5, s9, s5
	v_lshlrev_b32_e32 v1, 3, v0
	v_mov_b32_e32 v2, s5
	v_add_co_u32_e32 v1, vcc, s4, v1
	v_mov_b32_e32 v3, s10
	v_addc_co_u32_e32 v2, vcc, 0, v2, vcc
	v_mov_b32_e32 v4, s11
	flat_store_dwordx2 v[1:2], v[3:4]
.LBB103_5:
	s_or_b64 exec, exec, s[2:3]
	s_cbranch_execnz .LBB103_2
.LBB103_6:
	s_lshl_b64 s[0:1], s[0:1], 3
	s_add_u32 s0, s8, s0
	s_addc_u32 s1, s9, s1
	v_lshlrev_b32_e32 v0, 3, v0
	v_mov_b32_e32 v1, s1
	v_add_co_u32_e32 v0, vcc, s0, v0
	v_mov_b32_e32 v2, s10
	v_addc_co_u32_e32 v1, vcc, 0, v1, vcc
	v_mov_b32_e32 v3, s11
	flat_store_dwordx2 v[0:1], v[2:3]
	s_endpgm
	.section	.rodata,"a",@progbits
	.p2align	6, 0x0
	.amdhsa_kernel _ZN6thrust23THRUST_200600_302600_NS11hip_rocprim14__parallel_for6kernelILj256ENS1_20__uninitialized_fill7functorINS0_10device_ptrIyEEyEEmLj1EEEvT0_T1_SA_
		.amdhsa_group_segment_fixed_size 0
		.amdhsa_private_segment_fixed_size 0
		.amdhsa_kernarg_size 32
		.amdhsa_user_sgpr_count 6
		.amdhsa_user_sgpr_private_segment_buffer 1
		.amdhsa_user_sgpr_dispatch_ptr 0
		.amdhsa_user_sgpr_queue_ptr 0
		.amdhsa_user_sgpr_kernarg_segment_ptr 1
		.amdhsa_user_sgpr_dispatch_id 0
		.amdhsa_user_sgpr_flat_scratch_init 0
		.amdhsa_user_sgpr_private_segment_size 0
		.amdhsa_uses_dynamic_stack 0
		.amdhsa_system_sgpr_private_segment_wavefront_offset 0
		.amdhsa_system_sgpr_workgroup_id_x 1
		.amdhsa_system_sgpr_workgroup_id_y 0
		.amdhsa_system_sgpr_workgroup_id_z 0
		.amdhsa_system_sgpr_workgroup_info 0
		.amdhsa_system_vgpr_workitem_id 0
		.amdhsa_next_free_vgpr 5
		.amdhsa_next_free_sgpr 16
		.amdhsa_reserve_vcc 1
		.amdhsa_reserve_flat_scratch 0
		.amdhsa_float_round_mode_32 0
		.amdhsa_float_round_mode_16_64 0
		.amdhsa_float_denorm_mode_32 3
		.amdhsa_float_denorm_mode_16_64 3
		.amdhsa_dx10_clamp 1
		.amdhsa_ieee_mode 1
		.amdhsa_fp16_overflow 0
		.amdhsa_exception_fp_ieee_invalid_op 0
		.amdhsa_exception_fp_denorm_src 0
		.amdhsa_exception_fp_ieee_div_zero 0
		.amdhsa_exception_fp_ieee_overflow 0
		.amdhsa_exception_fp_ieee_underflow 0
		.amdhsa_exception_fp_ieee_inexact 0
		.amdhsa_exception_int_div_zero 0
	.end_amdhsa_kernel
	.section	.text._ZN6thrust23THRUST_200600_302600_NS11hip_rocprim14__parallel_for6kernelILj256ENS1_20__uninitialized_fill7functorINS0_10device_ptrIyEEyEEmLj1EEEvT0_T1_SA_,"axG",@progbits,_ZN6thrust23THRUST_200600_302600_NS11hip_rocprim14__parallel_for6kernelILj256ENS1_20__uninitialized_fill7functorINS0_10device_ptrIyEEyEEmLj1EEEvT0_T1_SA_,comdat
.Lfunc_end103:
	.size	_ZN6thrust23THRUST_200600_302600_NS11hip_rocprim14__parallel_for6kernelILj256ENS1_20__uninitialized_fill7functorINS0_10device_ptrIyEEyEEmLj1EEEvT0_T1_SA_, .Lfunc_end103-_ZN6thrust23THRUST_200600_302600_NS11hip_rocprim14__parallel_for6kernelILj256ENS1_20__uninitialized_fill7functorINS0_10device_ptrIyEEyEEmLj1EEEvT0_T1_SA_
                                        ; -- End function
	.set _ZN6thrust23THRUST_200600_302600_NS11hip_rocprim14__parallel_for6kernelILj256ENS1_20__uninitialized_fill7functorINS0_10device_ptrIyEEyEEmLj1EEEvT0_T1_SA_.num_vgpr, 5
	.set _ZN6thrust23THRUST_200600_302600_NS11hip_rocprim14__parallel_for6kernelILj256ENS1_20__uninitialized_fill7functorINS0_10device_ptrIyEEyEEmLj1EEEvT0_T1_SA_.num_agpr, 0
	.set _ZN6thrust23THRUST_200600_302600_NS11hip_rocprim14__parallel_for6kernelILj256ENS1_20__uninitialized_fill7functorINS0_10device_ptrIyEEyEEmLj1EEEvT0_T1_SA_.numbered_sgpr, 16
	.set _ZN6thrust23THRUST_200600_302600_NS11hip_rocprim14__parallel_for6kernelILj256ENS1_20__uninitialized_fill7functorINS0_10device_ptrIyEEyEEmLj1EEEvT0_T1_SA_.num_named_barrier, 0
	.set _ZN6thrust23THRUST_200600_302600_NS11hip_rocprim14__parallel_for6kernelILj256ENS1_20__uninitialized_fill7functorINS0_10device_ptrIyEEyEEmLj1EEEvT0_T1_SA_.private_seg_size, 0
	.set _ZN6thrust23THRUST_200600_302600_NS11hip_rocprim14__parallel_for6kernelILj256ENS1_20__uninitialized_fill7functorINS0_10device_ptrIyEEyEEmLj1EEEvT0_T1_SA_.uses_vcc, 1
	.set _ZN6thrust23THRUST_200600_302600_NS11hip_rocprim14__parallel_for6kernelILj256ENS1_20__uninitialized_fill7functorINS0_10device_ptrIyEEyEEmLj1EEEvT0_T1_SA_.uses_flat_scratch, 0
	.set _ZN6thrust23THRUST_200600_302600_NS11hip_rocprim14__parallel_for6kernelILj256ENS1_20__uninitialized_fill7functorINS0_10device_ptrIyEEyEEmLj1EEEvT0_T1_SA_.has_dyn_sized_stack, 0
	.set _ZN6thrust23THRUST_200600_302600_NS11hip_rocprim14__parallel_for6kernelILj256ENS1_20__uninitialized_fill7functorINS0_10device_ptrIyEEyEEmLj1EEEvT0_T1_SA_.has_recursion, 0
	.set _ZN6thrust23THRUST_200600_302600_NS11hip_rocprim14__parallel_for6kernelILj256ENS1_20__uninitialized_fill7functorINS0_10device_ptrIyEEyEEmLj1EEEvT0_T1_SA_.has_indirect_call, 0
	.section	.AMDGPU.csdata,"",@progbits
; Kernel info:
; codeLenInByte = 180
; TotalNumSgprs: 20
; NumVgprs: 5
; ScratchSize: 0
; MemoryBound: 0
; FloatMode: 240
; IeeeMode: 1
; LDSByteSize: 0 bytes/workgroup (compile time only)
; SGPRBlocks: 2
; VGPRBlocks: 1
; NumSGPRsForWavesPerEU: 20
; NumVGPRsForWavesPerEU: 5
; Occupancy: 10
; WaveLimiterHint : 0
; COMPUTE_PGM_RSRC2:SCRATCH_EN: 0
; COMPUTE_PGM_RSRC2:USER_SGPR: 6
; COMPUTE_PGM_RSRC2:TRAP_HANDLER: 0
; COMPUTE_PGM_RSRC2:TGID_X_EN: 1
; COMPUTE_PGM_RSRC2:TGID_Y_EN: 0
; COMPUTE_PGM_RSRC2:TGID_Z_EN: 0
; COMPUTE_PGM_RSRC2:TIDIG_COMP_CNT: 0
	.section	.text._ZN7rocprim17ROCPRIM_400000_NS6detail17trampoline_kernelINS0_14default_configENS1_35adjacent_difference_config_selectorILb0EyEEZNS1_24adjacent_difference_implIS3_Lb0ELb0EPyS7_N6thrust23THRUST_200600_302600_NS5minusIyEEEE10hipError_tPvRmT2_T3_mT4_P12ihipStream_tbEUlT_E_NS1_11comp_targetILNS1_3genE0ELNS1_11target_archE4294967295ELNS1_3gpuE0ELNS1_3repE0EEENS1_30default_config_static_selectorELNS0_4arch9wavefront6targetE1EEEvT1_,"axG",@progbits,_ZN7rocprim17ROCPRIM_400000_NS6detail17trampoline_kernelINS0_14default_configENS1_35adjacent_difference_config_selectorILb0EyEEZNS1_24adjacent_difference_implIS3_Lb0ELb0EPyS7_N6thrust23THRUST_200600_302600_NS5minusIyEEEE10hipError_tPvRmT2_T3_mT4_P12ihipStream_tbEUlT_E_NS1_11comp_targetILNS1_3genE0ELNS1_11target_archE4294967295ELNS1_3gpuE0ELNS1_3repE0EEENS1_30default_config_static_selectorELNS0_4arch9wavefront6targetE1EEEvT1_,comdat
	.protected	_ZN7rocprim17ROCPRIM_400000_NS6detail17trampoline_kernelINS0_14default_configENS1_35adjacent_difference_config_selectorILb0EyEEZNS1_24adjacent_difference_implIS3_Lb0ELb0EPyS7_N6thrust23THRUST_200600_302600_NS5minusIyEEEE10hipError_tPvRmT2_T3_mT4_P12ihipStream_tbEUlT_E_NS1_11comp_targetILNS1_3genE0ELNS1_11target_archE4294967295ELNS1_3gpuE0ELNS1_3repE0EEENS1_30default_config_static_selectorELNS0_4arch9wavefront6targetE1EEEvT1_ ; -- Begin function _ZN7rocprim17ROCPRIM_400000_NS6detail17trampoline_kernelINS0_14default_configENS1_35adjacent_difference_config_selectorILb0EyEEZNS1_24adjacent_difference_implIS3_Lb0ELb0EPyS7_N6thrust23THRUST_200600_302600_NS5minusIyEEEE10hipError_tPvRmT2_T3_mT4_P12ihipStream_tbEUlT_E_NS1_11comp_targetILNS1_3genE0ELNS1_11target_archE4294967295ELNS1_3gpuE0ELNS1_3repE0EEENS1_30default_config_static_selectorELNS0_4arch9wavefront6targetE1EEEvT1_
	.globl	_ZN7rocprim17ROCPRIM_400000_NS6detail17trampoline_kernelINS0_14default_configENS1_35adjacent_difference_config_selectorILb0EyEEZNS1_24adjacent_difference_implIS3_Lb0ELb0EPyS7_N6thrust23THRUST_200600_302600_NS5minusIyEEEE10hipError_tPvRmT2_T3_mT4_P12ihipStream_tbEUlT_E_NS1_11comp_targetILNS1_3genE0ELNS1_11target_archE4294967295ELNS1_3gpuE0ELNS1_3repE0EEENS1_30default_config_static_selectorELNS0_4arch9wavefront6targetE1EEEvT1_
	.p2align	8
	.type	_ZN7rocprim17ROCPRIM_400000_NS6detail17trampoline_kernelINS0_14default_configENS1_35adjacent_difference_config_selectorILb0EyEEZNS1_24adjacent_difference_implIS3_Lb0ELb0EPyS7_N6thrust23THRUST_200600_302600_NS5minusIyEEEE10hipError_tPvRmT2_T3_mT4_P12ihipStream_tbEUlT_E_NS1_11comp_targetILNS1_3genE0ELNS1_11target_archE4294967295ELNS1_3gpuE0ELNS1_3repE0EEENS1_30default_config_static_selectorELNS0_4arch9wavefront6targetE1EEEvT1_,@function
_ZN7rocprim17ROCPRIM_400000_NS6detail17trampoline_kernelINS0_14default_configENS1_35adjacent_difference_config_selectorILb0EyEEZNS1_24adjacent_difference_implIS3_Lb0ELb0EPyS7_N6thrust23THRUST_200600_302600_NS5minusIyEEEE10hipError_tPvRmT2_T3_mT4_P12ihipStream_tbEUlT_E_NS1_11comp_targetILNS1_3genE0ELNS1_11target_archE4294967295ELNS1_3gpuE0ELNS1_3repE0EEENS1_30default_config_static_selectorELNS0_4arch9wavefront6targetE1EEEvT1_: ; @_ZN7rocprim17ROCPRIM_400000_NS6detail17trampoline_kernelINS0_14default_configENS1_35adjacent_difference_config_selectorILb0EyEEZNS1_24adjacent_difference_implIS3_Lb0ELb0EPyS7_N6thrust23THRUST_200600_302600_NS5minusIyEEEE10hipError_tPvRmT2_T3_mT4_P12ihipStream_tbEUlT_E_NS1_11comp_targetILNS1_3genE0ELNS1_11target_archE4294967295ELNS1_3gpuE0ELNS1_3repE0EEENS1_30default_config_static_selectorELNS0_4arch9wavefront6targetE1EEEvT1_
; %bb.0:
	.section	.rodata,"a",@progbits
	.p2align	6, 0x0
	.amdhsa_kernel _ZN7rocprim17ROCPRIM_400000_NS6detail17trampoline_kernelINS0_14default_configENS1_35adjacent_difference_config_selectorILb0EyEEZNS1_24adjacent_difference_implIS3_Lb0ELb0EPyS7_N6thrust23THRUST_200600_302600_NS5minusIyEEEE10hipError_tPvRmT2_T3_mT4_P12ihipStream_tbEUlT_E_NS1_11comp_targetILNS1_3genE0ELNS1_11target_archE4294967295ELNS1_3gpuE0ELNS1_3repE0EEENS1_30default_config_static_selectorELNS0_4arch9wavefront6targetE1EEEvT1_
		.amdhsa_group_segment_fixed_size 0
		.amdhsa_private_segment_fixed_size 0
		.amdhsa_kernarg_size 56
		.amdhsa_user_sgpr_count 6
		.amdhsa_user_sgpr_private_segment_buffer 1
		.amdhsa_user_sgpr_dispatch_ptr 0
		.amdhsa_user_sgpr_queue_ptr 0
		.amdhsa_user_sgpr_kernarg_segment_ptr 1
		.amdhsa_user_sgpr_dispatch_id 0
		.amdhsa_user_sgpr_flat_scratch_init 0
		.amdhsa_user_sgpr_private_segment_size 0
		.amdhsa_uses_dynamic_stack 0
		.amdhsa_system_sgpr_private_segment_wavefront_offset 0
		.amdhsa_system_sgpr_workgroup_id_x 1
		.amdhsa_system_sgpr_workgroup_id_y 0
		.amdhsa_system_sgpr_workgroup_id_z 0
		.amdhsa_system_sgpr_workgroup_info 0
		.amdhsa_system_vgpr_workitem_id 0
		.amdhsa_next_free_vgpr 1
		.amdhsa_next_free_sgpr 0
		.amdhsa_reserve_vcc 0
		.amdhsa_reserve_flat_scratch 0
		.amdhsa_float_round_mode_32 0
		.amdhsa_float_round_mode_16_64 0
		.amdhsa_float_denorm_mode_32 3
		.amdhsa_float_denorm_mode_16_64 3
		.amdhsa_dx10_clamp 1
		.amdhsa_ieee_mode 1
		.amdhsa_fp16_overflow 0
		.amdhsa_exception_fp_ieee_invalid_op 0
		.amdhsa_exception_fp_denorm_src 0
		.amdhsa_exception_fp_ieee_div_zero 0
		.amdhsa_exception_fp_ieee_overflow 0
		.amdhsa_exception_fp_ieee_underflow 0
		.amdhsa_exception_fp_ieee_inexact 0
		.amdhsa_exception_int_div_zero 0
	.end_amdhsa_kernel
	.section	.text._ZN7rocprim17ROCPRIM_400000_NS6detail17trampoline_kernelINS0_14default_configENS1_35adjacent_difference_config_selectorILb0EyEEZNS1_24adjacent_difference_implIS3_Lb0ELb0EPyS7_N6thrust23THRUST_200600_302600_NS5minusIyEEEE10hipError_tPvRmT2_T3_mT4_P12ihipStream_tbEUlT_E_NS1_11comp_targetILNS1_3genE0ELNS1_11target_archE4294967295ELNS1_3gpuE0ELNS1_3repE0EEENS1_30default_config_static_selectorELNS0_4arch9wavefront6targetE1EEEvT1_,"axG",@progbits,_ZN7rocprim17ROCPRIM_400000_NS6detail17trampoline_kernelINS0_14default_configENS1_35adjacent_difference_config_selectorILb0EyEEZNS1_24adjacent_difference_implIS3_Lb0ELb0EPyS7_N6thrust23THRUST_200600_302600_NS5minusIyEEEE10hipError_tPvRmT2_T3_mT4_P12ihipStream_tbEUlT_E_NS1_11comp_targetILNS1_3genE0ELNS1_11target_archE4294967295ELNS1_3gpuE0ELNS1_3repE0EEENS1_30default_config_static_selectorELNS0_4arch9wavefront6targetE1EEEvT1_,comdat
.Lfunc_end104:
	.size	_ZN7rocprim17ROCPRIM_400000_NS6detail17trampoline_kernelINS0_14default_configENS1_35adjacent_difference_config_selectorILb0EyEEZNS1_24adjacent_difference_implIS3_Lb0ELb0EPyS7_N6thrust23THRUST_200600_302600_NS5minusIyEEEE10hipError_tPvRmT2_T3_mT4_P12ihipStream_tbEUlT_E_NS1_11comp_targetILNS1_3genE0ELNS1_11target_archE4294967295ELNS1_3gpuE0ELNS1_3repE0EEENS1_30default_config_static_selectorELNS0_4arch9wavefront6targetE1EEEvT1_, .Lfunc_end104-_ZN7rocprim17ROCPRIM_400000_NS6detail17trampoline_kernelINS0_14default_configENS1_35adjacent_difference_config_selectorILb0EyEEZNS1_24adjacent_difference_implIS3_Lb0ELb0EPyS7_N6thrust23THRUST_200600_302600_NS5minusIyEEEE10hipError_tPvRmT2_T3_mT4_P12ihipStream_tbEUlT_E_NS1_11comp_targetILNS1_3genE0ELNS1_11target_archE4294967295ELNS1_3gpuE0ELNS1_3repE0EEENS1_30default_config_static_selectorELNS0_4arch9wavefront6targetE1EEEvT1_
                                        ; -- End function
	.set _ZN7rocprim17ROCPRIM_400000_NS6detail17trampoline_kernelINS0_14default_configENS1_35adjacent_difference_config_selectorILb0EyEEZNS1_24adjacent_difference_implIS3_Lb0ELb0EPyS7_N6thrust23THRUST_200600_302600_NS5minusIyEEEE10hipError_tPvRmT2_T3_mT4_P12ihipStream_tbEUlT_E_NS1_11comp_targetILNS1_3genE0ELNS1_11target_archE4294967295ELNS1_3gpuE0ELNS1_3repE0EEENS1_30default_config_static_selectorELNS0_4arch9wavefront6targetE1EEEvT1_.num_vgpr, 0
	.set _ZN7rocprim17ROCPRIM_400000_NS6detail17trampoline_kernelINS0_14default_configENS1_35adjacent_difference_config_selectorILb0EyEEZNS1_24adjacent_difference_implIS3_Lb0ELb0EPyS7_N6thrust23THRUST_200600_302600_NS5minusIyEEEE10hipError_tPvRmT2_T3_mT4_P12ihipStream_tbEUlT_E_NS1_11comp_targetILNS1_3genE0ELNS1_11target_archE4294967295ELNS1_3gpuE0ELNS1_3repE0EEENS1_30default_config_static_selectorELNS0_4arch9wavefront6targetE1EEEvT1_.num_agpr, 0
	.set _ZN7rocprim17ROCPRIM_400000_NS6detail17trampoline_kernelINS0_14default_configENS1_35adjacent_difference_config_selectorILb0EyEEZNS1_24adjacent_difference_implIS3_Lb0ELb0EPyS7_N6thrust23THRUST_200600_302600_NS5minusIyEEEE10hipError_tPvRmT2_T3_mT4_P12ihipStream_tbEUlT_E_NS1_11comp_targetILNS1_3genE0ELNS1_11target_archE4294967295ELNS1_3gpuE0ELNS1_3repE0EEENS1_30default_config_static_selectorELNS0_4arch9wavefront6targetE1EEEvT1_.numbered_sgpr, 0
	.set _ZN7rocprim17ROCPRIM_400000_NS6detail17trampoline_kernelINS0_14default_configENS1_35adjacent_difference_config_selectorILb0EyEEZNS1_24adjacent_difference_implIS3_Lb0ELb0EPyS7_N6thrust23THRUST_200600_302600_NS5minusIyEEEE10hipError_tPvRmT2_T3_mT4_P12ihipStream_tbEUlT_E_NS1_11comp_targetILNS1_3genE0ELNS1_11target_archE4294967295ELNS1_3gpuE0ELNS1_3repE0EEENS1_30default_config_static_selectorELNS0_4arch9wavefront6targetE1EEEvT1_.num_named_barrier, 0
	.set _ZN7rocprim17ROCPRIM_400000_NS6detail17trampoline_kernelINS0_14default_configENS1_35adjacent_difference_config_selectorILb0EyEEZNS1_24adjacent_difference_implIS3_Lb0ELb0EPyS7_N6thrust23THRUST_200600_302600_NS5minusIyEEEE10hipError_tPvRmT2_T3_mT4_P12ihipStream_tbEUlT_E_NS1_11comp_targetILNS1_3genE0ELNS1_11target_archE4294967295ELNS1_3gpuE0ELNS1_3repE0EEENS1_30default_config_static_selectorELNS0_4arch9wavefront6targetE1EEEvT1_.private_seg_size, 0
	.set _ZN7rocprim17ROCPRIM_400000_NS6detail17trampoline_kernelINS0_14default_configENS1_35adjacent_difference_config_selectorILb0EyEEZNS1_24adjacent_difference_implIS3_Lb0ELb0EPyS7_N6thrust23THRUST_200600_302600_NS5minusIyEEEE10hipError_tPvRmT2_T3_mT4_P12ihipStream_tbEUlT_E_NS1_11comp_targetILNS1_3genE0ELNS1_11target_archE4294967295ELNS1_3gpuE0ELNS1_3repE0EEENS1_30default_config_static_selectorELNS0_4arch9wavefront6targetE1EEEvT1_.uses_vcc, 0
	.set _ZN7rocprim17ROCPRIM_400000_NS6detail17trampoline_kernelINS0_14default_configENS1_35adjacent_difference_config_selectorILb0EyEEZNS1_24adjacent_difference_implIS3_Lb0ELb0EPyS7_N6thrust23THRUST_200600_302600_NS5minusIyEEEE10hipError_tPvRmT2_T3_mT4_P12ihipStream_tbEUlT_E_NS1_11comp_targetILNS1_3genE0ELNS1_11target_archE4294967295ELNS1_3gpuE0ELNS1_3repE0EEENS1_30default_config_static_selectorELNS0_4arch9wavefront6targetE1EEEvT1_.uses_flat_scratch, 0
	.set _ZN7rocprim17ROCPRIM_400000_NS6detail17trampoline_kernelINS0_14default_configENS1_35adjacent_difference_config_selectorILb0EyEEZNS1_24adjacent_difference_implIS3_Lb0ELb0EPyS7_N6thrust23THRUST_200600_302600_NS5minusIyEEEE10hipError_tPvRmT2_T3_mT4_P12ihipStream_tbEUlT_E_NS1_11comp_targetILNS1_3genE0ELNS1_11target_archE4294967295ELNS1_3gpuE0ELNS1_3repE0EEENS1_30default_config_static_selectorELNS0_4arch9wavefront6targetE1EEEvT1_.has_dyn_sized_stack, 0
	.set _ZN7rocprim17ROCPRIM_400000_NS6detail17trampoline_kernelINS0_14default_configENS1_35adjacent_difference_config_selectorILb0EyEEZNS1_24adjacent_difference_implIS3_Lb0ELb0EPyS7_N6thrust23THRUST_200600_302600_NS5minusIyEEEE10hipError_tPvRmT2_T3_mT4_P12ihipStream_tbEUlT_E_NS1_11comp_targetILNS1_3genE0ELNS1_11target_archE4294967295ELNS1_3gpuE0ELNS1_3repE0EEENS1_30default_config_static_selectorELNS0_4arch9wavefront6targetE1EEEvT1_.has_recursion, 0
	.set _ZN7rocprim17ROCPRIM_400000_NS6detail17trampoline_kernelINS0_14default_configENS1_35adjacent_difference_config_selectorILb0EyEEZNS1_24adjacent_difference_implIS3_Lb0ELb0EPyS7_N6thrust23THRUST_200600_302600_NS5minusIyEEEE10hipError_tPvRmT2_T3_mT4_P12ihipStream_tbEUlT_E_NS1_11comp_targetILNS1_3genE0ELNS1_11target_archE4294967295ELNS1_3gpuE0ELNS1_3repE0EEENS1_30default_config_static_selectorELNS0_4arch9wavefront6targetE1EEEvT1_.has_indirect_call, 0
	.section	.AMDGPU.csdata,"",@progbits
; Kernel info:
; codeLenInByte = 0
; TotalNumSgprs: 4
; NumVgprs: 0
; ScratchSize: 0
; MemoryBound: 0
; FloatMode: 240
; IeeeMode: 1
; LDSByteSize: 0 bytes/workgroup (compile time only)
; SGPRBlocks: 0
; VGPRBlocks: 0
; NumSGPRsForWavesPerEU: 4
; NumVGPRsForWavesPerEU: 1
; Occupancy: 10
; WaveLimiterHint : 0
; COMPUTE_PGM_RSRC2:SCRATCH_EN: 0
; COMPUTE_PGM_RSRC2:USER_SGPR: 6
; COMPUTE_PGM_RSRC2:TRAP_HANDLER: 0
; COMPUTE_PGM_RSRC2:TGID_X_EN: 1
; COMPUTE_PGM_RSRC2:TGID_Y_EN: 0
; COMPUTE_PGM_RSRC2:TGID_Z_EN: 0
; COMPUTE_PGM_RSRC2:TIDIG_COMP_CNT: 0
	.section	.text._ZN7rocprim17ROCPRIM_400000_NS6detail17trampoline_kernelINS0_14default_configENS1_35adjacent_difference_config_selectorILb0EyEEZNS1_24adjacent_difference_implIS3_Lb0ELb0EPyS7_N6thrust23THRUST_200600_302600_NS5minusIyEEEE10hipError_tPvRmT2_T3_mT4_P12ihipStream_tbEUlT_E_NS1_11comp_targetILNS1_3genE10ELNS1_11target_archE1201ELNS1_3gpuE5ELNS1_3repE0EEENS1_30default_config_static_selectorELNS0_4arch9wavefront6targetE1EEEvT1_,"axG",@progbits,_ZN7rocprim17ROCPRIM_400000_NS6detail17trampoline_kernelINS0_14default_configENS1_35adjacent_difference_config_selectorILb0EyEEZNS1_24adjacent_difference_implIS3_Lb0ELb0EPyS7_N6thrust23THRUST_200600_302600_NS5minusIyEEEE10hipError_tPvRmT2_T3_mT4_P12ihipStream_tbEUlT_E_NS1_11comp_targetILNS1_3genE10ELNS1_11target_archE1201ELNS1_3gpuE5ELNS1_3repE0EEENS1_30default_config_static_selectorELNS0_4arch9wavefront6targetE1EEEvT1_,comdat
	.protected	_ZN7rocprim17ROCPRIM_400000_NS6detail17trampoline_kernelINS0_14default_configENS1_35adjacent_difference_config_selectorILb0EyEEZNS1_24adjacent_difference_implIS3_Lb0ELb0EPyS7_N6thrust23THRUST_200600_302600_NS5minusIyEEEE10hipError_tPvRmT2_T3_mT4_P12ihipStream_tbEUlT_E_NS1_11comp_targetILNS1_3genE10ELNS1_11target_archE1201ELNS1_3gpuE5ELNS1_3repE0EEENS1_30default_config_static_selectorELNS0_4arch9wavefront6targetE1EEEvT1_ ; -- Begin function _ZN7rocprim17ROCPRIM_400000_NS6detail17trampoline_kernelINS0_14default_configENS1_35adjacent_difference_config_selectorILb0EyEEZNS1_24adjacent_difference_implIS3_Lb0ELb0EPyS7_N6thrust23THRUST_200600_302600_NS5minusIyEEEE10hipError_tPvRmT2_T3_mT4_P12ihipStream_tbEUlT_E_NS1_11comp_targetILNS1_3genE10ELNS1_11target_archE1201ELNS1_3gpuE5ELNS1_3repE0EEENS1_30default_config_static_selectorELNS0_4arch9wavefront6targetE1EEEvT1_
	.globl	_ZN7rocprim17ROCPRIM_400000_NS6detail17trampoline_kernelINS0_14default_configENS1_35adjacent_difference_config_selectorILb0EyEEZNS1_24adjacent_difference_implIS3_Lb0ELb0EPyS7_N6thrust23THRUST_200600_302600_NS5minusIyEEEE10hipError_tPvRmT2_T3_mT4_P12ihipStream_tbEUlT_E_NS1_11comp_targetILNS1_3genE10ELNS1_11target_archE1201ELNS1_3gpuE5ELNS1_3repE0EEENS1_30default_config_static_selectorELNS0_4arch9wavefront6targetE1EEEvT1_
	.p2align	8
	.type	_ZN7rocprim17ROCPRIM_400000_NS6detail17trampoline_kernelINS0_14default_configENS1_35adjacent_difference_config_selectorILb0EyEEZNS1_24adjacent_difference_implIS3_Lb0ELb0EPyS7_N6thrust23THRUST_200600_302600_NS5minusIyEEEE10hipError_tPvRmT2_T3_mT4_P12ihipStream_tbEUlT_E_NS1_11comp_targetILNS1_3genE10ELNS1_11target_archE1201ELNS1_3gpuE5ELNS1_3repE0EEENS1_30default_config_static_selectorELNS0_4arch9wavefront6targetE1EEEvT1_,@function
_ZN7rocprim17ROCPRIM_400000_NS6detail17trampoline_kernelINS0_14default_configENS1_35adjacent_difference_config_selectorILb0EyEEZNS1_24adjacent_difference_implIS3_Lb0ELb0EPyS7_N6thrust23THRUST_200600_302600_NS5minusIyEEEE10hipError_tPvRmT2_T3_mT4_P12ihipStream_tbEUlT_E_NS1_11comp_targetILNS1_3genE10ELNS1_11target_archE1201ELNS1_3gpuE5ELNS1_3repE0EEENS1_30default_config_static_selectorELNS0_4arch9wavefront6targetE1EEEvT1_: ; @_ZN7rocprim17ROCPRIM_400000_NS6detail17trampoline_kernelINS0_14default_configENS1_35adjacent_difference_config_selectorILb0EyEEZNS1_24adjacent_difference_implIS3_Lb0ELb0EPyS7_N6thrust23THRUST_200600_302600_NS5minusIyEEEE10hipError_tPvRmT2_T3_mT4_P12ihipStream_tbEUlT_E_NS1_11comp_targetILNS1_3genE10ELNS1_11target_archE1201ELNS1_3gpuE5ELNS1_3repE0EEENS1_30default_config_static_selectorELNS0_4arch9wavefront6targetE1EEEvT1_
; %bb.0:
	.section	.rodata,"a",@progbits
	.p2align	6, 0x0
	.amdhsa_kernel _ZN7rocprim17ROCPRIM_400000_NS6detail17trampoline_kernelINS0_14default_configENS1_35adjacent_difference_config_selectorILb0EyEEZNS1_24adjacent_difference_implIS3_Lb0ELb0EPyS7_N6thrust23THRUST_200600_302600_NS5minusIyEEEE10hipError_tPvRmT2_T3_mT4_P12ihipStream_tbEUlT_E_NS1_11comp_targetILNS1_3genE10ELNS1_11target_archE1201ELNS1_3gpuE5ELNS1_3repE0EEENS1_30default_config_static_selectorELNS0_4arch9wavefront6targetE1EEEvT1_
		.amdhsa_group_segment_fixed_size 0
		.amdhsa_private_segment_fixed_size 0
		.amdhsa_kernarg_size 56
		.amdhsa_user_sgpr_count 6
		.amdhsa_user_sgpr_private_segment_buffer 1
		.amdhsa_user_sgpr_dispatch_ptr 0
		.amdhsa_user_sgpr_queue_ptr 0
		.amdhsa_user_sgpr_kernarg_segment_ptr 1
		.amdhsa_user_sgpr_dispatch_id 0
		.amdhsa_user_sgpr_flat_scratch_init 0
		.amdhsa_user_sgpr_private_segment_size 0
		.amdhsa_uses_dynamic_stack 0
		.amdhsa_system_sgpr_private_segment_wavefront_offset 0
		.amdhsa_system_sgpr_workgroup_id_x 1
		.amdhsa_system_sgpr_workgroup_id_y 0
		.amdhsa_system_sgpr_workgroup_id_z 0
		.amdhsa_system_sgpr_workgroup_info 0
		.amdhsa_system_vgpr_workitem_id 0
		.amdhsa_next_free_vgpr 1
		.amdhsa_next_free_sgpr 0
		.amdhsa_reserve_vcc 0
		.amdhsa_reserve_flat_scratch 0
		.amdhsa_float_round_mode_32 0
		.amdhsa_float_round_mode_16_64 0
		.amdhsa_float_denorm_mode_32 3
		.amdhsa_float_denorm_mode_16_64 3
		.amdhsa_dx10_clamp 1
		.amdhsa_ieee_mode 1
		.amdhsa_fp16_overflow 0
		.amdhsa_exception_fp_ieee_invalid_op 0
		.amdhsa_exception_fp_denorm_src 0
		.amdhsa_exception_fp_ieee_div_zero 0
		.amdhsa_exception_fp_ieee_overflow 0
		.amdhsa_exception_fp_ieee_underflow 0
		.amdhsa_exception_fp_ieee_inexact 0
		.amdhsa_exception_int_div_zero 0
	.end_amdhsa_kernel
	.section	.text._ZN7rocprim17ROCPRIM_400000_NS6detail17trampoline_kernelINS0_14default_configENS1_35adjacent_difference_config_selectorILb0EyEEZNS1_24adjacent_difference_implIS3_Lb0ELb0EPyS7_N6thrust23THRUST_200600_302600_NS5minusIyEEEE10hipError_tPvRmT2_T3_mT4_P12ihipStream_tbEUlT_E_NS1_11comp_targetILNS1_3genE10ELNS1_11target_archE1201ELNS1_3gpuE5ELNS1_3repE0EEENS1_30default_config_static_selectorELNS0_4arch9wavefront6targetE1EEEvT1_,"axG",@progbits,_ZN7rocprim17ROCPRIM_400000_NS6detail17trampoline_kernelINS0_14default_configENS1_35adjacent_difference_config_selectorILb0EyEEZNS1_24adjacent_difference_implIS3_Lb0ELb0EPyS7_N6thrust23THRUST_200600_302600_NS5minusIyEEEE10hipError_tPvRmT2_T3_mT4_P12ihipStream_tbEUlT_E_NS1_11comp_targetILNS1_3genE10ELNS1_11target_archE1201ELNS1_3gpuE5ELNS1_3repE0EEENS1_30default_config_static_selectorELNS0_4arch9wavefront6targetE1EEEvT1_,comdat
.Lfunc_end105:
	.size	_ZN7rocprim17ROCPRIM_400000_NS6detail17trampoline_kernelINS0_14default_configENS1_35adjacent_difference_config_selectorILb0EyEEZNS1_24adjacent_difference_implIS3_Lb0ELb0EPyS7_N6thrust23THRUST_200600_302600_NS5minusIyEEEE10hipError_tPvRmT2_T3_mT4_P12ihipStream_tbEUlT_E_NS1_11comp_targetILNS1_3genE10ELNS1_11target_archE1201ELNS1_3gpuE5ELNS1_3repE0EEENS1_30default_config_static_selectorELNS0_4arch9wavefront6targetE1EEEvT1_, .Lfunc_end105-_ZN7rocprim17ROCPRIM_400000_NS6detail17trampoline_kernelINS0_14default_configENS1_35adjacent_difference_config_selectorILb0EyEEZNS1_24adjacent_difference_implIS3_Lb0ELb0EPyS7_N6thrust23THRUST_200600_302600_NS5minusIyEEEE10hipError_tPvRmT2_T3_mT4_P12ihipStream_tbEUlT_E_NS1_11comp_targetILNS1_3genE10ELNS1_11target_archE1201ELNS1_3gpuE5ELNS1_3repE0EEENS1_30default_config_static_selectorELNS0_4arch9wavefront6targetE1EEEvT1_
                                        ; -- End function
	.set _ZN7rocprim17ROCPRIM_400000_NS6detail17trampoline_kernelINS0_14default_configENS1_35adjacent_difference_config_selectorILb0EyEEZNS1_24adjacent_difference_implIS3_Lb0ELb0EPyS7_N6thrust23THRUST_200600_302600_NS5minusIyEEEE10hipError_tPvRmT2_T3_mT4_P12ihipStream_tbEUlT_E_NS1_11comp_targetILNS1_3genE10ELNS1_11target_archE1201ELNS1_3gpuE5ELNS1_3repE0EEENS1_30default_config_static_selectorELNS0_4arch9wavefront6targetE1EEEvT1_.num_vgpr, 0
	.set _ZN7rocprim17ROCPRIM_400000_NS6detail17trampoline_kernelINS0_14default_configENS1_35adjacent_difference_config_selectorILb0EyEEZNS1_24adjacent_difference_implIS3_Lb0ELb0EPyS7_N6thrust23THRUST_200600_302600_NS5minusIyEEEE10hipError_tPvRmT2_T3_mT4_P12ihipStream_tbEUlT_E_NS1_11comp_targetILNS1_3genE10ELNS1_11target_archE1201ELNS1_3gpuE5ELNS1_3repE0EEENS1_30default_config_static_selectorELNS0_4arch9wavefront6targetE1EEEvT1_.num_agpr, 0
	.set _ZN7rocprim17ROCPRIM_400000_NS6detail17trampoline_kernelINS0_14default_configENS1_35adjacent_difference_config_selectorILb0EyEEZNS1_24adjacent_difference_implIS3_Lb0ELb0EPyS7_N6thrust23THRUST_200600_302600_NS5minusIyEEEE10hipError_tPvRmT2_T3_mT4_P12ihipStream_tbEUlT_E_NS1_11comp_targetILNS1_3genE10ELNS1_11target_archE1201ELNS1_3gpuE5ELNS1_3repE0EEENS1_30default_config_static_selectorELNS0_4arch9wavefront6targetE1EEEvT1_.numbered_sgpr, 0
	.set _ZN7rocprim17ROCPRIM_400000_NS6detail17trampoline_kernelINS0_14default_configENS1_35adjacent_difference_config_selectorILb0EyEEZNS1_24adjacent_difference_implIS3_Lb0ELb0EPyS7_N6thrust23THRUST_200600_302600_NS5minusIyEEEE10hipError_tPvRmT2_T3_mT4_P12ihipStream_tbEUlT_E_NS1_11comp_targetILNS1_3genE10ELNS1_11target_archE1201ELNS1_3gpuE5ELNS1_3repE0EEENS1_30default_config_static_selectorELNS0_4arch9wavefront6targetE1EEEvT1_.num_named_barrier, 0
	.set _ZN7rocprim17ROCPRIM_400000_NS6detail17trampoline_kernelINS0_14default_configENS1_35adjacent_difference_config_selectorILb0EyEEZNS1_24adjacent_difference_implIS3_Lb0ELb0EPyS7_N6thrust23THRUST_200600_302600_NS5minusIyEEEE10hipError_tPvRmT2_T3_mT4_P12ihipStream_tbEUlT_E_NS1_11comp_targetILNS1_3genE10ELNS1_11target_archE1201ELNS1_3gpuE5ELNS1_3repE0EEENS1_30default_config_static_selectorELNS0_4arch9wavefront6targetE1EEEvT1_.private_seg_size, 0
	.set _ZN7rocprim17ROCPRIM_400000_NS6detail17trampoline_kernelINS0_14default_configENS1_35adjacent_difference_config_selectorILb0EyEEZNS1_24adjacent_difference_implIS3_Lb0ELb0EPyS7_N6thrust23THRUST_200600_302600_NS5minusIyEEEE10hipError_tPvRmT2_T3_mT4_P12ihipStream_tbEUlT_E_NS1_11comp_targetILNS1_3genE10ELNS1_11target_archE1201ELNS1_3gpuE5ELNS1_3repE0EEENS1_30default_config_static_selectorELNS0_4arch9wavefront6targetE1EEEvT1_.uses_vcc, 0
	.set _ZN7rocprim17ROCPRIM_400000_NS6detail17trampoline_kernelINS0_14default_configENS1_35adjacent_difference_config_selectorILb0EyEEZNS1_24adjacent_difference_implIS3_Lb0ELb0EPyS7_N6thrust23THRUST_200600_302600_NS5minusIyEEEE10hipError_tPvRmT2_T3_mT4_P12ihipStream_tbEUlT_E_NS1_11comp_targetILNS1_3genE10ELNS1_11target_archE1201ELNS1_3gpuE5ELNS1_3repE0EEENS1_30default_config_static_selectorELNS0_4arch9wavefront6targetE1EEEvT1_.uses_flat_scratch, 0
	.set _ZN7rocprim17ROCPRIM_400000_NS6detail17trampoline_kernelINS0_14default_configENS1_35adjacent_difference_config_selectorILb0EyEEZNS1_24adjacent_difference_implIS3_Lb0ELb0EPyS7_N6thrust23THRUST_200600_302600_NS5minusIyEEEE10hipError_tPvRmT2_T3_mT4_P12ihipStream_tbEUlT_E_NS1_11comp_targetILNS1_3genE10ELNS1_11target_archE1201ELNS1_3gpuE5ELNS1_3repE0EEENS1_30default_config_static_selectorELNS0_4arch9wavefront6targetE1EEEvT1_.has_dyn_sized_stack, 0
	.set _ZN7rocprim17ROCPRIM_400000_NS6detail17trampoline_kernelINS0_14default_configENS1_35adjacent_difference_config_selectorILb0EyEEZNS1_24adjacent_difference_implIS3_Lb0ELb0EPyS7_N6thrust23THRUST_200600_302600_NS5minusIyEEEE10hipError_tPvRmT2_T3_mT4_P12ihipStream_tbEUlT_E_NS1_11comp_targetILNS1_3genE10ELNS1_11target_archE1201ELNS1_3gpuE5ELNS1_3repE0EEENS1_30default_config_static_selectorELNS0_4arch9wavefront6targetE1EEEvT1_.has_recursion, 0
	.set _ZN7rocprim17ROCPRIM_400000_NS6detail17trampoline_kernelINS0_14default_configENS1_35adjacent_difference_config_selectorILb0EyEEZNS1_24adjacent_difference_implIS3_Lb0ELb0EPyS7_N6thrust23THRUST_200600_302600_NS5minusIyEEEE10hipError_tPvRmT2_T3_mT4_P12ihipStream_tbEUlT_E_NS1_11comp_targetILNS1_3genE10ELNS1_11target_archE1201ELNS1_3gpuE5ELNS1_3repE0EEENS1_30default_config_static_selectorELNS0_4arch9wavefront6targetE1EEEvT1_.has_indirect_call, 0
	.section	.AMDGPU.csdata,"",@progbits
; Kernel info:
; codeLenInByte = 0
; TotalNumSgprs: 4
; NumVgprs: 0
; ScratchSize: 0
; MemoryBound: 0
; FloatMode: 240
; IeeeMode: 1
; LDSByteSize: 0 bytes/workgroup (compile time only)
; SGPRBlocks: 0
; VGPRBlocks: 0
; NumSGPRsForWavesPerEU: 4
; NumVGPRsForWavesPerEU: 1
; Occupancy: 10
; WaveLimiterHint : 0
; COMPUTE_PGM_RSRC2:SCRATCH_EN: 0
; COMPUTE_PGM_RSRC2:USER_SGPR: 6
; COMPUTE_PGM_RSRC2:TRAP_HANDLER: 0
; COMPUTE_PGM_RSRC2:TGID_X_EN: 1
; COMPUTE_PGM_RSRC2:TGID_Y_EN: 0
; COMPUTE_PGM_RSRC2:TGID_Z_EN: 0
; COMPUTE_PGM_RSRC2:TIDIG_COMP_CNT: 0
	.section	.text._ZN7rocprim17ROCPRIM_400000_NS6detail17trampoline_kernelINS0_14default_configENS1_35adjacent_difference_config_selectorILb0EyEEZNS1_24adjacent_difference_implIS3_Lb0ELb0EPyS7_N6thrust23THRUST_200600_302600_NS5minusIyEEEE10hipError_tPvRmT2_T3_mT4_P12ihipStream_tbEUlT_E_NS1_11comp_targetILNS1_3genE5ELNS1_11target_archE942ELNS1_3gpuE9ELNS1_3repE0EEENS1_30default_config_static_selectorELNS0_4arch9wavefront6targetE1EEEvT1_,"axG",@progbits,_ZN7rocprim17ROCPRIM_400000_NS6detail17trampoline_kernelINS0_14default_configENS1_35adjacent_difference_config_selectorILb0EyEEZNS1_24adjacent_difference_implIS3_Lb0ELb0EPyS7_N6thrust23THRUST_200600_302600_NS5minusIyEEEE10hipError_tPvRmT2_T3_mT4_P12ihipStream_tbEUlT_E_NS1_11comp_targetILNS1_3genE5ELNS1_11target_archE942ELNS1_3gpuE9ELNS1_3repE0EEENS1_30default_config_static_selectorELNS0_4arch9wavefront6targetE1EEEvT1_,comdat
	.protected	_ZN7rocprim17ROCPRIM_400000_NS6detail17trampoline_kernelINS0_14default_configENS1_35adjacent_difference_config_selectorILb0EyEEZNS1_24adjacent_difference_implIS3_Lb0ELb0EPyS7_N6thrust23THRUST_200600_302600_NS5minusIyEEEE10hipError_tPvRmT2_T3_mT4_P12ihipStream_tbEUlT_E_NS1_11comp_targetILNS1_3genE5ELNS1_11target_archE942ELNS1_3gpuE9ELNS1_3repE0EEENS1_30default_config_static_selectorELNS0_4arch9wavefront6targetE1EEEvT1_ ; -- Begin function _ZN7rocprim17ROCPRIM_400000_NS6detail17trampoline_kernelINS0_14default_configENS1_35adjacent_difference_config_selectorILb0EyEEZNS1_24adjacent_difference_implIS3_Lb0ELb0EPyS7_N6thrust23THRUST_200600_302600_NS5minusIyEEEE10hipError_tPvRmT2_T3_mT4_P12ihipStream_tbEUlT_E_NS1_11comp_targetILNS1_3genE5ELNS1_11target_archE942ELNS1_3gpuE9ELNS1_3repE0EEENS1_30default_config_static_selectorELNS0_4arch9wavefront6targetE1EEEvT1_
	.globl	_ZN7rocprim17ROCPRIM_400000_NS6detail17trampoline_kernelINS0_14default_configENS1_35adjacent_difference_config_selectorILb0EyEEZNS1_24adjacent_difference_implIS3_Lb0ELb0EPyS7_N6thrust23THRUST_200600_302600_NS5minusIyEEEE10hipError_tPvRmT2_T3_mT4_P12ihipStream_tbEUlT_E_NS1_11comp_targetILNS1_3genE5ELNS1_11target_archE942ELNS1_3gpuE9ELNS1_3repE0EEENS1_30default_config_static_selectorELNS0_4arch9wavefront6targetE1EEEvT1_
	.p2align	8
	.type	_ZN7rocprim17ROCPRIM_400000_NS6detail17trampoline_kernelINS0_14default_configENS1_35adjacent_difference_config_selectorILb0EyEEZNS1_24adjacent_difference_implIS3_Lb0ELb0EPyS7_N6thrust23THRUST_200600_302600_NS5minusIyEEEE10hipError_tPvRmT2_T3_mT4_P12ihipStream_tbEUlT_E_NS1_11comp_targetILNS1_3genE5ELNS1_11target_archE942ELNS1_3gpuE9ELNS1_3repE0EEENS1_30default_config_static_selectorELNS0_4arch9wavefront6targetE1EEEvT1_,@function
_ZN7rocprim17ROCPRIM_400000_NS6detail17trampoline_kernelINS0_14default_configENS1_35adjacent_difference_config_selectorILb0EyEEZNS1_24adjacent_difference_implIS3_Lb0ELb0EPyS7_N6thrust23THRUST_200600_302600_NS5minusIyEEEE10hipError_tPvRmT2_T3_mT4_P12ihipStream_tbEUlT_E_NS1_11comp_targetILNS1_3genE5ELNS1_11target_archE942ELNS1_3gpuE9ELNS1_3repE0EEENS1_30default_config_static_selectorELNS0_4arch9wavefront6targetE1EEEvT1_: ; @_ZN7rocprim17ROCPRIM_400000_NS6detail17trampoline_kernelINS0_14default_configENS1_35adjacent_difference_config_selectorILb0EyEEZNS1_24adjacent_difference_implIS3_Lb0ELb0EPyS7_N6thrust23THRUST_200600_302600_NS5minusIyEEEE10hipError_tPvRmT2_T3_mT4_P12ihipStream_tbEUlT_E_NS1_11comp_targetILNS1_3genE5ELNS1_11target_archE942ELNS1_3gpuE9ELNS1_3repE0EEENS1_30default_config_static_selectorELNS0_4arch9wavefront6targetE1EEEvT1_
; %bb.0:
	.section	.rodata,"a",@progbits
	.p2align	6, 0x0
	.amdhsa_kernel _ZN7rocprim17ROCPRIM_400000_NS6detail17trampoline_kernelINS0_14default_configENS1_35adjacent_difference_config_selectorILb0EyEEZNS1_24adjacent_difference_implIS3_Lb0ELb0EPyS7_N6thrust23THRUST_200600_302600_NS5minusIyEEEE10hipError_tPvRmT2_T3_mT4_P12ihipStream_tbEUlT_E_NS1_11comp_targetILNS1_3genE5ELNS1_11target_archE942ELNS1_3gpuE9ELNS1_3repE0EEENS1_30default_config_static_selectorELNS0_4arch9wavefront6targetE1EEEvT1_
		.amdhsa_group_segment_fixed_size 0
		.amdhsa_private_segment_fixed_size 0
		.amdhsa_kernarg_size 56
		.amdhsa_user_sgpr_count 6
		.amdhsa_user_sgpr_private_segment_buffer 1
		.amdhsa_user_sgpr_dispatch_ptr 0
		.amdhsa_user_sgpr_queue_ptr 0
		.amdhsa_user_sgpr_kernarg_segment_ptr 1
		.amdhsa_user_sgpr_dispatch_id 0
		.amdhsa_user_sgpr_flat_scratch_init 0
		.amdhsa_user_sgpr_private_segment_size 0
		.amdhsa_uses_dynamic_stack 0
		.amdhsa_system_sgpr_private_segment_wavefront_offset 0
		.amdhsa_system_sgpr_workgroup_id_x 1
		.amdhsa_system_sgpr_workgroup_id_y 0
		.amdhsa_system_sgpr_workgroup_id_z 0
		.amdhsa_system_sgpr_workgroup_info 0
		.amdhsa_system_vgpr_workitem_id 0
		.amdhsa_next_free_vgpr 1
		.amdhsa_next_free_sgpr 0
		.amdhsa_reserve_vcc 0
		.amdhsa_reserve_flat_scratch 0
		.amdhsa_float_round_mode_32 0
		.amdhsa_float_round_mode_16_64 0
		.amdhsa_float_denorm_mode_32 3
		.amdhsa_float_denorm_mode_16_64 3
		.amdhsa_dx10_clamp 1
		.amdhsa_ieee_mode 1
		.amdhsa_fp16_overflow 0
		.amdhsa_exception_fp_ieee_invalid_op 0
		.amdhsa_exception_fp_denorm_src 0
		.amdhsa_exception_fp_ieee_div_zero 0
		.amdhsa_exception_fp_ieee_overflow 0
		.amdhsa_exception_fp_ieee_underflow 0
		.amdhsa_exception_fp_ieee_inexact 0
		.amdhsa_exception_int_div_zero 0
	.end_amdhsa_kernel
	.section	.text._ZN7rocprim17ROCPRIM_400000_NS6detail17trampoline_kernelINS0_14default_configENS1_35adjacent_difference_config_selectorILb0EyEEZNS1_24adjacent_difference_implIS3_Lb0ELb0EPyS7_N6thrust23THRUST_200600_302600_NS5minusIyEEEE10hipError_tPvRmT2_T3_mT4_P12ihipStream_tbEUlT_E_NS1_11comp_targetILNS1_3genE5ELNS1_11target_archE942ELNS1_3gpuE9ELNS1_3repE0EEENS1_30default_config_static_selectorELNS0_4arch9wavefront6targetE1EEEvT1_,"axG",@progbits,_ZN7rocprim17ROCPRIM_400000_NS6detail17trampoline_kernelINS0_14default_configENS1_35adjacent_difference_config_selectorILb0EyEEZNS1_24adjacent_difference_implIS3_Lb0ELb0EPyS7_N6thrust23THRUST_200600_302600_NS5minusIyEEEE10hipError_tPvRmT2_T3_mT4_P12ihipStream_tbEUlT_E_NS1_11comp_targetILNS1_3genE5ELNS1_11target_archE942ELNS1_3gpuE9ELNS1_3repE0EEENS1_30default_config_static_selectorELNS0_4arch9wavefront6targetE1EEEvT1_,comdat
.Lfunc_end106:
	.size	_ZN7rocprim17ROCPRIM_400000_NS6detail17trampoline_kernelINS0_14default_configENS1_35adjacent_difference_config_selectorILb0EyEEZNS1_24adjacent_difference_implIS3_Lb0ELb0EPyS7_N6thrust23THRUST_200600_302600_NS5minusIyEEEE10hipError_tPvRmT2_T3_mT4_P12ihipStream_tbEUlT_E_NS1_11comp_targetILNS1_3genE5ELNS1_11target_archE942ELNS1_3gpuE9ELNS1_3repE0EEENS1_30default_config_static_selectorELNS0_4arch9wavefront6targetE1EEEvT1_, .Lfunc_end106-_ZN7rocprim17ROCPRIM_400000_NS6detail17trampoline_kernelINS0_14default_configENS1_35adjacent_difference_config_selectorILb0EyEEZNS1_24adjacent_difference_implIS3_Lb0ELb0EPyS7_N6thrust23THRUST_200600_302600_NS5minusIyEEEE10hipError_tPvRmT2_T3_mT4_P12ihipStream_tbEUlT_E_NS1_11comp_targetILNS1_3genE5ELNS1_11target_archE942ELNS1_3gpuE9ELNS1_3repE0EEENS1_30default_config_static_selectorELNS0_4arch9wavefront6targetE1EEEvT1_
                                        ; -- End function
	.set _ZN7rocprim17ROCPRIM_400000_NS6detail17trampoline_kernelINS0_14default_configENS1_35adjacent_difference_config_selectorILb0EyEEZNS1_24adjacent_difference_implIS3_Lb0ELb0EPyS7_N6thrust23THRUST_200600_302600_NS5minusIyEEEE10hipError_tPvRmT2_T3_mT4_P12ihipStream_tbEUlT_E_NS1_11comp_targetILNS1_3genE5ELNS1_11target_archE942ELNS1_3gpuE9ELNS1_3repE0EEENS1_30default_config_static_selectorELNS0_4arch9wavefront6targetE1EEEvT1_.num_vgpr, 0
	.set _ZN7rocprim17ROCPRIM_400000_NS6detail17trampoline_kernelINS0_14default_configENS1_35adjacent_difference_config_selectorILb0EyEEZNS1_24adjacent_difference_implIS3_Lb0ELb0EPyS7_N6thrust23THRUST_200600_302600_NS5minusIyEEEE10hipError_tPvRmT2_T3_mT4_P12ihipStream_tbEUlT_E_NS1_11comp_targetILNS1_3genE5ELNS1_11target_archE942ELNS1_3gpuE9ELNS1_3repE0EEENS1_30default_config_static_selectorELNS0_4arch9wavefront6targetE1EEEvT1_.num_agpr, 0
	.set _ZN7rocprim17ROCPRIM_400000_NS6detail17trampoline_kernelINS0_14default_configENS1_35adjacent_difference_config_selectorILb0EyEEZNS1_24adjacent_difference_implIS3_Lb0ELb0EPyS7_N6thrust23THRUST_200600_302600_NS5minusIyEEEE10hipError_tPvRmT2_T3_mT4_P12ihipStream_tbEUlT_E_NS1_11comp_targetILNS1_3genE5ELNS1_11target_archE942ELNS1_3gpuE9ELNS1_3repE0EEENS1_30default_config_static_selectorELNS0_4arch9wavefront6targetE1EEEvT1_.numbered_sgpr, 0
	.set _ZN7rocprim17ROCPRIM_400000_NS6detail17trampoline_kernelINS0_14default_configENS1_35adjacent_difference_config_selectorILb0EyEEZNS1_24adjacent_difference_implIS3_Lb0ELb0EPyS7_N6thrust23THRUST_200600_302600_NS5minusIyEEEE10hipError_tPvRmT2_T3_mT4_P12ihipStream_tbEUlT_E_NS1_11comp_targetILNS1_3genE5ELNS1_11target_archE942ELNS1_3gpuE9ELNS1_3repE0EEENS1_30default_config_static_selectorELNS0_4arch9wavefront6targetE1EEEvT1_.num_named_barrier, 0
	.set _ZN7rocprim17ROCPRIM_400000_NS6detail17trampoline_kernelINS0_14default_configENS1_35adjacent_difference_config_selectorILb0EyEEZNS1_24adjacent_difference_implIS3_Lb0ELb0EPyS7_N6thrust23THRUST_200600_302600_NS5minusIyEEEE10hipError_tPvRmT2_T3_mT4_P12ihipStream_tbEUlT_E_NS1_11comp_targetILNS1_3genE5ELNS1_11target_archE942ELNS1_3gpuE9ELNS1_3repE0EEENS1_30default_config_static_selectorELNS0_4arch9wavefront6targetE1EEEvT1_.private_seg_size, 0
	.set _ZN7rocprim17ROCPRIM_400000_NS6detail17trampoline_kernelINS0_14default_configENS1_35adjacent_difference_config_selectorILb0EyEEZNS1_24adjacent_difference_implIS3_Lb0ELb0EPyS7_N6thrust23THRUST_200600_302600_NS5minusIyEEEE10hipError_tPvRmT2_T3_mT4_P12ihipStream_tbEUlT_E_NS1_11comp_targetILNS1_3genE5ELNS1_11target_archE942ELNS1_3gpuE9ELNS1_3repE0EEENS1_30default_config_static_selectorELNS0_4arch9wavefront6targetE1EEEvT1_.uses_vcc, 0
	.set _ZN7rocprim17ROCPRIM_400000_NS6detail17trampoline_kernelINS0_14default_configENS1_35adjacent_difference_config_selectorILb0EyEEZNS1_24adjacent_difference_implIS3_Lb0ELb0EPyS7_N6thrust23THRUST_200600_302600_NS5minusIyEEEE10hipError_tPvRmT2_T3_mT4_P12ihipStream_tbEUlT_E_NS1_11comp_targetILNS1_3genE5ELNS1_11target_archE942ELNS1_3gpuE9ELNS1_3repE0EEENS1_30default_config_static_selectorELNS0_4arch9wavefront6targetE1EEEvT1_.uses_flat_scratch, 0
	.set _ZN7rocprim17ROCPRIM_400000_NS6detail17trampoline_kernelINS0_14default_configENS1_35adjacent_difference_config_selectorILb0EyEEZNS1_24adjacent_difference_implIS3_Lb0ELb0EPyS7_N6thrust23THRUST_200600_302600_NS5minusIyEEEE10hipError_tPvRmT2_T3_mT4_P12ihipStream_tbEUlT_E_NS1_11comp_targetILNS1_3genE5ELNS1_11target_archE942ELNS1_3gpuE9ELNS1_3repE0EEENS1_30default_config_static_selectorELNS0_4arch9wavefront6targetE1EEEvT1_.has_dyn_sized_stack, 0
	.set _ZN7rocprim17ROCPRIM_400000_NS6detail17trampoline_kernelINS0_14default_configENS1_35adjacent_difference_config_selectorILb0EyEEZNS1_24adjacent_difference_implIS3_Lb0ELb0EPyS7_N6thrust23THRUST_200600_302600_NS5minusIyEEEE10hipError_tPvRmT2_T3_mT4_P12ihipStream_tbEUlT_E_NS1_11comp_targetILNS1_3genE5ELNS1_11target_archE942ELNS1_3gpuE9ELNS1_3repE0EEENS1_30default_config_static_selectorELNS0_4arch9wavefront6targetE1EEEvT1_.has_recursion, 0
	.set _ZN7rocprim17ROCPRIM_400000_NS6detail17trampoline_kernelINS0_14default_configENS1_35adjacent_difference_config_selectorILb0EyEEZNS1_24adjacent_difference_implIS3_Lb0ELb0EPyS7_N6thrust23THRUST_200600_302600_NS5minusIyEEEE10hipError_tPvRmT2_T3_mT4_P12ihipStream_tbEUlT_E_NS1_11comp_targetILNS1_3genE5ELNS1_11target_archE942ELNS1_3gpuE9ELNS1_3repE0EEENS1_30default_config_static_selectorELNS0_4arch9wavefront6targetE1EEEvT1_.has_indirect_call, 0
	.section	.AMDGPU.csdata,"",@progbits
; Kernel info:
; codeLenInByte = 0
; TotalNumSgprs: 4
; NumVgprs: 0
; ScratchSize: 0
; MemoryBound: 0
; FloatMode: 240
; IeeeMode: 1
; LDSByteSize: 0 bytes/workgroup (compile time only)
; SGPRBlocks: 0
; VGPRBlocks: 0
; NumSGPRsForWavesPerEU: 4
; NumVGPRsForWavesPerEU: 1
; Occupancy: 10
; WaveLimiterHint : 0
; COMPUTE_PGM_RSRC2:SCRATCH_EN: 0
; COMPUTE_PGM_RSRC2:USER_SGPR: 6
; COMPUTE_PGM_RSRC2:TRAP_HANDLER: 0
; COMPUTE_PGM_RSRC2:TGID_X_EN: 1
; COMPUTE_PGM_RSRC2:TGID_Y_EN: 0
; COMPUTE_PGM_RSRC2:TGID_Z_EN: 0
; COMPUTE_PGM_RSRC2:TIDIG_COMP_CNT: 0
	.section	.text._ZN7rocprim17ROCPRIM_400000_NS6detail17trampoline_kernelINS0_14default_configENS1_35adjacent_difference_config_selectorILb0EyEEZNS1_24adjacent_difference_implIS3_Lb0ELb0EPyS7_N6thrust23THRUST_200600_302600_NS5minusIyEEEE10hipError_tPvRmT2_T3_mT4_P12ihipStream_tbEUlT_E_NS1_11comp_targetILNS1_3genE4ELNS1_11target_archE910ELNS1_3gpuE8ELNS1_3repE0EEENS1_30default_config_static_selectorELNS0_4arch9wavefront6targetE1EEEvT1_,"axG",@progbits,_ZN7rocprim17ROCPRIM_400000_NS6detail17trampoline_kernelINS0_14default_configENS1_35adjacent_difference_config_selectorILb0EyEEZNS1_24adjacent_difference_implIS3_Lb0ELb0EPyS7_N6thrust23THRUST_200600_302600_NS5minusIyEEEE10hipError_tPvRmT2_T3_mT4_P12ihipStream_tbEUlT_E_NS1_11comp_targetILNS1_3genE4ELNS1_11target_archE910ELNS1_3gpuE8ELNS1_3repE0EEENS1_30default_config_static_selectorELNS0_4arch9wavefront6targetE1EEEvT1_,comdat
	.protected	_ZN7rocprim17ROCPRIM_400000_NS6detail17trampoline_kernelINS0_14default_configENS1_35adjacent_difference_config_selectorILb0EyEEZNS1_24adjacent_difference_implIS3_Lb0ELb0EPyS7_N6thrust23THRUST_200600_302600_NS5minusIyEEEE10hipError_tPvRmT2_T3_mT4_P12ihipStream_tbEUlT_E_NS1_11comp_targetILNS1_3genE4ELNS1_11target_archE910ELNS1_3gpuE8ELNS1_3repE0EEENS1_30default_config_static_selectorELNS0_4arch9wavefront6targetE1EEEvT1_ ; -- Begin function _ZN7rocprim17ROCPRIM_400000_NS6detail17trampoline_kernelINS0_14default_configENS1_35adjacent_difference_config_selectorILb0EyEEZNS1_24adjacent_difference_implIS3_Lb0ELb0EPyS7_N6thrust23THRUST_200600_302600_NS5minusIyEEEE10hipError_tPvRmT2_T3_mT4_P12ihipStream_tbEUlT_E_NS1_11comp_targetILNS1_3genE4ELNS1_11target_archE910ELNS1_3gpuE8ELNS1_3repE0EEENS1_30default_config_static_selectorELNS0_4arch9wavefront6targetE1EEEvT1_
	.globl	_ZN7rocprim17ROCPRIM_400000_NS6detail17trampoline_kernelINS0_14default_configENS1_35adjacent_difference_config_selectorILb0EyEEZNS1_24adjacent_difference_implIS3_Lb0ELb0EPyS7_N6thrust23THRUST_200600_302600_NS5minusIyEEEE10hipError_tPvRmT2_T3_mT4_P12ihipStream_tbEUlT_E_NS1_11comp_targetILNS1_3genE4ELNS1_11target_archE910ELNS1_3gpuE8ELNS1_3repE0EEENS1_30default_config_static_selectorELNS0_4arch9wavefront6targetE1EEEvT1_
	.p2align	8
	.type	_ZN7rocprim17ROCPRIM_400000_NS6detail17trampoline_kernelINS0_14default_configENS1_35adjacent_difference_config_selectorILb0EyEEZNS1_24adjacent_difference_implIS3_Lb0ELb0EPyS7_N6thrust23THRUST_200600_302600_NS5minusIyEEEE10hipError_tPvRmT2_T3_mT4_P12ihipStream_tbEUlT_E_NS1_11comp_targetILNS1_3genE4ELNS1_11target_archE910ELNS1_3gpuE8ELNS1_3repE0EEENS1_30default_config_static_selectorELNS0_4arch9wavefront6targetE1EEEvT1_,@function
_ZN7rocprim17ROCPRIM_400000_NS6detail17trampoline_kernelINS0_14default_configENS1_35adjacent_difference_config_selectorILb0EyEEZNS1_24adjacent_difference_implIS3_Lb0ELb0EPyS7_N6thrust23THRUST_200600_302600_NS5minusIyEEEE10hipError_tPvRmT2_T3_mT4_P12ihipStream_tbEUlT_E_NS1_11comp_targetILNS1_3genE4ELNS1_11target_archE910ELNS1_3gpuE8ELNS1_3repE0EEENS1_30default_config_static_selectorELNS0_4arch9wavefront6targetE1EEEvT1_: ; @_ZN7rocprim17ROCPRIM_400000_NS6detail17trampoline_kernelINS0_14default_configENS1_35adjacent_difference_config_selectorILb0EyEEZNS1_24adjacent_difference_implIS3_Lb0ELb0EPyS7_N6thrust23THRUST_200600_302600_NS5minusIyEEEE10hipError_tPvRmT2_T3_mT4_P12ihipStream_tbEUlT_E_NS1_11comp_targetILNS1_3genE4ELNS1_11target_archE910ELNS1_3gpuE8ELNS1_3repE0EEENS1_30default_config_static_selectorELNS0_4arch9wavefront6targetE1EEEvT1_
; %bb.0:
	.section	.rodata,"a",@progbits
	.p2align	6, 0x0
	.amdhsa_kernel _ZN7rocprim17ROCPRIM_400000_NS6detail17trampoline_kernelINS0_14default_configENS1_35adjacent_difference_config_selectorILb0EyEEZNS1_24adjacent_difference_implIS3_Lb0ELb0EPyS7_N6thrust23THRUST_200600_302600_NS5minusIyEEEE10hipError_tPvRmT2_T3_mT4_P12ihipStream_tbEUlT_E_NS1_11comp_targetILNS1_3genE4ELNS1_11target_archE910ELNS1_3gpuE8ELNS1_3repE0EEENS1_30default_config_static_selectorELNS0_4arch9wavefront6targetE1EEEvT1_
		.amdhsa_group_segment_fixed_size 0
		.amdhsa_private_segment_fixed_size 0
		.amdhsa_kernarg_size 56
		.amdhsa_user_sgpr_count 6
		.amdhsa_user_sgpr_private_segment_buffer 1
		.amdhsa_user_sgpr_dispatch_ptr 0
		.amdhsa_user_sgpr_queue_ptr 0
		.amdhsa_user_sgpr_kernarg_segment_ptr 1
		.amdhsa_user_sgpr_dispatch_id 0
		.amdhsa_user_sgpr_flat_scratch_init 0
		.amdhsa_user_sgpr_private_segment_size 0
		.amdhsa_uses_dynamic_stack 0
		.amdhsa_system_sgpr_private_segment_wavefront_offset 0
		.amdhsa_system_sgpr_workgroup_id_x 1
		.amdhsa_system_sgpr_workgroup_id_y 0
		.amdhsa_system_sgpr_workgroup_id_z 0
		.amdhsa_system_sgpr_workgroup_info 0
		.amdhsa_system_vgpr_workitem_id 0
		.amdhsa_next_free_vgpr 1
		.amdhsa_next_free_sgpr 0
		.amdhsa_reserve_vcc 0
		.amdhsa_reserve_flat_scratch 0
		.amdhsa_float_round_mode_32 0
		.amdhsa_float_round_mode_16_64 0
		.amdhsa_float_denorm_mode_32 3
		.amdhsa_float_denorm_mode_16_64 3
		.amdhsa_dx10_clamp 1
		.amdhsa_ieee_mode 1
		.amdhsa_fp16_overflow 0
		.amdhsa_exception_fp_ieee_invalid_op 0
		.amdhsa_exception_fp_denorm_src 0
		.amdhsa_exception_fp_ieee_div_zero 0
		.amdhsa_exception_fp_ieee_overflow 0
		.amdhsa_exception_fp_ieee_underflow 0
		.amdhsa_exception_fp_ieee_inexact 0
		.amdhsa_exception_int_div_zero 0
	.end_amdhsa_kernel
	.section	.text._ZN7rocprim17ROCPRIM_400000_NS6detail17trampoline_kernelINS0_14default_configENS1_35adjacent_difference_config_selectorILb0EyEEZNS1_24adjacent_difference_implIS3_Lb0ELb0EPyS7_N6thrust23THRUST_200600_302600_NS5minusIyEEEE10hipError_tPvRmT2_T3_mT4_P12ihipStream_tbEUlT_E_NS1_11comp_targetILNS1_3genE4ELNS1_11target_archE910ELNS1_3gpuE8ELNS1_3repE0EEENS1_30default_config_static_selectorELNS0_4arch9wavefront6targetE1EEEvT1_,"axG",@progbits,_ZN7rocprim17ROCPRIM_400000_NS6detail17trampoline_kernelINS0_14default_configENS1_35adjacent_difference_config_selectorILb0EyEEZNS1_24adjacent_difference_implIS3_Lb0ELb0EPyS7_N6thrust23THRUST_200600_302600_NS5minusIyEEEE10hipError_tPvRmT2_T3_mT4_P12ihipStream_tbEUlT_E_NS1_11comp_targetILNS1_3genE4ELNS1_11target_archE910ELNS1_3gpuE8ELNS1_3repE0EEENS1_30default_config_static_selectorELNS0_4arch9wavefront6targetE1EEEvT1_,comdat
.Lfunc_end107:
	.size	_ZN7rocprim17ROCPRIM_400000_NS6detail17trampoline_kernelINS0_14default_configENS1_35adjacent_difference_config_selectorILb0EyEEZNS1_24adjacent_difference_implIS3_Lb0ELb0EPyS7_N6thrust23THRUST_200600_302600_NS5minusIyEEEE10hipError_tPvRmT2_T3_mT4_P12ihipStream_tbEUlT_E_NS1_11comp_targetILNS1_3genE4ELNS1_11target_archE910ELNS1_3gpuE8ELNS1_3repE0EEENS1_30default_config_static_selectorELNS0_4arch9wavefront6targetE1EEEvT1_, .Lfunc_end107-_ZN7rocprim17ROCPRIM_400000_NS6detail17trampoline_kernelINS0_14default_configENS1_35adjacent_difference_config_selectorILb0EyEEZNS1_24adjacent_difference_implIS3_Lb0ELb0EPyS7_N6thrust23THRUST_200600_302600_NS5minusIyEEEE10hipError_tPvRmT2_T3_mT4_P12ihipStream_tbEUlT_E_NS1_11comp_targetILNS1_3genE4ELNS1_11target_archE910ELNS1_3gpuE8ELNS1_3repE0EEENS1_30default_config_static_selectorELNS0_4arch9wavefront6targetE1EEEvT1_
                                        ; -- End function
	.set _ZN7rocprim17ROCPRIM_400000_NS6detail17trampoline_kernelINS0_14default_configENS1_35adjacent_difference_config_selectorILb0EyEEZNS1_24adjacent_difference_implIS3_Lb0ELb0EPyS7_N6thrust23THRUST_200600_302600_NS5minusIyEEEE10hipError_tPvRmT2_T3_mT4_P12ihipStream_tbEUlT_E_NS1_11comp_targetILNS1_3genE4ELNS1_11target_archE910ELNS1_3gpuE8ELNS1_3repE0EEENS1_30default_config_static_selectorELNS0_4arch9wavefront6targetE1EEEvT1_.num_vgpr, 0
	.set _ZN7rocprim17ROCPRIM_400000_NS6detail17trampoline_kernelINS0_14default_configENS1_35adjacent_difference_config_selectorILb0EyEEZNS1_24adjacent_difference_implIS3_Lb0ELb0EPyS7_N6thrust23THRUST_200600_302600_NS5minusIyEEEE10hipError_tPvRmT2_T3_mT4_P12ihipStream_tbEUlT_E_NS1_11comp_targetILNS1_3genE4ELNS1_11target_archE910ELNS1_3gpuE8ELNS1_3repE0EEENS1_30default_config_static_selectorELNS0_4arch9wavefront6targetE1EEEvT1_.num_agpr, 0
	.set _ZN7rocprim17ROCPRIM_400000_NS6detail17trampoline_kernelINS0_14default_configENS1_35adjacent_difference_config_selectorILb0EyEEZNS1_24adjacent_difference_implIS3_Lb0ELb0EPyS7_N6thrust23THRUST_200600_302600_NS5minusIyEEEE10hipError_tPvRmT2_T3_mT4_P12ihipStream_tbEUlT_E_NS1_11comp_targetILNS1_3genE4ELNS1_11target_archE910ELNS1_3gpuE8ELNS1_3repE0EEENS1_30default_config_static_selectorELNS0_4arch9wavefront6targetE1EEEvT1_.numbered_sgpr, 0
	.set _ZN7rocprim17ROCPRIM_400000_NS6detail17trampoline_kernelINS0_14default_configENS1_35adjacent_difference_config_selectorILb0EyEEZNS1_24adjacent_difference_implIS3_Lb0ELb0EPyS7_N6thrust23THRUST_200600_302600_NS5minusIyEEEE10hipError_tPvRmT2_T3_mT4_P12ihipStream_tbEUlT_E_NS1_11comp_targetILNS1_3genE4ELNS1_11target_archE910ELNS1_3gpuE8ELNS1_3repE0EEENS1_30default_config_static_selectorELNS0_4arch9wavefront6targetE1EEEvT1_.num_named_barrier, 0
	.set _ZN7rocprim17ROCPRIM_400000_NS6detail17trampoline_kernelINS0_14default_configENS1_35adjacent_difference_config_selectorILb0EyEEZNS1_24adjacent_difference_implIS3_Lb0ELb0EPyS7_N6thrust23THRUST_200600_302600_NS5minusIyEEEE10hipError_tPvRmT2_T3_mT4_P12ihipStream_tbEUlT_E_NS1_11comp_targetILNS1_3genE4ELNS1_11target_archE910ELNS1_3gpuE8ELNS1_3repE0EEENS1_30default_config_static_selectorELNS0_4arch9wavefront6targetE1EEEvT1_.private_seg_size, 0
	.set _ZN7rocprim17ROCPRIM_400000_NS6detail17trampoline_kernelINS0_14default_configENS1_35adjacent_difference_config_selectorILb0EyEEZNS1_24adjacent_difference_implIS3_Lb0ELb0EPyS7_N6thrust23THRUST_200600_302600_NS5minusIyEEEE10hipError_tPvRmT2_T3_mT4_P12ihipStream_tbEUlT_E_NS1_11comp_targetILNS1_3genE4ELNS1_11target_archE910ELNS1_3gpuE8ELNS1_3repE0EEENS1_30default_config_static_selectorELNS0_4arch9wavefront6targetE1EEEvT1_.uses_vcc, 0
	.set _ZN7rocprim17ROCPRIM_400000_NS6detail17trampoline_kernelINS0_14default_configENS1_35adjacent_difference_config_selectorILb0EyEEZNS1_24adjacent_difference_implIS3_Lb0ELb0EPyS7_N6thrust23THRUST_200600_302600_NS5minusIyEEEE10hipError_tPvRmT2_T3_mT4_P12ihipStream_tbEUlT_E_NS1_11comp_targetILNS1_3genE4ELNS1_11target_archE910ELNS1_3gpuE8ELNS1_3repE0EEENS1_30default_config_static_selectorELNS0_4arch9wavefront6targetE1EEEvT1_.uses_flat_scratch, 0
	.set _ZN7rocprim17ROCPRIM_400000_NS6detail17trampoline_kernelINS0_14default_configENS1_35adjacent_difference_config_selectorILb0EyEEZNS1_24adjacent_difference_implIS3_Lb0ELb0EPyS7_N6thrust23THRUST_200600_302600_NS5minusIyEEEE10hipError_tPvRmT2_T3_mT4_P12ihipStream_tbEUlT_E_NS1_11comp_targetILNS1_3genE4ELNS1_11target_archE910ELNS1_3gpuE8ELNS1_3repE0EEENS1_30default_config_static_selectorELNS0_4arch9wavefront6targetE1EEEvT1_.has_dyn_sized_stack, 0
	.set _ZN7rocprim17ROCPRIM_400000_NS6detail17trampoline_kernelINS0_14default_configENS1_35adjacent_difference_config_selectorILb0EyEEZNS1_24adjacent_difference_implIS3_Lb0ELb0EPyS7_N6thrust23THRUST_200600_302600_NS5minusIyEEEE10hipError_tPvRmT2_T3_mT4_P12ihipStream_tbEUlT_E_NS1_11comp_targetILNS1_3genE4ELNS1_11target_archE910ELNS1_3gpuE8ELNS1_3repE0EEENS1_30default_config_static_selectorELNS0_4arch9wavefront6targetE1EEEvT1_.has_recursion, 0
	.set _ZN7rocprim17ROCPRIM_400000_NS6detail17trampoline_kernelINS0_14default_configENS1_35adjacent_difference_config_selectorILb0EyEEZNS1_24adjacent_difference_implIS3_Lb0ELb0EPyS7_N6thrust23THRUST_200600_302600_NS5minusIyEEEE10hipError_tPvRmT2_T3_mT4_P12ihipStream_tbEUlT_E_NS1_11comp_targetILNS1_3genE4ELNS1_11target_archE910ELNS1_3gpuE8ELNS1_3repE0EEENS1_30default_config_static_selectorELNS0_4arch9wavefront6targetE1EEEvT1_.has_indirect_call, 0
	.section	.AMDGPU.csdata,"",@progbits
; Kernel info:
; codeLenInByte = 0
; TotalNumSgprs: 4
; NumVgprs: 0
; ScratchSize: 0
; MemoryBound: 0
; FloatMode: 240
; IeeeMode: 1
; LDSByteSize: 0 bytes/workgroup (compile time only)
; SGPRBlocks: 0
; VGPRBlocks: 0
; NumSGPRsForWavesPerEU: 4
; NumVGPRsForWavesPerEU: 1
; Occupancy: 10
; WaveLimiterHint : 0
; COMPUTE_PGM_RSRC2:SCRATCH_EN: 0
; COMPUTE_PGM_RSRC2:USER_SGPR: 6
; COMPUTE_PGM_RSRC2:TRAP_HANDLER: 0
; COMPUTE_PGM_RSRC2:TGID_X_EN: 1
; COMPUTE_PGM_RSRC2:TGID_Y_EN: 0
; COMPUTE_PGM_RSRC2:TGID_Z_EN: 0
; COMPUTE_PGM_RSRC2:TIDIG_COMP_CNT: 0
	.section	.text._ZN7rocprim17ROCPRIM_400000_NS6detail17trampoline_kernelINS0_14default_configENS1_35adjacent_difference_config_selectorILb0EyEEZNS1_24adjacent_difference_implIS3_Lb0ELb0EPyS7_N6thrust23THRUST_200600_302600_NS5minusIyEEEE10hipError_tPvRmT2_T3_mT4_P12ihipStream_tbEUlT_E_NS1_11comp_targetILNS1_3genE3ELNS1_11target_archE908ELNS1_3gpuE7ELNS1_3repE0EEENS1_30default_config_static_selectorELNS0_4arch9wavefront6targetE1EEEvT1_,"axG",@progbits,_ZN7rocprim17ROCPRIM_400000_NS6detail17trampoline_kernelINS0_14default_configENS1_35adjacent_difference_config_selectorILb0EyEEZNS1_24adjacent_difference_implIS3_Lb0ELb0EPyS7_N6thrust23THRUST_200600_302600_NS5minusIyEEEE10hipError_tPvRmT2_T3_mT4_P12ihipStream_tbEUlT_E_NS1_11comp_targetILNS1_3genE3ELNS1_11target_archE908ELNS1_3gpuE7ELNS1_3repE0EEENS1_30default_config_static_selectorELNS0_4arch9wavefront6targetE1EEEvT1_,comdat
	.protected	_ZN7rocprim17ROCPRIM_400000_NS6detail17trampoline_kernelINS0_14default_configENS1_35adjacent_difference_config_selectorILb0EyEEZNS1_24adjacent_difference_implIS3_Lb0ELb0EPyS7_N6thrust23THRUST_200600_302600_NS5minusIyEEEE10hipError_tPvRmT2_T3_mT4_P12ihipStream_tbEUlT_E_NS1_11comp_targetILNS1_3genE3ELNS1_11target_archE908ELNS1_3gpuE7ELNS1_3repE0EEENS1_30default_config_static_selectorELNS0_4arch9wavefront6targetE1EEEvT1_ ; -- Begin function _ZN7rocprim17ROCPRIM_400000_NS6detail17trampoline_kernelINS0_14default_configENS1_35adjacent_difference_config_selectorILb0EyEEZNS1_24adjacent_difference_implIS3_Lb0ELb0EPyS7_N6thrust23THRUST_200600_302600_NS5minusIyEEEE10hipError_tPvRmT2_T3_mT4_P12ihipStream_tbEUlT_E_NS1_11comp_targetILNS1_3genE3ELNS1_11target_archE908ELNS1_3gpuE7ELNS1_3repE0EEENS1_30default_config_static_selectorELNS0_4arch9wavefront6targetE1EEEvT1_
	.globl	_ZN7rocprim17ROCPRIM_400000_NS6detail17trampoline_kernelINS0_14default_configENS1_35adjacent_difference_config_selectorILb0EyEEZNS1_24adjacent_difference_implIS3_Lb0ELb0EPyS7_N6thrust23THRUST_200600_302600_NS5minusIyEEEE10hipError_tPvRmT2_T3_mT4_P12ihipStream_tbEUlT_E_NS1_11comp_targetILNS1_3genE3ELNS1_11target_archE908ELNS1_3gpuE7ELNS1_3repE0EEENS1_30default_config_static_selectorELNS0_4arch9wavefront6targetE1EEEvT1_
	.p2align	8
	.type	_ZN7rocprim17ROCPRIM_400000_NS6detail17trampoline_kernelINS0_14default_configENS1_35adjacent_difference_config_selectorILb0EyEEZNS1_24adjacent_difference_implIS3_Lb0ELb0EPyS7_N6thrust23THRUST_200600_302600_NS5minusIyEEEE10hipError_tPvRmT2_T3_mT4_P12ihipStream_tbEUlT_E_NS1_11comp_targetILNS1_3genE3ELNS1_11target_archE908ELNS1_3gpuE7ELNS1_3repE0EEENS1_30default_config_static_selectorELNS0_4arch9wavefront6targetE1EEEvT1_,@function
_ZN7rocprim17ROCPRIM_400000_NS6detail17trampoline_kernelINS0_14default_configENS1_35adjacent_difference_config_selectorILb0EyEEZNS1_24adjacent_difference_implIS3_Lb0ELb0EPyS7_N6thrust23THRUST_200600_302600_NS5minusIyEEEE10hipError_tPvRmT2_T3_mT4_P12ihipStream_tbEUlT_E_NS1_11comp_targetILNS1_3genE3ELNS1_11target_archE908ELNS1_3gpuE7ELNS1_3repE0EEENS1_30default_config_static_selectorELNS0_4arch9wavefront6targetE1EEEvT1_: ; @_ZN7rocprim17ROCPRIM_400000_NS6detail17trampoline_kernelINS0_14default_configENS1_35adjacent_difference_config_selectorILb0EyEEZNS1_24adjacent_difference_implIS3_Lb0ELb0EPyS7_N6thrust23THRUST_200600_302600_NS5minusIyEEEE10hipError_tPvRmT2_T3_mT4_P12ihipStream_tbEUlT_E_NS1_11comp_targetILNS1_3genE3ELNS1_11target_archE908ELNS1_3gpuE7ELNS1_3repE0EEENS1_30default_config_static_selectorELNS0_4arch9wavefront6targetE1EEEvT1_
; %bb.0:
	.section	.rodata,"a",@progbits
	.p2align	6, 0x0
	.amdhsa_kernel _ZN7rocprim17ROCPRIM_400000_NS6detail17trampoline_kernelINS0_14default_configENS1_35adjacent_difference_config_selectorILb0EyEEZNS1_24adjacent_difference_implIS3_Lb0ELb0EPyS7_N6thrust23THRUST_200600_302600_NS5minusIyEEEE10hipError_tPvRmT2_T3_mT4_P12ihipStream_tbEUlT_E_NS1_11comp_targetILNS1_3genE3ELNS1_11target_archE908ELNS1_3gpuE7ELNS1_3repE0EEENS1_30default_config_static_selectorELNS0_4arch9wavefront6targetE1EEEvT1_
		.amdhsa_group_segment_fixed_size 0
		.amdhsa_private_segment_fixed_size 0
		.amdhsa_kernarg_size 56
		.amdhsa_user_sgpr_count 6
		.amdhsa_user_sgpr_private_segment_buffer 1
		.amdhsa_user_sgpr_dispatch_ptr 0
		.amdhsa_user_sgpr_queue_ptr 0
		.amdhsa_user_sgpr_kernarg_segment_ptr 1
		.amdhsa_user_sgpr_dispatch_id 0
		.amdhsa_user_sgpr_flat_scratch_init 0
		.amdhsa_user_sgpr_private_segment_size 0
		.amdhsa_uses_dynamic_stack 0
		.amdhsa_system_sgpr_private_segment_wavefront_offset 0
		.amdhsa_system_sgpr_workgroup_id_x 1
		.amdhsa_system_sgpr_workgroup_id_y 0
		.amdhsa_system_sgpr_workgroup_id_z 0
		.amdhsa_system_sgpr_workgroup_info 0
		.amdhsa_system_vgpr_workitem_id 0
		.amdhsa_next_free_vgpr 1
		.amdhsa_next_free_sgpr 0
		.amdhsa_reserve_vcc 0
		.amdhsa_reserve_flat_scratch 0
		.amdhsa_float_round_mode_32 0
		.amdhsa_float_round_mode_16_64 0
		.amdhsa_float_denorm_mode_32 3
		.amdhsa_float_denorm_mode_16_64 3
		.amdhsa_dx10_clamp 1
		.amdhsa_ieee_mode 1
		.amdhsa_fp16_overflow 0
		.amdhsa_exception_fp_ieee_invalid_op 0
		.amdhsa_exception_fp_denorm_src 0
		.amdhsa_exception_fp_ieee_div_zero 0
		.amdhsa_exception_fp_ieee_overflow 0
		.amdhsa_exception_fp_ieee_underflow 0
		.amdhsa_exception_fp_ieee_inexact 0
		.amdhsa_exception_int_div_zero 0
	.end_amdhsa_kernel
	.section	.text._ZN7rocprim17ROCPRIM_400000_NS6detail17trampoline_kernelINS0_14default_configENS1_35adjacent_difference_config_selectorILb0EyEEZNS1_24adjacent_difference_implIS3_Lb0ELb0EPyS7_N6thrust23THRUST_200600_302600_NS5minusIyEEEE10hipError_tPvRmT2_T3_mT4_P12ihipStream_tbEUlT_E_NS1_11comp_targetILNS1_3genE3ELNS1_11target_archE908ELNS1_3gpuE7ELNS1_3repE0EEENS1_30default_config_static_selectorELNS0_4arch9wavefront6targetE1EEEvT1_,"axG",@progbits,_ZN7rocprim17ROCPRIM_400000_NS6detail17trampoline_kernelINS0_14default_configENS1_35adjacent_difference_config_selectorILb0EyEEZNS1_24adjacent_difference_implIS3_Lb0ELb0EPyS7_N6thrust23THRUST_200600_302600_NS5minusIyEEEE10hipError_tPvRmT2_T3_mT4_P12ihipStream_tbEUlT_E_NS1_11comp_targetILNS1_3genE3ELNS1_11target_archE908ELNS1_3gpuE7ELNS1_3repE0EEENS1_30default_config_static_selectorELNS0_4arch9wavefront6targetE1EEEvT1_,comdat
.Lfunc_end108:
	.size	_ZN7rocprim17ROCPRIM_400000_NS6detail17trampoline_kernelINS0_14default_configENS1_35adjacent_difference_config_selectorILb0EyEEZNS1_24adjacent_difference_implIS3_Lb0ELb0EPyS7_N6thrust23THRUST_200600_302600_NS5minusIyEEEE10hipError_tPvRmT2_T3_mT4_P12ihipStream_tbEUlT_E_NS1_11comp_targetILNS1_3genE3ELNS1_11target_archE908ELNS1_3gpuE7ELNS1_3repE0EEENS1_30default_config_static_selectorELNS0_4arch9wavefront6targetE1EEEvT1_, .Lfunc_end108-_ZN7rocprim17ROCPRIM_400000_NS6detail17trampoline_kernelINS0_14default_configENS1_35adjacent_difference_config_selectorILb0EyEEZNS1_24adjacent_difference_implIS3_Lb0ELb0EPyS7_N6thrust23THRUST_200600_302600_NS5minusIyEEEE10hipError_tPvRmT2_T3_mT4_P12ihipStream_tbEUlT_E_NS1_11comp_targetILNS1_3genE3ELNS1_11target_archE908ELNS1_3gpuE7ELNS1_3repE0EEENS1_30default_config_static_selectorELNS0_4arch9wavefront6targetE1EEEvT1_
                                        ; -- End function
	.set _ZN7rocprim17ROCPRIM_400000_NS6detail17trampoline_kernelINS0_14default_configENS1_35adjacent_difference_config_selectorILb0EyEEZNS1_24adjacent_difference_implIS3_Lb0ELb0EPyS7_N6thrust23THRUST_200600_302600_NS5minusIyEEEE10hipError_tPvRmT2_T3_mT4_P12ihipStream_tbEUlT_E_NS1_11comp_targetILNS1_3genE3ELNS1_11target_archE908ELNS1_3gpuE7ELNS1_3repE0EEENS1_30default_config_static_selectorELNS0_4arch9wavefront6targetE1EEEvT1_.num_vgpr, 0
	.set _ZN7rocprim17ROCPRIM_400000_NS6detail17trampoline_kernelINS0_14default_configENS1_35adjacent_difference_config_selectorILb0EyEEZNS1_24adjacent_difference_implIS3_Lb0ELb0EPyS7_N6thrust23THRUST_200600_302600_NS5minusIyEEEE10hipError_tPvRmT2_T3_mT4_P12ihipStream_tbEUlT_E_NS1_11comp_targetILNS1_3genE3ELNS1_11target_archE908ELNS1_3gpuE7ELNS1_3repE0EEENS1_30default_config_static_selectorELNS0_4arch9wavefront6targetE1EEEvT1_.num_agpr, 0
	.set _ZN7rocprim17ROCPRIM_400000_NS6detail17trampoline_kernelINS0_14default_configENS1_35adjacent_difference_config_selectorILb0EyEEZNS1_24adjacent_difference_implIS3_Lb0ELb0EPyS7_N6thrust23THRUST_200600_302600_NS5minusIyEEEE10hipError_tPvRmT2_T3_mT4_P12ihipStream_tbEUlT_E_NS1_11comp_targetILNS1_3genE3ELNS1_11target_archE908ELNS1_3gpuE7ELNS1_3repE0EEENS1_30default_config_static_selectorELNS0_4arch9wavefront6targetE1EEEvT1_.numbered_sgpr, 0
	.set _ZN7rocprim17ROCPRIM_400000_NS6detail17trampoline_kernelINS0_14default_configENS1_35adjacent_difference_config_selectorILb0EyEEZNS1_24adjacent_difference_implIS3_Lb0ELb0EPyS7_N6thrust23THRUST_200600_302600_NS5minusIyEEEE10hipError_tPvRmT2_T3_mT4_P12ihipStream_tbEUlT_E_NS1_11comp_targetILNS1_3genE3ELNS1_11target_archE908ELNS1_3gpuE7ELNS1_3repE0EEENS1_30default_config_static_selectorELNS0_4arch9wavefront6targetE1EEEvT1_.num_named_barrier, 0
	.set _ZN7rocprim17ROCPRIM_400000_NS6detail17trampoline_kernelINS0_14default_configENS1_35adjacent_difference_config_selectorILb0EyEEZNS1_24adjacent_difference_implIS3_Lb0ELb0EPyS7_N6thrust23THRUST_200600_302600_NS5minusIyEEEE10hipError_tPvRmT2_T3_mT4_P12ihipStream_tbEUlT_E_NS1_11comp_targetILNS1_3genE3ELNS1_11target_archE908ELNS1_3gpuE7ELNS1_3repE0EEENS1_30default_config_static_selectorELNS0_4arch9wavefront6targetE1EEEvT1_.private_seg_size, 0
	.set _ZN7rocprim17ROCPRIM_400000_NS6detail17trampoline_kernelINS0_14default_configENS1_35adjacent_difference_config_selectorILb0EyEEZNS1_24adjacent_difference_implIS3_Lb0ELb0EPyS7_N6thrust23THRUST_200600_302600_NS5minusIyEEEE10hipError_tPvRmT2_T3_mT4_P12ihipStream_tbEUlT_E_NS1_11comp_targetILNS1_3genE3ELNS1_11target_archE908ELNS1_3gpuE7ELNS1_3repE0EEENS1_30default_config_static_selectorELNS0_4arch9wavefront6targetE1EEEvT1_.uses_vcc, 0
	.set _ZN7rocprim17ROCPRIM_400000_NS6detail17trampoline_kernelINS0_14default_configENS1_35adjacent_difference_config_selectorILb0EyEEZNS1_24adjacent_difference_implIS3_Lb0ELb0EPyS7_N6thrust23THRUST_200600_302600_NS5minusIyEEEE10hipError_tPvRmT2_T3_mT4_P12ihipStream_tbEUlT_E_NS1_11comp_targetILNS1_3genE3ELNS1_11target_archE908ELNS1_3gpuE7ELNS1_3repE0EEENS1_30default_config_static_selectorELNS0_4arch9wavefront6targetE1EEEvT1_.uses_flat_scratch, 0
	.set _ZN7rocprim17ROCPRIM_400000_NS6detail17trampoline_kernelINS0_14default_configENS1_35adjacent_difference_config_selectorILb0EyEEZNS1_24adjacent_difference_implIS3_Lb0ELb0EPyS7_N6thrust23THRUST_200600_302600_NS5minusIyEEEE10hipError_tPvRmT2_T3_mT4_P12ihipStream_tbEUlT_E_NS1_11comp_targetILNS1_3genE3ELNS1_11target_archE908ELNS1_3gpuE7ELNS1_3repE0EEENS1_30default_config_static_selectorELNS0_4arch9wavefront6targetE1EEEvT1_.has_dyn_sized_stack, 0
	.set _ZN7rocprim17ROCPRIM_400000_NS6detail17trampoline_kernelINS0_14default_configENS1_35adjacent_difference_config_selectorILb0EyEEZNS1_24adjacent_difference_implIS3_Lb0ELb0EPyS7_N6thrust23THRUST_200600_302600_NS5minusIyEEEE10hipError_tPvRmT2_T3_mT4_P12ihipStream_tbEUlT_E_NS1_11comp_targetILNS1_3genE3ELNS1_11target_archE908ELNS1_3gpuE7ELNS1_3repE0EEENS1_30default_config_static_selectorELNS0_4arch9wavefront6targetE1EEEvT1_.has_recursion, 0
	.set _ZN7rocprim17ROCPRIM_400000_NS6detail17trampoline_kernelINS0_14default_configENS1_35adjacent_difference_config_selectorILb0EyEEZNS1_24adjacent_difference_implIS3_Lb0ELb0EPyS7_N6thrust23THRUST_200600_302600_NS5minusIyEEEE10hipError_tPvRmT2_T3_mT4_P12ihipStream_tbEUlT_E_NS1_11comp_targetILNS1_3genE3ELNS1_11target_archE908ELNS1_3gpuE7ELNS1_3repE0EEENS1_30default_config_static_selectorELNS0_4arch9wavefront6targetE1EEEvT1_.has_indirect_call, 0
	.section	.AMDGPU.csdata,"",@progbits
; Kernel info:
; codeLenInByte = 0
; TotalNumSgprs: 4
; NumVgprs: 0
; ScratchSize: 0
; MemoryBound: 0
; FloatMode: 240
; IeeeMode: 1
; LDSByteSize: 0 bytes/workgroup (compile time only)
; SGPRBlocks: 0
; VGPRBlocks: 0
; NumSGPRsForWavesPerEU: 4
; NumVGPRsForWavesPerEU: 1
; Occupancy: 10
; WaveLimiterHint : 0
; COMPUTE_PGM_RSRC2:SCRATCH_EN: 0
; COMPUTE_PGM_RSRC2:USER_SGPR: 6
; COMPUTE_PGM_RSRC2:TRAP_HANDLER: 0
; COMPUTE_PGM_RSRC2:TGID_X_EN: 1
; COMPUTE_PGM_RSRC2:TGID_Y_EN: 0
; COMPUTE_PGM_RSRC2:TGID_Z_EN: 0
; COMPUTE_PGM_RSRC2:TIDIG_COMP_CNT: 0
	.section	.text._ZN7rocprim17ROCPRIM_400000_NS6detail17trampoline_kernelINS0_14default_configENS1_35adjacent_difference_config_selectorILb0EyEEZNS1_24adjacent_difference_implIS3_Lb0ELb0EPyS7_N6thrust23THRUST_200600_302600_NS5minusIyEEEE10hipError_tPvRmT2_T3_mT4_P12ihipStream_tbEUlT_E_NS1_11comp_targetILNS1_3genE2ELNS1_11target_archE906ELNS1_3gpuE6ELNS1_3repE0EEENS1_30default_config_static_selectorELNS0_4arch9wavefront6targetE1EEEvT1_,"axG",@progbits,_ZN7rocprim17ROCPRIM_400000_NS6detail17trampoline_kernelINS0_14default_configENS1_35adjacent_difference_config_selectorILb0EyEEZNS1_24adjacent_difference_implIS3_Lb0ELb0EPyS7_N6thrust23THRUST_200600_302600_NS5minusIyEEEE10hipError_tPvRmT2_T3_mT4_P12ihipStream_tbEUlT_E_NS1_11comp_targetILNS1_3genE2ELNS1_11target_archE906ELNS1_3gpuE6ELNS1_3repE0EEENS1_30default_config_static_selectorELNS0_4arch9wavefront6targetE1EEEvT1_,comdat
	.protected	_ZN7rocprim17ROCPRIM_400000_NS6detail17trampoline_kernelINS0_14default_configENS1_35adjacent_difference_config_selectorILb0EyEEZNS1_24adjacent_difference_implIS3_Lb0ELb0EPyS7_N6thrust23THRUST_200600_302600_NS5minusIyEEEE10hipError_tPvRmT2_T3_mT4_P12ihipStream_tbEUlT_E_NS1_11comp_targetILNS1_3genE2ELNS1_11target_archE906ELNS1_3gpuE6ELNS1_3repE0EEENS1_30default_config_static_selectorELNS0_4arch9wavefront6targetE1EEEvT1_ ; -- Begin function _ZN7rocprim17ROCPRIM_400000_NS6detail17trampoline_kernelINS0_14default_configENS1_35adjacent_difference_config_selectorILb0EyEEZNS1_24adjacent_difference_implIS3_Lb0ELb0EPyS7_N6thrust23THRUST_200600_302600_NS5minusIyEEEE10hipError_tPvRmT2_T3_mT4_P12ihipStream_tbEUlT_E_NS1_11comp_targetILNS1_3genE2ELNS1_11target_archE906ELNS1_3gpuE6ELNS1_3repE0EEENS1_30default_config_static_selectorELNS0_4arch9wavefront6targetE1EEEvT1_
	.globl	_ZN7rocprim17ROCPRIM_400000_NS6detail17trampoline_kernelINS0_14default_configENS1_35adjacent_difference_config_selectorILb0EyEEZNS1_24adjacent_difference_implIS3_Lb0ELb0EPyS7_N6thrust23THRUST_200600_302600_NS5minusIyEEEE10hipError_tPvRmT2_T3_mT4_P12ihipStream_tbEUlT_E_NS1_11comp_targetILNS1_3genE2ELNS1_11target_archE906ELNS1_3gpuE6ELNS1_3repE0EEENS1_30default_config_static_selectorELNS0_4arch9wavefront6targetE1EEEvT1_
	.p2align	8
	.type	_ZN7rocprim17ROCPRIM_400000_NS6detail17trampoline_kernelINS0_14default_configENS1_35adjacent_difference_config_selectorILb0EyEEZNS1_24adjacent_difference_implIS3_Lb0ELb0EPyS7_N6thrust23THRUST_200600_302600_NS5minusIyEEEE10hipError_tPvRmT2_T3_mT4_P12ihipStream_tbEUlT_E_NS1_11comp_targetILNS1_3genE2ELNS1_11target_archE906ELNS1_3gpuE6ELNS1_3repE0EEENS1_30default_config_static_selectorELNS0_4arch9wavefront6targetE1EEEvT1_,@function
_ZN7rocprim17ROCPRIM_400000_NS6detail17trampoline_kernelINS0_14default_configENS1_35adjacent_difference_config_selectorILb0EyEEZNS1_24adjacent_difference_implIS3_Lb0ELb0EPyS7_N6thrust23THRUST_200600_302600_NS5minusIyEEEE10hipError_tPvRmT2_T3_mT4_P12ihipStream_tbEUlT_E_NS1_11comp_targetILNS1_3genE2ELNS1_11target_archE906ELNS1_3gpuE6ELNS1_3repE0EEENS1_30default_config_static_selectorELNS0_4arch9wavefront6targetE1EEEvT1_: ; @_ZN7rocprim17ROCPRIM_400000_NS6detail17trampoline_kernelINS0_14default_configENS1_35adjacent_difference_config_selectorILb0EyEEZNS1_24adjacent_difference_implIS3_Lb0ELb0EPyS7_N6thrust23THRUST_200600_302600_NS5minusIyEEEE10hipError_tPvRmT2_T3_mT4_P12ihipStream_tbEUlT_E_NS1_11comp_targetILNS1_3genE2ELNS1_11target_archE906ELNS1_3gpuE6ELNS1_3repE0EEENS1_30default_config_static_selectorELNS0_4arch9wavefront6targetE1EEEvT1_
; %bb.0:
	s_load_dwordx8 s[8:15], s[4:5], 0x0
	s_load_dwordx2 s[0:1], s[4:5], 0x30
	s_mov_b32 s5, 0
	s_mov_b64 s[16:17], -1
	s_waitcnt lgkmcnt(0)
	s_lshl_b64 s[10:11], s[10:11], 3
	s_add_u32 s20, s8, s10
	s_addc_u32 s21, s9, s11
	s_lshl_b32 s4, s6, 8
	s_lshr_b64 s[2:3], s[14:15], 8
	s_and_b32 s8, s14, 0xff
	s_mov_b32 s9, s5
	s_cmp_lg_u64 s[8:9], 0
	s_cselect_b64 s[8:9], -1, 0
	v_cndmask_b32_e64 v1, 0, 1, s[8:9]
	v_readfirstlane_b32 s7, v1
	s_add_u32 s2, s2, s7
	s_addc_u32 s3, s3, 0
	s_add_u32 s8, s0, s6
	s_addc_u32 s9, s1, 0
	s_add_u32 s6, s2, -1
	s_addc_u32 s7, s3, -1
	v_mov_b32_e32 v1, s6
	v_mov_b32_e32 v2, s7
	v_cmp_ge_u64_e64 s[0:1], s[8:9], v[1:2]
	s_and_b64 vcc, exec, s[0:1]
	s_cbranch_vccz .LBB109_6
; %bb.1:
	s_lshl_b32 s15, s6, 8
	s_sub_i32 s15, s14, s15
	s_lshl_b64 s[16:17], s[4:5], 3
	s_add_u32 s16, s20, s16
	v_mov_b32_e32 v1, 0
	s_addc_u32 s17, s21, s17
	v_cmp_gt_u32_e32 vcc, s15, v0
	v_mov_b32_e32 v2, v1
	v_mov_b32_e32 v3, v1
	;; [unrolled: 1-line block ×3, first 2 shown]
	s_and_saveexec_b64 s[18:19], vcc
	s_cbranch_execz .LBB109_3
; %bb.2:
	v_lshlrev_b32_e32 v2, 3, v0
	global_load_dwordx2 v[2:3], v2, s[16:17]
	v_mov_b32_e32 v4, v1
	v_mov_b32_e32 v5, v1
	s_waitcnt vmcnt(0)
	v_mov_b32_e32 v1, v2
	v_mov_b32_e32 v2, v3
	;; [unrolled: 1-line block ×4, first 2 shown]
.LBB109_3:
	s_or_b64 exec, exec, s[18:19]
	v_or_b32_e32 v5, 0x80, v0
	v_cmp_gt_u32_e32 vcc, s15, v5
	s_and_saveexec_b64 s[18:19], vcc
	s_cbranch_execz .LBB109_5
; %bb.4:
	v_lshlrev_b32_e32 v3, 3, v0
	global_load_dwordx2 v[3:4], v3, s[16:17] offset:1024
.LBB109_5:
	s_or_b64 exec, exec, s[18:19]
	v_lshrrev_b32_e32 v6, 2, v0
	v_and_b32_e32 v6, 24, v6
	v_lshlrev_b32_e32 v7, 3, v0
	v_add_u32_e32 v6, v6, v7
	ds_write_b64 v6, v[1:2]
	v_lshrrev_b32_e32 v1, 2, v5
	v_and_b32_e32 v1, 56, v1
	v_add_u32_e32 v1, v1, v7
	s_mov_b64 s[16:17], 0
	s_waitcnt vmcnt(0)
	ds_write_b64 v1, v[3:4] offset:1024
	s_waitcnt lgkmcnt(0)
	s_barrier
.LBB109_6:
	s_and_b64 vcc, exec, s[16:17]
	v_lshlrev_b32_e32 v9, 3, v0
	v_lshrrev_b32_e32 v10, 2, v0
	s_cbranch_vccz .LBB109_8
; %bb.7:
	s_lshl_b64 s[16:17], s[4:5], 3
	s_add_u32 s16, s20, s16
	s_addc_u32 s17, s21, s17
	global_load_dwordx2 v[1:2], v9, s[16:17]
	global_load_dwordx2 v[3:4], v9, s[16:17] offset:1024
	v_or_b32_e32 v6, 0x80, v0
	v_and_b32_e32 v5, 24, v10
	v_lshrrev_b32_e32 v6, 2, v6
	v_add_u32_e32 v5, v5, v9
	v_and_b32_e32 v6, 56, v6
	v_add_u32_e32 v6, v6, v9
	s_waitcnt vmcnt(1)
	ds_write_b64 v5, v[1:2]
	s_waitcnt vmcnt(0)
	ds_write_b64 v6, v[3:4] offset:1024
	s_waitcnt lgkmcnt(0)
	s_barrier
.LBB109_8:
	v_lshrrev_b32_e32 v1, 1, v0
	v_and_b32_e32 v1, 56, v1
	v_lshl_add_u32 v11, v0, 4, v1
	ds_read2_b64 v[1:4], v11 offset1:1
	s_cmp_eq_u64 s[8:9], 0
	s_waitcnt lgkmcnt(0)
	s_barrier
	s_cbranch_scc1 .LBB109_13
; %bb.9:
	s_lshl_b64 s[16:17], s[4:5], 3
	s_add_u32 s5, s20, s16
	s_addc_u32 s15, s21, s17
	s_add_u32 s16, s5, -8
	s_addc_u32 s17, s15, -1
	s_load_dwordx2 s[16:17], s[16:17], 0x0
	s_cmp_eq_u64 s[8:9], s[6:7]
	s_cbranch_scc1 .LBB109_14
; %bb.10:
	v_sub_co_u32_e32 v5, vcc, v3, v1
	v_subb_co_u32_e32 v6, vcc, v4, v2, vcc
	s_waitcnt lgkmcnt(0)
	v_mov_b32_e32 v7, s16
	v_cmp_ne_u32_e32 vcc, 0, v0
	v_mov_b32_e32 v8, s17
	ds_write_b64 v9, v[3:4]
	s_waitcnt lgkmcnt(0)
	s_barrier
	s_and_saveexec_b64 s[18:19], vcc
; %bb.11:
	v_add_u32_e32 v7, -8, v9
	ds_read_b64 v[7:8], v7
; %bb.12:
	s_or_b64 exec, exec, s[18:19]
	s_cbranch_execz .LBB109_15
	s_branch .LBB109_18
.LBB109_13:
	s_mov_b64 s[8:9], 0
                                        ; implicit-def: $vgpr7_vgpr8
                                        ; implicit-def: $vgpr5_vgpr6
	s_branch .LBB109_19
.LBB109_14:
                                        ; implicit-def: $vgpr5_vgpr6
                                        ; implicit-def: $vgpr7_vgpr8
.LBB109_15:
	s_lshl_b32 s5, s8, 8
	v_lshlrev_b32_e32 v12, 1, v0
	s_sub_i32 s5, s14, s5
	v_or_b32_e32 v5, 1, v12
	v_cmp_gt_u32_e32 vcc, s5, v5
	v_cndmask_b32_e32 v5, 0, v1, vcc
	v_cndmask_b32_e32 v6, 0, v2, vcc
	v_sub_co_u32_e32 v5, vcc, v3, v5
	v_subb_co_u32_e32 v6, vcc, v4, v6, vcc
	s_waitcnt lgkmcnt(0)
	v_mov_b32_e32 v7, s16
	v_cmp_ne_u32_e32 vcc, 0, v0
	v_mov_b32_e32 v8, s17
	ds_write_b64 v9, v[3:4]
	s_waitcnt lgkmcnt(0)
	s_barrier
	s_and_saveexec_b64 s[8:9], vcc
; %bb.16:
	v_add_u32_e32 v7, -8, v9
	ds_read_b64 v[7:8], v7
; %bb.17:
	s_or_b64 exec, exec, s[8:9]
	v_cmp_gt_u32_e32 vcc, s5, v12
	s_waitcnt lgkmcnt(0)
	v_cndmask_b32_e32 v8, 0, v8, vcc
	v_cndmask_b32_e32 v7, 0, v7, vcc
.LBB109_18:
	s_waitcnt lgkmcnt(0)
	s_mov_b64 s[8:9], -1
	s_cbranch_execnz .LBB109_27
.LBB109_19:
	s_cmp_lg_u64 s[2:3], 1
	v_cmp_ne_u32_e32 vcc, 0, v0
	s_cbranch_scc0 .LBB109_23
; %bb.20:
	v_sub_co_u32_e64 v5, s[2:3], v3, v1
	v_subb_co_u32_e64 v6, s[2:3], v4, v2, s[2:3]
	ds_write_b64 v9, v[3:4]
	s_waitcnt lgkmcnt(0)
	s_barrier
                                        ; implicit-def: $vgpr7_vgpr8
	s_and_saveexec_b64 s[2:3], vcc
; %bb.21:
	v_add_u32_e32 v7, -8, v9
	ds_read_b64 v[7:8], v7
	s_or_b64 s[8:9], s[8:9], exec
; %bb.22:
	s_or_b64 exec, exec, s[2:3]
	s_branch .LBB109_27
.LBB109_23:
                                        ; implicit-def: $vgpr5_vgpr6
                                        ; implicit-def: $vgpr7_vgpr8
	s_cbranch_execz .LBB109_27
; %bb.24:
	s_waitcnt lgkmcnt(0)
	v_lshlrev_b32_e32 v7, 1, v0
	v_or_b32_e32 v5, 1, v7
	v_cmp_gt_u32_e32 vcc, s14, v5
	v_cndmask_b32_e32 v5, 0, v1, vcc
	v_cndmask_b32_e32 v6, 0, v2, vcc
	v_sub_co_u32_e32 v5, vcc, v3, v5
	v_subb_co_u32_e32 v6, vcc, v4, v6, vcc
	v_cmp_ne_u32_e32 vcc, 0, v0
	v_cmp_gt_u32_e64 s[2:3], s14, v7
	s_and_b64 s[16:17], vcc, s[2:3]
	ds_write_b64 v9, v[3:4]
	s_waitcnt lgkmcnt(0)
	s_barrier
                                        ; implicit-def: $vgpr7_vgpr8
	s_and_saveexec_b64 s[2:3], s[16:17]
; %bb.25:
	v_add_u32_e32 v3, -8, v9
	ds_read_b64 v[7:8], v3
	s_or_b64 s[8:9], s[8:9], exec
; %bb.26:
	s_or_b64 exec, exec, s[2:3]
.LBB109_27:
	s_and_saveexec_b64 s[2:3], s[8:9]
	s_cbranch_execz .LBB109_29
; %bb.28:
	s_waitcnt lgkmcnt(0)
	v_sub_co_u32_e32 v1, vcc, v1, v7
	v_subb_co_u32_e32 v2, vcc, v2, v8, vcc
.LBB109_29:
	s_or_b64 exec, exec, s[2:3]
	s_add_u32 s7, s12, s10
	s_addc_u32 s8, s13, s11
	s_and_b64 vcc, exec, s[0:1]
	s_waitcnt lgkmcnt(0)
	s_barrier
	s_cbranch_vccz .LBB109_33
; %bb.30:
	v_mov_b32_e32 v3, v5
	v_mov_b32_e32 v4, v6
	v_or_b32_e32 v12, 0x80, v0
	ds_write2_b64 v11, v[1:2], v[3:4] offset1:1
	v_lshrrev_b32_e32 v3, 2, v12
	s_lshl_b32 s0, s6, 8
	s_mov_b32 s5, 0
	v_and_b32_e32 v3, 56, v3
	s_sub_i32 s2, s14, s0
	s_lshl_b64 s[0:1], s[4:5], 3
	v_add_u32_e32 v3, v3, v9
	s_add_u32 s0, s7, s0
	s_waitcnt lgkmcnt(0)
	s_barrier
	ds_read_b64 v[3:4], v3 offset:1024
	s_addc_u32 s1, s8, s1
	v_mov_b32_e32 v8, s1
	v_add_co_u32_e32 v7, vcc, s0, v9
	v_addc_co_u32_e32 v8, vcc, 0, v8, vcc
	v_cmp_gt_u32_e32 vcc, s2, v0
	s_and_saveexec_b64 s[0:1], vcc
	s_cbranch_execz .LBB109_32
; %bb.31:
	v_and_b32_e32 v13, 24, v10
	v_lshl_add_u32 v13, v0, 3, v13
	ds_read_b64 v[13:14], v13
	s_waitcnt lgkmcnt(0)
	global_store_dwordx2 v[7:8], v[13:14], off
.LBB109_32:
	s_or_b64 exec, exec, s[0:1]
	v_cmp_gt_u32_e64 s[0:1], s2, v12
	s_branch .LBB109_35
.LBB109_33:
	s_mov_b64 s[0:1], 0
                                        ; implicit-def: $vgpr3_vgpr4
                                        ; implicit-def: $vgpr7_vgpr8
	s_cbranch_execz .LBB109_35
; %bb.34:
	v_or_b32_e32 v0, 0x80, v0
	s_mov_b32 s5, 0
	ds_write2_b64 v11, v[1:2], v[5:6] offset1:1
	v_and_b32_e32 v1, 24, v10
	v_lshrrev_b32_e32 v0, 2, v0
	s_lshl_b64 s[2:3], s[4:5], 3
	v_add_u32_e32 v1, v1, v9
	v_and_b32_e32 v0, 56, v0
	s_add_u32 s2, s7, s2
	s_waitcnt vmcnt(0) lgkmcnt(0)
	s_barrier
	v_add_u32_e32 v2, v0, v9
	ds_read_b64 v[0:1], v1
	ds_read_b64 v[3:4], v2 offset:1024
	s_addc_u32 s3, s8, s3
	v_mov_b32_e32 v2, s3
	v_add_co_u32_e32 v7, vcc, s2, v9
	v_addc_co_u32_e32 v8, vcc, 0, v2, vcc
	s_or_b64 s[0:1], s[0:1], exec
	s_waitcnt lgkmcnt(1)
	global_store_dwordx2 v9, v[0:1], s[2:3]
.LBB109_35:
	s_and_saveexec_b64 s[2:3], s[0:1]
	s_cbranch_execnz .LBB109_37
; %bb.36:
	s_endpgm
.LBB109_37:
	s_waitcnt lgkmcnt(0)
	global_store_dwordx2 v[7:8], v[3:4], off offset:1024
	s_endpgm
	.section	.rodata,"a",@progbits
	.p2align	6, 0x0
	.amdhsa_kernel _ZN7rocprim17ROCPRIM_400000_NS6detail17trampoline_kernelINS0_14default_configENS1_35adjacent_difference_config_selectorILb0EyEEZNS1_24adjacent_difference_implIS3_Lb0ELb0EPyS7_N6thrust23THRUST_200600_302600_NS5minusIyEEEE10hipError_tPvRmT2_T3_mT4_P12ihipStream_tbEUlT_E_NS1_11comp_targetILNS1_3genE2ELNS1_11target_archE906ELNS1_3gpuE6ELNS1_3repE0EEENS1_30default_config_static_selectorELNS0_4arch9wavefront6targetE1EEEvT1_
		.amdhsa_group_segment_fixed_size 2112
		.amdhsa_private_segment_fixed_size 0
		.amdhsa_kernarg_size 56
		.amdhsa_user_sgpr_count 6
		.amdhsa_user_sgpr_private_segment_buffer 1
		.amdhsa_user_sgpr_dispatch_ptr 0
		.amdhsa_user_sgpr_queue_ptr 0
		.amdhsa_user_sgpr_kernarg_segment_ptr 1
		.amdhsa_user_sgpr_dispatch_id 0
		.amdhsa_user_sgpr_flat_scratch_init 0
		.amdhsa_user_sgpr_private_segment_size 0
		.amdhsa_uses_dynamic_stack 0
		.amdhsa_system_sgpr_private_segment_wavefront_offset 0
		.amdhsa_system_sgpr_workgroup_id_x 1
		.amdhsa_system_sgpr_workgroup_id_y 0
		.amdhsa_system_sgpr_workgroup_id_z 0
		.amdhsa_system_sgpr_workgroup_info 0
		.amdhsa_system_vgpr_workitem_id 0
		.amdhsa_next_free_vgpr 29
		.amdhsa_next_free_sgpr 61
		.amdhsa_reserve_vcc 1
		.amdhsa_reserve_flat_scratch 0
		.amdhsa_float_round_mode_32 0
		.amdhsa_float_round_mode_16_64 0
		.amdhsa_float_denorm_mode_32 3
		.amdhsa_float_denorm_mode_16_64 3
		.amdhsa_dx10_clamp 1
		.amdhsa_ieee_mode 1
		.amdhsa_fp16_overflow 0
		.amdhsa_exception_fp_ieee_invalid_op 0
		.amdhsa_exception_fp_denorm_src 0
		.amdhsa_exception_fp_ieee_div_zero 0
		.amdhsa_exception_fp_ieee_overflow 0
		.amdhsa_exception_fp_ieee_underflow 0
		.amdhsa_exception_fp_ieee_inexact 0
		.amdhsa_exception_int_div_zero 0
	.end_amdhsa_kernel
	.section	.text._ZN7rocprim17ROCPRIM_400000_NS6detail17trampoline_kernelINS0_14default_configENS1_35adjacent_difference_config_selectorILb0EyEEZNS1_24adjacent_difference_implIS3_Lb0ELb0EPyS7_N6thrust23THRUST_200600_302600_NS5minusIyEEEE10hipError_tPvRmT2_T3_mT4_P12ihipStream_tbEUlT_E_NS1_11comp_targetILNS1_3genE2ELNS1_11target_archE906ELNS1_3gpuE6ELNS1_3repE0EEENS1_30default_config_static_selectorELNS0_4arch9wavefront6targetE1EEEvT1_,"axG",@progbits,_ZN7rocprim17ROCPRIM_400000_NS6detail17trampoline_kernelINS0_14default_configENS1_35adjacent_difference_config_selectorILb0EyEEZNS1_24adjacent_difference_implIS3_Lb0ELb0EPyS7_N6thrust23THRUST_200600_302600_NS5minusIyEEEE10hipError_tPvRmT2_T3_mT4_P12ihipStream_tbEUlT_E_NS1_11comp_targetILNS1_3genE2ELNS1_11target_archE906ELNS1_3gpuE6ELNS1_3repE0EEENS1_30default_config_static_selectorELNS0_4arch9wavefront6targetE1EEEvT1_,comdat
.Lfunc_end109:
	.size	_ZN7rocprim17ROCPRIM_400000_NS6detail17trampoline_kernelINS0_14default_configENS1_35adjacent_difference_config_selectorILb0EyEEZNS1_24adjacent_difference_implIS3_Lb0ELb0EPyS7_N6thrust23THRUST_200600_302600_NS5minusIyEEEE10hipError_tPvRmT2_T3_mT4_P12ihipStream_tbEUlT_E_NS1_11comp_targetILNS1_3genE2ELNS1_11target_archE906ELNS1_3gpuE6ELNS1_3repE0EEENS1_30default_config_static_selectorELNS0_4arch9wavefront6targetE1EEEvT1_, .Lfunc_end109-_ZN7rocprim17ROCPRIM_400000_NS6detail17trampoline_kernelINS0_14default_configENS1_35adjacent_difference_config_selectorILb0EyEEZNS1_24adjacent_difference_implIS3_Lb0ELb0EPyS7_N6thrust23THRUST_200600_302600_NS5minusIyEEEE10hipError_tPvRmT2_T3_mT4_P12ihipStream_tbEUlT_E_NS1_11comp_targetILNS1_3genE2ELNS1_11target_archE906ELNS1_3gpuE6ELNS1_3repE0EEENS1_30default_config_static_selectorELNS0_4arch9wavefront6targetE1EEEvT1_
                                        ; -- End function
	.set _ZN7rocprim17ROCPRIM_400000_NS6detail17trampoline_kernelINS0_14default_configENS1_35adjacent_difference_config_selectorILb0EyEEZNS1_24adjacent_difference_implIS3_Lb0ELb0EPyS7_N6thrust23THRUST_200600_302600_NS5minusIyEEEE10hipError_tPvRmT2_T3_mT4_P12ihipStream_tbEUlT_E_NS1_11comp_targetILNS1_3genE2ELNS1_11target_archE906ELNS1_3gpuE6ELNS1_3repE0EEENS1_30default_config_static_selectorELNS0_4arch9wavefront6targetE1EEEvT1_.num_vgpr, 15
	.set _ZN7rocprim17ROCPRIM_400000_NS6detail17trampoline_kernelINS0_14default_configENS1_35adjacent_difference_config_selectorILb0EyEEZNS1_24adjacent_difference_implIS3_Lb0ELb0EPyS7_N6thrust23THRUST_200600_302600_NS5minusIyEEEE10hipError_tPvRmT2_T3_mT4_P12ihipStream_tbEUlT_E_NS1_11comp_targetILNS1_3genE2ELNS1_11target_archE906ELNS1_3gpuE6ELNS1_3repE0EEENS1_30default_config_static_selectorELNS0_4arch9wavefront6targetE1EEEvT1_.num_agpr, 0
	.set _ZN7rocprim17ROCPRIM_400000_NS6detail17trampoline_kernelINS0_14default_configENS1_35adjacent_difference_config_selectorILb0EyEEZNS1_24adjacent_difference_implIS3_Lb0ELb0EPyS7_N6thrust23THRUST_200600_302600_NS5minusIyEEEE10hipError_tPvRmT2_T3_mT4_P12ihipStream_tbEUlT_E_NS1_11comp_targetILNS1_3genE2ELNS1_11target_archE906ELNS1_3gpuE6ELNS1_3repE0EEENS1_30default_config_static_selectorELNS0_4arch9wavefront6targetE1EEEvT1_.numbered_sgpr, 22
	.set _ZN7rocprim17ROCPRIM_400000_NS6detail17trampoline_kernelINS0_14default_configENS1_35adjacent_difference_config_selectorILb0EyEEZNS1_24adjacent_difference_implIS3_Lb0ELb0EPyS7_N6thrust23THRUST_200600_302600_NS5minusIyEEEE10hipError_tPvRmT2_T3_mT4_P12ihipStream_tbEUlT_E_NS1_11comp_targetILNS1_3genE2ELNS1_11target_archE906ELNS1_3gpuE6ELNS1_3repE0EEENS1_30default_config_static_selectorELNS0_4arch9wavefront6targetE1EEEvT1_.num_named_barrier, 0
	.set _ZN7rocprim17ROCPRIM_400000_NS6detail17trampoline_kernelINS0_14default_configENS1_35adjacent_difference_config_selectorILb0EyEEZNS1_24adjacent_difference_implIS3_Lb0ELb0EPyS7_N6thrust23THRUST_200600_302600_NS5minusIyEEEE10hipError_tPvRmT2_T3_mT4_P12ihipStream_tbEUlT_E_NS1_11comp_targetILNS1_3genE2ELNS1_11target_archE906ELNS1_3gpuE6ELNS1_3repE0EEENS1_30default_config_static_selectorELNS0_4arch9wavefront6targetE1EEEvT1_.private_seg_size, 0
	.set _ZN7rocprim17ROCPRIM_400000_NS6detail17trampoline_kernelINS0_14default_configENS1_35adjacent_difference_config_selectorILb0EyEEZNS1_24adjacent_difference_implIS3_Lb0ELb0EPyS7_N6thrust23THRUST_200600_302600_NS5minusIyEEEE10hipError_tPvRmT2_T3_mT4_P12ihipStream_tbEUlT_E_NS1_11comp_targetILNS1_3genE2ELNS1_11target_archE906ELNS1_3gpuE6ELNS1_3repE0EEENS1_30default_config_static_selectorELNS0_4arch9wavefront6targetE1EEEvT1_.uses_vcc, 1
	.set _ZN7rocprim17ROCPRIM_400000_NS6detail17trampoline_kernelINS0_14default_configENS1_35adjacent_difference_config_selectorILb0EyEEZNS1_24adjacent_difference_implIS3_Lb0ELb0EPyS7_N6thrust23THRUST_200600_302600_NS5minusIyEEEE10hipError_tPvRmT2_T3_mT4_P12ihipStream_tbEUlT_E_NS1_11comp_targetILNS1_3genE2ELNS1_11target_archE906ELNS1_3gpuE6ELNS1_3repE0EEENS1_30default_config_static_selectorELNS0_4arch9wavefront6targetE1EEEvT1_.uses_flat_scratch, 0
	.set _ZN7rocprim17ROCPRIM_400000_NS6detail17trampoline_kernelINS0_14default_configENS1_35adjacent_difference_config_selectorILb0EyEEZNS1_24adjacent_difference_implIS3_Lb0ELb0EPyS7_N6thrust23THRUST_200600_302600_NS5minusIyEEEE10hipError_tPvRmT2_T3_mT4_P12ihipStream_tbEUlT_E_NS1_11comp_targetILNS1_3genE2ELNS1_11target_archE906ELNS1_3gpuE6ELNS1_3repE0EEENS1_30default_config_static_selectorELNS0_4arch9wavefront6targetE1EEEvT1_.has_dyn_sized_stack, 0
	.set _ZN7rocprim17ROCPRIM_400000_NS6detail17trampoline_kernelINS0_14default_configENS1_35adjacent_difference_config_selectorILb0EyEEZNS1_24adjacent_difference_implIS3_Lb0ELb0EPyS7_N6thrust23THRUST_200600_302600_NS5minusIyEEEE10hipError_tPvRmT2_T3_mT4_P12ihipStream_tbEUlT_E_NS1_11comp_targetILNS1_3genE2ELNS1_11target_archE906ELNS1_3gpuE6ELNS1_3repE0EEENS1_30default_config_static_selectorELNS0_4arch9wavefront6targetE1EEEvT1_.has_recursion, 0
	.set _ZN7rocprim17ROCPRIM_400000_NS6detail17trampoline_kernelINS0_14default_configENS1_35adjacent_difference_config_selectorILb0EyEEZNS1_24adjacent_difference_implIS3_Lb0ELb0EPyS7_N6thrust23THRUST_200600_302600_NS5minusIyEEEE10hipError_tPvRmT2_T3_mT4_P12ihipStream_tbEUlT_E_NS1_11comp_targetILNS1_3genE2ELNS1_11target_archE906ELNS1_3gpuE6ELNS1_3repE0EEENS1_30default_config_static_selectorELNS0_4arch9wavefront6targetE1EEEvT1_.has_indirect_call, 0
	.section	.AMDGPU.csdata,"",@progbits
; Kernel info:
; codeLenInByte = 1188
; TotalNumSgprs: 26
; NumVgprs: 15
; ScratchSize: 0
; MemoryBound: 0
; FloatMode: 240
; IeeeMode: 1
; LDSByteSize: 2112 bytes/workgroup (compile time only)
; SGPRBlocks: 8
; VGPRBlocks: 7
; NumSGPRsForWavesPerEU: 65
; NumVGPRsForWavesPerEU: 29
; Occupancy: 8
; WaveLimiterHint : 1
; COMPUTE_PGM_RSRC2:SCRATCH_EN: 0
; COMPUTE_PGM_RSRC2:USER_SGPR: 6
; COMPUTE_PGM_RSRC2:TRAP_HANDLER: 0
; COMPUTE_PGM_RSRC2:TGID_X_EN: 1
; COMPUTE_PGM_RSRC2:TGID_Y_EN: 0
; COMPUTE_PGM_RSRC2:TGID_Z_EN: 0
; COMPUTE_PGM_RSRC2:TIDIG_COMP_CNT: 0
	.section	.text._ZN7rocprim17ROCPRIM_400000_NS6detail17trampoline_kernelINS0_14default_configENS1_35adjacent_difference_config_selectorILb0EyEEZNS1_24adjacent_difference_implIS3_Lb0ELb0EPyS7_N6thrust23THRUST_200600_302600_NS5minusIyEEEE10hipError_tPvRmT2_T3_mT4_P12ihipStream_tbEUlT_E_NS1_11comp_targetILNS1_3genE9ELNS1_11target_archE1100ELNS1_3gpuE3ELNS1_3repE0EEENS1_30default_config_static_selectorELNS0_4arch9wavefront6targetE1EEEvT1_,"axG",@progbits,_ZN7rocprim17ROCPRIM_400000_NS6detail17trampoline_kernelINS0_14default_configENS1_35adjacent_difference_config_selectorILb0EyEEZNS1_24adjacent_difference_implIS3_Lb0ELb0EPyS7_N6thrust23THRUST_200600_302600_NS5minusIyEEEE10hipError_tPvRmT2_T3_mT4_P12ihipStream_tbEUlT_E_NS1_11comp_targetILNS1_3genE9ELNS1_11target_archE1100ELNS1_3gpuE3ELNS1_3repE0EEENS1_30default_config_static_selectorELNS0_4arch9wavefront6targetE1EEEvT1_,comdat
	.protected	_ZN7rocprim17ROCPRIM_400000_NS6detail17trampoline_kernelINS0_14default_configENS1_35adjacent_difference_config_selectorILb0EyEEZNS1_24adjacent_difference_implIS3_Lb0ELb0EPyS7_N6thrust23THRUST_200600_302600_NS5minusIyEEEE10hipError_tPvRmT2_T3_mT4_P12ihipStream_tbEUlT_E_NS1_11comp_targetILNS1_3genE9ELNS1_11target_archE1100ELNS1_3gpuE3ELNS1_3repE0EEENS1_30default_config_static_selectorELNS0_4arch9wavefront6targetE1EEEvT1_ ; -- Begin function _ZN7rocprim17ROCPRIM_400000_NS6detail17trampoline_kernelINS0_14default_configENS1_35adjacent_difference_config_selectorILb0EyEEZNS1_24adjacent_difference_implIS3_Lb0ELb0EPyS7_N6thrust23THRUST_200600_302600_NS5minusIyEEEE10hipError_tPvRmT2_T3_mT4_P12ihipStream_tbEUlT_E_NS1_11comp_targetILNS1_3genE9ELNS1_11target_archE1100ELNS1_3gpuE3ELNS1_3repE0EEENS1_30default_config_static_selectorELNS0_4arch9wavefront6targetE1EEEvT1_
	.globl	_ZN7rocprim17ROCPRIM_400000_NS6detail17trampoline_kernelINS0_14default_configENS1_35adjacent_difference_config_selectorILb0EyEEZNS1_24adjacent_difference_implIS3_Lb0ELb0EPyS7_N6thrust23THRUST_200600_302600_NS5minusIyEEEE10hipError_tPvRmT2_T3_mT4_P12ihipStream_tbEUlT_E_NS1_11comp_targetILNS1_3genE9ELNS1_11target_archE1100ELNS1_3gpuE3ELNS1_3repE0EEENS1_30default_config_static_selectorELNS0_4arch9wavefront6targetE1EEEvT1_
	.p2align	8
	.type	_ZN7rocprim17ROCPRIM_400000_NS6detail17trampoline_kernelINS0_14default_configENS1_35adjacent_difference_config_selectorILb0EyEEZNS1_24adjacent_difference_implIS3_Lb0ELb0EPyS7_N6thrust23THRUST_200600_302600_NS5minusIyEEEE10hipError_tPvRmT2_T3_mT4_P12ihipStream_tbEUlT_E_NS1_11comp_targetILNS1_3genE9ELNS1_11target_archE1100ELNS1_3gpuE3ELNS1_3repE0EEENS1_30default_config_static_selectorELNS0_4arch9wavefront6targetE1EEEvT1_,@function
_ZN7rocprim17ROCPRIM_400000_NS6detail17trampoline_kernelINS0_14default_configENS1_35adjacent_difference_config_selectorILb0EyEEZNS1_24adjacent_difference_implIS3_Lb0ELb0EPyS7_N6thrust23THRUST_200600_302600_NS5minusIyEEEE10hipError_tPvRmT2_T3_mT4_P12ihipStream_tbEUlT_E_NS1_11comp_targetILNS1_3genE9ELNS1_11target_archE1100ELNS1_3gpuE3ELNS1_3repE0EEENS1_30default_config_static_selectorELNS0_4arch9wavefront6targetE1EEEvT1_: ; @_ZN7rocprim17ROCPRIM_400000_NS6detail17trampoline_kernelINS0_14default_configENS1_35adjacent_difference_config_selectorILb0EyEEZNS1_24adjacent_difference_implIS3_Lb0ELb0EPyS7_N6thrust23THRUST_200600_302600_NS5minusIyEEEE10hipError_tPvRmT2_T3_mT4_P12ihipStream_tbEUlT_E_NS1_11comp_targetILNS1_3genE9ELNS1_11target_archE1100ELNS1_3gpuE3ELNS1_3repE0EEENS1_30default_config_static_selectorELNS0_4arch9wavefront6targetE1EEEvT1_
; %bb.0:
	.section	.rodata,"a",@progbits
	.p2align	6, 0x0
	.amdhsa_kernel _ZN7rocprim17ROCPRIM_400000_NS6detail17trampoline_kernelINS0_14default_configENS1_35adjacent_difference_config_selectorILb0EyEEZNS1_24adjacent_difference_implIS3_Lb0ELb0EPyS7_N6thrust23THRUST_200600_302600_NS5minusIyEEEE10hipError_tPvRmT2_T3_mT4_P12ihipStream_tbEUlT_E_NS1_11comp_targetILNS1_3genE9ELNS1_11target_archE1100ELNS1_3gpuE3ELNS1_3repE0EEENS1_30default_config_static_selectorELNS0_4arch9wavefront6targetE1EEEvT1_
		.amdhsa_group_segment_fixed_size 0
		.amdhsa_private_segment_fixed_size 0
		.amdhsa_kernarg_size 56
		.amdhsa_user_sgpr_count 6
		.amdhsa_user_sgpr_private_segment_buffer 1
		.amdhsa_user_sgpr_dispatch_ptr 0
		.amdhsa_user_sgpr_queue_ptr 0
		.amdhsa_user_sgpr_kernarg_segment_ptr 1
		.amdhsa_user_sgpr_dispatch_id 0
		.amdhsa_user_sgpr_flat_scratch_init 0
		.amdhsa_user_sgpr_private_segment_size 0
		.amdhsa_uses_dynamic_stack 0
		.amdhsa_system_sgpr_private_segment_wavefront_offset 0
		.amdhsa_system_sgpr_workgroup_id_x 1
		.amdhsa_system_sgpr_workgroup_id_y 0
		.amdhsa_system_sgpr_workgroup_id_z 0
		.amdhsa_system_sgpr_workgroup_info 0
		.amdhsa_system_vgpr_workitem_id 0
		.amdhsa_next_free_vgpr 1
		.amdhsa_next_free_sgpr 0
		.amdhsa_reserve_vcc 0
		.amdhsa_reserve_flat_scratch 0
		.amdhsa_float_round_mode_32 0
		.amdhsa_float_round_mode_16_64 0
		.amdhsa_float_denorm_mode_32 3
		.amdhsa_float_denorm_mode_16_64 3
		.amdhsa_dx10_clamp 1
		.amdhsa_ieee_mode 1
		.amdhsa_fp16_overflow 0
		.amdhsa_exception_fp_ieee_invalid_op 0
		.amdhsa_exception_fp_denorm_src 0
		.amdhsa_exception_fp_ieee_div_zero 0
		.amdhsa_exception_fp_ieee_overflow 0
		.amdhsa_exception_fp_ieee_underflow 0
		.amdhsa_exception_fp_ieee_inexact 0
		.amdhsa_exception_int_div_zero 0
	.end_amdhsa_kernel
	.section	.text._ZN7rocprim17ROCPRIM_400000_NS6detail17trampoline_kernelINS0_14default_configENS1_35adjacent_difference_config_selectorILb0EyEEZNS1_24adjacent_difference_implIS3_Lb0ELb0EPyS7_N6thrust23THRUST_200600_302600_NS5minusIyEEEE10hipError_tPvRmT2_T3_mT4_P12ihipStream_tbEUlT_E_NS1_11comp_targetILNS1_3genE9ELNS1_11target_archE1100ELNS1_3gpuE3ELNS1_3repE0EEENS1_30default_config_static_selectorELNS0_4arch9wavefront6targetE1EEEvT1_,"axG",@progbits,_ZN7rocprim17ROCPRIM_400000_NS6detail17trampoline_kernelINS0_14default_configENS1_35adjacent_difference_config_selectorILb0EyEEZNS1_24adjacent_difference_implIS3_Lb0ELb0EPyS7_N6thrust23THRUST_200600_302600_NS5minusIyEEEE10hipError_tPvRmT2_T3_mT4_P12ihipStream_tbEUlT_E_NS1_11comp_targetILNS1_3genE9ELNS1_11target_archE1100ELNS1_3gpuE3ELNS1_3repE0EEENS1_30default_config_static_selectorELNS0_4arch9wavefront6targetE1EEEvT1_,comdat
.Lfunc_end110:
	.size	_ZN7rocprim17ROCPRIM_400000_NS6detail17trampoline_kernelINS0_14default_configENS1_35adjacent_difference_config_selectorILb0EyEEZNS1_24adjacent_difference_implIS3_Lb0ELb0EPyS7_N6thrust23THRUST_200600_302600_NS5minusIyEEEE10hipError_tPvRmT2_T3_mT4_P12ihipStream_tbEUlT_E_NS1_11comp_targetILNS1_3genE9ELNS1_11target_archE1100ELNS1_3gpuE3ELNS1_3repE0EEENS1_30default_config_static_selectorELNS0_4arch9wavefront6targetE1EEEvT1_, .Lfunc_end110-_ZN7rocprim17ROCPRIM_400000_NS6detail17trampoline_kernelINS0_14default_configENS1_35adjacent_difference_config_selectorILb0EyEEZNS1_24adjacent_difference_implIS3_Lb0ELb0EPyS7_N6thrust23THRUST_200600_302600_NS5minusIyEEEE10hipError_tPvRmT2_T3_mT4_P12ihipStream_tbEUlT_E_NS1_11comp_targetILNS1_3genE9ELNS1_11target_archE1100ELNS1_3gpuE3ELNS1_3repE0EEENS1_30default_config_static_selectorELNS0_4arch9wavefront6targetE1EEEvT1_
                                        ; -- End function
	.set _ZN7rocprim17ROCPRIM_400000_NS6detail17trampoline_kernelINS0_14default_configENS1_35adjacent_difference_config_selectorILb0EyEEZNS1_24adjacent_difference_implIS3_Lb0ELb0EPyS7_N6thrust23THRUST_200600_302600_NS5minusIyEEEE10hipError_tPvRmT2_T3_mT4_P12ihipStream_tbEUlT_E_NS1_11comp_targetILNS1_3genE9ELNS1_11target_archE1100ELNS1_3gpuE3ELNS1_3repE0EEENS1_30default_config_static_selectorELNS0_4arch9wavefront6targetE1EEEvT1_.num_vgpr, 0
	.set _ZN7rocprim17ROCPRIM_400000_NS6detail17trampoline_kernelINS0_14default_configENS1_35adjacent_difference_config_selectorILb0EyEEZNS1_24adjacent_difference_implIS3_Lb0ELb0EPyS7_N6thrust23THRUST_200600_302600_NS5minusIyEEEE10hipError_tPvRmT2_T3_mT4_P12ihipStream_tbEUlT_E_NS1_11comp_targetILNS1_3genE9ELNS1_11target_archE1100ELNS1_3gpuE3ELNS1_3repE0EEENS1_30default_config_static_selectorELNS0_4arch9wavefront6targetE1EEEvT1_.num_agpr, 0
	.set _ZN7rocprim17ROCPRIM_400000_NS6detail17trampoline_kernelINS0_14default_configENS1_35adjacent_difference_config_selectorILb0EyEEZNS1_24adjacent_difference_implIS3_Lb0ELb0EPyS7_N6thrust23THRUST_200600_302600_NS5minusIyEEEE10hipError_tPvRmT2_T3_mT4_P12ihipStream_tbEUlT_E_NS1_11comp_targetILNS1_3genE9ELNS1_11target_archE1100ELNS1_3gpuE3ELNS1_3repE0EEENS1_30default_config_static_selectorELNS0_4arch9wavefront6targetE1EEEvT1_.numbered_sgpr, 0
	.set _ZN7rocprim17ROCPRIM_400000_NS6detail17trampoline_kernelINS0_14default_configENS1_35adjacent_difference_config_selectorILb0EyEEZNS1_24adjacent_difference_implIS3_Lb0ELb0EPyS7_N6thrust23THRUST_200600_302600_NS5minusIyEEEE10hipError_tPvRmT2_T3_mT4_P12ihipStream_tbEUlT_E_NS1_11comp_targetILNS1_3genE9ELNS1_11target_archE1100ELNS1_3gpuE3ELNS1_3repE0EEENS1_30default_config_static_selectorELNS0_4arch9wavefront6targetE1EEEvT1_.num_named_barrier, 0
	.set _ZN7rocprim17ROCPRIM_400000_NS6detail17trampoline_kernelINS0_14default_configENS1_35adjacent_difference_config_selectorILb0EyEEZNS1_24adjacent_difference_implIS3_Lb0ELb0EPyS7_N6thrust23THRUST_200600_302600_NS5minusIyEEEE10hipError_tPvRmT2_T3_mT4_P12ihipStream_tbEUlT_E_NS1_11comp_targetILNS1_3genE9ELNS1_11target_archE1100ELNS1_3gpuE3ELNS1_3repE0EEENS1_30default_config_static_selectorELNS0_4arch9wavefront6targetE1EEEvT1_.private_seg_size, 0
	.set _ZN7rocprim17ROCPRIM_400000_NS6detail17trampoline_kernelINS0_14default_configENS1_35adjacent_difference_config_selectorILb0EyEEZNS1_24adjacent_difference_implIS3_Lb0ELb0EPyS7_N6thrust23THRUST_200600_302600_NS5minusIyEEEE10hipError_tPvRmT2_T3_mT4_P12ihipStream_tbEUlT_E_NS1_11comp_targetILNS1_3genE9ELNS1_11target_archE1100ELNS1_3gpuE3ELNS1_3repE0EEENS1_30default_config_static_selectorELNS0_4arch9wavefront6targetE1EEEvT1_.uses_vcc, 0
	.set _ZN7rocprim17ROCPRIM_400000_NS6detail17trampoline_kernelINS0_14default_configENS1_35adjacent_difference_config_selectorILb0EyEEZNS1_24adjacent_difference_implIS3_Lb0ELb0EPyS7_N6thrust23THRUST_200600_302600_NS5minusIyEEEE10hipError_tPvRmT2_T3_mT4_P12ihipStream_tbEUlT_E_NS1_11comp_targetILNS1_3genE9ELNS1_11target_archE1100ELNS1_3gpuE3ELNS1_3repE0EEENS1_30default_config_static_selectorELNS0_4arch9wavefront6targetE1EEEvT1_.uses_flat_scratch, 0
	.set _ZN7rocprim17ROCPRIM_400000_NS6detail17trampoline_kernelINS0_14default_configENS1_35adjacent_difference_config_selectorILb0EyEEZNS1_24adjacent_difference_implIS3_Lb0ELb0EPyS7_N6thrust23THRUST_200600_302600_NS5minusIyEEEE10hipError_tPvRmT2_T3_mT4_P12ihipStream_tbEUlT_E_NS1_11comp_targetILNS1_3genE9ELNS1_11target_archE1100ELNS1_3gpuE3ELNS1_3repE0EEENS1_30default_config_static_selectorELNS0_4arch9wavefront6targetE1EEEvT1_.has_dyn_sized_stack, 0
	.set _ZN7rocprim17ROCPRIM_400000_NS6detail17trampoline_kernelINS0_14default_configENS1_35adjacent_difference_config_selectorILb0EyEEZNS1_24adjacent_difference_implIS3_Lb0ELb0EPyS7_N6thrust23THRUST_200600_302600_NS5minusIyEEEE10hipError_tPvRmT2_T3_mT4_P12ihipStream_tbEUlT_E_NS1_11comp_targetILNS1_3genE9ELNS1_11target_archE1100ELNS1_3gpuE3ELNS1_3repE0EEENS1_30default_config_static_selectorELNS0_4arch9wavefront6targetE1EEEvT1_.has_recursion, 0
	.set _ZN7rocprim17ROCPRIM_400000_NS6detail17trampoline_kernelINS0_14default_configENS1_35adjacent_difference_config_selectorILb0EyEEZNS1_24adjacent_difference_implIS3_Lb0ELb0EPyS7_N6thrust23THRUST_200600_302600_NS5minusIyEEEE10hipError_tPvRmT2_T3_mT4_P12ihipStream_tbEUlT_E_NS1_11comp_targetILNS1_3genE9ELNS1_11target_archE1100ELNS1_3gpuE3ELNS1_3repE0EEENS1_30default_config_static_selectorELNS0_4arch9wavefront6targetE1EEEvT1_.has_indirect_call, 0
	.section	.AMDGPU.csdata,"",@progbits
; Kernel info:
; codeLenInByte = 0
; TotalNumSgprs: 4
; NumVgprs: 0
; ScratchSize: 0
; MemoryBound: 0
; FloatMode: 240
; IeeeMode: 1
; LDSByteSize: 0 bytes/workgroup (compile time only)
; SGPRBlocks: 0
; VGPRBlocks: 0
; NumSGPRsForWavesPerEU: 4
; NumVGPRsForWavesPerEU: 1
; Occupancy: 10
; WaveLimiterHint : 0
; COMPUTE_PGM_RSRC2:SCRATCH_EN: 0
; COMPUTE_PGM_RSRC2:USER_SGPR: 6
; COMPUTE_PGM_RSRC2:TRAP_HANDLER: 0
; COMPUTE_PGM_RSRC2:TGID_X_EN: 1
; COMPUTE_PGM_RSRC2:TGID_Y_EN: 0
; COMPUTE_PGM_RSRC2:TGID_Z_EN: 0
; COMPUTE_PGM_RSRC2:TIDIG_COMP_CNT: 0
	.section	.text._ZN7rocprim17ROCPRIM_400000_NS6detail17trampoline_kernelINS0_14default_configENS1_35adjacent_difference_config_selectorILb0EyEEZNS1_24adjacent_difference_implIS3_Lb0ELb0EPyS7_N6thrust23THRUST_200600_302600_NS5minusIyEEEE10hipError_tPvRmT2_T3_mT4_P12ihipStream_tbEUlT_E_NS1_11comp_targetILNS1_3genE8ELNS1_11target_archE1030ELNS1_3gpuE2ELNS1_3repE0EEENS1_30default_config_static_selectorELNS0_4arch9wavefront6targetE1EEEvT1_,"axG",@progbits,_ZN7rocprim17ROCPRIM_400000_NS6detail17trampoline_kernelINS0_14default_configENS1_35adjacent_difference_config_selectorILb0EyEEZNS1_24adjacent_difference_implIS3_Lb0ELb0EPyS7_N6thrust23THRUST_200600_302600_NS5minusIyEEEE10hipError_tPvRmT2_T3_mT4_P12ihipStream_tbEUlT_E_NS1_11comp_targetILNS1_3genE8ELNS1_11target_archE1030ELNS1_3gpuE2ELNS1_3repE0EEENS1_30default_config_static_selectorELNS0_4arch9wavefront6targetE1EEEvT1_,comdat
	.protected	_ZN7rocprim17ROCPRIM_400000_NS6detail17trampoline_kernelINS0_14default_configENS1_35adjacent_difference_config_selectorILb0EyEEZNS1_24adjacent_difference_implIS3_Lb0ELb0EPyS7_N6thrust23THRUST_200600_302600_NS5minusIyEEEE10hipError_tPvRmT2_T3_mT4_P12ihipStream_tbEUlT_E_NS1_11comp_targetILNS1_3genE8ELNS1_11target_archE1030ELNS1_3gpuE2ELNS1_3repE0EEENS1_30default_config_static_selectorELNS0_4arch9wavefront6targetE1EEEvT1_ ; -- Begin function _ZN7rocprim17ROCPRIM_400000_NS6detail17trampoline_kernelINS0_14default_configENS1_35adjacent_difference_config_selectorILb0EyEEZNS1_24adjacent_difference_implIS3_Lb0ELb0EPyS7_N6thrust23THRUST_200600_302600_NS5minusIyEEEE10hipError_tPvRmT2_T3_mT4_P12ihipStream_tbEUlT_E_NS1_11comp_targetILNS1_3genE8ELNS1_11target_archE1030ELNS1_3gpuE2ELNS1_3repE0EEENS1_30default_config_static_selectorELNS0_4arch9wavefront6targetE1EEEvT1_
	.globl	_ZN7rocprim17ROCPRIM_400000_NS6detail17trampoline_kernelINS0_14default_configENS1_35adjacent_difference_config_selectorILb0EyEEZNS1_24adjacent_difference_implIS3_Lb0ELb0EPyS7_N6thrust23THRUST_200600_302600_NS5minusIyEEEE10hipError_tPvRmT2_T3_mT4_P12ihipStream_tbEUlT_E_NS1_11comp_targetILNS1_3genE8ELNS1_11target_archE1030ELNS1_3gpuE2ELNS1_3repE0EEENS1_30default_config_static_selectorELNS0_4arch9wavefront6targetE1EEEvT1_
	.p2align	8
	.type	_ZN7rocprim17ROCPRIM_400000_NS6detail17trampoline_kernelINS0_14default_configENS1_35adjacent_difference_config_selectorILb0EyEEZNS1_24adjacent_difference_implIS3_Lb0ELb0EPyS7_N6thrust23THRUST_200600_302600_NS5minusIyEEEE10hipError_tPvRmT2_T3_mT4_P12ihipStream_tbEUlT_E_NS1_11comp_targetILNS1_3genE8ELNS1_11target_archE1030ELNS1_3gpuE2ELNS1_3repE0EEENS1_30default_config_static_selectorELNS0_4arch9wavefront6targetE1EEEvT1_,@function
_ZN7rocprim17ROCPRIM_400000_NS6detail17trampoline_kernelINS0_14default_configENS1_35adjacent_difference_config_selectorILb0EyEEZNS1_24adjacent_difference_implIS3_Lb0ELb0EPyS7_N6thrust23THRUST_200600_302600_NS5minusIyEEEE10hipError_tPvRmT2_T3_mT4_P12ihipStream_tbEUlT_E_NS1_11comp_targetILNS1_3genE8ELNS1_11target_archE1030ELNS1_3gpuE2ELNS1_3repE0EEENS1_30default_config_static_selectorELNS0_4arch9wavefront6targetE1EEEvT1_: ; @_ZN7rocprim17ROCPRIM_400000_NS6detail17trampoline_kernelINS0_14default_configENS1_35adjacent_difference_config_selectorILb0EyEEZNS1_24adjacent_difference_implIS3_Lb0ELb0EPyS7_N6thrust23THRUST_200600_302600_NS5minusIyEEEE10hipError_tPvRmT2_T3_mT4_P12ihipStream_tbEUlT_E_NS1_11comp_targetILNS1_3genE8ELNS1_11target_archE1030ELNS1_3gpuE2ELNS1_3repE0EEENS1_30default_config_static_selectorELNS0_4arch9wavefront6targetE1EEEvT1_
; %bb.0:
	.section	.rodata,"a",@progbits
	.p2align	6, 0x0
	.amdhsa_kernel _ZN7rocprim17ROCPRIM_400000_NS6detail17trampoline_kernelINS0_14default_configENS1_35adjacent_difference_config_selectorILb0EyEEZNS1_24adjacent_difference_implIS3_Lb0ELb0EPyS7_N6thrust23THRUST_200600_302600_NS5minusIyEEEE10hipError_tPvRmT2_T3_mT4_P12ihipStream_tbEUlT_E_NS1_11comp_targetILNS1_3genE8ELNS1_11target_archE1030ELNS1_3gpuE2ELNS1_3repE0EEENS1_30default_config_static_selectorELNS0_4arch9wavefront6targetE1EEEvT1_
		.amdhsa_group_segment_fixed_size 0
		.amdhsa_private_segment_fixed_size 0
		.amdhsa_kernarg_size 56
		.amdhsa_user_sgpr_count 6
		.amdhsa_user_sgpr_private_segment_buffer 1
		.amdhsa_user_sgpr_dispatch_ptr 0
		.amdhsa_user_sgpr_queue_ptr 0
		.amdhsa_user_sgpr_kernarg_segment_ptr 1
		.amdhsa_user_sgpr_dispatch_id 0
		.amdhsa_user_sgpr_flat_scratch_init 0
		.amdhsa_user_sgpr_private_segment_size 0
		.amdhsa_uses_dynamic_stack 0
		.amdhsa_system_sgpr_private_segment_wavefront_offset 0
		.amdhsa_system_sgpr_workgroup_id_x 1
		.amdhsa_system_sgpr_workgroup_id_y 0
		.amdhsa_system_sgpr_workgroup_id_z 0
		.amdhsa_system_sgpr_workgroup_info 0
		.amdhsa_system_vgpr_workitem_id 0
		.amdhsa_next_free_vgpr 1
		.amdhsa_next_free_sgpr 0
		.amdhsa_reserve_vcc 0
		.amdhsa_reserve_flat_scratch 0
		.amdhsa_float_round_mode_32 0
		.amdhsa_float_round_mode_16_64 0
		.amdhsa_float_denorm_mode_32 3
		.amdhsa_float_denorm_mode_16_64 3
		.amdhsa_dx10_clamp 1
		.amdhsa_ieee_mode 1
		.amdhsa_fp16_overflow 0
		.amdhsa_exception_fp_ieee_invalid_op 0
		.amdhsa_exception_fp_denorm_src 0
		.amdhsa_exception_fp_ieee_div_zero 0
		.amdhsa_exception_fp_ieee_overflow 0
		.amdhsa_exception_fp_ieee_underflow 0
		.amdhsa_exception_fp_ieee_inexact 0
		.amdhsa_exception_int_div_zero 0
	.end_amdhsa_kernel
	.section	.text._ZN7rocprim17ROCPRIM_400000_NS6detail17trampoline_kernelINS0_14default_configENS1_35adjacent_difference_config_selectorILb0EyEEZNS1_24adjacent_difference_implIS3_Lb0ELb0EPyS7_N6thrust23THRUST_200600_302600_NS5minusIyEEEE10hipError_tPvRmT2_T3_mT4_P12ihipStream_tbEUlT_E_NS1_11comp_targetILNS1_3genE8ELNS1_11target_archE1030ELNS1_3gpuE2ELNS1_3repE0EEENS1_30default_config_static_selectorELNS0_4arch9wavefront6targetE1EEEvT1_,"axG",@progbits,_ZN7rocprim17ROCPRIM_400000_NS6detail17trampoline_kernelINS0_14default_configENS1_35adjacent_difference_config_selectorILb0EyEEZNS1_24adjacent_difference_implIS3_Lb0ELb0EPyS7_N6thrust23THRUST_200600_302600_NS5minusIyEEEE10hipError_tPvRmT2_T3_mT4_P12ihipStream_tbEUlT_E_NS1_11comp_targetILNS1_3genE8ELNS1_11target_archE1030ELNS1_3gpuE2ELNS1_3repE0EEENS1_30default_config_static_selectorELNS0_4arch9wavefront6targetE1EEEvT1_,comdat
.Lfunc_end111:
	.size	_ZN7rocprim17ROCPRIM_400000_NS6detail17trampoline_kernelINS0_14default_configENS1_35adjacent_difference_config_selectorILb0EyEEZNS1_24adjacent_difference_implIS3_Lb0ELb0EPyS7_N6thrust23THRUST_200600_302600_NS5minusIyEEEE10hipError_tPvRmT2_T3_mT4_P12ihipStream_tbEUlT_E_NS1_11comp_targetILNS1_3genE8ELNS1_11target_archE1030ELNS1_3gpuE2ELNS1_3repE0EEENS1_30default_config_static_selectorELNS0_4arch9wavefront6targetE1EEEvT1_, .Lfunc_end111-_ZN7rocprim17ROCPRIM_400000_NS6detail17trampoline_kernelINS0_14default_configENS1_35adjacent_difference_config_selectorILb0EyEEZNS1_24adjacent_difference_implIS3_Lb0ELb0EPyS7_N6thrust23THRUST_200600_302600_NS5minusIyEEEE10hipError_tPvRmT2_T3_mT4_P12ihipStream_tbEUlT_E_NS1_11comp_targetILNS1_3genE8ELNS1_11target_archE1030ELNS1_3gpuE2ELNS1_3repE0EEENS1_30default_config_static_selectorELNS0_4arch9wavefront6targetE1EEEvT1_
                                        ; -- End function
	.set _ZN7rocprim17ROCPRIM_400000_NS6detail17trampoline_kernelINS0_14default_configENS1_35adjacent_difference_config_selectorILb0EyEEZNS1_24adjacent_difference_implIS3_Lb0ELb0EPyS7_N6thrust23THRUST_200600_302600_NS5minusIyEEEE10hipError_tPvRmT2_T3_mT4_P12ihipStream_tbEUlT_E_NS1_11comp_targetILNS1_3genE8ELNS1_11target_archE1030ELNS1_3gpuE2ELNS1_3repE0EEENS1_30default_config_static_selectorELNS0_4arch9wavefront6targetE1EEEvT1_.num_vgpr, 0
	.set _ZN7rocprim17ROCPRIM_400000_NS6detail17trampoline_kernelINS0_14default_configENS1_35adjacent_difference_config_selectorILb0EyEEZNS1_24adjacent_difference_implIS3_Lb0ELb0EPyS7_N6thrust23THRUST_200600_302600_NS5minusIyEEEE10hipError_tPvRmT2_T3_mT4_P12ihipStream_tbEUlT_E_NS1_11comp_targetILNS1_3genE8ELNS1_11target_archE1030ELNS1_3gpuE2ELNS1_3repE0EEENS1_30default_config_static_selectorELNS0_4arch9wavefront6targetE1EEEvT1_.num_agpr, 0
	.set _ZN7rocprim17ROCPRIM_400000_NS6detail17trampoline_kernelINS0_14default_configENS1_35adjacent_difference_config_selectorILb0EyEEZNS1_24adjacent_difference_implIS3_Lb0ELb0EPyS7_N6thrust23THRUST_200600_302600_NS5minusIyEEEE10hipError_tPvRmT2_T3_mT4_P12ihipStream_tbEUlT_E_NS1_11comp_targetILNS1_3genE8ELNS1_11target_archE1030ELNS1_3gpuE2ELNS1_3repE0EEENS1_30default_config_static_selectorELNS0_4arch9wavefront6targetE1EEEvT1_.numbered_sgpr, 0
	.set _ZN7rocprim17ROCPRIM_400000_NS6detail17trampoline_kernelINS0_14default_configENS1_35adjacent_difference_config_selectorILb0EyEEZNS1_24adjacent_difference_implIS3_Lb0ELb0EPyS7_N6thrust23THRUST_200600_302600_NS5minusIyEEEE10hipError_tPvRmT2_T3_mT4_P12ihipStream_tbEUlT_E_NS1_11comp_targetILNS1_3genE8ELNS1_11target_archE1030ELNS1_3gpuE2ELNS1_3repE0EEENS1_30default_config_static_selectorELNS0_4arch9wavefront6targetE1EEEvT1_.num_named_barrier, 0
	.set _ZN7rocprim17ROCPRIM_400000_NS6detail17trampoline_kernelINS0_14default_configENS1_35adjacent_difference_config_selectorILb0EyEEZNS1_24adjacent_difference_implIS3_Lb0ELb0EPyS7_N6thrust23THRUST_200600_302600_NS5minusIyEEEE10hipError_tPvRmT2_T3_mT4_P12ihipStream_tbEUlT_E_NS1_11comp_targetILNS1_3genE8ELNS1_11target_archE1030ELNS1_3gpuE2ELNS1_3repE0EEENS1_30default_config_static_selectorELNS0_4arch9wavefront6targetE1EEEvT1_.private_seg_size, 0
	.set _ZN7rocprim17ROCPRIM_400000_NS6detail17trampoline_kernelINS0_14default_configENS1_35adjacent_difference_config_selectorILb0EyEEZNS1_24adjacent_difference_implIS3_Lb0ELb0EPyS7_N6thrust23THRUST_200600_302600_NS5minusIyEEEE10hipError_tPvRmT2_T3_mT4_P12ihipStream_tbEUlT_E_NS1_11comp_targetILNS1_3genE8ELNS1_11target_archE1030ELNS1_3gpuE2ELNS1_3repE0EEENS1_30default_config_static_selectorELNS0_4arch9wavefront6targetE1EEEvT1_.uses_vcc, 0
	.set _ZN7rocprim17ROCPRIM_400000_NS6detail17trampoline_kernelINS0_14default_configENS1_35adjacent_difference_config_selectorILb0EyEEZNS1_24adjacent_difference_implIS3_Lb0ELb0EPyS7_N6thrust23THRUST_200600_302600_NS5minusIyEEEE10hipError_tPvRmT2_T3_mT4_P12ihipStream_tbEUlT_E_NS1_11comp_targetILNS1_3genE8ELNS1_11target_archE1030ELNS1_3gpuE2ELNS1_3repE0EEENS1_30default_config_static_selectorELNS0_4arch9wavefront6targetE1EEEvT1_.uses_flat_scratch, 0
	.set _ZN7rocprim17ROCPRIM_400000_NS6detail17trampoline_kernelINS0_14default_configENS1_35adjacent_difference_config_selectorILb0EyEEZNS1_24adjacent_difference_implIS3_Lb0ELb0EPyS7_N6thrust23THRUST_200600_302600_NS5minusIyEEEE10hipError_tPvRmT2_T3_mT4_P12ihipStream_tbEUlT_E_NS1_11comp_targetILNS1_3genE8ELNS1_11target_archE1030ELNS1_3gpuE2ELNS1_3repE0EEENS1_30default_config_static_selectorELNS0_4arch9wavefront6targetE1EEEvT1_.has_dyn_sized_stack, 0
	.set _ZN7rocprim17ROCPRIM_400000_NS6detail17trampoline_kernelINS0_14default_configENS1_35adjacent_difference_config_selectorILb0EyEEZNS1_24adjacent_difference_implIS3_Lb0ELb0EPyS7_N6thrust23THRUST_200600_302600_NS5minusIyEEEE10hipError_tPvRmT2_T3_mT4_P12ihipStream_tbEUlT_E_NS1_11comp_targetILNS1_3genE8ELNS1_11target_archE1030ELNS1_3gpuE2ELNS1_3repE0EEENS1_30default_config_static_selectorELNS0_4arch9wavefront6targetE1EEEvT1_.has_recursion, 0
	.set _ZN7rocprim17ROCPRIM_400000_NS6detail17trampoline_kernelINS0_14default_configENS1_35adjacent_difference_config_selectorILb0EyEEZNS1_24adjacent_difference_implIS3_Lb0ELb0EPyS7_N6thrust23THRUST_200600_302600_NS5minusIyEEEE10hipError_tPvRmT2_T3_mT4_P12ihipStream_tbEUlT_E_NS1_11comp_targetILNS1_3genE8ELNS1_11target_archE1030ELNS1_3gpuE2ELNS1_3repE0EEENS1_30default_config_static_selectorELNS0_4arch9wavefront6targetE1EEEvT1_.has_indirect_call, 0
	.section	.AMDGPU.csdata,"",@progbits
; Kernel info:
; codeLenInByte = 0
; TotalNumSgprs: 4
; NumVgprs: 0
; ScratchSize: 0
; MemoryBound: 0
; FloatMode: 240
; IeeeMode: 1
; LDSByteSize: 0 bytes/workgroup (compile time only)
; SGPRBlocks: 0
; VGPRBlocks: 0
; NumSGPRsForWavesPerEU: 4
; NumVGPRsForWavesPerEU: 1
; Occupancy: 10
; WaveLimiterHint : 0
; COMPUTE_PGM_RSRC2:SCRATCH_EN: 0
; COMPUTE_PGM_RSRC2:USER_SGPR: 6
; COMPUTE_PGM_RSRC2:TRAP_HANDLER: 0
; COMPUTE_PGM_RSRC2:TGID_X_EN: 1
; COMPUTE_PGM_RSRC2:TGID_Y_EN: 0
; COMPUTE_PGM_RSRC2:TGID_Z_EN: 0
; COMPUTE_PGM_RSRC2:TIDIG_COMP_CNT: 0
	.section	.text._ZN7rocprim17ROCPRIM_400000_NS6detail17trampoline_kernelINS0_14default_configENS1_25transform_config_selectorIyLb0EEEZNS1_14transform_implILb0ES3_S5_NS0_18transform_iteratorINS0_17counting_iteratorImlEEZNS1_24adjacent_difference_implIS3_Lb1ELb0EPySB_N6thrust23THRUST_200600_302600_NS5minusIyEEEE10hipError_tPvRmT2_T3_mT4_P12ihipStream_tbEUlmE_yEESB_NS0_8identityIvEEEESG_SJ_SK_mSL_SN_bEUlT_E_NS1_11comp_targetILNS1_3genE0ELNS1_11target_archE4294967295ELNS1_3gpuE0ELNS1_3repE0EEENS1_30default_config_static_selectorELNS0_4arch9wavefront6targetE1EEEvT1_,"axG",@progbits,_ZN7rocprim17ROCPRIM_400000_NS6detail17trampoline_kernelINS0_14default_configENS1_25transform_config_selectorIyLb0EEEZNS1_14transform_implILb0ES3_S5_NS0_18transform_iteratorINS0_17counting_iteratorImlEEZNS1_24adjacent_difference_implIS3_Lb1ELb0EPySB_N6thrust23THRUST_200600_302600_NS5minusIyEEEE10hipError_tPvRmT2_T3_mT4_P12ihipStream_tbEUlmE_yEESB_NS0_8identityIvEEEESG_SJ_SK_mSL_SN_bEUlT_E_NS1_11comp_targetILNS1_3genE0ELNS1_11target_archE4294967295ELNS1_3gpuE0ELNS1_3repE0EEENS1_30default_config_static_selectorELNS0_4arch9wavefront6targetE1EEEvT1_,comdat
	.protected	_ZN7rocprim17ROCPRIM_400000_NS6detail17trampoline_kernelINS0_14default_configENS1_25transform_config_selectorIyLb0EEEZNS1_14transform_implILb0ES3_S5_NS0_18transform_iteratorINS0_17counting_iteratorImlEEZNS1_24adjacent_difference_implIS3_Lb1ELb0EPySB_N6thrust23THRUST_200600_302600_NS5minusIyEEEE10hipError_tPvRmT2_T3_mT4_P12ihipStream_tbEUlmE_yEESB_NS0_8identityIvEEEESG_SJ_SK_mSL_SN_bEUlT_E_NS1_11comp_targetILNS1_3genE0ELNS1_11target_archE4294967295ELNS1_3gpuE0ELNS1_3repE0EEENS1_30default_config_static_selectorELNS0_4arch9wavefront6targetE1EEEvT1_ ; -- Begin function _ZN7rocprim17ROCPRIM_400000_NS6detail17trampoline_kernelINS0_14default_configENS1_25transform_config_selectorIyLb0EEEZNS1_14transform_implILb0ES3_S5_NS0_18transform_iteratorINS0_17counting_iteratorImlEEZNS1_24adjacent_difference_implIS3_Lb1ELb0EPySB_N6thrust23THRUST_200600_302600_NS5minusIyEEEE10hipError_tPvRmT2_T3_mT4_P12ihipStream_tbEUlmE_yEESB_NS0_8identityIvEEEESG_SJ_SK_mSL_SN_bEUlT_E_NS1_11comp_targetILNS1_3genE0ELNS1_11target_archE4294967295ELNS1_3gpuE0ELNS1_3repE0EEENS1_30default_config_static_selectorELNS0_4arch9wavefront6targetE1EEEvT1_
	.globl	_ZN7rocprim17ROCPRIM_400000_NS6detail17trampoline_kernelINS0_14default_configENS1_25transform_config_selectorIyLb0EEEZNS1_14transform_implILb0ES3_S5_NS0_18transform_iteratorINS0_17counting_iteratorImlEEZNS1_24adjacent_difference_implIS3_Lb1ELb0EPySB_N6thrust23THRUST_200600_302600_NS5minusIyEEEE10hipError_tPvRmT2_T3_mT4_P12ihipStream_tbEUlmE_yEESB_NS0_8identityIvEEEESG_SJ_SK_mSL_SN_bEUlT_E_NS1_11comp_targetILNS1_3genE0ELNS1_11target_archE4294967295ELNS1_3gpuE0ELNS1_3repE0EEENS1_30default_config_static_selectorELNS0_4arch9wavefront6targetE1EEEvT1_
	.p2align	8
	.type	_ZN7rocprim17ROCPRIM_400000_NS6detail17trampoline_kernelINS0_14default_configENS1_25transform_config_selectorIyLb0EEEZNS1_14transform_implILb0ES3_S5_NS0_18transform_iteratorINS0_17counting_iteratorImlEEZNS1_24adjacent_difference_implIS3_Lb1ELb0EPySB_N6thrust23THRUST_200600_302600_NS5minusIyEEEE10hipError_tPvRmT2_T3_mT4_P12ihipStream_tbEUlmE_yEESB_NS0_8identityIvEEEESG_SJ_SK_mSL_SN_bEUlT_E_NS1_11comp_targetILNS1_3genE0ELNS1_11target_archE4294967295ELNS1_3gpuE0ELNS1_3repE0EEENS1_30default_config_static_selectorELNS0_4arch9wavefront6targetE1EEEvT1_,@function
_ZN7rocprim17ROCPRIM_400000_NS6detail17trampoline_kernelINS0_14default_configENS1_25transform_config_selectorIyLb0EEEZNS1_14transform_implILb0ES3_S5_NS0_18transform_iteratorINS0_17counting_iteratorImlEEZNS1_24adjacent_difference_implIS3_Lb1ELb0EPySB_N6thrust23THRUST_200600_302600_NS5minusIyEEEE10hipError_tPvRmT2_T3_mT4_P12ihipStream_tbEUlmE_yEESB_NS0_8identityIvEEEESG_SJ_SK_mSL_SN_bEUlT_E_NS1_11comp_targetILNS1_3genE0ELNS1_11target_archE4294967295ELNS1_3gpuE0ELNS1_3repE0EEENS1_30default_config_static_selectorELNS0_4arch9wavefront6targetE1EEEvT1_: ; @_ZN7rocprim17ROCPRIM_400000_NS6detail17trampoline_kernelINS0_14default_configENS1_25transform_config_selectorIyLb0EEEZNS1_14transform_implILb0ES3_S5_NS0_18transform_iteratorINS0_17counting_iteratorImlEEZNS1_24adjacent_difference_implIS3_Lb1ELb0EPySB_N6thrust23THRUST_200600_302600_NS5minusIyEEEE10hipError_tPvRmT2_T3_mT4_P12ihipStream_tbEUlmE_yEESB_NS0_8identityIvEEEESG_SJ_SK_mSL_SN_bEUlT_E_NS1_11comp_targetILNS1_3genE0ELNS1_11target_archE4294967295ELNS1_3gpuE0ELNS1_3repE0EEENS1_30default_config_static_selectorELNS0_4arch9wavefront6targetE1EEEvT1_
; %bb.0:
	.section	.rodata,"a",@progbits
	.p2align	6, 0x0
	.amdhsa_kernel _ZN7rocprim17ROCPRIM_400000_NS6detail17trampoline_kernelINS0_14default_configENS1_25transform_config_selectorIyLb0EEEZNS1_14transform_implILb0ES3_S5_NS0_18transform_iteratorINS0_17counting_iteratorImlEEZNS1_24adjacent_difference_implIS3_Lb1ELb0EPySB_N6thrust23THRUST_200600_302600_NS5minusIyEEEE10hipError_tPvRmT2_T3_mT4_P12ihipStream_tbEUlmE_yEESB_NS0_8identityIvEEEESG_SJ_SK_mSL_SN_bEUlT_E_NS1_11comp_targetILNS1_3genE0ELNS1_11target_archE4294967295ELNS1_3gpuE0ELNS1_3repE0EEENS1_30default_config_static_selectorELNS0_4arch9wavefront6targetE1EEEvT1_
		.amdhsa_group_segment_fixed_size 0
		.amdhsa_private_segment_fixed_size 0
		.amdhsa_kernarg_size 56
		.amdhsa_user_sgpr_count 6
		.amdhsa_user_sgpr_private_segment_buffer 1
		.amdhsa_user_sgpr_dispatch_ptr 0
		.amdhsa_user_sgpr_queue_ptr 0
		.amdhsa_user_sgpr_kernarg_segment_ptr 1
		.amdhsa_user_sgpr_dispatch_id 0
		.amdhsa_user_sgpr_flat_scratch_init 0
		.amdhsa_user_sgpr_private_segment_size 0
		.amdhsa_uses_dynamic_stack 0
		.amdhsa_system_sgpr_private_segment_wavefront_offset 0
		.amdhsa_system_sgpr_workgroup_id_x 1
		.amdhsa_system_sgpr_workgroup_id_y 0
		.amdhsa_system_sgpr_workgroup_id_z 0
		.amdhsa_system_sgpr_workgroup_info 0
		.amdhsa_system_vgpr_workitem_id 0
		.amdhsa_next_free_vgpr 1
		.amdhsa_next_free_sgpr 0
		.amdhsa_reserve_vcc 0
		.amdhsa_reserve_flat_scratch 0
		.amdhsa_float_round_mode_32 0
		.amdhsa_float_round_mode_16_64 0
		.amdhsa_float_denorm_mode_32 3
		.amdhsa_float_denorm_mode_16_64 3
		.amdhsa_dx10_clamp 1
		.amdhsa_ieee_mode 1
		.amdhsa_fp16_overflow 0
		.amdhsa_exception_fp_ieee_invalid_op 0
		.amdhsa_exception_fp_denorm_src 0
		.amdhsa_exception_fp_ieee_div_zero 0
		.amdhsa_exception_fp_ieee_overflow 0
		.amdhsa_exception_fp_ieee_underflow 0
		.amdhsa_exception_fp_ieee_inexact 0
		.amdhsa_exception_int_div_zero 0
	.end_amdhsa_kernel
	.section	.text._ZN7rocprim17ROCPRIM_400000_NS6detail17trampoline_kernelINS0_14default_configENS1_25transform_config_selectorIyLb0EEEZNS1_14transform_implILb0ES3_S5_NS0_18transform_iteratorINS0_17counting_iteratorImlEEZNS1_24adjacent_difference_implIS3_Lb1ELb0EPySB_N6thrust23THRUST_200600_302600_NS5minusIyEEEE10hipError_tPvRmT2_T3_mT4_P12ihipStream_tbEUlmE_yEESB_NS0_8identityIvEEEESG_SJ_SK_mSL_SN_bEUlT_E_NS1_11comp_targetILNS1_3genE0ELNS1_11target_archE4294967295ELNS1_3gpuE0ELNS1_3repE0EEENS1_30default_config_static_selectorELNS0_4arch9wavefront6targetE1EEEvT1_,"axG",@progbits,_ZN7rocprim17ROCPRIM_400000_NS6detail17trampoline_kernelINS0_14default_configENS1_25transform_config_selectorIyLb0EEEZNS1_14transform_implILb0ES3_S5_NS0_18transform_iteratorINS0_17counting_iteratorImlEEZNS1_24adjacent_difference_implIS3_Lb1ELb0EPySB_N6thrust23THRUST_200600_302600_NS5minusIyEEEE10hipError_tPvRmT2_T3_mT4_P12ihipStream_tbEUlmE_yEESB_NS0_8identityIvEEEESG_SJ_SK_mSL_SN_bEUlT_E_NS1_11comp_targetILNS1_3genE0ELNS1_11target_archE4294967295ELNS1_3gpuE0ELNS1_3repE0EEENS1_30default_config_static_selectorELNS0_4arch9wavefront6targetE1EEEvT1_,comdat
.Lfunc_end112:
	.size	_ZN7rocprim17ROCPRIM_400000_NS6detail17trampoline_kernelINS0_14default_configENS1_25transform_config_selectorIyLb0EEEZNS1_14transform_implILb0ES3_S5_NS0_18transform_iteratorINS0_17counting_iteratorImlEEZNS1_24adjacent_difference_implIS3_Lb1ELb0EPySB_N6thrust23THRUST_200600_302600_NS5minusIyEEEE10hipError_tPvRmT2_T3_mT4_P12ihipStream_tbEUlmE_yEESB_NS0_8identityIvEEEESG_SJ_SK_mSL_SN_bEUlT_E_NS1_11comp_targetILNS1_3genE0ELNS1_11target_archE4294967295ELNS1_3gpuE0ELNS1_3repE0EEENS1_30default_config_static_selectorELNS0_4arch9wavefront6targetE1EEEvT1_, .Lfunc_end112-_ZN7rocprim17ROCPRIM_400000_NS6detail17trampoline_kernelINS0_14default_configENS1_25transform_config_selectorIyLb0EEEZNS1_14transform_implILb0ES3_S5_NS0_18transform_iteratorINS0_17counting_iteratorImlEEZNS1_24adjacent_difference_implIS3_Lb1ELb0EPySB_N6thrust23THRUST_200600_302600_NS5minusIyEEEE10hipError_tPvRmT2_T3_mT4_P12ihipStream_tbEUlmE_yEESB_NS0_8identityIvEEEESG_SJ_SK_mSL_SN_bEUlT_E_NS1_11comp_targetILNS1_3genE0ELNS1_11target_archE4294967295ELNS1_3gpuE0ELNS1_3repE0EEENS1_30default_config_static_selectorELNS0_4arch9wavefront6targetE1EEEvT1_
                                        ; -- End function
	.set _ZN7rocprim17ROCPRIM_400000_NS6detail17trampoline_kernelINS0_14default_configENS1_25transform_config_selectorIyLb0EEEZNS1_14transform_implILb0ES3_S5_NS0_18transform_iteratorINS0_17counting_iteratorImlEEZNS1_24adjacent_difference_implIS3_Lb1ELb0EPySB_N6thrust23THRUST_200600_302600_NS5minusIyEEEE10hipError_tPvRmT2_T3_mT4_P12ihipStream_tbEUlmE_yEESB_NS0_8identityIvEEEESG_SJ_SK_mSL_SN_bEUlT_E_NS1_11comp_targetILNS1_3genE0ELNS1_11target_archE4294967295ELNS1_3gpuE0ELNS1_3repE0EEENS1_30default_config_static_selectorELNS0_4arch9wavefront6targetE1EEEvT1_.num_vgpr, 0
	.set _ZN7rocprim17ROCPRIM_400000_NS6detail17trampoline_kernelINS0_14default_configENS1_25transform_config_selectorIyLb0EEEZNS1_14transform_implILb0ES3_S5_NS0_18transform_iteratorINS0_17counting_iteratorImlEEZNS1_24adjacent_difference_implIS3_Lb1ELb0EPySB_N6thrust23THRUST_200600_302600_NS5minusIyEEEE10hipError_tPvRmT2_T3_mT4_P12ihipStream_tbEUlmE_yEESB_NS0_8identityIvEEEESG_SJ_SK_mSL_SN_bEUlT_E_NS1_11comp_targetILNS1_3genE0ELNS1_11target_archE4294967295ELNS1_3gpuE0ELNS1_3repE0EEENS1_30default_config_static_selectorELNS0_4arch9wavefront6targetE1EEEvT1_.num_agpr, 0
	.set _ZN7rocprim17ROCPRIM_400000_NS6detail17trampoline_kernelINS0_14default_configENS1_25transform_config_selectorIyLb0EEEZNS1_14transform_implILb0ES3_S5_NS0_18transform_iteratorINS0_17counting_iteratorImlEEZNS1_24adjacent_difference_implIS3_Lb1ELb0EPySB_N6thrust23THRUST_200600_302600_NS5minusIyEEEE10hipError_tPvRmT2_T3_mT4_P12ihipStream_tbEUlmE_yEESB_NS0_8identityIvEEEESG_SJ_SK_mSL_SN_bEUlT_E_NS1_11comp_targetILNS1_3genE0ELNS1_11target_archE4294967295ELNS1_3gpuE0ELNS1_3repE0EEENS1_30default_config_static_selectorELNS0_4arch9wavefront6targetE1EEEvT1_.numbered_sgpr, 0
	.set _ZN7rocprim17ROCPRIM_400000_NS6detail17trampoline_kernelINS0_14default_configENS1_25transform_config_selectorIyLb0EEEZNS1_14transform_implILb0ES3_S5_NS0_18transform_iteratorINS0_17counting_iteratorImlEEZNS1_24adjacent_difference_implIS3_Lb1ELb0EPySB_N6thrust23THRUST_200600_302600_NS5minusIyEEEE10hipError_tPvRmT2_T3_mT4_P12ihipStream_tbEUlmE_yEESB_NS0_8identityIvEEEESG_SJ_SK_mSL_SN_bEUlT_E_NS1_11comp_targetILNS1_3genE0ELNS1_11target_archE4294967295ELNS1_3gpuE0ELNS1_3repE0EEENS1_30default_config_static_selectorELNS0_4arch9wavefront6targetE1EEEvT1_.num_named_barrier, 0
	.set _ZN7rocprim17ROCPRIM_400000_NS6detail17trampoline_kernelINS0_14default_configENS1_25transform_config_selectorIyLb0EEEZNS1_14transform_implILb0ES3_S5_NS0_18transform_iteratorINS0_17counting_iteratorImlEEZNS1_24adjacent_difference_implIS3_Lb1ELb0EPySB_N6thrust23THRUST_200600_302600_NS5minusIyEEEE10hipError_tPvRmT2_T3_mT4_P12ihipStream_tbEUlmE_yEESB_NS0_8identityIvEEEESG_SJ_SK_mSL_SN_bEUlT_E_NS1_11comp_targetILNS1_3genE0ELNS1_11target_archE4294967295ELNS1_3gpuE0ELNS1_3repE0EEENS1_30default_config_static_selectorELNS0_4arch9wavefront6targetE1EEEvT1_.private_seg_size, 0
	.set _ZN7rocprim17ROCPRIM_400000_NS6detail17trampoline_kernelINS0_14default_configENS1_25transform_config_selectorIyLb0EEEZNS1_14transform_implILb0ES3_S5_NS0_18transform_iteratorINS0_17counting_iteratorImlEEZNS1_24adjacent_difference_implIS3_Lb1ELb0EPySB_N6thrust23THRUST_200600_302600_NS5minusIyEEEE10hipError_tPvRmT2_T3_mT4_P12ihipStream_tbEUlmE_yEESB_NS0_8identityIvEEEESG_SJ_SK_mSL_SN_bEUlT_E_NS1_11comp_targetILNS1_3genE0ELNS1_11target_archE4294967295ELNS1_3gpuE0ELNS1_3repE0EEENS1_30default_config_static_selectorELNS0_4arch9wavefront6targetE1EEEvT1_.uses_vcc, 0
	.set _ZN7rocprim17ROCPRIM_400000_NS6detail17trampoline_kernelINS0_14default_configENS1_25transform_config_selectorIyLb0EEEZNS1_14transform_implILb0ES3_S5_NS0_18transform_iteratorINS0_17counting_iteratorImlEEZNS1_24adjacent_difference_implIS3_Lb1ELb0EPySB_N6thrust23THRUST_200600_302600_NS5minusIyEEEE10hipError_tPvRmT2_T3_mT4_P12ihipStream_tbEUlmE_yEESB_NS0_8identityIvEEEESG_SJ_SK_mSL_SN_bEUlT_E_NS1_11comp_targetILNS1_3genE0ELNS1_11target_archE4294967295ELNS1_3gpuE0ELNS1_3repE0EEENS1_30default_config_static_selectorELNS0_4arch9wavefront6targetE1EEEvT1_.uses_flat_scratch, 0
	.set _ZN7rocprim17ROCPRIM_400000_NS6detail17trampoline_kernelINS0_14default_configENS1_25transform_config_selectorIyLb0EEEZNS1_14transform_implILb0ES3_S5_NS0_18transform_iteratorINS0_17counting_iteratorImlEEZNS1_24adjacent_difference_implIS3_Lb1ELb0EPySB_N6thrust23THRUST_200600_302600_NS5minusIyEEEE10hipError_tPvRmT2_T3_mT4_P12ihipStream_tbEUlmE_yEESB_NS0_8identityIvEEEESG_SJ_SK_mSL_SN_bEUlT_E_NS1_11comp_targetILNS1_3genE0ELNS1_11target_archE4294967295ELNS1_3gpuE0ELNS1_3repE0EEENS1_30default_config_static_selectorELNS0_4arch9wavefront6targetE1EEEvT1_.has_dyn_sized_stack, 0
	.set _ZN7rocprim17ROCPRIM_400000_NS6detail17trampoline_kernelINS0_14default_configENS1_25transform_config_selectorIyLb0EEEZNS1_14transform_implILb0ES3_S5_NS0_18transform_iteratorINS0_17counting_iteratorImlEEZNS1_24adjacent_difference_implIS3_Lb1ELb0EPySB_N6thrust23THRUST_200600_302600_NS5minusIyEEEE10hipError_tPvRmT2_T3_mT4_P12ihipStream_tbEUlmE_yEESB_NS0_8identityIvEEEESG_SJ_SK_mSL_SN_bEUlT_E_NS1_11comp_targetILNS1_3genE0ELNS1_11target_archE4294967295ELNS1_3gpuE0ELNS1_3repE0EEENS1_30default_config_static_selectorELNS0_4arch9wavefront6targetE1EEEvT1_.has_recursion, 0
	.set _ZN7rocprim17ROCPRIM_400000_NS6detail17trampoline_kernelINS0_14default_configENS1_25transform_config_selectorIyLb0EEEZNS1_14transform_implILb0ES3_S5_NS0_18transform_iteratorINS0_17counting_iteratorImlEEZNS1_24adjacent_difference_implIS3_Lb1ELb0EPySB_N6thrust23THRUST_200600_302600_NS5minusIyEEEE10hipError_tPvRmT2_T3_mT4_P12ihipStream_tbEUlmE_yEESB_NS0_8identityIvEEEESG_SJ_SK_mSL_SN_bEUlT_E_NS1_11comp_targetILNS1_3genE0ELNS1_11target_archE4294967295ELNS1_3gpuE0ELNS1_3repE0EEENS1_30default_config_static_selectorELNS0_4arch9wavefront6targetE1EEEvT1_.has_indirect_call, 0
	.section	.AMDGPU.csdata,"",@progbits
; Kernel info:
; codeLenInByte = 0
; TotalNumSgprs: 4
; NumVgprs: 0
; ScratchSize: 0
; MemoryBound: 0
; FloatMode: 240
; IeeeMode: 1
; LDSByteSize: 0 bytes/workgroup (compile time only)
; SGPRBlocks: 0
; VGPRBlocks: 0
; NumSGPRsForWavesPerEU: 4
; NumVGPRsForWavesPerEU: 1
; Occupancy: 10
; WaveLimiterHint : 0
; COMPUTE_PGM_RSRC2:SCRATCH_EN: 0
; COMPUTE_PGM_RSRC2:USER_SGPR: 6
; COMPUTE_PGM_RSRC2:TRAP_HANDLER: 0
; COMPUTE_PGM_RSRC2:TGID_X_EN: 1
; COMPUTE_PGM_RSRC2:TGID_Y_EN: 0
; COMPUTE_PGM_RSRC2:TGID_Z_EN: 0
; COMPUTE_PGM_RSRC2:TIDIG_COMP_CNT: 0
	.section	.text._ZN7rocprim17ROCPRIM_400000_NS6detail17trampoline_kernelINS0_14default_configENS1_25transform_config_selectorIyLb0EEEZNS1_14transform_implILb0ES3_S5_NS0_18transform_iteratorINS0_17counting_iteratorImlEEZNS1_24adjacent_difference_implIS3_Lb1ELb0EPySB_N6thrust23THRUST_200600_302600_NS5minusIyEEEE10hipError_tPvRmT2_T3_mT4_P12ihipStream_tbEUlmE_yEESB_NS0_8identityIvEEEESG_SJ_SK_mSL_SN_bEUlT_E_NS1_11comp_targetILNS1_3genE5ELNS1_11target_archE942ELNS1_3gpuE9ELNS1_3repE0EEENS1_30default_config_static_selectorELNS0_4arch9wavefront6targetE1EEEvT1_,"axG",@progbits,_ZN7rocprim17ROCPRIM_400000_NS6detail17trampoline_kernelINS0_14default_configENS1_25transform_config_selectorIyLb0EEEZNS1_14transform_implILb0ES3_S5_NS0_18transform_iteratorINS0_17counting_iteratorImlEEZNS1_24adjacent_difference_implIS3_Lb1ELb0EPySB_N6thrust23THRUST_200600_302600_NS5minusIyEEEE10hipError_tPvRmT2_T3_mT4_P12ihipStream_tbEUlmE_yEESB_NS0_8identityIvEEEESG_SJ_SK_mSL_SN_bEUlT_E_NS1_11comp_targetILNS1_3genE5ELNS1_11target_archE942ELNS1_3gpuE9ELNS1_3repE0EEENS1_30default_config_static_selectorELNS0_4arch9wavefront6targetE1EEEvT1_,comdat
	.protected	_ZN7rocprim17ROCPRIM_400000_NS6detail17trampoline_kernelINS0_14default_configENS1_25transform_config_selectorIyLb0EEEZNS1_14transform_implILb0ES3_S5_NS0_18transform_iteratorINS0_17counting_iteratorImlEEZNS1_24adjacent_difference_implIS3_Lb1ELb0EPySB_N6thrust23THRUST_200600_302600_NS5minusIyEEEE10hipError_tPvRmT2_T3_mT4_P12ihipStream_tbEUlmE_yEESB_NS0_8identityIvEEEESG_SJ_SK_mSL_SN_bEUlT_E_NS1_11comp_targetILNS1_3genE5ELNS1_11target_archE942ELNS1_3gpuE9ELNS1_3repE0EEENS1_30default_config_static_selectorELNS0_4arch9wavefront6targetE1EEEvT1_ ; -- Begin function _ZN7rocprim17ROCPRIM_400000_NS6detail17trampoline_kernelINS0_14default_configENS1_25transform_config_selectorIyLb0EEEZNS1_14transform_implILb0ES3_S5_NS0_18transform_iteratorINS0_17counting_iteratorImlEEZNS1_24adjacent_difference_implIS3_Lb1ELb0EPySB_N6thrust23THRUST_200600_302600_NS5minusIyEEEE10hipError_tPvRmT2_T3_mT4_P12ihipStream_tbEUlmE_yEESB_NS0_8identityIvEEEESG_SJ_SK_mSL_SN_bEUlT_E_NS1_11comp_targetILNS1_3genE5ELNS1_11target_archE942ELNS1_3gpuE9ELNS1_3repE0EEENS1_30default_config_static_selectorELNS0_4arch9wavefront6targetE1EEEvT1_
	.globl	_ZN7rocprim17ROCPRIM_400000_NS6detail17trampoline_kernelINS0_14default_configENS1_25transform_config_selectorIyLb0EEEZNS1_14transform_implILb0ES3_S5_NS0_18transform_iteratorINS0_17counting_iteratorImlEEZNS1_24adjacent_difference_implIS3_Lb1ELb0EPySB_N6thrust23THRUST_200600_302600_NS5minusIyEEEE10hipError_tPvRmT2_T3_mT4_P12ihipStream_tbEUlmE_yEESB_NS0_8identityIvEEEESG_SJ_SK_mSL_SN_bEUlT_E_NS1_11comp_targetILNS1_3genE5ELNS1_11target_archE942ELNS1_3gpuE9ELNS1_3repE0EEENS1_30default_config_static_selectorELNS0_4arch9wavefront6targetE1EEEvT1_
	.p2align	8
	.type	_ZN7rocprim17ROCPRIM_400000_NS6detail17trampoline_kernelINS0_14default_configENS1_25transform_config_selectorIyLb0EEEZNS1_14transform_implILb0ES3_S5_NS0_18transform_iteratorINS0_17counting_iteratorImlEEZNS1_24adjacent_difference_implIS3_Lb1ELb0EPySB_N6thrust23THRUST_200600_302600_NS5minusIyEEEE10hipError_tPvRmT2_T3_mT4_P12ihipStream_tbEUlmE_yEESB_NS0_8identityIvEEEESG_SJ_SK_mSL_SN_bEUlT_E_NS1_11comp_targetILNS1_3genE5ELNS1_11target_archE942ELNS1_3gpuE9ELNS1_3repE0EEENS1_30default_config_static_selectorELNS0_4arch9wavefront6targetE1EEEvT1_,@function
_ZN7rocprim17ROCPRIM_400000_NS6detail17trampoline_kernelINS0_14default_configENS1_25transform_config_selectorIyLb0EEEZNS1_14transform_implILb0ES3_S5_NS0_18transform_iteratorINS0_17counting_iteratorImlEEZNS1_24adjacent_difference_implIS3_Lb1ELb0EPySB_N6thrust23THRUST_200600_302600_NS5minusIyEEEE10hipError_tPvRmT2_T3_mT4_P12ihipStream_tbEUlmE_yEESB_NS0_8identityIvEEEESG_SJ_SK_mSL_SN_bEUlT_E_NS1_11comp_targetILNS1_3genE5ELNS1_11target_archE942ELNS1_3gpuE9ELNS1_3repE0EEENS1_30default_config_static_selectorELNS0_4arch9wavefront6targetE1EEEvT1_: ; @_ZN7rocprim17ROCPRIM_400000_NS6detail17trampoline_kernelINS0_14default_configENS1_25transform_config_selectorIyLb0EEEZNS1_14transform_implILb0ES3_S5_NS0_18transform_iteratorINS0_17counting_iteratorImlEEZNS1_24adjacent_difference_implIS3_Lb1ELb0EPySB_N6thrust23THRUST_200600_302600_NS5minusIyEEEE10hipError_tPvRmT2_T3_mT4_P12ihipStream_tbEUlmE_yEESB_NS0_8identityIvEEEESG_SJ_SK_mSL_SN_bEUlT_E_NS1_11comp_targetILNS1_3genE5ELNS1_11target_archE942ELNS1_3gpuE9ELNS1_3repE0EEENS1_30default_config_static_selectorELNS0_4arch9wavefront6targetE1EEEvT1_
; %bb.0:
	.section	.rodata,"a",@progbits
	.p2align	6, 0x0
	.amdhsa_kernel _ZN7rocprim17ROCPRIM_400000_NS6detail17trampoline_kernelINS0_14default_configENS1_25transform_config_selectorIyLb0EEEZNS1_14transform_implILb0ES3_S5_NS0_18transform_iteratorINS0_17counting_iteratorImlEEZNS1_24adjacent_difference_implIS3_Lb1ELb0EPySB_N6thrust23THRUST_200600_302600_NS5minusIyEEEE10hipError_tPvRmT2_T3_mT4_P12ihipStream_tbEUlmE_yEESB_NS0_8identityIvEEEESG_SJ_SK_mSL_SN_bEUlT_E_NS1_11comp_targetILNS1_3genE5ELNS1_11target_archE942ELNS1_3gpuE9ELNS1_3repE0EEENS1_30default_config_static_selectorELNS0_4arch9wavefront6targetE1EEEvT1_
		.amdhsa_group_segment_fixed_size 0
		.amdhsa_private_segment_fixed_size 0
		.amdhsa_kernarg_size 56
		.amdhsa_user_sgpr_count 6
		.amdhsa_user_sgpr_private_segment_buffer 1
		.amdhsa_user_sgpr_dispatch_ptr 0
		.amdhsa_user_sgpr_queue_ptr 0
		.amdhsa_user_sgpr_kernarg_segment_ptr 1
		.amdhsa_user_sgpr_dispatch_id 0
		.amdhsa_user_sgpr_flat_scratch_init 0
		.amdhsa_user_sgpr_private_segment_size 0
		.amdhsa_uses_dynamic_stack 0
		.amdhsa_system_sgpr_private_segment_wavefront_offset 0
		.amdhsa_system_sgpr_workgroup_id_x 1
		.amdhsa_system_sgpr_workgroup_id_y 0
		.amdhsa_system_sgpr_workgroup_id_z 0
		.amdhsa_system_sgpr_workgroup_info 0
		.amdhsa_system_vgpr_workitem_id 0
		.amdhsa_next_free_vgpr 1
		.amdhsa_next_free_sgpr 0
		.amdhsa_reserve_vcc 0
		.amdhsa_reserve_flat_scratch 0
		.amdhsa_float_round_mode_32 0
		.amdhsa_float_round_mode_16_64 0
		.amdhsa_float_denorm_mode_32 3
		.amdhsa_float_denorm_mode_16_64 3
		.amdhsa_dx10_clamp 1
		.amdhsa_ieee_mode 1
		.amdhsa_fp16_overflow 0
		.amdhsa_exception_fp_ieee_invalid_op 0
		.amdhsa_exception_fp_denorm_src 0
		.amdhsa_exception_fp_ieee_div_zero 0
		.amdhsa_exception_fp_ieee_overflow 0
		.amdhsa_exception_fp_ieee_underflow 0
		.amdhsa_exception_fp_ieee_inexact 0
		.amdhsa_exception_int_div_zero 0
	.end_amdhsa_kernel
	.section	.text._ZN7rocprim17ROCPRIM_400000_NS6detail17trampoline_kernelINS0_14default_configENS1_25transform_config_selectorIyLb0EEEZNS1_14transform_implILb0ES3_S5_NS0_18transform_iteratorINS0_17counting_iteratorImlEEZNS1_24adjacent_difference_implIS3_Lb1ELb0EPySB_N6thrust23THRUST_200600_302600_NS5minusIyEEEE10hipError_tPvRmT2_T3_mT4_P12ihipStream_tbEUlmE_yEESB_NS0_8identityIvEEEESG_SJ_SK_mSL_SN_bEUlT_E_NS1_11comp_targetILNS1_3genE5ELNS1_11target_archE942ELNS1_3gpuE9ELNS1_3repE0EEENS1_30default_config_static_selectorELNS0_4arch9wavefront6targetE1EEEvT1_,"axG",@progbits,_ZN7rocprim17ROCPRIM_400000_NS6detail17trampoline_kernelINS0_14default_configENS1_25transform_config_selectorIyLb0EEEZNS1_14transform_implILb0ES3_S5_NS0_18transform_iteratorINS0_17counting_iteratorImlEEZNS1_24adjacent_difference_implIS3_Lb1ELb0EPySB_N6thrust23THRUST_200600_302600_NS5minusIyEEEE10hipError_tPvRmT2_T3_mT4_P12ihipStream_tbEUlmE_yEESB_NS0_8identityIvEEEESG_SJ_SK_mSL_SN_bEUlT_E_NS1_11comp_targetILNS1_3genE5ELNS1_11target_archE942ELNS1_3gpuE9ELNS1_3repE0EEENS1_30default_config_static_selectorELNS0_4arch9wavefront6targetE1EEEvT1_,comdat
.Lfunc_end113:
	.size	_ZN7rocprim17ROCPRIM_400000_NS6detail17trampoline_kernelINS0_14default_configENS1_25transform_config_selectorIyLb0EEEZNS1_14transform_implILb0ES3_S5_NS0_18transform_iteratorINS0_17counting_iteratorImlEEZNS1_24adjacent_difference_implIS3_Lb1ELb0EPySB_N6thrust23THRUST_200600_302600_NS5minusIyEEEE10hipError_tPvRmT2_T3_mT4_P12ihipStream_tbEUlmE_yEESB_NS0_8identityIvEEEESG_SJ_SK_mSL_SN_bEUlT_E_NS1_11comp_targetILNS1_3genE5ELNS1_11target_archE942ELNS1_3gpuE9ELNS1_3repE0EEENS1_30default_config_static_selectorELNS0_4arch9wavefront6targetE1EEEvT1_, .Lfunc_end113-_ZN7rocprim17ROCPRIM_400000_NS6detail17trampoline_kernelINS0_14default_configENS1_25transform_config_selectorIyLb0EEEZNS1_14transform_implILb0ES3_S5_NS0_18transform_iteratorINS0_17counting_iteratorImlEEZNS1_24adjacent_difference_implIS3_Lb1ELb0EPySB_N6thrust23THRUST_200600_302600_NS5minusIyEEEE10hipError_tPvRmT2_T3_mT4_P12ihipStream_tbEUlmE_yEESB_NS0_8identityIvEEEESG_SJ_SK_mSL_SN_bEUlT_E_NS1_11comp_targetILNS1_3genE5ELNS1_11target_archE942ELNS1_3gpuE9ELNS1_3repE0EEENS1_30default_config_static_selectorELNS0_4arch9wavefront6targetE1EEEvT1_
                                        ; -- End function
	.set _ZN7rocprim17ROCPRIM_400000_NS6detail17trampoline_kernelINS0_14default_configENS1_25transform_config_selectorIyLb0EEEZNS1_14transform_implILb0ES3_S5_NS0_18transform_iteratorINS0_17counting_iteratorImlEEZNS1_24adjacent_difference_implIS3_Lb1ELb0EPySB_N6thrust23THRUST_200600_302600_NS5minusIyEEEE10hipError_tPvRmT2_T3_mT4_P12ihipStream_tbEUlmE_yEESB_NS0_8identityIvEEEESG_SJ_SK_mSL_SN_bEUlT_E_NS1_11comp_targetILNS1_3genE5ELNS1_11target_archE942ELNS1_3gpuE9ELNS1_3repE0EEENS1_30default_config_static_selectorELNS0_4arch9wavefront6targetE1EEEvT1_.num_vgpr, 0
	.set _ZN7rocprim17ROCPRIM_400000_NS6detail17trampoline_kernelINS0_14default_configENS1_25transform_config_selectorIyLb0EEEZNS1_14transform_implILb0ES3_S5_NS0_18transform_iteratorINS0_17counting_iteratorImlEEZNS1_24adjacent_difference_implIS3_Lb1ELb0EPySB_N6thrust23THRUST_200600_302600_NS5minusIyEEEE10hipError_tPvRmT2_T3_mT4_P12ihipStream_tbEUlmE_yEESB_NS0_8identityIvEEEESG_SJ_SK_mSL_SN_bEUlT_E_NS1_11comp_targetILNS1_3genE5ELNS1_11target_archE942ELNS1_3gpuE9ELNS1_3repE0EEENS1_30default_config_static_selectorELNS0_4arch9wavefront6targetE1EEEvT1_.num_agpr, 0
	.set _ZN7rocprim17ROCPRIM_400000_NS6detail17trampoline_kernelINS0_14default_configENS1_25transform_config_selectorIyLb0EEEZNS1_14transform_implILb0ES3_S5_NS0_18transform_iteratorINS0_17counting_iteratorImlEEZNS1_24adjacent_difference_implIS3_Lb1ELb0EPySB_N6thrust23THRUST_200600_302600_NS5minusIyEEEE10hipError_tPvRmT2_T3_mT4_P12ihipStream_tbEUlmE_yEESB_NS0_8identityIvEEEESG_SJ_SK_mSL_SN_bEUlT_E_NS1_11comp_targetILNS1_3genE5ELNS1_11target_archE942ELNS1_3gpuE9ELNS1_3repE0EEENS1_30default_config_static_selectorELNS0_4arch9wavefront6targetE1EEEvT1_.numbered_sgpr, 0
	.set _ZN7rocprim17ROCPRIM_400000_NS6detail17trampoline_kernelINS0_14default_configENS1_25transform_config_selectorIyLb0EEEZNS1_14transform_implILb0ES3_S5_NS0_18transform_iteratorINS0_17counting_iteratorImlEEZNS1_24adjacent_difference_implIS3_Lb1ELb0EPySB_N6thrust23THRUST_200600_302600_NS5minusIyEEEE10hipError_tPvRmT2_T3_mT4_P12ihipStream_tbEUlmE_yEESB_NS0_8identityIvEEEESG_SJ_SK_mSL_SN_bEUlT_E_NS1_11comp_targetILNS1_3genE5ELNS1_11target_archE942ELNS1_3gpuE9ELNS1_3repE0EEENS1_30default_config_static_selectorELNS0_4arch9wavefront6targetE1EEEvT1_.num_named_barrier, 0
	.set _ZN7rocprim17ROCPRIM_400000_NS6detail17trampoline_kernelINS0_14default_configENS1_25transform_config_selectorIyLb0EEEZNS1_14transform_implILb0ES3_S5_NS0_18transform_iteratorINS0_17counting_iteratorImlEEZNS1_24adjacent_difference_implIS3_Lb1ELb0EPySB_N6thrust23THRUST_200600_302600_NS5minusIyEEEE10hipError_tPvRmT2_T3_mT4_P12ihipStream_tbEUlmE_yEESB_NS0_8identityIvEEEESG_SJ_SK_mSL_SN_bEUlT_E_NS1_11comp_targetILNS1_3genE5ELNS1_11target_archE942ELNS1_3gpuE9ELNS1_3repE0EEENS1_30default_config_static_selectorELNS0_4arch9wavefront6targetE1EEEvT1_.private_seg_size, 0
	.set _ZN7rocprim17ROCPRIM_400000_NS6detail17trampoline_kernelINS0_14default_configENS1_25transform_config_selectorIyLb0EEEZNS1_14transform_implILb0ES3_S5_NS0_18transform_iteratorINS0_17counting_iteratorImlEEZNS1_24adjacent_difference_implIS3_Lb1ELb0EPySB_N6thrust23THRUST_200600_302600_NS5minusIyEEEE10hipError_tPvRmT2_T3_mT4_P12ihipStream_tbEUlmE_yEESB_NS0_8identityIvEEEESG_SJ_SK_mSL_SN_bEUlT_E_NS1_11comp_targetILNS1_3genE5ELNS1_11target_archE942ELNS1_3gpuE9ELNS1_3repE0EEENS1_30default_config_static_selectorELNS0_4arch9wavefront6targetE1EEEvT1_.uses_vcc, 0
	.set _ZN7rocprim17ROCPRIM_400000_NS6detail17trampoline_kernelINS0_14default_configENS1_25transform_config_selectorIyLb0EEEZNS1_14transform_implILb0ES3_S5_NS0_18transform_iteratorINS0_17counting_iteratorImlEEZNS1_24adjacent_difference_implIS3_Lb1ELb0EPySB_N6thrust23THRUST_200600_302600_NS5minusIyEEEE10hipError_tPvRmT2_T3_mT4_P12ihipStream_tbEUlmE_yEESB_NS0_8identityIvEEEESG_SJ_SK_mSL_SN_bEUlT_E_NS1_11comp_targetILNS1_3genE5ELNS1_11target_archE942ELNS1_3gpuE9ELNS1_3repE0EEENS1_30default_config_static_selectorELNS0_4arch9wavefront6targetE1EEEvT1_.uses_flat_scratch, 0
	.set _ZN7rocprim17ROCPRIM_400000_NS6detail17trampoline_kernelINS0_14default_configENS1_25transform_config_selectorIyLb0EEEZNS1_14transform_implILb0ES3_S5_NS0_18transform_iteratorINS0_17counting_iteratorImlEEZNS1_24adjacent_difference_implIS3_Lb1ELb0EPySB_N6thrust23THRUST_200600_302600_NS5minusIyEEEE10hipError_tPvRmT2_T3_mT4_P12ihipStream_tbEUlmE_yEESB_NS0_8identityIvEEEESG_SJ_SK_mSL_SN_bEUlT_E_NS1_11comp_targetILNS1_3genE5ELNS1_11target_archE942ELNS1_3gpuE9ELNS1_3repE0EEENS1_30default_config_static_selectorELNS0_4arch9wavefront6targetE1EEEvT1_.has_dyn_sized_stack, 0
	.set _ZN7rocprim17ROCPRIM_400000_NS6detail17trampoline_kernelINS0_14default_configENS1_25transform_config_selectorIyLb0EEEZNS1_14transform_implILb0ES3_S5_NS0_18transform_iteratorINS0_17counting_iteratorImlEEZNS1_24adjacent_difference_implIS3_Lb1ELb0EPySB_N6thrust23THRUST_200600_302600_NS5minusIyEEEE10hipError_tPvRmT2_T3_mT4_P12ihipStream_tbEUlmE_yEESB_NS0_8identityIvEEEESG_SJ_SK_mSL_SN_bEUlT_E_NS1_11comp_targetILNS1_3genE5ELNS1_11target_archE942ELNS1_3gpuE9ELNS1_3repE0EEENS1_30default_config_static_selectorELNS0_4arch9wavefront6targetE1EEEvT1_.has_recursion, 0
	.set _ZN7rocprim17ROCPRIM_400000_NS6detail17trampoline_kernelINS0_14default_configENS1_25transform_config_selectorIyLb0EEEZNS1_14transform_implILb0ES3_S5_NS0_18transform_iteratorINS0_17counting_iteratorImlEEZNS1_24adjacent_difference_implIS3_Lb1ELb0EPySB_N6thrust23THRUST_200600_302600_NS5minusIyEEEE10hipError_tPvRmT2_T3_mT4_P12ihipStream_tbEUlmE_yEESB_NS0_8identityIvEEEESG_SJ_SK_mSL_SN_bEUlT_E_NS1_11comp_targetILNS1_3genE5ELNS1_11target_archE942ELNS1_3gpuE9ELNS1_3repE0EEENS1_30default_config_static_selectorELNS0_4arch9wavefront6targetE1EEEvT1_.has_indirect_call, 0
	.section	.AMDGPU.csdata,"",@progbits
; Kernel info:
; codeLenInByte = 0
; TotalNumSgprs: 4
; NumVgprs: 0
; ScratchSize: 0
; MemoryBound: 0
; FloatMode: 240
; IeeeMode: 1
; LDSByteSize: 0 bytes/workgroup (compile time only)
; SGPRBlocks: 0
; VGPRBlocks: 0
; NumSGPRsForWavesPerEU: 4
; NumVGPRsForWavesPerEU: 1
; Occupancy: 10
; WaveLimiterHint : 0
; COMPUTE_PGM_RSRC2:SCRATCH_EN: 0
; COMPUTE_PGM_RSRC2:USER_SGPR: 6
; COMPUTE_PGM_RSRC2:TRAP_HANDLER: 0
; COMPUTE_PGM_RSRC2:TGID_X_EN: 1
; COMPUTE_PGM_RSRC2:TGID_Y_EN: 0
; COMPUTE_PGM_RSRC2:TGID_Z_EN: 0
; COMPUTE_PGM_RSRC2:TIDIG_COMP_CNT: 0
	.section	.text._ZN7rocprim17ROCPRIM_400000_NS6detail17trampoline_kernelINS0_14default_configENS1_25transform_config_selectorIyLb0EEEZNS1_14transform_implILb0ES3_S5_NS0_18transform_iteratorINS0_17counting_iteratorImlEEZNS1_24adjacent_difference_implIS3_Lb1ELb0EPySB_N6thrust23THRUST_200600_302600_NS5minusIyEEEE10hipError_tPvRmT2_T3_mT4_P12ihipStream_tbEUlmE_yEESB_NS0_8identityIvEEEESG_SJ_SK_mSL_SN_bEUlT_E_NS1_11comp_targetILNS1_3genE4ELNS1_11target_archE910ELNS1_3gpuE8ELNS1_3repE0EEENS1_30default_config_static_selectorELNS0_4arch9wavefront6targetE1EEEvT1_,"axG",@progbits,_ZN7rocprim17ROCPRIM_400000_NS6detail17trampoline_kernelINS0_14default_configENS1_25transform_config_selectorIyLb0EEEZNS1_14transform_implILb0ES3_S5_NS0_18transform_iteratorINS0_17counting_iteratorImlEEZNS1_24adjacent_difference_implIS3_Lb1ELb0EPySB_N6thrust23THRUST_200600_302600_NS5minusIyEEEE10hipError_tPvRmT2_T3_mT4_P12ihipStream_tbEUlmE_yEESB_NS0_8identityIvEEEESG_SJ_SK_mSL_SN_bEUlT_E_NS1_11comp_targetILNS1_3genE4ELNS1_11target_archE910ELNS1_3gpuE8ELNS1_3repE0EEENS1_30default_config_static_selectorELNS0_4arch9wavefront6targetE1EEEvT1_,comdat
	.protected	_ZN7rocprim17ROCPRIM_400000_NS6detail17trampoline_kernelINS0_14default_configENS1_25transform_config_selectorIyLb0EEEZNS1_14transform_implILb0ES3_S5_NS0_18transform_iteratorINS0_17counting_iteratorImlEEZNS1_24adjacent_difference_implIS3_Lb1ELb0EPySB_N6thrust23THRUST_200600_302600_NS5minusIyEEEE10hipError_tPvRmT2_T3_mT4_P12ihipStream_tbEUlmE_yEESB_NS0_8identityIvEEEESG_SJ_SK_mSL_SN_bEUlT_E_NS1_11comp_targetILNS1_3genE4ELNS1_11target_archE910ELNS1_3gpuE8ELNS1_3repE0EEENS1_30default_config_static_selectorELNS0_4arch9wavefront6targetE1EEEvT1_ ; -- Begin function _ZN7rocprim17ROCPRIM_400000_NS6detail17trampoline_kernelINS0_14default_configENS1_25transform_config_selectorIyLb0EEEZNS1_14transform_implILb0ES3_S5_NS0_18transform_iteratorINS0_17counting_iteratorImlEEZNS1_24adjacent_difference_implIS3_Lb1ELb0EPySB_N6thrust23THRUST_200600_302600_NS5minusIyEEEE10hipError_tPvRmT2_T3_mT4_P12ihipStream_tbEUlmE_yEESB_NS0_8identityIvEEEESG_SJ_SK_mSL_SN_bEUlT_E_NS1_11comp_targetILNS1_3genE4ELNS1_11target_archE910ELNS1_3gpuE8ELNS1_3repE0EEENS1_30default_config_static_selectorELNS0_4arch9wavefront6targetE1EEEvT1_
	.globl	_ZN7rocprim17ROCPRIM_400000_NS6detail17trampoline_kernelINS0_14default_configENS1_25transform_config_selectorIyLb0EEEZNS1_14transform_implILb0ES3_S5_NS0_18transform_iteratorINS0_17counting_iteratorImlEEZNS1_24adjacent_difference_implIS3_Lb1ELb0EPySB_N6thrust23THRUST_200600_302600_NS5minusIyEEEE10hipError_tPvRmT2_T3_mT4_P12ihipStream_tbEUlmE_yEESB_NS0_8identityIvEEEESG_SJ_SK_mSL_SN_bEUlT_E_NS1_11comp_targetILNS1_3genE4ELNS1_11target_archE910ELNS1_3gpuE8ELNS1_3repE0EEENS1_30default_config_static_selectorELNS0_4arch9wavefront6targetE1EEEvT1_
	.p2align	8
	.type	_ZN7rocprim17ROCPRIM_400000_NS6detail17trampoline_kernelINS0_14default_configENS1_25transform_config_selectorIyLb0EEEZNS1_14transform_implILb0ES3_S5_NS0_18transform_iteratorINS0_17counting_iteratorImlEEZNS1_24adjacent_difference_implIS3_Lb1ELb0EPySB_N6thrust23THRUST_200600_302600_NS5minusIyEEEE10hipError_tPvRmT2_T3_mT4_P12ihipStream_tbEUlmE_yEESB_NS0_8identityIvEEEESG_SJ_SK_mSL_SN_bEUlT_E_NS1_11comp_targetILNS1_3genE4ELNS1_11target_archE910ELNS1_3gpuE8ELNS1_3repE0EEENS1_30default_config_static_selectorELNS0_4arch9wavefront6targetE1EEEvT1_,@function
_ZN7rocprim17ROCPRIM_400000_NS6detail17trampoline_kernelINS0_14default_configENS1_25transform_config_selectorIyLb0EEEZNS1_14transform_implILb0ES3_S5_NS0_18transform_iteratorINS0_17counting_iteratorImlEEZNS1_24adjacent_difference_implIS3_Lb1ELb0EPySB_N6thrust23THRUST_200600_302600_NS5minusIyEEEE10hipError_tPvRmT2_T3_mT4_P12ihipStream_tbEUlmE_yEESB_NS0_8identityIvEEEESG_SJ_SK_mSL_SN_bEUlT_E_NS1_11comp_targetILNS1_3genE4ELNS1_11target_archE910ELNS1_3gpuE8ELNS1_3repE0EEENS1_30default_config_static_selectorELNS0_4arch9wavefront6targetE1EEEvT1_: ; @_ZN7rocprim17ROCPRIM_400000_NS6detail17trampoline_kernelINS0_14default_configENS1_25transform_config_selectorIyLb0EEEZNS1_14transform_implILb0ES3_S5_NS0_18transform_iteratorINS0_17counting_iteratorImlEEZNS1_24adjacent_difference_implIS3_Lb1ELb0EPySB_N6thrust23THRUST_200600_302600_NS5minusIyEEEE10hipError_tPvRmT2_T3_mT4_P12ihipStream_tbEUlmE_yEESB_NS0_8identityIvEEEESG_SJ_SK_mSL_SN_bEUlT_E_NS1_11comp_targetILNS1_3genE4ELNS1_11target_archE910ELNS1_3gpuE8ELNS1_3repE0EEENS1_30default_config_static_selectorELNS0_4arch9wavefront6targetE1EEEvT1_
; %bb.0:
	.section	.rodata,"a",@progbits
	.p2align	6, 0x0
	.amdhsa_kernel _ZN7rocprim17ROCPRIM_400000_NS6detail17trampoline_kernelINS0_14default_configENS1_25transform_config_selectorIyLb0EEEZNS1_14transform_implILb0ES3_S5_NS0_18transform_iteratorINS0_17counting_iteratorImlEEZNS1_24adjacent_difference_implIS3_Lb1ELb0EPySB_N6thrust23THRUST_200600_302600_NS5minusIyEEEE10hipError_tPvRmT2_T3_mT4_P12ihipStream_tbEUlmE_yEESB_NS0_8identityIvEEEESG_SJ_SK_mSL_SN_bEUlT_E_NS1_11comp_targetILNS1_3genE4ELNS1_11target_archE910ELNS1_3gpuE8ELNS1_3repE0EEENS1_30default_config_static_selectorELNS0_4arch9wavefront6targetE1EEEvT1_
		.amdhsa_group_segment_fixed_size 0
		.amdhsa_private_segment_fixed_size 0
		.amdhsa_kernarg_size 56
		.amdhsa_user_sgpr_count 6
		.amdhsa_user_sgpr_private_segment_buffer 1
		.amdhsa_user_sgpr_dispatch_ptr 0
		.amdhsa_user_sgpr_queue_ptr 0
		.amdhsa_user_sgpr_kernarg_segment_ptr 1
		.amdhsa_user_sgpr_dispatch_id 0
		.amdhsa_user_sgpr_flat_scratch_init 0
		.amdhsa_user_sgpr_private_segment_size 0
		.amdhsa_uses_dynamic_stack 0
		.amdhsa_system_sgpr_private_segment_wavefront_offset 0
		.amdhsa_system_sgpr_workgroup_id_x 1
		.amdhsa_system_sgpr_workgroup_id_y 0
		.amdhsa_system_sgpr_workgroup_id_z 0
		.amdhsa_system_sgpr_workgroup_info 0
		.amdhsa_system_vgpr_workitem_id 0
		.amdhsa_next_free_vgpr 1
		.amdhsa_next_free_sgpr 0
		.amdhsa_reserve_vcc 0
		.amdhsa_reserve_flat_scratch 0
		.amdhsa_float_round_mode_32 0
		.amdhsa_float_round_mode_16_64 0
		.amdhsa_float_denorm_mode_32 3
		.amdhsa_float_denorm_mode_16_64 3
		.amdhsa_dx10_clamp 1
		.amdhsa_ieee_mode 1
		.amdhsa_fp16_overflow 0
		.amdhsa_exception_fp_ieee_invalid_op 0
		.amdhsa_exception_fp_denorm_src 0
		.amdhsa_exception_fp_ieee_div_zero 0
		.amdhsa_exception_fp_ieee_overflow 0
		.amdhsa_exception_fp_ieee_underflow 0
		.amdhsa_exception_fp_ieee_inexact 0
		.amdhsa_exception_int_div_zero 0
	.end_amdhsa_kernel
	.section	.text._ZN7rocprim17ROCPRIM_400000_NS6detail17trampoline_kernelINS0_14default_configENS1_25transform_config_selectorIyLb0EEEZNS1_14transform_implILb0ES3_S5_NS0_18transform_iteratorINS0_17counting_iteratorImlEEZNS1_24adjacent_difference_implIS3_Lb1ELb0EPySB_N6thrust23THRUST_200600_302600_NS5minusIyEEEE10hipError_tPvRmT2_T3_mT4_P12ihipStream_tbEUlmE_yEESB_NS0_8identityIvEEEESG_SJ_SK_mSL_SN_bEUlT_E_NS1_11comp_targetILNS1_3genE4ELNS1_11target_archE910ELNS1_3gpuE8ELNS1_3repE0EEENS1_30default_config_static_selectorELNS0_4arch9wavefront6targetE1EEEvT1_,"axG",@progbits,_ZN7rocprim17ROCPRIM_400000_NS6detail17trampoline_kernelINS0_14default_configENS1_25transform_config_selectorIyLb0EEEZNS1_14transform_implILb0ES3_S5_NS0_18transform_iteratorINS0_17counting_iteratorImlEEZNS1_24adjacent_difference_implIS3_Lb1ELb0EPySB_N6thrust23THRUST_200600_302600_NS5minusIyEEEE10hipError_tPvRmT2_T3_mT4_P12ihipStream_tbEUlmE_yEESB_NS0_8identityIvEEEESG_SJ_SK_mSL_SN_bEUlT_E_NS1_11comp_targetILNS1_3genE4ELNS1_11target_archE910ELNS1_3gpuE8ELNS1_3repE0EEENS1_30default_config_static_selectorELNS0_4arch9wavefront6targetE1EEEvT1_,comdat
.Lfunc_end114:
	.size	_ZN7rocprim17ROCPRIM_400000_NS6detail17trampoline_kernelINS0_14default_configENS1_25transform_config_selectorIyLb0EEEZNS1_14transform_implILb0ES3_S5_NS0_18transform_iteratorINS0_17counting_iteratorImlEEZNS1_24adjacent_difference_implIS3_Lb1ELb0EPySB_N6thrust23THRUST_200600_302600_NS5minusIyEEEE10hipError_tPvRmT2_T3_mT4_P12ihipStream_tbEUlmE_yEESB_NS0_8identityIvEEEESG_SJ_SK_mSL_SN_bEUlT_E_NS1_11comp_targetILNS1_3genE4ELNS1_11target_archE910ELNS1_3gpuE8ELNS1_3repE0EEENS1_30default_config_static_selectorELNS0_4arch9wavefront6targetE1EEEvT1_, .Lfunc_end114-_ZN7rocprim17ROCPRIM_400000_NS6detail17trampoline_kernelINS0_14default_configENS1_25transform_config_selectorIyLb0EEEZNS1_14transform_implILb0ES3_S5_NS0_18transform_iteratorINS0_17counting_iteratorImlEEZNS1_24adjacent_difference_implIS3_Lb1ELb0EPySB_N6thrust23THRUST_200600_302600_NS5minusIyEEEE10hipError_tPvRmT2_T3_mT4_P12ihipStream_tbEUlmE_yEESB_NS0_8identityIvEEEESG_SJ_SK_mSL_SN_bEUlT_E_NS1_11comp_targetILNS1_3genE4ELNS1_11target_archE910ELNS1_3gpuE8ELNS1_3repE0EEENS1_30default_config_static_selectorELNS0_4arch9wavefront6targetE1EEEvT1_
                                        ; -- End function
	.set _ZN7rocprim17ROCPRIM_400000_NS6detail17trampoline_kernelINS0_14default_configENS1_25transform_config_selectorIyLb0EEEZNS1_14transform_implILb0ES3_S5_NS0_18transform_iteratorINS0_17counting_iteratorImlEEZNS1_24adjacent_difference_implIS3_Lb1ELb0EPySB_N6thrust23THRUST_200600_302600_NS5minusIyEEEE10hipError_tPvRmT2_T3_mT4_P12ihipStream_tbEUlmE_yEESB_NS0_8identityIvEEEESG_SJ_SK_mSL_SN_bEUlT_E_NS1_11comp_targetILNS1_3genE4ELNS1_11target_archE910ELNS1_3gpuE8ELNS1_3repE0EEENS1_30default_config_static_selectorELNS0_4arch9wavefront6targetE1EEEvT1_.num_vgpr, 0
	.set _ZN7rocprim17ROCPRIM_400000_NS6detail17trampoline_kernelINS0_14default_configENS1_25transform_config_selectorIyLb0EEEZNS1_14transform_implILb0ES3_S5_NS0_18transform_iteratorINS0_17counting_iteratorImlEEZNS1_24adjacent_difference_implIS3_Lb1ELb0EPySB_N6thrust23THRUST_200600_302600_NS5minusIyEEEE10hipError_tPvRmT2_T3_mT4_P12ihipStream_tbEUlmE_yEESB_NS0_8identityIvEEEESG_SJ_SK_mSL_SN_bEUlT_E_NS1_11comp_targetILNS1_3genE4ELNS1_11target_archE910ELNS1_3gpuE8ELNS1_3repE0EEENS1_30default_config_static_selectorELNS0_4arch9wavefront6targetE1EEEvT1_.num_agpr, 0
	.set _ZN7rocprim17ROCPRIM_400000_NS6detail17trampoline_kernelINS0_14default_configENS1_25transform_config_selectorIyLb0EEEZNS1_14transform_implILb0ES3_S5_NS0_18transform_iteratorINS0_17counting_iteratorImlEEZNS1_24adjacent_difference_implIS3_Lb1ELb0EPySB_N6thrust23THRUST_200600_302600_NS5minusIyEEEE10hipError_tPvRmT2_T3_mT4_P12ihipStream_tbEUlmE_yEESB_NS0_8identityIvEEEESG_SJ_SK_mSL_SN_bEUlT_E_NS1_11comp_targetILNS1_3genE4ELNS1_11target_archE910ELNS1_3gpuE8ELNS1_3repE0EEENS1_30default_config_static_selectorELNS0_4arch9wavefront6targetE1EEEvT1_.numbered_sgpr, 0
	.set _ZN7rocprim17ROCPRIM_400000_NS6detail17trampoline_kernelINS0_14default_configENS1_25transform_config_selectorIyLb0EEEZNS1_14transform_implILb0ES3_S5_NS0_18transform_iteratorINS0_17counting_iteratorImlEEZNS1_24adjacent_difference_implIS3_Lb1ELb0EPySB_N6thrust23THRUST_200600_302600_NS5minusIyEEEE10hipError_tPvRmT2_T3_mT4_P12ihipStream_tbEUlmE_yEESB_NS0_8identityIvEEEESG_SJ_SK_mSL_SN_bEUlT_E_NS1_11comp_targetILNS1_3genE4ELNS1_11target_archE910ELNS1_3gpuE8ELNS1_3repE0EEENS1_30default_config_static_selectorELNS0_4arch9wavefront6targetE1EEEvT1_.num_named_barrier, 0
	.set _ZN7rocprim17ROCPRIM_400000_NS6detail17trampoline_kernelINS0_14default_configENS1_25transform_config_selectorIyLb0EEEZNS1_14transform_implILb0ES3_S5_NS0_18transform_iteratorINS0_17counting_iteratorImlEEZNS1_24adjacent_difference_implIS3_Lb1ELb0EPySB_N6thrust23THRUST_200600_302600_NS5minusIyEEEE10hipError_tPvRmT2_T3_mT4_P12ihipStream_tbEUlmE_yEESB_NS0_8identityIvEEEESG_SJ_SK_mSL_SN_bEUlT_E_NS1_11comp_targetILNS1_3genE4ELNS1_11target_archE910ELNS1_3gpuE8ELNS1_3repE0EEENS1_30default_config_static_selectorELNS0_4arch9wavefront6targetE1EEEvT1_.private_seg_size, 0
	.set _ZN7rocprim17ROCPRIM_400000_NS6detail17trampoline_kernelINS0_14default_configENS1_25transform_config_selectorIyLb0EEEZNS1_14transform_implILb0ES3_S5_NS0_18transform_iteratorINS0_17counting_iteratorImlEEZNS1_24adjacent_difference_implIS3_Lb1ELb0EPySB_N6thrust23THRUST_200600_302600_NS5minusIyEEEE10hipError_tPvRmT2_T3_mT4_P12ihipStream_tbEUlmE_yEESB_NS0_8identityIvEEEESG_SJ_SK_mSL_SN_bEUlT_E_NS1_11comp_targetILNS1_3genE4ELNS1_11target_archE910ELNS1_3gpuE8ELNS1_3repE0EEENS1_30default_config_static_selectorELNS0_4arch9wavefront6targetE1EEEvT1_.uses_vcc, 0
	.set _ZN7rocprim17ROCPRIM_400000_NS6detail17trampoline_kernelINS0_14default_configENS1_25transform_config_selectorIyLb0EEEZNS1_14transform_implILb0ES3_S5_NS0_18transform_iteratorINS0_17counting_iteratorImlEEZNS1_24adjacent_difference_implIS3_Lb1ELb0EPySB_N6thrust23THRUST_200600_302600_NS5minusIyEEEE10hipError_tPvRmT2_T3_mT4_P12ihipStream_tbEUlmE_yEESB_NS0_8identityIvEEEESG_SJ_SK_mSL_SN_bEUlT_E_NS1_11comp_targetILNS1_3genE4ELNS1_11target_archE910ELNS1_3gpuE8ELNS1_3repE0EEENS1_30default_config_static_selectorELNS0_4arch9wavefront6targetE1EEEvT1_.uses_flat_scratch, 0
	.set _ZN7rocprim17ROCPRIM_400000_NS6detail17trampoline_kernelINS0_14default_configENS1_25transform_config_selectorIyLb0EEEZNS1_14transform_implILb0ES3_S5_NS0_18transform_iteratorINS0_17counting_iteratorImlEEZNS1_24adjacent_difference_implIS3_Lb1ELb0EPySB_N6thrust23THRUST_200600_302600_NS5minusIyEEEE10hipError_tPvRmT2_T3_mT4_P12ihipStream_tbEUlmE_yEESB_NS0_8identityIvEEEESG_SJ_SK_mSL_SN_bEUlT_E_NS1_11comp_targetILNS1_3genE4ELNS1_11target_archE910ELNS1_3gpuE8ELNS1_3repE0EEENS1_30default_config_static_selectorELNS0_4arch9wavefront6targetE1EEEvT1_.has_dyn_sized_stack, 0
	.set _ZN7rocprim17ROCPRIM_400000_NS6detail17trampoline_kernelINS0_14default_configENS1_25transform_config_selectorIyLb0EEEZNS1_14transform_implILb0ES3_S5_NS0_18transform_iteratorINS0_17counting_iteratorImlEEZNS1_24adjacent_difference_implIS3_Lb1ELb0EPySB_N6thrust23THRUST_200600_302600_NS5minusIyEEEE10hipError_tPvRmT2_T3_mT4_P12ihipStream_tbEUlmE_yEESB_NS0_8identityIvEEEESG_SJ_SK_mSL_SN_bEUlT_E_NS1_11comp_targetILNS1_3genE4ELNS1_11target_archE910ELNS1_3gpuE8ELNS1_3repE0EEENS1_30default_config_static_selectorELNS0_4arch9wavefront6targetE1EEEvT1_.has_recursion, 0
	.set _ZN7rocprim17ROCPRIM_400000_NS6detail17trampoline_kernelINS0_14default_configENS1_25transform_config_selectorIyLb0EEEZNS1_14transform_implILb0ES3_S5_NS0_18transform_iteratorINS0_17counting_iteratorImlEEZNS1_24adjacent_difference_implIS3_Lb1ELb0EPySB_N6thrust23THRUST_200600_302600_NS5minusIyEEEE10hipError_tPvRmT2_T3_mT4_P12ihipStream_tbEUlmE_yEESB_NS0_8identityIvEEEESG_SJ_SK_mSL_SN_bEUlT_E_NS1_11comp_targetILNS1_3genE4ELNS1_11target_archE910ELNS1_3gpuE8ELNS1_3repE0EEENS1_30default_config_static_selectorELNS0_4arch9wavefront6targetE1EEEvT1_.has_indirect_call, 0
	.section	.AMDGPU.csdata,"",@progbits
; Kernel info:
; codeLenInByte = 0
; TotalNumSgprs: 4
; NumVgprs: 0
; ScratchSize: 0
; MemoryBound: 0
; FloatMode: 240
; IeeeMode: 1
; LDSByteSize: 0 bytes/workgroup (compile time only)
; SGPRBlocks: 0
; VGPRBlocks: 0
; NumSGPRsForWavesPerEU: 4
; NumVGPRsForWavesPerEU: 1
; Occupancy: 10
; WaveLimiterHint : 0
; COMPUTE_PGM_RSRC2:SCRATCH_EN: 0
; COMPUTE_PGM_RSRC2:USER_SGPR: 6
; COMPUTE_PGM_RSRC2:TRAP_HANDLER: 0
; COMPUTE_PGM_RSRC2:TGID_X_EN: 1
; COMPUTE_PGM_RSRC2:TGID_Y_EN: 0
; COMPUTE_PGM_RSRC2:TGID_Z_EN: 0
; COMPUTE_PGM_RSRC2:TIDIG_COMP_CNT: 0
	.section	.text._ZN7rocprim17ROCPRIM_400000_NS6detail17trampoline_kernelINS0_14default_configENS1_25transform_config_selectorIyLb0EEEZNS1_14transform_implILb0ES3_S5_NS0_18transform_iteratorINS0_17counting_iteratorImlEEZNS1_24adjacent_difference_implIS3_Lb1ELb0EPySB_N6thrust23THRUST_200600_302600_NS5minusIyEEEE10hipError_tPvRmT2_T3_mT4_P12ihipStream_tbEUlmE_yEESB_NS0_8identityIvEEEESG_SJ_SK_mSL_SN_bEUlT_E_NS1_11comp_targetILNS1_3genE3ELNS1_11target_archE908ELNS1_3gpuE7ELNS1_3repE0EEENS1_30default_config_static_selectorELNS0_4arch9wavefront6targetE1EEEvT1_,"axG",@progbits,_ZN7rocprim17ROCPRIM_400000_NS6detail17trampoline_kernelINS0_14default_configENS1_25transform_config_selectorIyLb0EEEZNS1_14transform_implILb0ES3_S5_NS0_18transform_iteratorINS0_17counting_iteratorImlEEZNS1_24adjacent_difference_implIS3_Lb1ELb0EPySB_N6thrust23THRUST_200600_302600_NS5minusIyEEEE10hipError_tPvRmT2_T3_mT4_P12ihipStream_tbEUlmE_yEESB_NS0_8identityIvEEEESG_SJ_SK_mSL_SN_bEUlT_E_NS1_11comp_targetILNS1_3genE3ELNS1_11target_archE908ELNS1_3gpuE7ELNS1_3repE0EEENS1_30default_config_static_selectorELNS0_4arch9wavefront6targetE1EEEvT1_,comdat
	.protected	_ZN7rocprim17ROCPRIM_400000_NS6detail17trampoline_kernelINS0_14default_configENS1_25transform_config_selectorIyLb0EEEZNS1_14transform_implILb0ES3_S5_NS0_18transform_iteratorINS0_17counting_iteratorImlEEZNS1_24adjacent_difference_implIS3_Lb1ELb0EPySB_N6thrust23THRUST_200600_302600_NS5minusIyEEEE10hipError_tPvRmT2_T3_mT4_P12ihipStream_tbEUlmE_yEESB_NS0_8identityIvEEEESG_SJ_SK_mSL_SN_bEUlT_E_NS1_11comp_targetILNS1_3genE3ELNS1_11target_archE908ELNS1_3gpuE7ELNS1_3repE0EEENS1_30default_config_static_selectorELNS0_4arch9wavefront6targetE1EEEvT1_ ; -- Begin function _ZN7rocprim17ROCPRIM_400000_NS6detail17trampoline_kernelINS0_14default_configENS1_25transform_config_selectorIyLb0EEEZNS1_14transform_implILb0ES3_S5_NS0_18transform_iteratorINS0_17counting_iteratorImlEEZNS1_24adjacent_difference_implIS3_Lb1ELb0EPySB_N6thrust23THRUST_200600_302600_NS5minusIyEEEE10hipError_tPvRmT2_T3_mT4_P12ihipStream_tbEUlmE_yEESB_NS0_8identityIvEEEESG_SJ_SK_mSL_SN_bEUlT_E_NS1_11comp_targetILNS1_3genE3ELNS1_11target_archE908ELNS1_3gpuE7ELNS1_3repE0EEENS1_30default_config_static_selectorELNS0_4arch9wavefront6targetE1EEEvT1_
	.globl	_ZN7rocprim17ROCPRIM_400000_NS6detail17trampoline_kernelINS0_14default_configENS1_25transform_config_selectorIyLb0EEEZNS1_14transform_implILb0ES3_S5_NS0_18transform_iteratorINS0_17counting_iteratorImlEEZNS1_24adjacent_difference_implIS3_Lb1ELb0EPySB_N6thrust23THRUST_200600_302600_NS5minusIyEEEE10hipError_tPvRmT2_T3_mT4_P12ihipStream_tbEUlmE_yEESB_NS0_8identityIvEEEESG_SJ_SK_mSL_SN_bEUlT_E_NS1_11comp_targetILNS1_3genE3ELNS1_11target_archE908ELNS1_3gpuE7ELNS1_3repE0EEENS1_30default_config_static_selectorELNS0_4arch9wavefront6targetE1EEEvT1_
	.p2align	8
	.type	_ZN7rocprim17ROCPRIM_400000_NS6detail17trampoline_kernelINS0_14default_configENS1_25transform_config_selectorIyLb0EEEZNS1_14transform_implILb0ES3_S5_NS0_18transform_iteratorINS0_17counting_iteratorImlEEZNS1_24adjacent_difference_implIS3_Lb1ELb0EPySB_N6thrust23THRUST_200600_302600_NS5minusIyEEEE10hipError_tPvRmT2_T3_mT4_P12ihipStream_tbEUlmE_yEESB_NS0_8identityIvEEEESG_SJ_SK_mSL_SN_bEUlT_E_NS1_11comp_targetILNS1_3genE3ELNS1_11target_archE908ELNS1_3gpuE7ELNS1_3repE0EEENS1_30default_config_static_selectorELNS0_4arch9wavefront6targetE1EEEvT1_,@function
_ZN7rocprim17ROCPRIM_400000_NS6detail17trampoline_kernelINS0_14default_configENS1_25transform_config_selectorIyLb0EEEZNS1_14transform_implILb0ES3_S5_NS0_18transform_iteratorINS0_17counting_iteratorImlEEZNS1_24adjacent_difference_implIS3_Lb1ELb0EPySB_N6thrust23THRUST_200600_302600_NS5minusIyEEEE10hipError_tPvRmT2_T3_mT4_P12ihipStream_tbEUlmE_yEESB_NS0_8identityIvEEEESG_SJ_SK_mSL_SN_bEUlT_E_NS1_11comp_targetILNS1_3genE3ELNS1_11target_archE908ELNS1_3gpuE7ELNS1_3repE0EEENS1_30default_config_static_selectorELNS0_4arch9wavefront6targetE1EEEvT1_: ; @_ZN7rocprim17ROCPRIM_400000_NS6detail17trampoline_kernelINS0_14default_configENS1_25transform_config_selectorIyLb0EEEZNS1_14transform_implILb0ES3_S5_NS0_18transform_iteratorINS0_17counting_iteratorImlEEZNS1_24adjacent_difference_implIS3_Lb1ELb0EPySB_N6thrust23THRUST_200600_302600_NS5minusIyEEEE10hipError_tPvRmT2_T3_mT4_P12ihipStream_tbEUlmE_yEESB_NS0_8identityIvEEEESG_SJ_SK_mSL_SN_bEUlT_E_NS1_11comp_targetILNS1_3genE3ELNS1_11target_archE908ELNS1_3gpuE7ELNS1_3repE0EEENS1_30default_config_static_selectorELNS0_4arch9wavefront6targetE1EEEvT1_
; %bb.0:
	.section	.rodata,"a",@progbits
	.p2align	6, 0x0
	.amdhsa_kernel _ZN7rocprim17ROCPRIM_400000_NS6detail17trampoline_kernelINS0_14default_configENS1_25transform_config_selectorIyLb0EEEZNS1_14transform_implILb0ES3_S5_NS0_18transform_iteratorINS0_17counting_iteratorImlEEZNS1_24adjacent_difference_implIS3_Lb1ELb0EPySB_N6thrust23THRUST_200600_302600_NS5minusIyEEEE10hipError_tPvRmT2_T3_mT4_P12ihipStream_tbEUlmE_yEESB_NS0_8identityIvEEEESG_SJ_SK_mSL_SN_bEUlT_E_NS1_11comp_targetILNS1_3genE3ELNS1_11target_archE908ELNS1_3gpuE7ELNS1_3repE0EEENS1_30default_config_static_selectorELNS0_4arch9wavefront6targetE1EEEvT1_
		.amdhsa_group_segment_fixed_size 0
		.amdhsa_private_segment_fixed_size 0
		.amdhsa_kernarg_size 56
		.amdhsa_user_sgpr_count 6
		.amdhsa_user_sgpr_private_segment_buffer 1
		.amdhsa_user_sgpr_dispatch_ptr 0
		.amdhsa_user_sgpr_queue_ptr 0
		.amdhsa_user_sgpr_kernarg_segment_ptr 1
		.amdhsa_user_sgpr_dispatch_id 0
		.amdhsa_user_sgpr_flat_scratch_init 0
		.amdhsa_user_sgpr_private_segment_size 0
		.amdhsa_uses_dynamic_stack 0
		.amdhsa_system_sgpr_private_segment_wavefront_offset 0
		.amdhsa_system_sgpr_workgroup_id_x 1
		.amdhsa_system_sgpr_workgroup_id_y 0
		.amdhsa_system_sgpr_workgroup_id_z 0
		.amdhsa_system_sgpr_workgroup_info 0
		.amdhsa_system_vgpr_workitem_id 0
		.amdhsa_next_free_vgpr 1
		.amdhsa_next_free_sgpr 0
		.amdhsa_reserve_vcc 0
		.amdhsa_reserve_flat_scratch 0
		.amdhsa_float_round_mode_32 0
		.amdhsa_float_round_mode_16_64 0
		.amdhsa_float_denorm_mode_32 3
		.amdhsa_float_denorm_mode_16_64 3
		.amdhsa_dx10_clamp 1
		.amdhsa_ieee_mode 1
		.amdhsa_fp16_overflow 0
		.amdhsa_exception_fp_ieee_invalid_op 0
		.amdhsa_exception_fp_denorm_src 0
		.amdhsa_exception_fp_ieee_div_zero 0
		.amdhsa_exception_fp_ieee_overflow 0
		.amdhsa_exception_fp_ieee_underflow 0
		.amdhsa_exception_fp_ieee_inexact 0
		.amdhsa_exception_int_div_zero 0
	.end_amdhsa_kernel
	.section	.text._ZN7rocprim17ROCPRIM_400000_NS6detail17trampoline_kernelINS0_14default_configENS1_25transform_config_selectorIyLb0EEEZNS1_14transform_implILb0ES3_S5_NS0_18transform_iteratorINS0_17counting_iteratorImlEEZNS1_24adjacent_difference_implIS3_Lb1ELb0EPySB_N6thrust23THRUST_200600_302600_NS5minusIyEEEE10hipError_tPvRmT2_T3_mT4_P12ihipStream_tbEUlmE_yEESB_NS0_8identityIvEEEESG_SJ_SK_mSL_SN_bEUlT_E_NS1_11comp_targetILNS1_3genE3ELNS1_11target_archE908ELNS1_3gpuE7ELNS1_3repE0EEENS1_30default_config_static_selectorELNS0_4arch9wavefront6targetE1EEEvT1_,"axG",@progbits,_ZN7rocprim17ROCPRIM_400000_NS6detail17trampoline_kernelINS0_14default_configENS1_25transform_config_selectorIyLb0EEEZNS1_14transform_implILb0ES3_S5_NS0_18transform_iteratorINS0_17counting_iteratorImlEEZNS1_24adjacent_difference_implIS3_Lb1ELb0EPySB_N6thrust23THRUST_200600_302600_NS5minusIyEEEE10hipError_tPvRmT2_T3_mT4_P12ihipStream_tbEUlmE_yEESB_NS0_8identityIvEEEESG_SJ_SK_mSL_SN_bEUlT_E_NS1_11comp_targetILNS1_3genE3ELNS1_11target_archE908ELNS1_3gpuE7ELNS1_3repE0EEENS1_30default_config_static_selectorELNS0_4arch9wavefront6targetE1EEEvT1_,comdat
.Lfunc_end115:
	.size	_ZN7rocprim17ROCPRIM_400000_NS6detail17trampoline_kernelINS0_14default_configENS1_25transform_config_selectorIyLb0EEEZNS1_14transform_implILb0ES3_S5_NS0_18transform_iteratorINS0_17counting_iteratorImlEEZNS1_24adjacent_difference_implIS3_Lb1ELb0EPySB_N6thrust23THRUST_200600_302600_NS5minusIyEEEE10hipError_tPvRmT2_T3_mT4_P12ihipStream_tbEUlmE_yEESB_NS0_8identityIvEEEESG_SJ_SK_mSL_SN_bEUlT_E_NS1_11comp_targetILNS1_3genE3ELNS1_11target_archE908ELNS1_3gpuE7ELNS1_3repE0EEENS1_30default_config_static_selectorELNS0_4arch9wavefront6targetE1EEEvT1_, .Lfunc_end115-_ZN7rocprim17ROCPRIM_400000_NS6detail17trampoline_kernelINS0_14default_configENS1_25transform_config_selectorIyLb0EEEZNS1_14transform_implILb0ES3_S5_NS0_18transform_iteratorINS0_17counting_iteratorImlEEZNS1_24adjacent_difference_implIS3_Lb1ELb0EPySB_N6thrust23THRUST_200600_302600_NS5minusIyEEEE10hipError_tPvRmT2_T3_mT4_P12ihipStream_tbEUlmE_yEESB_NS0_8identityIvEEEESG_SJ_SK_mSL_SN_bEUlT_E_NS1_11comp_targetILNS1_3genE3ELNS1_11target_archE908ELNS1_3gpuE7ELNS1_3repE0EEENS1_30default_config_static_selectorELNS0_4arch9wavefront6targetE1EEEvT1_
                                        ; -- End function
	.set _ZN7rocprim17ROCPRIM_400000_NS6detail17trampoline_kernelINS0_14default_configENS1_25transform_config_selectorIyLb0EEEZNS1_14transform_implILb0ES3_S5_NS0_18transform_iteratorINS0_17counting_iteratorImlEEZNS1_24adjacent_difference_implIS3_Lb1ELb0EPySB_N6thrust23THRUST_200600_302600_NS5minusIyEEEE10hipError_tPvRmT2_T3_mT4_P12ihipStream_tbEUlmE_yEESB_NS0_8identityIvEEEESG_SJ_SK_mSL_SN_bEUlT_E_NS1_11comp_targetILNS1_3genE3ELNS1_11target_archE908ELNS1_3gpuE7ELNS1_3repE0EEENS1_30default_config_static_selectorELNS0_4arch9wavefront6targetE1EEEvT1_.num_vgpr, 0
	.set _ZN7rocprim17ROCPRIM_400000_NS6detail17trampoline_kernelINS0_14default_configENS1_25transform_config_selectorIyLb0EEEZNS1_14transform_implILb0ES3_S5_NS0_18transform_iteratorINS0_17counting_iteratorImlEEZNS1_24adjacent_difference_implIS3_Lb1ELb0EPySB_N6thrust23THRUST_200600_302600_NS5minusIyEEEE10hipError_tPvRmT2_T3_mT4_P12ihipStream_tbEUlmE_yEESB_NS0_8identityIvEEEESG_SJ_SK_mSL_SN_bEUlT_E_NS1_11comp_targetILNS1_3genE3ELNS1_11target_archE908ELNS1_3gpuE7ELNS1_3repE0EEENS1_30default_config_static_selectorELNS0_4arch9wavefront6targetE1EEEvT1_.num_agpr, 0
	.set _ZN7rocprim17ROCPRIM_400000_NS6detail17trampoline_kernelINS0_14default_configENS1_25transform_config_selectorIyLb0EEEZNS1_14transform_implILb0ES3_S5_NS0_18transform_iteratorINS0_17counting_iteratorImlEEZNS1_24adjacent_difference_implIS3_Lb1ELb0EPySB_N6thrust23THRUST_200600_302600_NS5minusIyEEEE10hipError_tPvRmT2_T3_mT4_P12ihipStream_tbEUlmE_yEESB_NS0_8identityIvEEEESG_SJ_SK_mSL_SN_bEUlT_E_NS1_11comp_targetILNS1_3genE3ELNS1_11target_archE908ELNS1_3gpuE7ELNS1_3repE0EEENS1_30default_config_static_selectorELNS0_4arch9wavefront6targetE1EEEvT1_.numbered_sgpr, 0
	.set _ZN7rocprim17ROCPRIM_400000_NS6detail17trampoline_kernelINS0_14default_configENS1_25transform_config_selectorIyLb0EEEZNS1_14transform_implILb0ES3_S5_NS0_18transform_iteratorINS0_17counting_iteratorImlEEZNS1_24adjacent_difference_implIS3_Lb1ELb0EPySB_N6thrust23THRUST_200600_302600_NS5minusIyEEEE10hipError_tPvRmT2_T3_mT4_P12ihipStream_tbEUlmE_yEESB_NS0_8identityIvEEEESG_SJ_SK_mSL_SN_bEUlT_E_NS1_11comp_targetILNS1_3genE3ELNS1_11target_archE908ELNS1_3gpuE7ELNS1_3repE0EEENS1_30default_config_static_selectorELNS0_4arch9wavefront6targetE1EEEvT1_.num_named_barrier, 0
	.set _ZN7rocprim17ROCPRIM_400000_NS6detail17trampoline_kernelINS0_14default_configENS1_25transform_config_selectorIyLb0EEEZNS1_14transform_implILb0ES3_S5_NS0_18transform_iteratorINS0_17counting_iteratorImlEEZNS1_24adjacent_difference_implIS3_Lb1ELb0EPySB_N6thrust23THRUST_200600_302600_NS5minusIyEEEE10hipError_tPvRmT2_T3_mT4_P12ihipStream_tbEUlmE_yEESB_NS0_8identityIvEEEESG_SJ_SK_mSL_SN_bEUlT_E_NS1_11comp_targetILNS1_3genE3ELNS1_11target_archE908ELNS1_3gpuE7ELNS1_3repE0EEENS1_30default_config_static_selectorELNS0_4arch9wavefront6targetE1EEEvT1_.private_seg_size, 0
	.set _ZN7rocprim17ROCPRIM_400000_NS6detail17trampoline_kernelINS0_14default_configENS1_25transform_config_selectorIyLb0EEEZNS1_14transform_implILb0ES3_S5_NS0_18transform_iteratorINS0_17counting_iteratorImlEEZNS1_24adjacent_difference_implIS3_Lb1ELb0EPySB_N6thrust23THRUST_200600_302600_NS5minusIyEEEE10hipError_tPvRmT2_T3_mT4_P12ihipStream_tbEUlmE_yEESB_NS0_8identityIvEEEESG_SJ_SK_mSL_SN_bEUlT_E_NS1_11comp_targetILNS1_3genE3ELNS1_11target_archE908ELNS1_3gpuE7ELNS1_3repE0EEENS1_30default_config_static_selectorELNS0_4arch9wavefront6targetE1EEEvT1_.uses_vcc, 0
	.set _ZN7rocprim17ROCPRIM_400000_NS6detail17trampoline_kernelINS0_14default_configENS1_25transform_config_selectorIyLb0EEEZNS1_14transform_implILb0ES3_S5_NS0_18transform_iteratorINS0_17counting_iteratorImlEEZNS1_24adjacent_difference_implIS3_Lb1ELb0EPySB_N6thrust23THRUST_200600_302600_NS5minusIyEEEE10hipError_tPvRmT2_T3_mT4_P12ihipStream_tbEUlmE_yEESB_NS0_8identityIvEEEESG_SJ_SK_mSL_SN_bEUlT_E_NS1_11comp_targetILNS1_3genE3ELNS1_11target_archE908ELNS1_3gpuE7ELNS1_3repE0EEENS1_30default_config_static_selectorELNS0_4arch9wavefront6targetE1EEEvT1_.uses_flat_scratch, 0
	.set _ZN7rocprim17ROCPRIM_400000_NS6detail17trampoline_kernelINS0_14default_configENS1_25transform_config_selectorIyLb0EEEZNS1_14transform_implILb0ES3_S5_NS0_18transform_iteratorINS0_17counting_iteratorImlEEZNS1_24adjacent_difference_implIS3_Lb1ELb0EPySB_N6thrust23THRUST_200600_302600_NS5minusIyEEEE10hipError_tPvRmT2_T3_mT4_P12ihipStream_tbEUlmE_yEESB_NS0_8identityIvEEEESG_SJ_SK_mSL_SN_bEUlT_E_NS1_11comp_targetILNS1_3genE3ELNS1_11target_archE908ELNS1_3gpuE7ELNS1_3repE0EEENS1_30default_config_static_selectorELNS0_4arch9wavefront6targetE1EEEvT1_.has_dyn_sized_stack, 0
	.set _ZN7rocprim17ROCPRIM_400000_NS6detail17trampoline_kernelINS0_14default_configENS1_25transform_config_selectorIyLb0EEEZNS1_14transform_implILb0ES3_S5_NS0_18transform_iteratorINS0_17counting_iteratorImlEEZNS1_24adjacent_difference_implIS3_Lb1ELb0EPySB_N6thrust23THRUST_200600_302600_NS5minusIyEEEE10hipError_tPvRmT2_T3_mT4_P12ihipStream_tbEUlmE_yEESB_NS0_8identityIvEEEESG_SJ_SK_mSL_SN_bEUlT_E_NS1_11comp_targetILNS1_3genE3ELNS1_11target_archE908ELNS1_3gpuE7ELNS1_3repE0EEENS1_30default_config_static_selectorELNS0_4arch9wavefront6targetE1EEEvT1_.has_recursion, 0
	.set _ZN7rocprim17ROCPRIM_400000_NS6detail17trampoline_kernelINS0_14default_configENS1_25transform_config_selectorIyLb0EEEZNS1_14transform_implILb0ES3_S5_NS0_18transform_iteratorINS0_17counting_iteratorImlEEZNS1_24adjacent_difference_implIS3_Lb1ELb0EPySB_N6thrust23THRUST_200600_302600_NS5minusIyEEEE10hipError_tPvRmT2_T3_mT4_P12ihipStream_tbEUlmE_yEESB_NS0_8identityIvEEEESG_SJ_SK_mSL_SN_bEUlT_E_NS1_11comp_targetILNS1_3genE3ELNS1_11target_archE908ELNS1_3gpuE7ELNS1_3repE0EEENS1_30default_config_static_selectorELNS0_4arch9wavefront6targetE1EEEvT1_.has_indirect_call, 0
	.section	.AMDGPU.csdata,"",@progbits
; Kernel info:
; codeLenInByte = 0
; TotalNumSgprs: 4
; NumVgprs: 0
; ScratchSize: 0
; MemoryBound: 0
; FloatMode: 240
; IeeeMode: 1
; LDSByteSize: 0 bytes/workgroup (compile time only)
; SGPRBlocks: 0
; VGPRBlocks: 0
; NumSGPRsForWavesPerEU: 4
; NumVGPRsForWavesPerEU: 1
; Occupancy: 10
; WaveLimiterHint : 0
; COMPUTE_PGM_RSRC2:SCRATCH_EN: 0
; COMPUTE_PGM_RSRC2:USER_SGPR: 6
; COMPUTE_PGM_RSRC2:TRAP_HANDLER: 0
; COMPUTE_PGM_RSRC2:TGID_X_EN: 1
; COMPUTE_PGM_RSRC2:TGID_Y_EN: 0
; COMPUTE_PGM_RSRC2:TGID_Z_EN: 0
; COMPUTE_PGM_RSRC2:TIDIG_COMP_CNT: 0
	.section	.text._ZN7rocprim17ROCPRIM_400000_NS6detail17trampoline_kernelINS0_14default_configENS1_25transform_config_selectorIyLb0EEEZNS1_14transform_implILb0ES3_S5_NS0_18transform_iteratorINS0_17counting_iteratorImlEEZNS1_24adjacent_difference_implIS3_Lb1ELb0EPySB_N6thrust23THRUST_200600_302600_NS5minusIyEEEE10hipError_tPvRmT2_T3_mT4_P12ihipStream_tbEUlmE_yEESB_NS0_8identityIvEEEESG_SJ_SK_mSL_SN_bEUlT_E_NS1_11comp_targetILNS1_3genE2ELNS1_11target_archE906ELNS1_3gpuE6ELNS1_3repE0EEENS1_30default_config_static_selectorELNS0_4arch9wavefront6targetE1EEEvT1_,"axG",@progbits,_ZN7rocprim17ROCPRIM_400000_NS6detail17trampoline_kernelINS0_14default_configENS1_25transform_config_selectorIyLb0EEEZNS1_14transform_implILb0ES3_S5_NS0_18transform_iteratorINS0_17counting_iteratorImlEEZNS1_24adjacent_difference_implIS3_Lb1ELb0EPySB_N6thrust23THRUST_200600_302600_NS5minusIyEEEE10hipError_tPvRmT2_T3_mT4_P12ihipStream_tbEUlmE_yEESB_NS0_8identityIvEEEESG_SJ_SK_mSL_SN_bEUlT_E_NS1_11comp_targetILNS1_3genE2ELNS1_11target_archE906ELNS1_3gpuE6ELNS1_3repE0EEENS1_30default_config_static_selectorELNS0_4arch9wavefront6targetE1EEEvT1_,comdat
	.protected	_ZN7rocprim17ROCPRIM_400000_NS6detail17trampoline_kernelINS0_14default_configENS1_25transform_config_selectorIyLb0EEEZNS1_14transform_implILb0ES3_S5_NS0_18transform_iteratorINS0_17counting_iteratorImlEEZNS1_24adjacent_difference_implIS3_Lb1ELb0EPySB_N6thrust23THRUST_200600_302600_NS5minusIyEEEE10hipError_tPvRmT2_T3_mT4_P12ihipStream_tbEUlmE_yEESB_NS0_8identityIvEEEESG_SJ_SK_mSL_SN_bEUlT_E_NS1_11comp_targetILNS1_3genE2ELNS1_11target_archE906ELNS1_3gpuE6ELNS1_3repE0EEENS1_30default_config_static_selectorELNS0_4arch9wavefront6targetE1EEEvT1_ ; -- Begin function _ZN7rocprim17ROCPRIM_400000_NS6detail17trampoline_kernelINS0_14default_configENS1_25transform_config_selectorIyLb0EEEZNS1_14transform_implILb0ES3_S5_NS0_18transform_iteratorINS0_17counting_iteratorImlEEZNS1_24adjacent_difference_implIS3_Lb1ELb0EPySB_N6thrust23THRUST_200600_302600_NS5minusIyEEEE10hipError_tPvRmT2_T3_mT4_P12ihipStream_tbEUlmE_yEESB_NS0_8identityIvEEEESG_SJ_SK_mSL_SN_bEUlT_E_NS1_11comp_targetILNS1_3genE2ELNS1_11target_archE906ELNS1_3gpuE6ELNS1_3repE0EEENS1_30default_config_static_selectorELNS0_4arch9wavefront6targetE1EEEvT1_
	.globl	_ZN7rocprim17ROCPRIM_400000_NS6detail17trampoline_kernelINS0_14default_configENS1_25transform_config_selectorIyLb0EEEZNS1_14transform_implILb0ES3_S5_NS0_18transform_iteratorINS0_17counting_iteratorImlEEZNS1_24adjacent_difference_implIS3_Lb1ELb0EPySB_N6thrust23THRUST_200600_302600_NS5minusIyEEEE10hipError_tPvRmT2_T3_mT4_P12ihipStream_tbEUlmE_yEESB_NS0_8identityIvEEEESG_SJ_SK_mSL_SN_bEUlT_E_NS1_11comp_targetILNS1_3genE2ELNS1_11target_archE906ELNS1_3gpuE6ELNS1_3repE0EEENS1_30default_config_static_selectorELNS0_4arch9wavefront6targetE1EEEvT1_
	.p2align	8
	.type	_ZN7rocprim17ROCPRIM_400000_NS6detail17trampoline_kernelINS0_14default_configENS1_25transform_config_selectorIyLb0EEEZNS1_14transform_implILb0ES3_S5_NS0_18transform_iteratorINS0_17counting_iteratorImlEEZNS1_24adjacent_difference_implIS3_Lb1ELb0EPySB_N6thrust23THRUST_200600_302600_NS5minusIyEEEE10hipError_tPvRmT2_T3_mT4_P12ihipStream_tbEUlmE_yEESB_NS0_8identityIvEEEESG_SJ_SK_mSL_SN_bEUlT_E_NS1_11comp_targetILNS1_3genE2ELNS1_11target_archE906ELNS1_3gpuE6ELNS1_3repE0EEENS1_30default_config_static_selectorELNS0_4arch9wavefront6targetE1EEEvT1_,@function
_ZN7rocprim17ROCPRIM_400000_NS6detail17trampoline_kernelINS0_14default_configENS1_25transform_config_selectorIyLb0EEEZNS1_14transform_implILb0ES3_S5_NS0_18transform_iteratorINS0_17counting_iteratorImlEEZNS1_24adjacent_difference_implIS3_Lb1ELb0EPySB_N6thrust23THRUST_200600_302600_NS5minusIyEEEE10hipError_tPvRmT2_T3_mT4_P12ihipStream_tbEUlmE_yEESB_NS0_8identityIvEEEESG_SJ_SK_mSL_SN_bEUlT_E_NS1_11comp_targetILNS1_3genE2ELNS1_11target_archE906ELNS1_3gpuE6ELNS1_3repE0EEENS1_30default_config_static_selectorELNS0_4arch9wavefront6targetE1EEEvT1_: ; @_ZN7rocprim17ROCPRIM_400000_NS6detail17trampoline_kernelINS0_14default_configENS1_25transform_config_selectorIyLb0EEEZNS1_14transform_implILb0ES3_S5_NS0_18transform_iteratorINS0_17counting_iteratorImlEEZNS1_24adjacent_difference_implIS3_Lb1ELb0EPySB_N6thrust23THRUST_200600_302600_NS5minusIyEEEE10hipError_tPvRmT2_T3_mT4_P12ihipStream_tbEUlmE_yEESB_NS0_8identityIvEEEESG_SJ_SK_mSL_SN_bEUlT_E_NS1_11comp_targetILNS1_3genE2ELNS1_11target_archE906ELNS1_3gpuE6ELNS1_3repE0EEENS1_30default_config_static_selectorELNS0_4arch9wavefront6targetE1EEEvT1_
; %bb.0:
	s_load_dword s1, s[4:5], 0x38
	s_load_dword s7, s[4:5], 0x20
	s_lshl_b32 s0, s6, 9
	s_waitcnt lgkmcnt(0)
	s_add_i32 s1, s1, -1
	s_cmp_lg_u32 s6, s1
	s_cselect_b64 s[2:3], -1, 0
	s_sub_i32 s1, s7, s0
	v_cmp_gt_u32_e32 vcc, s1, v0
	s_or_b64 s[2:3], s[2:3], vcc
	s_and_saveexec_b64 s[6:7], s[2:3]
	s_cbranch_execz .LBB116_2
; %bb.1:
	s_load_dwordx2 s[2:3], s[4:5], 0x18
	s_load_dwordx2 s[6:7], s[4:5], 0x28
	s_load_dwordx4 s[8:11], s[4:5], 0x0
	s_load_dword s1, s[4:5], 0x10
	s_waitcnt lgkmcnt(0)
	s_lshl_b64 s[4:5], s[2:3], 3
	s_add_u32 s4, s6, s4
	s_addc_u32 s5, s7, s5
	s_add_u32 s2, s8, s2
	s_addc_u32 s3, s9, s3
	;; [unrolled: 2-line block ×3, first 2 shown]
	v_mov_b32_e32 v1, s3
	v_add_co_u32_e32 v2, vcc, s2, v0
	v_addc_co_u32_e32 v3, vcc, 0, v1, vcc
	v_mad_u64_u32 v[1:2], s[2:3], v2, s1, 0
	v_mad_u64_u32 v[2:3], s[2:3], v3, s1, v[2:3]
	v_mov_b32_e32 v3, s11
	s_mov_b32 s1, 0
	v_lshlrev_b64 v[1:2], 3, v[1:2]
	s_lshl_b64 s[0:1], s[0:1], 3
	v_add_co_u32_e32 v1, vcc, s10, v1
	v_addc_co_u32_e32 v2, vcc, v3, v2, vcc
	global_load_dwordx2 v[2:3], v[1:2], off
	v_mov_b32_e32 v1, 0
	s_add_u32 s0, s4, s0
	v_lshlrev_b64 v[0:1], 3, v[0:1]
	s_addc_u32 s1, s5, s1
	v_mov_b32_e32 v4, s1
	v_add_co_u32_e32 v0, vcc, s0, v0
	v_addc_co_u32_e32 v1, vcc, v4, v1, vcc
	s_waitcnt vmcnt(0)
	global_store_dwordx2 v[0:1], v[2:3], off
.LBB116_2:
	s_endpgm
	.section	.rodata,"a",@progbits
	.p2align	6, 0x0
	.amdhsa_kernel _ZN7rocprim17ROCPRIM_400000_NS6detail17trampoline_kernelINS0_14default_configENS1_25transform_config_selectorIyLb0EEEZNS1_14transform_implILb0ES3_S5_NS0_18transform_iteratorINS0_17counting_iteratorImlEEZNS1_24adjacent_difference_implIS3_Lb1ELb0EPySB_N6thrust23THRUST_200600_302600_NS5minusIyEEEE10hipError_tPvRmT2_T3_mT4_P12ihipStream_tbEUlmE_yEESB_NS0_8identityIvEEEESG_SJ_SK_mSL_SN_bEUlT_E_NS1_11comp_targetILNS1_3genE2ELNS1_11target_archE906ELNS1_3gpuE6ELNS1_3repE0EEENS1_30default_config_static_selectorELNS0_4arch9wavefront6targetE1EEEvT1_
		.amdhsa_group_segment_fixed_size 0
		.amdhsa_private_segment_fixed_size 0
		.amdhsa_kernarg_size 312
		.amdhsa_user_sgpr_count 6
		.amdhsa_user_sgpr_private_segment_buffer 1
		.amdhsa_user_sgpr_dispatch_ptr 0
		.amdhsa_user_sgpr_queue_ptr 0
		.amdhsa_user_sgpr_kernarg_segment_ptr 1
		.amdhsa_user_sgpr_dispatch_id 0
		.amdhsa_user_sgpr_flat_scratch_init 0
		.amdhsa_user_sgpr_private_segment_size 0
		.amdhsa_uses_dynamic_stack 0
		.amdhsa_system_sgpr_private_segment_wavefront_offset 0
		.amdhsa_system_sgpr_workgroup_id_x 1
		.amdhsa_system_sgpr_workgroup_id_y 0
		.amdhsa_system_sgpr_workgroup_id_z 0
		.amdhsa_system_sgpr_workgroup_info 0
		.amdhsa_system_vgpr_workitem_id 0
		.amdhsa_next_free_vgpr 5
		.amdhsa_next_free_sgpr 12
		.amdhsa_reserve_vcc 1
		.amdhsa_reserve_flat_scratch 0
		.amdhsa_float_round_mode_32 0
		.amdhsa_float_round_mode_16_64 0
		.amdhsa_float_denorm_mode_32 3
		.amdhsa_float_denorm_mode_16_64 3
		.amdhsa_dx10_clamp 1
		.amdhsa_ieee_mode 1
		.amdhsa_fp16_overflow 0
		.amdhsa_exception_fp_ieee_invalid_op 0
		.amdhsa_exception_fp_denorm_src 0
		.amdhsa_exception_fp_ieee_div_zero 0
		.amdhsa_exception_fp_ieee_overflow 0
		.amdhsa_exception_fp_ieee_underflow 0
		.amdhsa_exception_fp_ieee_inexact 0
		.amdhsa_exception_int_div_zero 0
	.end_amdhsa_kernel
	.section	.text._ZN7rocprim17ROCPRIM_400000_NS6detail17trampoline_kernelINS0_14default_configENS1_25transform_config_selectorIyLb0EEEZNS1_14transform_implILb0ES3_S5_NS0_18transform_iteratorINS0_17counting_iteratorImlEEZNS1_24adjacent_difference_implIS3_Lb1ELb0EPySB_N6thrust23THRUST_200600_302600_NS5minusIyEEEE10hipError_tPvRmT2_T3_mT4_P12ihipStream_tbEUlmE_yEESB_NS0_8identityIvEEEESG_SJ_SK_mSL_SN_bEUlT_E_NS1_11comp_targetILNS1_3genE2ELNS1_11target_archE906ELNS1_3gpuE6ELNS1_3repE0EEENS1_30default_config_static_selectorELNS0_4arch9wavefront6targetE1EEEvT1_,"axG",@progbits,_ZN7rocprim17ROCPRIM_400000_NS6detail17trampoline_kernelINS0_14default_configENS1_25transform_config_selectorIyLb0EEEZNS1_14transform_implILb0ES3_S5_NS0_18transform_iteratorINS0_17counting_iteratorImlEEZNS1_24adjacent_difference_implIS3_Lb1ELb0EPySB_N6thrust23THRUST_200600_302600_NS5minusIyEEEE10hipError_tPvRmT2_T3_mT4_P12ihipStream_tbEUlmE_yEESB_NS0_8identityIvEEEESG_SJ_SK_mSL_SN_bEUlT_E_NS1_11comp_targetILNS1_3genE2ELNS1_11target_archE906ELNS1_3gpuE6ELNS1_3repE0EEENS1_30default_config_static_selectorELNS0_4arch9wavefront6targetE1EEEvT1_,comdat
.Lfunc_end116:
	.size	_ZN7rocprim17ROCPRIM_400000_NS6detail17trampoline_kernelINS0_14default_configENS1_25transform_config_selectorIyLb0EEEZNS1_14transform_implILb0ES3_S5_NS0_18transform_iteratorINS0_17counting_iteratorImlEEZNS1_24adjacent_difference_implIS3_Lb1ELb0EPySB_N6thrust23THRUST_200600_302600_NS5minusIyEEEE10hipError_tPvRmT2_T3_mT4_P12ihipStream_tbEUlmE_yEESB_NS0_8identityIvEEEESG_SJ_SK_mSL_SN_bEUlT_E_NS1_11comp_targetILNS1_3genE2ELNS1_11target_archE906ELNS1_3gpuE6ELNS1_3repE0EEENS1_30default_config_static_selectorELNS0_4arch9wavefront6targetE1EEEvT1_, .Lfunc_end116-_ZN7rocprim17ROCPRIM_400000_NS6detail17trampoline_kernelINS0_14default_configENS1_25transform_config_selectorIyLb0EEEZNS1_14transform_implILb0ES3_S5_NS0_18transform_iteratorINS0_17counting_iteratorImlEEZNS1_24adjacent_difference_implIS3_Lb1ELb0EPySB_N6thrust23THRUST_200600_302600_NS5minusIyEEEE10hipError_tPvRmT2_T3_mT4_P12ihipStream_tbEUlmE_yEESB_NS0_8identityIvEEEESG_SJ_SK_mSL_SN_bEUlT_E_NS1_11comp_targetILNS1_3genE2ELNS1_11target_archE906ELNS1_3gpuE6ELNS1_3repE0EEENS1_30default_config_static_selectorELNS0_4arch9wavefront6targetE1EEEvT1_
                                        ; -- End function
	.set _ZN7rocprim17ROCPRIM_400000_NS6detail17trampoline_kernelINS0_14default_configENS1_25transform_config_selectorIyLb0EEEZNS1_14transform_implILb0ES3_S5_NS0_18transform_iteratorINS0_17counting_iteratorImlEEZNS1_24adjacent_difference_implIS3_Lb1ELb0EPySB_N6thrust23THRUST_200600_302600_NS5minusIyEEEE10hipError_tPvRmT2_T3_mT4_P12ihipStream_tbEUlmE_yEESB_NS0_8identityIvEEEESG_SJ_SK_mSL_SN_bEUlT_E_NS1_11comp_targetILNS1_3genE2ELNS1_11target_archE906ELNS1_3gpuE6ELNS1_3repE0EEENS1_30default_config_static_selectorELNS0_4arch9wavefront6targetE1EEEvT1_.num_vgpr, 5
	.set _ZN7rocprim17ROCPRIM_400000_NS6detail17trampoline_kernelINS0_14default_configENS1_25transform_config_selectorIyLb0EEEZNS1_14transform_implILb0ES3_S5_NS0_18transform_iteratorINS0_17counting_iteratorImlEEZNS1_24adjacent_difference_implIS3_Lb1ELb0EPySB_N6thrust23THRUST_200600_302600_NS5minusIyEEEE10hipError_tPvRmT2_T3_mT4_P12ihipStream_tbEUlmE_yEESB_NS0_8identityIvEEEESG_SJ_SK_mSL_SN_bEUlT_E_NS1_11comp_targetILNS1_3genE2ELNS1_11target_archE906ELNS1_3gpuE6ELNS1_3repE0EEENS1_30default_config_static_selectorELNS0_4arch9wavefront6targetE1EEEvT1_.num_agpr, 0
	.set _ZN7rocprim17ROCPRIM_400000_NS6detail17trampoline_kernelINS0_14default_configENS1_25transform_config_selectorIyLb0EEEZNS1_14transform_implILb0ES3_S5_NS0_18transform_iteratorINS0_17counting_iteratorImlEEZNS1_24adjacent_difference_implIS3_Lb1ELb0EPySB_N6thrust23THRUST_200600_302600_NS5minusIyEEEE10hipError_tPvRmT2_T3_mT4_P12ihipStream_tbEUlmE_yEESB_NS0_8identityIvEEEESG_SJ_SK_mSL_SN_bEUlT_E_NS1_11comp_targetILNS1_3genE2ELNS1_11target_archE906ELNS1_3gpuE6ELNS1_3repE0EEENS1_30default_config_static_selectorELNS0_4arch9wavefront6targetE1EEEvT1_.numbered_sgpr, 12
	.set _ZN7rocprim17ROCPRIM_400000_NS6detail17trampoline_kernelINS0_14default_configENS1_25transform_config_selectorIyLb0EEEZNS1_14transform_implILb0ES3_S5_NS0_18transform_iteratorINS0_17counting_iteratorImlEEZNS1_24adjacent_difference_implIS3_Lb1ELb0EPySB_N6thrust23THRUST_200600_302600_NS5minusIyEEEE10hipError_tPvRmT2_T3_mT4_P12ihipStream_tbEUlmE_yEESB_NS0_8identityIvEEEESG_SJ_SK_mSL_SN_bEUlT_E_NS1_11comp_targetILNS1_3genE2ELNS1_11target_archE906ELNS1_3gpuE6ELNS1_3repE0EEENS1_30default_config_static_selectorELNS0_4arch9wavefront6targetE1EEEvT1_.num_named_barrier, 0
	.set _ZN7rocprim17ROCPRIM_400000_NS6detail17trampoline_kernelINS0_14default_configENS1_25transform_config_selectorIyLb0EEEZNS1_14transform_implILb0ES3_S5_NS0_18transform_iteratorINS0_17counting_iteratorImlEEZNS1_24adjacent_difference_implIS3_Lb1ELb0EPySB_N6thrust23THRUST_200600_302600_NS5minusIyEEEE10hipError_tPvRmT2_T3_mT4_P12ihipStream_tbEUlmE_yEESB_NS0_8identityIvEEEESG_SJ_SK_mSL_SN_bEUlT_E_NS1_11comp_targetILNS1_3genE2ELNS1_11target_archE906ELNS1_3gpuE6ELNS1_3repE0EEENS1_30default_config_static_selectorELNS0_4arch9wavefront6targetE1EEEvT1_.private_seg_size, 0
	.set _ZN7rocprim17ROCPRIM_400000_NS6detail17trampoline_kernelINS0_14default_configENS1_25transform_config_selectorIyLb0EEEZNS1_14transform_implILb0ES3_S5_NS0_18transform_iteratorINS0_17counting_iteratorImlEEZNS1_24adjacent_difference_implIS3_Lb1ELb0EPySB_N6thrust23THRUST_200600_302600_NS5minusIyEEEE10hipError_tPvRmT2_T3_mT4_P12ihipStream_tbEUlmE_yEESB_NS0_8identityIvEEEESG_SJ_SK_mSL_SN_bEUlT_E_NS1_11comp_targetILNS1_3genE2ELNS1_11target_archE906ELNS1_3gpuE6ELNS1_3repE0EEENS1_30default_config_static_selectorELNS0_4arch9wavefront6targetE1EEEvT1_.uses_vcc, 1
	.set _ZN7rocprim17ROCPRIM_400000_NS6detail17trampoline_kernelINS0_14default_configENS1_25transform_config_selectorIyLb0EEEZNS1_14transform_implILb0ES3_S5_NS0_18transform_iteratorINS0_17counting_iteratorImlEEZNS1_24adjacent_difference_implIS3_Lb1ELb0EPySB_N6thrust23THRUST_200600_302600_NS5minusIyEEEE10hipError_tPvRmT2_T3_mT4_P12ihipStream_tbEUlmE_yEESB_NS0_8identityIvEEEESG_SJ_SK_mSL_SN_bEUlT_E_NS1_11comp_targetILNS1_3genE2ELNS1_11target_archE906ELNS1_3gpuE6ELNS1_3repE0EEENS1_30default_config_static_selectorELNS0_4arch9wavefront6targetE1EEEvT1_.uses_flat_scratch, 0
	.set _ZN7rocprim17ROCPRIM_400000_NS6detail17trampoline_kernelINS0_14default_configENS1_25transform_config_selectorIyLb0EEEZNS1_14transform_implILb0ES3_S5_NS0_18transform_iteratorINS0_17counting_iteratorImlEEZNS1_24adjacent_difference_implIS3_Lb1ELb0EPySB_N6thrust23THRUST_200600_302600_NS5minusIyEEEE10hipError_tPvRmT2_T3_mT4_P12ihipStream_tbEUlmE_yEESB_NS0_8identityIvEEEESG_SJ_SK_mSL_SN_bEUlT_E_NS1_11comp_targetILNS1_3genE2ELNS1_11target_archE906ELNS1_3gpuE6ELNS1_3repE0EEENS1_30default_config_static_selectorELNS0_4arch9wavefront6targetE1EEEvT1_.has_dyn_sized_stack, 0
	.set _ZN7rocprim17ROCPRIM_400000_NS6detail17trampoline_kernelINS0_14default_configENS1_25transform_config_selectorIyLb0EEEZNS1_14transform_implILb0ES3_S5_NS0_18transform_iteratorINS0_17counting_iteratorImlEEZNS1_24adjacent_difference_implIS3_Lb1ELb0EPySB_N6thrust23THRUST_200600_302600_NS5minusIyEEEE10hipError_tPvRmT2_T3_mT4_P12ihipStream_tbEUlmE_yEESB_NS0_8identityIvEEEESG_SJ_SK_mSL_SN_bEUlT_E_NS1_11comp_targetILNS1_3genE2ELNS1_11target_archE906ELNS1_3gpuE6ELNS1_3repE0EEENS1_30default_config_static_selectorELNS0_4arch9wavefront6targetE1EEEvT1_.has_recursion, 0
	.set _ZN7rocprim17ROCPRIM_400000_NS6detail17trampoline_kernelINS0_14default_configENS1_25transform_config_selectorIyLb0EEEZNS1_14transform_implILb0ES3_S5_NS0_18transform_iteratorINS0_17counting_iteratorImlEEZNS1_24adjacent_difference_implIS3_Lb1ELb0EPySB_N6thrust23THRUST_200600_302600_NS5minusIyEEEE10hipError_tPvRmT2_T3_mT4_P12ihipStream_tbEUlmE_yEESB_NS0_8identityIvEEEESG_SJ_SK_mSL_SN_bEUlT_E_NS1_11comp_targetILNS1_3genE2ELNS1_11target_archE906ELNS1_3gpuE6ELNS1_3repE0EEENS1_30default_config_static_selectorELNS0_4arch9wavefront6targetE1EEEvT1_.has_indirect_call, 0
	.section	.AMDGPU.csdata,"",@progbits
; Kernel info:
; codeLenInByte = 232
; TotalNumSgprs: 16
; NumVgprs: 5
; ScratchSize: 0
; MemoryBound: 0
; FloatMode: 240
; IeeeMode: 1
; LDSByteSize: 0 bytes/workgroup (compile time only)
; SGPRBlocks: 1
; VGPRBlocks: 1
; NumSGPRsForWavesPerEU: 16
; NumVGPRsForWavesPerEU: 5
; Occupancy: 10
; WaveLimiterHint : 0
; COMPUTE_PGM_RSRC2:SCRATCH_EN: 0
; COMPUTE_PGM_RSRC2:USER_SGPR: 6
; COMPUTE_PGM_RSRC2:TRAP_HANDLER: 0
; COMPUTE_PGM_RSRC2:TGID_X_EN: 1
; COMPUTE_PGM_RSRC2:TGID_Y_EN: 0
; COMPUTE_PGM_RSRC2:TGID_Z_EN: 0
; COMPUTE_PGM_RSRC2:TIDIG_COMP_CNT: 0
	.section	.text._ZN7rocprim17ROCPRIM_400000_NS6detail17trampoline_kernelINS0_14default_configENS1_25transform_config_selectorIyLb0EEEZNS1_14transform_implILb0ES3_S5_NS0_18transform_iteratorINS0_17counting_iteratorImlEEZNS1_24adjacent_difference_implIS3_Lb1ELb0EPySB_N6thrust23THRUST_200600_302600_NS5minusIyEEEE10hipError_tPvRmT2_T3_mT4_P12ihipStream_tbEUlmE_yEESB_NS0_8identityIvEEEESG_SJ_SK_mSL_SN_bEUlT_E_NS1_11comp_targetILNS1_3genE10ELNS1_11target_archE1201ELNS1_3gpuE5ELNS1_3repE0EEENS1_30default_config_static_selectorELNS0_4arch9wavefront6targetE1EEEvT1_,"axG",@progbits,_ZN7rocprim17ROCPRIM_400000_NS6detail17trampoline_kernelINS0_14default_configENS1_25transform_config_selectorIyLb0EEEZNS1_14transform_implILb0ES3_S5_NS0_18transform_iteratorINS0_17counting_iteratorImlEEZNS1_24adjacent_difference_implIS3_Lb1ELb0EPySB_N6thrust23THRUST_200600_302600_NS5minusIyEEEE10hipError_tPvRmT2_T3_mT4_P12ihipStream_tbEUlmE_yEESB_NS0_8identityIvEEEESG_SJ_SK_mSL_SN_bEUlT_E_NS1_11comp_targetILNS1_3genE10ELNS1_11target_archE1201ELNS1_3gpuE5ELNS1_3repE0EEENS1_30default_config_static_selectorELNS0_4arch9wavefront6targetE1EEEvT1_,comdat
	.protected	_ZN7rocprim17ROCPRIM_400000_NS6detail17trampoline_kernelINS0_14default_configENS1_25transform_config_selectorIyLb0EEEZNS1_14transform_implILb0ES3_S5_NS0_18transform_iteratorINS0_17counting_iteratorImlEEZNS1_24adjacent_difference_implIS3_Lb1ELb0EPySB_N6thrust23THRUST_200600_302600_NS5minusIyEEEE10hipError_tPvRmT2_T3_mT4_P12ihipStream_tbEUlmE_yEESB_NS0_8identityIvEEEESG_SJ_SK_mSL_SN_bEUlT_E_NS1_11comp_targetILNS1_3genE10ELNS1_11target_archE1201ELNS1_3gpuE5ELNS1_3repE0EEENS1_30default_config_static_selectorELNS0_4arch9wavefront6targetE1EEEvT1_ ; -- Begin function _ZN7rocprim17ROCPRIM_400000_NS6detail17trampoline_kernelINS0_14default_configENS1_25transform_config_selectorIyLb0EEEZNS1_14transform_implILb0ES3_S5_NS0_18transform_iteratorINS0_17counting_iteratorImlEEZNS1_24adjacent_difference_implIS3_Lb1ELb0EPySB_N6thrust23THRUST_200600_302600_NS5minusIyEEEE10hipError_tPvRmT2_T3_mT4_P12ihipStream_tbEUlmE_yEESB_NS0_8identityIvEEEESG_SJ_SK_mSL_SN_bEUlT_E_NS1_11comp_targetILNS1_3genE10ELNS1_11target_archE1201ELNS1_3gpuE5ELNS1_3repE0EEENS1_30default_config_static_selectorELNS0_4arch9wavefront6targetE1EEEvT1_
	.globl	_ZN7rocprim17ROCPRIM_400000_NS6detail17trampoline_kernelINS0_14default_configENS1_25transform_config_selectorIyLb0EEEZNS1_14transform_implILb0ES3_S5_NS0_18transform_iteratorINS0_17counting_iteratorImlEEZNS1_24adjacent_difference_implIS3_Lb1ELb0EPySB_N6thrust23THRUST_200600_302600_NS5minusIyEEEE10hipError_tPvRmT2_T3_mT4_P12ihipStream_tbEUlmE_yEESB_NS0_8identityIvEEEESG_SJ_SK_mSL_SN_bEUlT_E_NS1_11comp_targetILNS1_3genE10ELNS1_11target_archE1201ELNS1_3gpuE5ELNS1_3repE0EEENS1_30default_config_static_selectorELNS0_4arch9wavefront6targetE1EEEvT1_
	.p2align	8
	.type	_ZN7rocprim17ROCPRIM_400000_NS6detail17trampoline_kernelINS0_14default_configENS1_25transform_config_selectorIyLb0EEEZNS1_14transform_implILb0ES3_S5_NS0_18transform_iteratorINS0_17counting_iteratorImlEEZNS1_24adjacent_difference_implIS3_Lb1ELb0EPySB_N6thrust23THRUST_200600_302600_NS5minusIyEEEE10hipError_tPvRmT2_T3_mT4_P12ihipStream_tbEUlmE_yEESB_NS0_8identityIvEEEESG_SJ_SK_mSL_SN_bEUlT_E_NS1_11comp_targetILNS1_3genE10ELNS1_11target_archE1201ELNS1_3gpuE5ELNS1_3repE0EEENS1_30default_config_static_selectorELNS0_4arch9wavefront6targetE1EEEvT1_,@function
_ZN7rocprim17ROCPRIM_400000_NS6detail17trampoline_kernelINS0_14default_configENS1_25transform_config_selectorIyLb0EEEZNS1_14transform_implILb0ES3_S5_NS0_18transform_iteratorINS0_17counting_iteratorImlEEZNS1_24adjacent_difference_implIS3_Lb1ELb0EPySB_N6thrust23THRUST_200600_302600_NS5minusIyEEEE10hipError_tPvRmT2_T3_mT4_P12ihipStream_tbEUlmE_yEESB_NS0_8identityIvEEEESG_SJ_SK_mSL_SN_bEUlT_E_NS1_11comp_targetILNS1_3genE10ELNS1_11target_archE1201ELNS1_3gpuE5ELNS1_3repE0EEENS1_30default_config_static_selectorELNS0_4arch9wavefront6targetE1EEEvT1_: ; @_ZN7rocprim17ROCPRIM_400000_NS6detail17trampoline_kernelINS0_14default_configENS1_25transform_config_selectorIyLb0EEEZNS1_14transform_implILb0ES3_S5_NS0_18transform_iteratorINS0_17counting_iteratorImlEEZNS1_24adjacent_difference_implIS3_Lb1ELb0EPySB_N6thrust23THRUST_200600_302600_NS5minusIyEEEE10hipError_tPvRmT2_T3_mT4_P12ihipStream_tbEUlmE_yEESB_NS0_8identityIvEEEESG_SJ_SK_mSL_SN_bEUlT_E_NS1_11comp_targetILNS1_3genE10ELNS1_11target_archE1201ELNS1_3gpuE5ELNS1_3repE0EEENS1_30default_config_static_selectorELNS0_4arch9wavefront6targetE1EEEvT1_
; %bb.0:
	.section	.rodata,"a",@progbits
	.p2align	6, 0x0
	.amdhsa_kernel _ZN7rocprim17ROCPRIM_400000_NS6detail17trampoline_kernelINS0_14default_configENS1_25transform_config_selectorIyLb0EEEZNS1_14transform_implILb0ES3_S5_NS0_18transform_iteratorINS0_17counting_iteratorImlEEZNS1_24adjacent_difference_implIS3_Lb1ELb0EPySB_N6thrust23THRUST_200600_302600_NS5minusIyEEEE10hipError_tPvRmT2_T3_mT4_P12ihipStream_tbEUlmE_yEESB_NS0_8identityIvEEEESG_SJ_SK_mSL_SN_bEUlT_E_NS1_11comp_targetILNS1_3genE10ELNS1_11target_archE1201ELNS1_3gpuE5ELNS1_3repE0EEENS1_30default_config_static_selectorELNS0_4arch9wavefront6targetE1EEEvT1_
		.amdhsa_group_segment_fixed_size 0
		.amdhsa_private_segment_fixed_size 0
		.amdhsa_kernarg_size 56
		.amdhsa_user_sgpr_count 6
		.amdhsa_user_sgpr_private_segment_buffer 1
		.amdhsa_user_sgpr_dispatch_ptr 0
		.amdhsa_user_sgpr_queue_ptr 0
		.amdhsa_user_sgpr_kernarg_segment_ptr 1
		.amdhsa_user_sgpr_dispatch_id 0
		.amdhsa_user_sgpr_flat_scratch_init 0
		.amdhsa_user_sgpr_private_segment_size 0
		.amdhsa_uses_dynamic_stack 0
		.amdhsa_system_sgpr_private_segment_wavefront_offset 0
		.amdhsa_system_sgpr_workgroup_id_x 1
		.amdhsa_system_sgpr_workgroup_id_y 0
		.amdhsa_system_sgpr_workgroup_id_z 0
		.amdhsa_system_sgpr_workgroup_info 0
		.amdhsa_system_vgpr_workitem_id 0
		.amdhsa_next_free_vgpr 1
		.amdhsa_next_free_sgpr 0
		.amdhsa_reserve_vcc 0
		.amdhsa_reserve_flat_scratch 0
		.amdhsa_float_round_mode_32 0
		.amdhsa_float_round_mode_16_64 0
		.amdhsa_float_denorm_mode_32 3
		.amdhsa_float_denorm_mode_16_64 3
		.amdhsa_dx10_clamp 1
		.amdhsa_ieee_mode 1
		.amdhsa_fp16_overflow 0
		.amdhsa_exception_fp_ieee_invalid_op 0
		.amdhsa_exception_fp_denorm_src 0
		.amdhsa_exception_fp_ieee_div_zero 0
		.amdhsa_exception_fp_ieee_overflow 0
		.amdhsa_exception_fp_ieee_underflow 0
		.amdhsa_exception_fp_ieee_inexact 0
		.amdhsa_exception_int_div_zero 0
	.end_amdhsa_kernel
	.section	.text._ZN7rocprim17ROCPRIM_400000_NS6detail17trampoline_kernelINS0_14default_configENS1_25transform_config_selectorIyLb0EEEZNS1_14transform_implILb0ES3_S5_NS0_18transform_iteratorINS0_17counting_iteratorImlEEZNS1_24adjacent_difference_implIS3_Lb1ELb0EPySB_N6thrust23THRUST_200600_302600_NS5minusIyEEEE10hipError_tPvRmT2_T3_mT4_P12ihipStream_tbEUlmE_yEESB_NS0_8identityIvEEEESG_SJ_SK_mSL_SN_bEUlT_E_NS1_11comp_targetILNS1_3genE10ELNS1_11target_archE1201ELNS1_3gpuE5ELNS1_3repE0EEENS1_30default_config_static_selectorELNS0_4arch9wavefront6targetE1EEEvT1_,"axG",@progbits,_ZN7rocprim17ROCPRIM_400000_NS6detail17trampoline_kernelINS0_14default_configENS1_25transform_config_selectorIyLb0EEEZNS1_14transform_implILb0ES3_S5_NS0_18transform_iteratorINS0_17counting_iteratorImlEEZNS1_24adjacent_difference_implIS3_Lb1ELb0EPySB_N6thrust23THRUST_200600_302600_NS5minusIyEEEE10hipError_tPvRmT2_T3_mT4_P12ihipStream_tbEUlmE_yEESB_NS0_8identityIvEEEESG_SJ_SK_mSL_SN_bEUlT_E_NS1_11comp_targetILNS1_3genE10ELNS1_11target_archE1201ELNS1_3gpuE5ELNS1_3repE0EEENS1_30default_config_static_selectorELNS0_4arch9wavefront6targetE1EEEvT1_,comdat
.Lfunc_end117:
	.size	_ZN7rocprim17ROCPRIM_400000_NS6detail17trampoline_kernelINS0_14default_configENS1_25transform_config_selectorIyLb0EEEZNS1_14transform_implILb0ES3_S5_NS0_18transform_iteratorINS0_17counting_iteratorImlEEZNS1_24adjacent_difference_implIS3_Lb1ELb0EPySB_N6thrust23THRUST_200600_302600_NS5minusIyEEEE10hipError_tPvRmT2_T3_mT4_P12ihipStream_tbEUlmE_yEESB_NS0_8identityIvEEEESG_SJ_SK_mSL_SN_bEUlT_E_NS1_11comp_targetILNS1_3genE10ELNS1_11target_archE1201ELNS1_3gpuE5ELNS1_3repE0EEENS1_30default_config_static_selectorELNS0_4arch9wavefront6targetE1EEEvT1_, .Lfunc_end117-_ZN7rocprim17ROCPRIM_400000_NS6detail17trampoline_kernelINS0_14default_configENS1_25transform_config_selectorIyLb0EEEZNS1_14transform_implILb0ES3_S5_NS0_18transform_iteratorINS0_17counting_iteratorImlEEZNS1_24adjacent_difference_implIS3_Lb1ELb0EPySB_N6thrust23THRUST_200600_302600_NS5minusIyEEEE10hipError_tPvRmT2_T3_mT4_P12ihipStream_tbEUlmE_yEESB_NS0_8identityIvEEEESG_SJ_SK_mSL_SN_bEUlT_E_NS1_11comp_targetILNS1_3genE10ELNS1_11target_archE1201ELNS1_3gpuE5ELNS1_3repE0EEENS1_30default_config_static_selectorELNS0_4arch9wavefront6targetE1EEEvT1_
                                        ; -- End function
	.set _ZN7rocprim17ROCPRIM_400000_NS6detail17trampoline_kernelINS0_14default_configENS1_25transform_config_selectorIyLb0EEEZNS1_14transform_implILb0ES3_S5_NS0_18transform_iteratorINS0_17counting_iteratorImlEEZNS1_24adjacent_difference_implIS3_Lb1ELb0EPySB_N6thrust23THRUST_200600_302600_NS5minusIyEEEE10hipError_tPvRmT2_T3_mT4_P12ihipStream_tbEUlmE_yEESB_NS0_8identityIvEEEESG_SJ_SK_mSL_SN_bEUlT_E_NS1_11comp_targetILNS1_3genE10ELNS1_11target_archE1201ELNS1_3gpuE5ELNS1_3repE0EEENS1_30default_config_static_selectorELNS0_4arch9wavefront6targetE1EEEvT1_.num_vgpr, 0
	.set _ZN7rocprim17ROCPRIM_400000_NS6detail17trampoline_kernelINS0_14default_configENS1_25transform_config_selectorIyLb0EEEZNS1_14transform_implILb0ES3_S5_NS0_18transform_iteratorINS0_17counting_iteratorImlEEZNS1_24adjacent_difference_implIS3_Lb1ELb0EPySB_N6thrust23THRUST_200600_302600_NS5minusIyEEEE10hipError_tPvRmT2_T3_mT4_P12ihipStream_tbEUlmE_yEESB_NS0_8identityIvEEEESG_SJ_SK_mSL_SN_bEUlT_E_NS1_11comp_targetILNS1_3genE10ELNS1_11target_archE1201ELNS1_3gpuE5ELNS1_3repE0EEENS1_30default_config_static_selectorELNS0_4arch9wavefront6targetE1EEEvT1_.num_agpr, 0
	.set _ZN7rocprim17ROCPRIM_400000_NS6detail17trampoline_kernelINS0_14default_configENS1_25transform_config_selectorIyLb0EEEZNS1_14transform_implILb0ES3_S5_NS0_18transform_iteratorINS0_17counting_iteratorImlEEZNS1_24adjacent_difference_implIS3_Lb1ELb0EPySB_N6thrust23THRUST_200600_302600_NS5minusIyEEEE10hipError_tPvRmT2_T3_mT4_P12ihipStream_tbEUlmE_yEESB_NS0_8identityIvEEEESG_SJ_SK_mSL_SN_bEUlT_E_NS1_11comp_targetILNS1_3genE10ELNS1_11target_archE1201ELNS1_3gpuE5ELNS1_3repE0EEENS1_30default_config_static_selectorELNS0_4arch9wavefront6targetE1EEEvT1_.numbered_sgpr, 0
	.set _ZN7rocprim17ROCPRIM_400000_NS6detail17trampoline_kernelINS0_14default_configENS1_25transform_config_selectorIyLb0EEEZNS1_14transform_implILb0ES3_S5_NS0_18transform_iteratorINS0_17counting_iteratorImlEEZNS1_24adjacent_difference_implIS3_Lb1ELb0EPySB_N6thrust23THRUST_200600_302600_NS5minusIyEEEE10hipError_tPvRmT2_T3_mT4_P12ihipStream_tbEUlmE_yEESB_NS0_8identityIvEEEESG_SJ_SK_mSL_SN_bEUlT_E_NS1_11comp_targetILNS1_3genE10ELNS1_11target_archE1201ELNS1_3gpuE5ELNS1_3repE0EEENS1_30default_config_static_selectorELNS0_4arch9wavefront6targetE1EEEvT1_.num_named_barrier, 0
	.set _ZN7rocprim17ROCPRIM_400000_NS6detail17trampoline_kernelINS0_14default_configENS1_25transform_config_selectorIyLb0EEEZNS1_14transform_implILb0ES3_S5_NS0_18transform_iteratorINS0_17counting_iteratorImlEEZNS1_24adjacent_difference_implIS3_Lb1ELb0EPySB_N6thrust23THRUST_200600_302600_NS5minusIyEEEE10hipError_tPvRmT2_T3_mT4_P12ihipStream_tbEUlmE_yEESB_NS0_8identityIvEEEESG_SJ_SK_mSL_SN_bEUlT_E_NS1_11comp_targetILNS1_3genE10ELNS1_11target_archE1201ELNS1_3gpuE5ELNS1_3repE0EEENS1_30default_config_static_selectorELNS0_4arch9wavefront6targetE1EEEvT1_.private_seg_size, 0
	.set _ZN7rocprim17ROCPRIM_400000_NS6detail17trampoline_kernelINS0_14default_configENS1_25transform_config_selectorIyLb0EEEZNS1_14transform_implILb0ES3_S5_NS0_18transform_iteratorINS0_17counting_iteratorImlEEZNS1_24adjacent_difference_implIS3_Lb1ELb0EPySB_N6thrust23THRUST_200600_302600_NS5minusIyEEEE10hipError_tPvRmT2_T3_mT4_P12ihipStream_tbEUlmE_yEESB_NS0_8identityIvEEEESG_SJ_SK_mSL_SN_bEUlT_E_NS1_11comp_targetILNS1_3genE10ELNS1_11target_archE1201ELNS1_3gpuE5ELNS1_3repE0EEENS1_30default_config_static_selectorELNS0_4arch9wavefront6targetE1EEEvT1_.uses_vcc, 0
	.set _ZN7rocprim17ROCPRIM_400000_NS6detail17trampoline_kernelINS0_14default_configENS1_25transform_config_selectorIyLb0EEEZNS1_14transform_implILb0ES3_S5_NS0_18transform_iteratorINS0_17counting_iteratorImlEEZNS1_24adjacent_difference_implIS3_Lb1ELb0EPySB_N6thrust23THRUST_200600_302600_NS5minusIyEEEE10hipError_tPvRmT2_T3_mT4_P12ihipStream_tbEUlmE_yEESB_NS0_8identityIvEEEESG_SJ_SK_mSL_SN_bEUlT_E_NS1_11comp_targetILNS1_3genE10ELNS1_11target_archE1201ELNS1_3gpuE5ELNS1_3repE0EEENS1_30default_config_static_selectorELNS0_4arch9wavefront6targetE1EEEvT1_.uses_flat_scratch, 0
	.set _ZN7rocprim17ROCPRIM_400000_NS6detail17trampoline_kernelINS0_14default_configENS1_25transform_config_selectorIyLb0EEEZNS1_14transform_implILb0ES3_S5_NS0_18transform_iteratorINS0_17counting_iteratorImlEEZNS1_24adjacent_difference_implIS3_Lb1ELb0EPySB_N6thrust23THRUST_200600_302600_NS5minusIyEEEE10hipError_tPvRmT2_T3_mT4_P12ihipStream_tbEUlmE_yEESB_NS0_8identityIvEEEESG_SJ_SK_mSL_SN_bEUlT_E_NS1_11comp_targetILNS1_3genE10ELNS1_11target_archE1201ELNS1_3gpuE5ELNS1_3repE0EEENS1_30default_config_static_selectorELNS0_4arch9wavefront6targetE1EEEvT1_.has_dyn_sized_stack, 0
	.set _ZN7rocprim17ROCPRIM_400000_NS6detail17trampoline_kernelINS0_14default_configENS1_25transform_config_selectorIyLb0EEEZNS1_14transform_implILb0ES3_S5_NS0_18transform_iteratorINS0_17counting_iteratorImlEEZNS1_24adjacent_difference_implIS3_Lb1ELb0EPySB_N6thrust23THRUST_200600_302600_NS5minusIyEEEE10hipError_tPvRmT2_T3_mT4_P12ihipStream_tbEUlmE_yEESB_NS0_8identityIvEEEESG_SJ_SK_mSL_SN_bEUlT_E_NS1_11comp_targetILNS1_3genE10ELNS1_11target_archE1201ELNS1_3gpuE5ELNS1_3repE0EEENS1_30default_config_static_selectorELNS0_4arch9wavefront6targetE1EEEvT1_.has_recursion, 0
	.set _ZN7rocprim17ROCPRIM_400000_NS6detail17trampoline_kernelINS0_14default_configENS1_25transform_config_selectorIyLb0EEEZNS1_14transform_implILb0ES3_S5_NS0_18transform_iteratorINS0_17counting_iteratorImlEEZNS1_24adjacent_difference_implIS3_Lb1ELb0EPySB_N6thrust23THRUST_200600_302600_NS5minusIyEEEE10hipError_tPvRmT2_T3_mT4_P12ihipStream_tbEUlmE_yEESB_NS0_8identityIvEEEESG_SJ_SK_mSL_SN_bEUlT_E_NS1_11comp_targetILNS1_3genE10ELNS1_11target_archE1201ELNS1_3gpuE5ELNS1_3repE0EEENS1_30default_config_static_selectorELNS0_4arch9wavefront6targetE1EEEvT1_.has_indirect_call, 0
	.section	.AMDGPU.csdata,"",@progbits
; Kernel info:
; codeLenInByte = 0
; TotalNumSgprs: 4
; NumVgprs: 0
; ScratchSize: 0
; MemoryBound: 0
; FloatMode: 240
; IeeeMode: 1
; LDSByteSize: 0 bytes/workgroup (compile time only)
; SGPRBlocks: 0
; VGPRBlocks: 0
; NumSGPRsForWavesPerEU: 4
; NumVGPRsForWavesPerEU: 1
; Occupancy: 10
; WaveLimiterHint : 0
; COMPUTE_PGM_RSRC2:SCRATCH_EN: 0
; COMPUTE_PGM_RSRC2:USER_SGPR: 6
; COMPUTE_PGM_RSRC2:TRAP_HANDLER: 0
; COMPUTE_PGM_RSRC2:TGID_X_EN: 1
; COMPUTE_PGM_RSRC2:TGID_Y_EN: 0
; COMPUTE_PGM_RSRC2:TGID_Z_EN: 0
; COMPUTE_PGM_RSRC2:TIDIG_COMP_CNT: 0
	.section	.text._ZN7rocprim17ROCPRIM_400000_NS6detail17trampoline_kernelINS0_14default_configENS1_25transform_config_selectorIyLb0EEEZNS1_14transform_implILb0ES3_S5_NS0_18transform_iteratorINS0_17counting_iteratorImlEEZNS1_24adjacent_difference_implIS3_Lb1ELb0EPySB_N6thrust23THRUST_200600_302600_NS5minusIyEEEE10hipError_tPvRmT2_T3_mT4_P12ihipStream_tbEUlmE_yEESB_NS0_8identityIvEEEESG_SJ_SK_mSL_SN_bEUlT_E_NS1_11comp_targetILNS1_3genE10ELNS1_11target_archE1200ELNS1_3gpuE4ELNS1_3repE0EEENS1_30default_config_static_selectorELNS0_4arch9wavefront6targetE1EEEvT1_,"axG",@progbits,_ZN7rocprim17ROCPRIM_400000_NS6detail17trampoline_kernelINS0_14default_configENS1_25transform_config_selectorIyLb0EEEZNS1_14transform_implILb0ES3_S5_NS0_18transform_iteratorINS0_17counting_iteratorImlEEZNS1_24adjacent_difference_implIS3_Lb1ELb0EPySB_N6thrust23THRUST_200600_302600_NS5minusIyEEEE10hipError_tPvRmT2_T3_mT4_P12ihipStream_tbEUlmE_yEESB_NS0_8identityIvEEEESG_SJ_SK_mSL_SN_bEUlT_E_NS1_11comp_targetILNS1_3genE10ELNS1_11target_archE1200ELNS1_3gpuE4ELNS1_3repE0EEENS1_30default_config_static_selectorELNS0_4arch9wavefront6targetE1EEEvT1_,comdat
	.protected	_ZN7rocprim17ROCPRIM_400000_NS6detail17trampoline_kernelINS0_14default_configENS1_25transform_config_selectorIyLb0EEEZNS1_14transform_implILb0ES3_S5_NS0_18transform_iteratorINS0_17counting_iteratorImlEEZNS1_24adjacent_difference_implIS3_Lb1ELb0EPySB_N6thrust23THRUST_200600_302600_NS5minusIyEEEE10hipError_tPvRmT2_T3_mT4_P12ihipStream_tbEUlmE_yEESB_NS0_8identityIvEEEESG_SJ_SK_mSL_SN_bEUlT_E_NS1_11comp_targetILNS1_3genE10ELNS1_11target_archE1200ELNS1_3gpuE4ELNS1_3repE0EEENS1_30default_config_static_selectorELNS0_4arch9wavefront6targetE1EEEvT1_ ; -- Begin function _ZN7rocprim17ROCPRIM_400000_NS6detail17trampoline_kernelINS0_14default_configENS1_25transform_config_selectorIyLb0EEEZNS1_14transform_implILb0ES3_S5_NS0_18transform_iteratorINS0_17counting_iteratorImlEEZNS1_24adjacent_difference_implIS3_Lb1ELb0EPySB_N6thrust23THRUST_200600_302600_NS5minusIyEEEE10hipError_tPvRmT2_T3_mT4_P12ihipStream_tbEUlmE_yEESB_NS0_8identityIvEEEESG_SJ_SK_mSL_SN_bEUlT_E_NS1_11comp_targetILNS1_3genE10ELNS1_11target_archE1200ELNS1_3gpuE4ELNS1_3repE0EEENS1_30default_config_static_selectorELNS0_4arch9wavefront6targetE1EEEvT1_
	.globl	_ZN7rocprim17ROCPRIM_400000_NS6detail17trampoline_kernelINS0_14default_configENS1_25transform_config_selectorIyLb0EEEZNS1_14transform_implILb0ES3_S5_NS0_18transform_iteratorINS0_17counting_iteratorImlEEZNS1_24adjacent_difference_implIS3_Lb1ELb0EPySB_N6thrust23THRUST_200600_302600_NS5minusIyEEEE10hipError_tPvRmT2_T3_mT4_P12ihipStream_tbEUlmE_yEESB_NS0_8identityIvEEEESG_SJ_SK_mSL_SN_bEUlT_E_NS1_11comp_targetILNS1_3genE10ELNS1_11target_archE1200ELNS1_3gpuE4ELNS1_3repE0EEENS1_30default_config_static_selectorELNS0_4arch9wavefront6targetE1EEEvT1_
	.p2align	8
	.type	_ZN7rocprim17ROCPRIM_400000_NS6detail17trampoline_kernelINS0_14default_configENS1_25transform_config_selectorIyLb0EEEZNS1_14transform_implILb0ES3_S5_NS0_18transform_iteratorINS0_17counting_iteratorImlEEZNS1_24adjacent_difference_implIS3_Lb1ELb0EPySB_N6thrust23THRUST_200600_302600_NS5minusIyEEEE10hipError_tPvRmT2_T3_mT4_P12ihipStream_tbEUlmE_yEESB_NS0_8identityIvEEEESG_SJ_SK_mSL_SN_bEUlT_E_NS1_11comp_targetILNS1_3genE10ELNS1_11target_archE1200ELNS1_3gpuE4ELNS1_3repE0EEENS1_30default_config_static_selectorELNS0_4arch9wavefront6targetE1EEEvT1_,@function
_ZN7rocprim17ROCPRIM_400000_NS6detail17trampoline_kernelINS0_14default_configENS1_25transform_config_selectorIyLb0EEEZNS1_14transform_implILb0ES3_S5_NS0_18transform_iteratorINS0_17counting_iteratorImlEEZNS1_24adjacent_difference_implIS3_Lb1ELb0EPySB_N6thrust23THRUST_200600_302600_NS5minusIyEEEE10hipError_tPvRmT2_T3_mT4_P12ihipStream_tbEUlmE_yEESB_NS0_8identityIvEEEESG_SJ_SK_mSL_SN_bEUlT_E_NS1_11comp_targetILNS1_3genE10ELNS1_11target_archE1200ELNS1_3gpuE4ELNS1_3repE0EEENS1_30default_config_static_selectorELNS0_4arch9wavefront6targetE1EEEvT1_: ; @_ZN7rocprim17ROCPRIM_400000_NS6detail17trampoline_kernelINS0_14default_configENS1_25transform_config_selectorIyLb0EEEZNS1_14transform_implILb0ES3_S5_NS0_18transform_iteratorINS0_17counting_iteratorImlEEZNS1_24adjacent_difference_implIS3_Lb1ELb0EPySB_N6thrust23THRUST_200600_302600_NS5minusIyEEEE10hipError_tPvRmT2_T3_mT4_P12ihipStream_tbEUlmE_yEESB_NS0_8identityIvEEEESG_SJ_SK_mSL_SN_bEUlT_E_NS1_11comp_targetILNS1_3genE10ELNS1_11target_archE1200ELNS1_3gpuE4ELNS1_3repE0EEENS1_30default_config_static_selectorELNS0_4arch9wavefront6targetE1EEEvT1_
; %bb.0:
	.section	.rodata,"a",@progbits
	.p2align	6, 0x0
	.amdhsa_kernel _ZN7rocprim17ROCPRIM_400000_NS6detail17trampoline_kernelINS0_14default_configENS1_25transform_config_selectorIyLb0EEEZNS1_14transform_implILb0ES3_S5_NS0_18transform_iteratorINS0_17counting_iteratorImlEEZNS1_24adjacent_difference_implIS3_Lb1ELb0EPySB_N6thrust23THRUST_200600_302600_NS5minusIyEEEE10hipError_tPvRmT2_T3_mT4_P12ihipStream_tbEUlmE_yEESB_NS0_8identityIvEEEESG_SJ_SK_mSL_SN_bEUlT_E_NS1_11comp_targetILNS1_3genE10ELNS1_11target_archE1200ELNS1_3gpuE4ELNS1_3repE0EEENS1_30default_config_static_selectorELNS0_4arch9wavefront6targetE1EEEvT1_
		.amdhsa_group_segment_fixed_size 0
		.amdhsa_private_segment_fixed_size 0
		.amdhsa_kernarg_size 56
		.amdhsa_user_sgpr_count 6
		.amdhsa_user_sgpr_private_segment_buffer 1
		.amdhsa_user_sgpr_dispatch_ptr 0
		.amdhsa_user_sgpr_queue_ptr 0
		.amdhsa_user_sgpr_kernarg_segment_ptr 1
		.amdhsa_user_sgpr_dispatch_id 0
		.amdhsa_user_sgpr_flat_scratch_init 0
		.amdhsa_user_sgpr_private_segment_size 0
		.amdhsa_uses_dynamic_stack 0
		.amdhsa_system_sgpr_private_segment_wavefront_offset 0
		.amdhsa_system_sgpr_workgroup_id_x 1
		.amdhsa_system_sgpr_workgroup_id_y 0
		.amdhsa_system_sgpr_workgroup_id_z 0
		.amdhsa_system_sgpr_workgroup_info 0
		.amdhsa_system_vgpr_workitem_id 0
		.amdhsa_next_free_vgpr 1
		.amdhsa_next_free_sgpr 0
		.amdhsa_reserve_vcc 0
		.amdhsa_reserve_flat_scratch 0
		.amdhsa_float_round_mode_32 0
		.amdhsa_float_round_mode_16_64 0
		.amdhsa_float_denorm_mode_32 3
		.amdhsa_float_denorm_mode_16_64 3
		.amdhsa_dx10_clamp 1
		.amdhsa_ieee_mode 1
		.amdhsa_fp16_overflow 0
		.amdhsa_exception_fp_ieee_invalid_op 0
		.amdhsa_exception_fp_denorm_src 0
		.amdhsa_exception_fp_ieee_div_zero 0
		.amdhsa_exception_fp_ieee_overflow 0
		.amdhsa_exception_fp_ieee_underflow 0
		.amdhsa_exception_fp_ieee_inexact 0
		.amdhsa_exception_int_div_zero 0
	.end_amdhsa_kernel
	.section	.text._ZN7rocprim17ROCPRIM_400000_NS6detail17trampoline_kernelINS0_14default_configENS1_25transform_config_selectorIyLb0EEEZNS1_14transform_implILb0ES3_S5_NS0_18transform_iteratorINS0_17counting_iteratorImlEEZNS1_24adjacent_difference_implIS3_Lb1ELb0EPySB_N6thrust23THRUST_200600_302600_NS5minusIyEEEE10hipError_tPvRmT2_T3_mT4_P12ihipStream_tbEUlmE_yEESB_NS0_8identityIvEEEESG_SJ_SK_mSL_SN_bEUlT_E_NS1_11comp_targetILNS1_3genE10ELNS1_11target_archE1200ELNS1_3gpuE4ELNS1_3repE0EEENS1_30default_config_static_selectorELNS0_4arch9wavefront6targetE1EEEvT1_,"axG",@progbits,_ZN7rocprim17ROCPRIM_400000_NS6detail17trampoline_kernelINS0_14default_configENS1_25transform_config_selectorIyLb0EEEZNS1_14transform_implILb0ES3_S5_NS0_18transform_iteratorINS0_17counting_iteratorImlEEZNS1_24adjacent_difference_implIS3_Lb1ELb0EPySB_N6thrust23THRUST_200600_302600_NS5minusIyEEEE10hipError_tPvRmT2_T3_mT4_P12ihipStream_tbEUlmE_yEESB_NS0_8identityIvEEEESG_SJ_SK_mSL_SN_bEUlT_E_NS1_11comp_targetILNS1_3genE10ELNS1_11target_archE1200ELNS1_3gpuE4ELNS1_3repE0EEENS1_30default_config_static_selectorELNS0_4arch9wavefront6targetE1EEEvT1_,comdat
.Lfunc_end118:
	.size	_ZN7rocprim17ROCPRIM_400000_NS6detail17trampoline_kernelINS0_14default_configENS1_25transform_config_selectorIyLb0EEEZNS1_14transform_implILb0ES3_S5_NS0_18transform_iteratorINS0_17counting_iteratorImlEEZNS1_24adjacent_difference_implIS3_Lb1ELb0EPySB_N6thrust23THRUST_200600_302600_NS5minusIyEEEE10hipError_tPvRmT2_T3_mT4_P12ihipStream_tbEUlmE_yEESB_NS0_8identityIvEEEESG_SJ_SK_mSL_SN_bEUlT_E_NS1_11comp_targetILNS1_3genE10ELNS1_11target_archE1200ELNS1_3gpuE4ELNS1_3repE0EEENS1_30default_config_static_selectorELNS0_4arch9wavefront6targetE1EEEvT1_, .Lfunc_end118-_ZN7rocprim17ROCPRIM_400000_NS6detail17trampoline_kernelINS0_14default_configENS1_25transform_config_selectorIyLb0EEEZNS1_14transform_implILb0ES3_S5_NS0_18transform_iteratorINS0_17counting_iteratorImlEEZNS1_24adjacent_difference_implIS3_Lb1ELb0EPySB_N6thrust23THRUST_200600_302600_NS5minusIyEEEE10hipError_tPvRmT2_T3_mT4_P12ihipStream_tbEUlmE_yEESB_NS0_8identityIvEEEESG_SJ_SK_mSL_SN_bEUlT_E_NS1_11comp_targetILNS1_3genE10ELNS1_11target_archE1200ELNS1_3gpuE4ELNS1_3repE0EEENS1_30default_config_static_selectorELNS0_4arch9wavefront6targetE1EEEvT1_
                                        ; -- End function
	.set _ZN7rocprim17ROCPRIM_400000_NS6detail17trampoline_kernelINS0_14default_configENS1_25transform_config_selectorIyLb0EEEZNS1_14transform_implILb0ES3_S5_NS0_18transform_iteratorINS0_17counting_iteratorImlEEZNS1_24adjacent_difference_implIS3_Lb1ELb0EPySB_N6thrust23THRUST_200600_302600_NS5minusIyEEEE10hipError_tPvRmT2_T3_mT4_P12ihipStream_tbEUlmE_yEESB_NS0_8identityIvEEEESG_SJ_SK_mSL_SN_bEUlT_E_NS1_11comp_targetILNS1_3genE10ELNS1_11target_archE1200ELNS1_3gpuE4ELNS1_3repE0EEENS1_30default_config_static_selectorELNS0_4arch9wavefront6targetE1EEEvT1_.num_vgpr, 0
	.set _ZN7rocprim17ROCPRIM_400000_NS6detail17trampoline_kernelINS0_14default_configENS1_25transform_config_selectorIyLb0EEEZNS1_14transform_implILb0ES3_S5_NS0_18transform_iteratorINS0_17counting_iteratorImlEEZNS1_24adjacent_difference_implIS3_Lb1ELb0EPySB_N6thrust23THRUST_200600_302600_NS5minusIyEEEE10hipError_tPvRmT2_T3_mT4_P12ihipStream_tbEUlmE_yEESB_NS0_8identityIvEEEESG_SJ_SK_mSL_SN_bEUlT_E_NS1_11comp_targetILNS1_3genE10ELNS1_11target_archE1200ELNS1_3gpuE4ELNS1_3repE0EEENS1_30default_config_static_selectorELNS0_4arch9wavefront6targetE1EEEvT1_.num_agpr, 0
	.set _ZN7rocprim17ROCPRIM_400000_NS6detail17trampoline_kernelINS0_14default_configENS1_25transform_config_selectorIyLb0EEEZNS1_14transform_implILb0ES3_S5_NS0_18transform_iteratorINS0_17counting_iteratorImlEEZNS1_24adjacent_difference_implIS3_Lb1ELb0EPySB_N6thrust23THRUST_200600_302600_NS5minusIyEEEE10hipError_tPvRmT2_T3_mT4_P12ihipStream_tbEUlmE_yEESB_NS0_8identityIvEEEESG_SJ_SK_mSL_SN_bEUlT_E_NS1_11comp_targetILNS1_3genE10ELNS1_11target_archE1200ELNS1_3gpuE4ELNS1_3repE0EEENS1_30default_config_static_selectorELNS0_4arch9wavefront6targetE1EEEvT1_.numbered_sgpr, 0
	.set _ZN7rocprim17ROCPRIM_400000_NS6detail17trampoline_kernelINS0_14default_configENS1_25transform_config_selectorIyLb0EEEZNS1_14transform_implILb0ES3_S5_NS0_18transform_iteratorINS0_17counting_iteratorImlEEZNS1_24adjacent_difference_implIS3_Lb1ELb0EPySB_N6thrust23THRUST_200600_302600_NS5minusIyEEEE10hipError_tPvRmT2_T3_mT4_P12ihipStream_tbEUlmE_yEESB_NS0_8identityIvEEEESG_SJ_SK_mSL_SN_bEUlT_E_NS1_11comp_targetILNS1_3genE10ELNS1_11target_archE1200ELNS1_3gpuE4ELNS1_3repE0EEENS1_30default_config_static_selectorELNS0_4arch9wavefront6targetE1EEEvT1_.num_named_barrier, 0
	.set _ZN7rocprim17ROCPRIM_400000_NS6detail17trampoline_kernelINS0_14default_configENS1_25transform_config_selectorIyLb0EEEZNS1_14transform_implILb0ES3_S5_NS0_18transform_iteratorINS0_17counting_iteratorImlEEZNS1_24adjacent_difference_implIS3_Lb1ELb0EPySB_N6thrust23THRUST_200600_302600_NS5minusIyEEEE10hipError_tPvRmT2_T3_mT4_P12ihipStream_tbEUlmE_yEESB_NS0_8identityIvEEEESG_SJ_SK_mSL_SN_bEUlT_E_NS1_11comp_targetILNS1_3genE10ELNS1_11target_archE1200ELNS1_3gpuE4ELNS1_3repE0EEENS1_30default_config_static_selectorELNS0_4arch9wavefront6targetE1EEEvT1_.private_seg_size, 0
	.set _ZN7rocprim17ROCPRIM_400000_NS6detail17trampoline_kernelINS0_14default_configENS1_25transform_config_selectorIyLb0EEEZNS1_14transform_implILb0ES3_S5_NS0_18transform_iteratorINS0_17counting_iteratorImlEEZNS1_24adjacent_difference_implIS3_Lb1ELb0EPySB_N6thrust23THRUST_200600_302600_NS5minusIyEEEE10hipError_tPvRmT2_T3_mT4_P12ihipStream_tbEUlmE_yEESB_NS0_8identityIvEEEESG_SJ_SK_mSL_SN_bEUlT_E_NS1_11comp_targetILNS1_3genE10ELNS1_11target_archE1200ELNS1_3gpuE4ELNS1_3repE0EEENS1_30default_config_static_selectorELNS0_4arch9wavefront6targetE1EEEvT1_.uses_vcc, 0
	.set _ZN7rocprim17ROCPRIM_400000_NS6detail17trampoline_kernelINS0_14default_configENS1_25transform_config_selectorIyLb0EEEZNS1_14transform_implILb0ES3_S5_NS0_18transform_iteratorINS0_17counting_iteratorImlEEZNS1_24adjacent_difference_implIS3_Lb1ELb0EPySB_N6thrust23THRUST_200600_302600_NS5minusIyEEEE10hipError_tPvRmT2_T3_mT4_P12ihipStream_tbEUlmE_yEESB_NS0_8identityIvEEEESG_SJ_SK_mSL_SN_bEUlT_E_NS1_11comp_targetILNS1_3genE10ELNS1_11target_archE1200ELNS1_3gpuE4ELNS1_3repE0EEENS1_30default_config_static_selectorELNS0_4arch9wavefront6targetE1EEEvT1_.uses_flat_scratch, 0
	.set _ZN7rocprim17ROCPRIM_400000_NS6detail17trampoline_kernelINS0_14default_configENS1_25transform_config_selectorIyLb0EEEZNS1_14transform_implILb0ES3_S5_NS0_18transform_iteratorINS0_17counting_iteratorImlEEZNS1_24adjacent_difference_implIS3_Lb1ELb0EPySB_N6thrust23THRUST_200600_302600_NS5minusIyEEEE10hipError_tPvRmT2_T3_mT4_P12ihipStream_tbEUlmE_yEESB_NS0_8identityIvEEEESG_SJ_SK_mSL_SN_bEUlT_E_NS1_11comp_targetILNS1_3genE10ELNS1_11target_archE1200ELNS1_3gpuE4ELNS1_3repE0EEENS1_30default_config_static_selectorELNS0_4arch9wavefront6targetE1EEEvT1_.has_dyn_sized_stack, 0
	.set _ZN7rocprim17ROCPRIM_400000_NS6detail17trampoline_kernelINS0_14default_configENS1_25transform_config_selectorIyLb0EEEZNS1_14transform_implILb0ES3_S5_NS0_18transform_iteratorINS0_17counting_iteratorImlEEZNS1_24adjacent_difference_implIS3_Lb1ELb0EPySB_N6thrust23THRUST_200600_302600_NS5minusIyEEEE10hipError_tPvRmT2_T3_mT4_P12ihipStream_tbEUlmE_yEESB_NS0_8identityIvEEEESG_SJ_SK_mSL_SN_bEUlT_E_NS1_11comp_targetILNS1_3genE10ELNS1_11target_archE1200ELNS1_3gpuE4ELNS1_3repE0EEENS1_30default_config_static_selectorELNS0_4arch9wavefront6targetE1EEEvT1_.has_recursion, 0
	.set _ZN7rocprim17ROCPRIM_400000_NS6detail17trampoline_kernelINS0_14default_configENS1_25transform_config_selectorIyLb0EEEZNS1_14transform_implILb0ES3_S5_NS0_18transform_iteratorINS0_17counting_iteratorImlEEZNS1_24adjacent_difference_implIS3_Lb1ELb0EPySB_N6thrust23THRUST_200600_302600_NS5minusIyEEEE10hipError_tPvRmT2_T3_mT4_P12ihipStream_tbEUlmE_yEESB_NS0_8identityIvEEEESG_SJ_SK_mSL_SN_bEUlT_E_NS1_11comp_targetILNS1_3genE10ELNS1_11target_archE1200ELNS1_3gpuE4ELNS1_3repE0EEENS1_30default_config_static_selectorELNS0_4arch9wavefront6targetE1EEEvT1_.has_indirect_call, 0
	.section	.AMDGPU.csdata,"",@progbits
; Kernel info:
; codeLenInByte = 0
; TotalNumSgprs: 4
; NumVgprs: 0
; ScratchSize: 0
; MemoryBound: 0
; FloatMode: 240
; IeeeMode: 1
; LDSByteSize: 0 bytes/workgroup (compile time only)
; SGPRBlocks: 0
; VGPRBlocks: 0
; NumSGPRsForWavesPerEU: 4
; NumVGPRsForWavesPerEU: 1
; Occupancy: 10
; WaveLimiterHint : 0
; COMPUTE_PGM_RSRC2:SCRATCH_EN: 0
; COMPUTE_PGM_RSRC2:USER_SGPR: 6
; COMPUTE_PGM_RSRC2:TRAP_HANDLER: 0
; COMPUTE_PGM_RSRC2:TGID_X_EN: 1
; COMPUTE_PGM_RSRC2:TGID_Y_EN: 0
; COMPUTE_PGM_RSRC2:TGID_Z_EN: 0
; COMPUTE_PGM_RSRC2:TIDIG_COMP_CNT: 0
	.section	.text._ZN7rocprim17ROCPRIM_400000_NS6detail17trampoline_kernelINS0_14default_configENS1_25transform_config_selectorIyLb0EEEZNS1_14transform_implILb0ES3_S5_NS0_18transform_iteratorINS0_17counting_iteratorImlEEZNS1_24adjacent_difference_implIS3_Lb1ELb0EPySB_N6thrust23THRUST_200600_302600_NS5minusIyEEEE10hipError_tPvRmT2_T3_mT4_P12ihipStream_tbEUlmE_yEESB_NS0_8identityIvEEEESG_SJ_SK_mSL_SN_bEUlT_E_NS1_11comp_targetILNS1_3genE9ELNS1_11target_archE1100ELNS1_3gpuE3ELNS1_3repE0EEENS1_30default_config_static_selectorELNS0_4arch9wavefront6targetE1EEEvT1_,"axG",@progbits,_ZN7rocprim17ROCPRIM_400000_NS6detail17trampoline_kernelINS0_14default_configENS1_25transform_config_selectorIyLb0EEEZNS1_14transform_implILb0ES3_S5_NS0_18transform_iteratorINS0_17counting_iteratorImlEEZNS1_24adjacent_difference_implIS3_Lb1ELb0EPySB_N6thrust23THRUST_200600_302600_NS5minusIyEEEE10hipError_tPvRmT2_T3_mT4_P12ihipStream_tbEUlmE_yEESB_NS0_8identityIvEEEESG_SJ_SK_mSL_SN_bEUlT_E_NS1_11comp_targetILNS1_3genE9ELNS1_11target_archE1100ELNS1_3gpuE3ELNS1_3repE0EEENS1_30default_config_static_selectorELNS0_4arch9wavefront6targetE1EEEvT1_,comdat
	.protected	_ZN7rocprim17ROCPRIM_400000_NS6detail17trampoline_kernelINS0_14default_configENS1_25transform_config_selectorIyLb0EEEZNS1_14transform_implILb0ES3_S5_NS0_18transform_iteratorINS0_17counting_iteratorImlEEZNS1_24adjacent_difference_implIS3_Lb1ELb0EPySB_N6thrust23THRUST_200600_302600_NS5minusIyEEEE10hipError_tPvRmT2_T3_mT4_P12ihipStream_tbEUlmE_yEESB_NS0_8identityIvEEEESG_SJ_SK_mSL_SN_bEUlT_E_NS1_11comp_targetILNS1_3genE9ELNS1_11target_archE1100ELNS1_3gpuE3ELNS1_3repE0EEENS1_30default_config_static_selectorELNS0_4arch9wavefront6targetE1EEEvT1_ ; -- Begin function _ZN7rocprim17ROCPRIM_400000_NS6detail17trampoline_kernelINS0_14default_configENS1_25transform_config_selectorIyLb0EEEZNS1_14transform_implILb0ES3_S5_NS0_18transform_iteratorINS0_17counting_iteratorImlEEZNS1_24adjacent_difference_implIS3_Lb1ELb0EPySB_N6thrust23THRUST_200600_302600_NS5minusIyEEEE10hipError_tPvRmT2_T3_mT4_P12ihipStream_tbEUlmE_yEESB_NS0_8identityIvEEEESG_SJ_SK_mSL_SN_bEUlT_E_NS1_11comp_targetILNS1_3genE9ELNS1_11target_archE1100ELNS1_3gpuE3ELNS1_3repE0EEENS1_30default_config_static_selectorELNS0_4arch9wavefront6targetE1EEEvT1_
	.globl	_ZN7rocprim17ROCPRIM_400000_NS6detail17trampoline_kernelINS0_14default_configENS1_25transform_config_selectorIyLb0EEEZNS1_14transform_implILb0ES3_S5_NS0_18transform_iteratorINS0_17counting_iteratorImlEEZNS1_24adjacent_difference_implIS3_Lb1ELb0EPySB_N6thrust23THRUST_200600_302600_NS5minusIyEEEE10hipError_tPvRmT2_T3_mT4_P12ihipStream_tbEUlmE_yEESB_NS0_8identityIvEEEESG_SJ_SK_mSL_SN_bEUlT_E_NS1_11comp_targetILNS1_3genE9ELNS1_11target_archE1100ELNS1_3gpuE3ELNS1_3repE0EEENS1_30default_config_static_selectorELNS0_4arch9wavefront6targetE1EEEvT1_
	.p2align	8
	.type	_ZN7rocprim17ROCPRIM_400000_NS6detail17trampoline_kernelINS0_14default_configENS1_25transform_config_selectorIyLb0EEEZNS1_14transform_implILb0ES3_S5_NS0_18transform_iteratorINS0_17counting_iteratorImlEEZNS1_24adjacent_difference_implIS3_Lb1ELb0EPySB_N6thrust23THRUST_200600_302600_NS5minusIyEEEE10hipError_tPvRmT2_T3_mT4_P12ihipStream_tbEUlmE_yEESB_NS0_8identityIvEEEESG_SJ_SK_mSL_SN_bEUlT_E_NS1_11comp_targetILNS1_3genE9ELNS1_11target_archE1100ELNS1_3gpuE3ELNS1_3repE0EEENS1_30default_config_static_selectorELNS0_4arch9wavefront6targetE1EEEvT1_,@function
_ZN7rocprim17ROCPRIM_400000_NS6detail17trampoline_kernelINS0_14default_configENS1_25transform_config_selectorIyLb0EEEZNS1_14transform_implILb0ES3_S5_NS0_18transform_iteratorINS0_17counting_iteratorImlEEZNS1_24adjacent_difference_implIS3_Lb1ELb0EPySB_N6thrust23THRUST_200600_302600_NS5minusIyEEEE10hipError_tPvRmT2_T3_mT4_P12ihipStream_tbEUlmE_yEESB_NS0_8identityIvEEEESG_SJ_SK_mSL_SN_bEUlT_E_NS1_11comp_targetILNS1_3genE9ELNS1_11target_archE1100ELNS1_3gpuE3ELNS1_3repE0EEENS1_30default_config_static_selectorELNS0_4arch9wavefront6targetE1EEEvT1_: ; @_ZN7rocprim17ROCPRIM_400000_NS6detail17trampoline_kernelINS0_14default_configENS1_25transform_config_selectorIyLb0EEEZNS1_14transform_implILb0ES3_S5_NS0_18transform_iteratorINS0_17counting_iteratorImlEEZNS1_24adjacent_difference_implIS3_Lb1ELb0EPySB_N6thrust23THRUST_200600_302600_NS5minusIyEEEE10hipError_tPvRmT2_T3_mT4_P12ihipStream_tbEUlmE_yEESB_NS0_8identityIvEEEESG_SJ_SK_mSL_SN_bEUlT_E_NS1_11comp_targetILNS1_3genE9ELNS1_11target_archE1100ELNS1_3gpuE3ELNS1_3repE0EEENS1_30default_config_static_selectorELNS0_4arch9wavefront6targetE1EEEvT1_
; %bb.0:
	.section	.rodata,"a",@progbits
	.p2align	6, 0x0
	.amdhsa_kernel _ZN7rocprim17ROCPRIM_400000_NS6detail17trampoline_kernelINS0_14default_configENS1_25transform_config_selectorIyLb0EEEZNS1_14transform_implILb0ES3_S5_NS0_18transform_iteratorINS0_17counting_iteratorImlEEZNS1_24adjacent_difference_implIS3_Lb1ELb0EPySB_N6thrust23THRUST_200600_302600_NS5minusIyEEEE10hipError_tPvRmT2_T3_mT4_P12ihipStream_tbEUlmE_yEESB_NS0_8identityIvEEEESG_SJ_SK_mSL_SN_bEUlT_E_NS1_11comp_targetILNS1_3genE9ELNS1_11target_archE1100ELNS1_3gpuE3ELNS1_3repE0EEENS1_30default_config_static_selectorELNS0_4arch9wavefront6targetE1EEEvT1_
		.amdhsa_group_segment_fixed_size 0
		.amdhsa_private_segment_fixed_size 0
		.amdhsa_kernarg_size 56
		.amdhsa_user_sgpr_count 6
		.amdhsa_user_sgpr_private_segment_buffer 1
		.amdhsa_user_sgpr_dispatch_ptr 0
		.amdhsa_user_sgpr_queue_ptr 0
		.amdhsa_user_sgpr_kernarg_segment_ptr 1
		.amdhsa_user_sgpr_dispatch_id 0
		.amdhsa_user_sgpr_flat_scratch_init 0
		.amdhsa_user_sgpr_private_segment_size 0
		.amdhsa_uses_dynamic_stack 0
		.amdhsa_system_sgpr_private_segment_wavefront_offset 0
		.amdhsa_system_sgpr_workgroup_id_x 1
		.amdhsa_system_sgpr_workgroup_id_y 0
		.amdhsa_system_sgpr_workgroup_id_z 0
		.amdhsa_system_sgpr_workgroup_info 0
		.amdhsa_system_vgpr_workitem_id 0
		.amdhsa_next_free_vgpr 1
		.amdhsa_next_free_sgpr 0
		.amdhsa_reserve_vcc 0
		.amdhsa_reserve_flat_scratch 0
		.amdhsa_float_round_mode_32 0
		.amdhsa_float_round_mode_16_64 0
		.amdhsa_float_denorm_mode_32 3
		.amdhsa_float_denorm_mode_16_64 3
		.amdhsa_dx10_clamp 1
		.amdhsa_ieee_mode 1
		.amdhsa_fp16_overflow 0
		.amdhsa_exception_fp_ieee_invalid_op 0
		.amdhsa_exception_fp_denorm_src 0
		.amdhsa_exception_fp_ieee_div_zero 0
		.amdhsa_exception_fp_ieee_overflow 0
		.amdhsa_exception_fp_ieee_underflow 0
		.amdhsa_exception_fp_ieee_inexact 0
		.amdhsa_exception_int_div_zero 0
	.end_amdhsa_kernel
	.section	.text._ZN7rocprim17ROCPRIM_400000_NS6detail17trampoline_kernelINS0_14default_configENS1_25transform_config_selectorIyLb0EEEZNS1_14transform_implILb0ES3_S5_NS0_18transform_iteratorINS0_17counting_iteratorImlEEZNS1_24adjacent_difference_implIS3_Lb1ELb0EPySB_N6thrust23THRUST_200600_302600_NS5minusIyEEEE10hipError_tPvRmT2_T3_mT4_P12ihipStream_tbEUlmE_yEESB_NS0_8identityIvEEEESG_SJ_SK_mSL_SN_bEUlT_E_NS1_11comp_targetILNS1_3genE9ELNS1_11target_archE1100ELNS1_3gpuE3ELNS1_3repE0EEENS1_30default_config_static_selectorELNS0_4arch9wavefront6targetE1EEEvT1_,"axG",@progbits,_ZN7rocprim17ROCPRIM_400000_NS6detail17trampoline_kernelINS0_14default_configENS1_25transform_config_selectorIyLb0EEEZNS1_14transform_implILb0ES3_S5_NS0_18transform_iteratorINS0_17counting_iteratorImlEEZNS1_24adjacent_difference_implIS3_Lb1ELb0EPySB_N6thrust23THRUST_200600_302600_NS5minusIyEEEE10hipError_tPvRmT2_T3_mT4_P12ihipStream_tbEUlmE_yEESB_NS0_8identityIvEEEESG_SJ_SK_mSL_SN_bEUlT_E_NS1_11comp_targetILNS1_3genE9ELNS1_11target_archE1100ELNS1_3gpuE3ELNS1_3repE0EEENS1_30default_config_static_selectorELNS0_4arch9wavefront6targetE1EEEvT1_,comdat
.Lfunc_end119:
	.size	_ZN7rocprim17ROCPRIM_400000_NS6detail17trampoline_kernelINS0_14default_configENS1_25transform_config_selectorIyLb0EEEZNS1_14transform_implILb0ES3_S5_NS0_18transform_iteratorINS0_17counting_iteratorImlEEZNS1_24adjacent_difference_implIS3_Lb1ELb0EPySB_N6thrust23THRUST_200600_302600_NS5minusIyEEEE10hipError_tPvRmT2_T3_mT4_P12ihipStream_tbEUlmE_yEESB_NS0_8identityIvEEEESG_SJ_SK_mSL_SN_bEUlT_E_NS1_11comp_targetILNS1_3genE9ELNS1_11target_archE1100ELNS1_3gpuE3ELNS1_3repE0EEENS1_30default_config_static_selectorELNS0_4arch9wavefront6targetE1EEEvT1_, .Lfunc_end119-_ZN7rocprim17ROCPRIM_400000_NS6detail17trampoline_kernelINS0_14default_configENS1_25transform_config_selectorIyLb0EEEZNS1_14transform_implILb0ES3_S5_NS0_18transform_iteratorINS0_17counting_iteratorImlEEZNS1_24adjacent_difference_implIS3_Lb1ELb0EPySB_N6thrust23THRUST_200600_302600_NS5minusIyEEEE10hipError_tPvRmT2_T3_mT4_P12ihipStream_tbEUlmE_yEESB_NS0_8identityIvEEEESG_SJ_SK_mSL_SN_bEUlT_E_NS1_11comp_targetILNS1_3genE9ELNS1_11target_archE1100ELNS1_3gpuE3ELNS1_3repE0EEENS1_30default_config_static_selectorELNS0_4arch9wavefront6targetE1EEEvT1_
                                        ; -- End function
	.set _ZN7rocprim17ROCPRIM_400000_NS6detail17trampoline_kernelINS0_14default_configENS1_25transform_config_selectorIyLb0EEEZNS1_14transform_implILb0ES3_S5_NS0_18transform_iteratorINS0_17counting_iteratorImlEEZNS1_24adjacent_difference_implIS3_Lb1ELb0EPySB_N6thrust23THRUST_200600_302600_NS5minusIyEEEE10hipError_tPvRmT2_T3_mT4_P12ihipStream_tbEUlmE_yEESB_NS0_8identityIvEEEESG_SJ_SK_mSL_SN_bEUlT_E_NS1_11comp_targetILNS1_3genE9ELNS1_11target_archE1100ELNS1_3gpuE3ELNS1_3repE0EEENS1_30default_config_static_selectorELNS0_4arch9wavefront6targetE1EEEvT1_.num_vgpr, 0
	.set _ZN7rocprim17ROCPRIM_400000_NS6detail17trampoline_kernelINS0_14default_configENS1_25transform_config_selectorIyLb0EEEZNS1_14transform_implILb0ES3_S5_NS0_18transform_iteratorINS0_17counting_iteratorImlEEZNS1_24adjacent_difference_implIS3_Lb1ELb0EPySB_N6thrust23THRUST_200600_302600_NS5minusIyEEEE10hipError_tPvRmT2_T3_mT4_P12ihipStream_tbEUlmE_yEESB_NS0_8identityIvEEEESG_SJ_SK_mSL_SN_bEUlT_E_NS1_11comp_targetILNS1_3genE9ELNS1_11target_archE1100ELNS1_3gpuE3ELNS1_3repE0EEENS1_30default_config_static_selectorELNS0_4arch9wavefront6targetE1EEEvT1_.num_agpr, 0
	.set _ZN7rocprim17ROCPRIM_400000_NS6detail17trampoline_kernelINS0_14default_configENS1_25transform_config_selectorIyLb0EEEZNS1_14transform_implILb0ES3_S5_NS0_18transform_iteratorINS0_17counting_iteratorImlEEZNS1_24adjacent_difference_implIS3_Lb1ELb0EPySB_N6thrust23THRUST_200600_302600_NS5minusIyEEEE10hipError_tPvRmT2_T3_mT4_P12ihipStream_tbEUlmE_yEESB_NS0_8identityIvEEEESG_SJ_SK_mSL_SN_bEUlT_E_NS1_11comp_targetILNS1_3genE9ELNS1_11target_archE1100ELNS1_3gpuE3ELNS1_3repE0EEENS1_30default_config_static_selectorELNS0_4arch9wavefront6targetE1EEEvT1_.numbered_sgpr, 0
	.set _ZN7rocprim17ROCPRIM_400000_NS6detail17trampoline_kernelINS0_14default_configENS1_25transform_config_selectorIyLb0EEEZNS1_14transform_implILb0ES3_S5_NS0_18transform_iteratorINS0_17counting_iteratorImlEEZNS1_24adjacent_difference_implIS3_Lb1ELb0EPySB_N6thrust23THRUST_200600_302600_NS5minusIyEEEE10hipError_tPvRmT2_T3_mT4_P12ihipStream_tbEUlmE_yEESB_NS0_8identityIvEEEESG_SJ_SK_mSL_SN_bEUlT_E_NS1_11comp_targetILNS1_3genE9ELNS1_11target_archE1100ELNS1_3gpuE3ELNS1_3repE0EEENS1_30default_config_static_selectorELNS0_4arch9wavefront6targetE1EEEvT1_.num_named_barrier, 0
	.set _ZN7rocprim17ROCPRIM_400000_NS6detail17trampoline_kernelINS0_14default_configENS1_25transform_config_selectorIyLb0EEEZNS1_14transform_implILb0ES3_S5_NS0_18transform_iteratorINS0_17counting_iteratorImlEEZNS1_24adjacent_difference_implIS3_Lb1ELb0EPySB_N6thrust23THRUST_200600_302600_NS5minusIyEEEE10hipError_tPvRmT2_T3_mT4_P12ihipStream_tbEUlmE_yEESB_NS0_8identityIvEEEESG_SJ_SK_mSL_SN_bEUlT_E_NS1_11comp_targetILNS1_3genE9ELNS1_11target_archE1100ELNS1_3gpuE3ELNS1_3repE0EEENS1_30default_config_static_selectorELNS0_4arch9wavefront6targetE1EEEvT1_.private_seg_size, 0
	.set _ZN7rocprim17ROCPRIM_400000_NS6detail17trampoline_kernelINS0_14default_configENS1_25transform_config_selectorIyLb0EEEZNS1_14transform_implILb0ES3_S5_NS0_18transform_iteratorINS0_17counting_iteratorImlEEZNS1_24adjacent_difference_implIS3_Lb1ELb0EPySB_N6thrust23THRUST_200600_302600_NS5minusIyEEEE10hipError_tPvRmT2_T3_mT4_P12ihipStream_tbEUlmE_yEESB_NS0_8identityIvEEEESG_SJ_SK_mSL_SN_bEUlT_E_NS1_11comp_targetILNS1_3genE9ELNS1_11target_archE1100ELNS1_3gpuE3ELNS1_3repE0EEENS1_30default_config_static_selectorELNS0_4arch9wavefront6targetE1EEEvT1_.uses_vcc, 0
	.set _ZN7rocprim17ROCPRIM_400000_NS6detail17trampoline_kernelINS0_14default_configENS1_25transform_config_selectorIyLb0EEEZNS1_14transform_implILb0ES3_S5_NS0_18transform_iteratorINS0_17counting_iteratorImlEEZNS1_24adjacent_difference_implIS3_Lb1ELb0EPySB_N6thrust23THRUST_200600_302600_NS5minusIyEEEE10hipError_tPvRmT2_T3_mT4_P12ihipStream_tbEUlmE_yEESB_NS0_8identityIvEEEESG_SJ_SK_mSL_SN_bEUlT_E_NS1_11comp_targetILNS1_3genE9ELNS1_11target_archE1100ELNS1_3gpuE3ELNS1_3repE0EEENS1_30default_config_static_selectorELNS0_4arch9wavefront6targetE1EEEvT1_.uses_flat_scratch, 0
	.set _ZN7rocprim17ROCPRIM_400000_NS6detail17trampoline_kernelINS0_14default_configENS1_25transform_config_selectorIyLb0EEEZNS1_14transform_implILb0ES3_S5_NS0_18transform_iteratorINS0_17counting_iteratorImlEEZNS1_24adjacent_difference_implIS3_Lb1ELb0EPySB_N6thrust23THRUST_200600_302600_NS5minusIyEEEE10hipError_tPvRmT2_T3_mT4_P12ihipStream_tbEUlmE_yEESB_NS0_8identityIvEEEESG_SJ_SK_mSL_SN_bEUlT_E_NS1_11comp_targetILNS1_3genE9ELNS1_11target_archE1100ELNS1_3gpuE3ELNS1_3repE0EEENS1_30default_config_static_selectorELNS0_4arch9wavefront6targetE1EEEvT1_.has_dyn_sized_stack, 0
	.set _ZN7rocprim17ROCPRIM_400000_NS6detail17trampoline_kernelINS0_14default_configENS1_25transform_config_selectorIyLb0EEEZNS1_14transform_implILb0ES3_S5_NS0_18transform_iteratorINS0_17counting_iteratorImlEEZNS1_24adjacent_difference_implIS3_Lb1ELb0EPySB_N6thrust23THRUST_200600_302600_NS5minusIyEEEE10hipError_tPvRmT2_T3_mT4_P12ihipStream_tbEUlmE_yEESB_NS0_8identityIvEEEESG_SJ_SK_mSL_SN_bEUlT_E_NS1_11comp_targetILNS1_3genE9ELNS1_11target_archE1100ELNS1_3gpuE3ELNS1_3repE0EEENS1_30default_config_static_selectorELNS0_4arch9wavefront6targetE1EEEvT1_.has_recursion, 0
	.set _ZN7rocprim17ROCPRIM_400000_NS6detail17trampoline_kernelINS0_14default_configENS1_25transform_config_selectorIyLb0EEEZNS1_14transform_implILb0ES3_S5_NS0_18transform_iteratorINS0_17counting_iteratorImlEEZNS1_24adjacent_difference_implIS3_Lb1ELb0EPySB_N6thrust23THRUST_200600_302600_NS5minusIyEEEE10hipError_tPvRmT2_T3_mT4_P12ihipStream_tbEUlmE_yEESB_NS0_8identityIvEEEESG_SJ_SK_mSL_SN_bEUlT_E_NS1_11comp_targetILNS1_3genE9ELNS1_11target_archE1100ELNS1_3gpuE3ELNS1_3repE0EEENS1_30default_config_static_selectorELNS0_4arch9wavefront6targetE1EEEvT1_.has_indirect_call, 0
	.section	.AMDGPU.csdata,"",@progbits
; Kernel info:
; codeLenInByte = 0
; TotalNumSgprs: 4
; NumVgprs: 0
; ScratchSize: 0
; MemoryBound: 0
; FloatMode: 240
; IeeeMode: 1
; LDSByteSize: 0 bytes/workgroup (compile time only)
; SGPRBlocks: 0
; VGPRBlocks: 0
; NumSGPRsForWavesPerEU: 4
; NumVGPRsForWavesPerEU: 1
; Occupancy: 10
; WaveLimiterHint : 0
; COMPUTE_PGM_RSRC2:SCRATCH_EN: 0
; COMPUTE_PGM_RSRC2:USER_SGPR: 6
; COMPUTE_PGM_RSRC2:TRAP_HANDLER: 0
; COMPUTE_PGM_RSRC2:TGID_X_EN: 1
; COMPUTE_PGM_RSRC2:TGID_Y_EN: 0
; COMPUTE_PGM_RSRC2:TGID_Z_EN: 0
; COMPUTE_PGM_RSRC2:TIDIG_COMP_CNT: 0
	.section	.text._ZN7rocprim17ROCPRIM_400000_NS6detail17trampoline_kernelINS0_14default_configENS1_25transform_config_selectorIyLb0EEEZNS1_14transform_implILb0ES3_S5_NS0_18transform_iteratorINS0_17counting_iteratorImlEEZNS1_24adjacent_difference_implIS3_Lb1ELb0EPySB_N6thrust23THRUST_200600_302600_NS5minusIyEEEE10hipError_tPvRmT2_T3_mT4_P12ihipStream_tbEUlmE_yEESB_NS0_8identityIvEEEESG_SJ_SK_mSL_SN_bEUlT_E_NS1_11comp_targetILNS1_3genE8ELNS1_11target_archE1030ELNS1_3gpuE2ELNS1_3repE0EEENS1_30default_config_static_selectorELNS0_4arch9wavefront6targetE1EEEvT1_,"axG",@progbits,_ZN7rocprim17ROCPRIM_400000_NS6detail17trampoline_kernelINS0_14default_configENS1_25transform_config_selectorIyLb0EEEZNS1_14transform_implILb0ES3_S5_NS0_18transform_iteratorINS0_17counting_iteratorImlEEZNS1_24adjacent_difference_implIS3_Lb1ELb0EPySB_N6thrust23THRUST_200600_302600_NS5minusIyEEEE10hipError_tPvRmT2_T3_mT4_P12ihipStream_tbEUlmE_yEESB_NS0_8identityIvEEEESG_SJ_SK_mSL_SN_bEUlT_E_NS1_11comp_targetILNS1_3genE8ELNS1_11target_archE1030ELNS1_3gpuE2ELNS1_3repE0EEENS1_30default_config_static_selectorELNS0_4arch9wavefront6targetE1EEEvT1_,comdat
	.protected	_ZN7rocprim17ROCPRIM_400000_NS6detail17trampoline_kernelINS0_14default_configENS1_25transform_config_selectorIyLb0EEEZNS1_14transform_implILb0ES3_S5_NS0_18transform_iteratorINS0_17counting_iteratorImlEEZNS1_24adjacent_difference_implIS3_Lb1ELb0EPySB_N6thrust23THRUST_200600_302600_NS5minusIyEEEE10hipError_tPvRmT2_T3_mT4_P12ihipStream_tbEUlmE_yEESB_NS0_8identityIvEEEESG_SJ_SK_mSL_SN_bEUlT_E_NS1_11comp_targetILNS1_3genE8ELNS1_11target_archE1030ELNS1_3gpuE2ELNS1_3repE0EEENS1_30default_config_static_selectorELNS0_4arch9wavefront6targetE1EEEvT1_ ; -- Begin function _ZN7rocprim17ROCPRIM_400000_NS6detail17trampoline_kernelINS0_14default_configENS1_25transform_config_selectorIyLb0EEEZNS1_14transform_implILb0ES3_S5_NS0_18transform_iteratorINS0_17counting_iteratorImlEEZNS1_24adjacent_difference_implIS3_Lb1ELb0EPySB_N6thrust23THRUST_200600_302600_NS5minusIyEEEE10hipError_tPvRmT2_T3_mT4_P12ihipStream_tbEUlmE_yEESB_NS0_8identityIvEEEESG_SJ_SK_mSL_SN_bEUlT_E_NS1_11comp_targetILNS1_3genE8ELNS1_11target_archE1030ELNS1_3gpuE2ELNS1_3repE0EEENS1_30default_config_static_selectorELNS0_4arch9wavefront6targetE1EEEvT1_
	.globl	_ZN7rocprim17ROCPRIM_400000_NS6detail17trampoline_kernelINS0_14default_configENS1_25transform_config_selectorIyLb0EEEZNS1_14transform_implILb0ES3_S5_NS0_18transform_iteratorINS0_17counting_iteratorImlEEZNS1_24adjacent_difference_implIS3_Lb1ELb0EPySB_N6thrust23THRUST_200600_302600_NS5minusIyEEEE10hipError_tPvRmT2_T3_mT4_P12ihipStream_tbEUlmE_yEESB_NS0_8identityIvEEEESG_SJ_SK_mSL_SN_bEUlT_E_NS1_11comp_targetILNS1_3genE8ELNS1_11target_archE1030ELNS1_3gpuE2ELNS1_3repE0EEENS1_30default_config_static_selectorELNS0_4arch9wavefront6targetE1EEEvT1_
	.p2align	8
	.type	_ZN7rocprim17ROCPRIM_400000_NS6detail17trampoline_kernelINS0_14default_configENS1_25transform_config_selectorIyLb0EEEZNS1_14transform_implILb0ES3_S5_NS0_18transform_iteratorINS0_17counting_iteratorImlEEZNS1_24adjacent_difference_implIS3_Lb1ELb0EPySB_N6thrust23THRUST_200600_302600_NS5minusIyEEEE10hipError_tPvRmT2_T3_mT4_P12ihipStream_tbEUlmE_yEESB_NS0_8identityIvEEEESG_SJ_SK_mSL_SN_bEUlT_E_NS1_11comp_targetILNS1_3genE8ELNS1_11target_archE1030ELNS1_3gpuE2ELNS1_3repE0EEENS1_30default_config_static_selectorELNS0_4arch9wavefront6targetE1EEEvT1_,@function
_ZN7rocprim17ROCPRIM_400000_NS6detail17trampoline_kernelINS0_14default_configENS1_25transform_config_selectorIyLb0EEEZNS1_14transform_implILb0ES3_S5_NS0_18transform_iteratorINS0_17counting_iteratorImlEEZNS1_24adjacent_difference_implIS3_Lb1ELb0EPySB_N6thrust23THRUST_200600_302600_NS5minusIyEEEE10hipError_tPvRmT2_T3_mT4_P12ihipStream_tbEUlmE_yEESB_NS0_8identityIvEEEESG_SJ_SK_mSL_SN_bEUlT_E_NS1_11comp_targetILNS1_3genE8ELNS1_11target_archE1030ELNS1_3gpuE2ELNS1_3repE0EEENS1_30default_config_static_selectorELNS0_4arch9wavefront6targetE1EEEvT1_: ; @_ZN7rocprim17ROCPRIM_400000_NS6detail17trampoline_kernelINS0_14default_configENS1_25transform_config_selectorIyLb0EEEZNS1_14transform_implILb0ES3_S5_NS0_18transform_iteratorINS0_17counting_iteratorImlEEZNS1_24adjacent_difference_implIS3_Lb1ELb0EPySB_N6thrust23THRUST_200600_302600_NS5minusIyEEEE10hipError_tPvRmT2_T3_mT4_P12ihipStream_tbEUlmE_yEESB_NS0_8identityIvEEEESG_SJ_SK_mSL_SN_bEUlT_E_NS1_11comp_targetILNS1_3genE8ELNS1_11target_archE1030ELNS1_3gpuE2ELNS1_3repE0EEENS1_30default_config_static_selectorELNS0_4arch9wavefront6targetE1EEEvT1_
; %bb.0:
	.section	.rodata,"a",@progbits
	.p2align	6, 0x0
	.amdhsa_kernel _ZN7rocprim17ROCPRIM_400000_NS6detail17trampoline_kernelINS0_14default_configENS1_25transform_config_selectorIyLb0EEEZNS1_14transform_implILb0ES3_S5_NS0_18transform_iteratorINS0_17counting_iteratorImlEEZNS1_24adjacent_difference_implIS3_Lb1ELb0EPySB_N6thrust23THRUST_200600_302600_NS5minusIyEEEE10hipError_tPvRmT2_T3_mT4_P12ihipStream_tbEUlmE_yEESB_NS0_8identityIvEEEESG_SJ_SK_mSL_SN_bEUlT_E_NS1_11comp_targetILNS1_3genE8ELNS1_11target_archE1030ELNS1_3gpuE2ELNS1_3repE0EEENS1_30default_config_static_selectorELNS0_4arch9wavefront6targetE1EEEvT1_
		.amdhsa_group_segment_fixed_size 0
		.amdhsa_private_segment_fixed_size 0
		.amdhsa_kernarg_size 56
		.amdhsa_user_sgpr_count 6
		.amdhsa_user_sgpr_private_segment_buffer 1
		.amdhsa_user_sgpr_dispatch_ptr 0
		.amdhsa_user_sgpr_queue_ptr 0
		.amdhsa_user_sgpr_kernarg_segment_ptr 1
		.amdhsa_user_sgpr_dispatch_id 0
		.amdhsa_user_sgpr_flat_scratch_init 0
		.amdhsa_user_sgpr_private_segment_size 0
		.amdhsa_uses_dynamic_stack 0
		.amdhsa_system_sgpr_private_segment_wavefront_offset 0
		.amdhsa_system_sgpr_workgroup_id_x 1
		.amdhsa_system_sgpr_workgroup_id_y 0
		.amdhsa_system_sgpr_workgroup_id_z 0
		.amdhsa_system_sgpr_workgroup_info 0
		.amdhsa_system_vgpr_workitem_id 0
		.amdhsa_next_free_vgpr 1
		.amdhsa_next_free_sgpr 0
		.amdhsa_reserve_vcc 0
		.amdhsa_reserve_flat_scratch 0
		.amdhsa_float_round_mode_32 0
		.amdhsa_float_round_mode_16_64 0
		.amdhsa_float_denorm_mode_32 3
		.amdhsa_float_denorm_mode_16_64 3
		.amdhsa_dx10_clamp 1
		.amdhsa_ieee_mode 1
		.amdhsa_fp16_overflow 0
		.amdhsa_exception_fp_ieee_invalid_op 0
		.amdhsa_exception_fp_denorm_src 0
		.amdhsa_exception_fp_ieee_div_zero 0
		.amdhsa_exception_fp_ieee_overflow 0
		.amdhsa_exception_fp_ieee_underflow 0
		.amdhsa_exception_fp_ieee_inexact 0
		.amdhsa_exception_int_div_zero 0
	.end_amdhsa_kernel
	.section	.text._ZN7rocprim17ROCPRIM_400000_NS6detail17trampoline_kernelINS0_14default_configENS1_25transform_config_selectorIyLb0EEEZNS1_14transform_implILb0ES3_S5_NS0_18transform_iteratorINS0_17counting_iteratorImlEEZNS1_24adjacent_difference_implIS3_Lb1ELb0EPySB_N6thrust23THRUST_200600_302600_NS5minusIyEEEE10hipError_tPvRmT2_T3_mT4_P12ihipStream_tbEUlmE_yEESB_NS0_8identityIvEEEESG_SJ_SK_mSL_SN_bEUlT_E_NS1_11comp_targetILNS1_3genE8ELNS1_11target_archE1030ELNS1_3gpuE2ELNS1_3repE0EEENS1_30default_config_static_selectorELNS0_4arch9wavefront6targetE1EEEvT1_,"axG",@progbits,_ZN7rocprim17ROCPRIM_400000_NS6detail17trampoline_kernelINS0_14default_configENS1_25transform_config_selectorIyLb0EEEZNS1_14transform_implILb0ES3_S5_NS0_18transform_iteratorINS0_17counting_iteratorImlEEZNS1_24adjacent_difference_implIS3_Lb1ELb0EPySB_N6thrust23THRUST_200600_302600_NS5minusIyEEEE10hipError_tPvRmT2_T3_mT4_P12ihipStream_tbEUlmE_yEESB_NS0_8identityIvEEEESG_SJ_SK_mSL_SN_bEUlT_E_NS1_11comp_targetILNS1_3genE8ELNS1_11target_archE1030ELNS1_3gpuE2ELNS1_3repE0EEENS1_30default_config_static_selectorELNS0_4arch9wavefront6targetE1EEEvT1_,comdat
.Lfunc_end120:
	.size	_ZN7rocprim17ROCPRIM_400000_NS6detail17trampoline_kernelINS0_14default_configENS1_25transform_config_selectorIyLb0EEEZNS1_14transform_implILb0ES3_S5_NS0_18transform_iteratorINS0_17counting_iteratorImlEEZNS1_24adjacent_difference_implIS3_Lb1ELb0EPySB_N6thrust23THRUST_200600_302600_NS5minusIyEEEE10hipError_tPvRmT2_T3_mT4_P12ihipStream_tbEUlmE_yEESB_NS0_8identityIvEEEESG_SJ_SK_mSL_SN_bEUlT_E_NS1_11comp_targetILNS1_3genE8ELNS1_11target_archE1030ELNS1_3gpuE2ELNS1_3repE0EEENS1_30default_config_static_selectorELNS0_4arch9wavefront6targetE1EEEvT1_, .Lfunc_end120-_ZN7rocprim17ROCPRIM_400000_NS6detail17trampoline_kernelINS0_14default_configENS1_25transform_config_selectorIyLb0EEEZNS1_14transform_implILb0ES3_S5_NS0_18transform_iteratorINS0_17counting_iteratorImlEEZNS1_24adjacent_difference_implIS3_Lb1ELb0EPySB_N6thrust23THRUST_200600_302600_NS5minusIyEEEE10hipError_tPvRmT2_T3_mT4_P12ihipStream_tbEUlmE_yEESB_NS0_8identityIvEEEESG_SJ_SK_mSL_SN_bEUlT_E_NS1_11comp_targetILNS1_3genE8ELNS1_11target_archE1030ELNS1_3gpuE2ELNS1_3repE0EEENS1_30default_config_static_selectorELNS0_4arch9wavefront6targetE1EEEvT1_
                                        ; -- End function
	.set _ZN7rocprim17ROCPRIM_400000_NS6detail17trampoline_kernelINS0_14default_configENS1_25transform_config_selectorIyLb0EEEZNS1_14transform_implILb0ES3_S5_NS0_18transform_iteratorINS0_17counting_iteratorImlEEZNS1_24adjacent_difference_implIS3_Lb1ELb0EPySB_N6thrust23THRUST_200600_302600_NS5minusIyEEEE10hipError_tPvRmT2_T3_mT4_P12ihipStream_tbEUlmE_yEESB_NS0_8identityIvEEEESG_SJ_SK_mSL_SN_bEUlT_E_NS1_11comp_targetILNS1_3genE8ELNS1_11target_archE1030ELNS1_3gpuE2ELNS1_3repE0EEENS1_30default_config_static_selectorELNS0_4arch9wavefront6targetE1EEEvT1_.num_vgpr, 0
	.set _ZN7rocprim17ROCPRIM_400000_NS6detail17trampoline_kernelINS0_14default_configENS1_25transform_config_selectorIyLb0EEEZNS1_14transform_implILb0ES3_S5_NS0_18transform_iteratorINS0_17counting_iteratorImlEEZNS1_24adjacent_difference_implIS3_Lb1ELb0EPySB_N6thrust23THRUST_200600_302600_NS5minusIyEEEE10hipError_tPvRmT2_T3_mT4_P12ihipStream_tbEUlmE_yEESB_NS0_8identityIvEEEESG_SJ_SK_mSL_SN_bEUlT_E_NS1_11comp_targetILNS1_3genE8ELNS1_11target_archE1030ELNS1_3gpuE2ELNS1_3repE0EEENS1_30default_config_static_selectorELNS0_4arch9wavefront6targetE1EEEvT1_.num_agpr, 0
	.set _ZN7rocprim17ROCPRIM_400000_NS6detail17trampoline_kernelINS0_14default_configENS1_25transform_config_selectorIyLb0EEEZNS1_14transform_implILb0ES3_S5_NS0_18transform_iteratorINS0_17counting_iteratorImlEEZNS1_24adjacent_difference_implIS3_Lb1ELb0EPySB_N6thrust23THRUST_200600_302600_NS5minusIyEEEE10hipError_tPvRmT2_T3_mT4_P12ihipStream_tbEUlmE_yEESB_NS0_8identityIvEEEESG_SJ_SK_mSL_SN_bEUlT_E_NS1_11comp_targetILNS1_3genE8ELNS1_11target_archE1030ELNS1_3gpuE2ELNS1_3repE0EEENS1_30default_config_static_selectorELNS0_4arch9wavefront6targetE1EEEvT1_.numbered_sgpr, 0
	.set _ZN7rocprim17ROCPRIM_400000_NS6detail17trampoline_kernelINS0_14default_configENS1_25transform_config_selectorIyLb0EEEZNS1_14transform_implILb0ES3_S5_NS0_18transform_iteratorINS0_17counting_iteratorImlEEZNS1_24adjacent_difference_implIS3_Lb1ELb0EPySB_N6thrust23THRUST_200600_302600_NS5minusIyEEEE10hipError_tPvRmT2_T3_mT4_P12ihipStream_tbEUlmE_yEESB_NS0_8identityIvEEEESG_SJ_SK_mSL_SN_bEUlT_E_NS1_11comp_targetILNS1_3genE8ELNS1_11target_archE1030ELNS1_3gpuE2ELNS1_3repE0EEENS1_30default_config_static_selectorELNS0_4arch9wavefront6targetE1EEEvT1_.num_named_barrier, 0
	.set _ZN7rocprim17ROCPRIM_400000_NS6detail17trampoline_kernelINS0_14default_configENS1_25transform_config_selectorIyLb0EEEZNS1_14transform_implILb0ES3_S5_NS0_18transform_iteratorINS0_17counting_iteratorImlEEZNS1_24adjacent_difference_implIS3_Lb1ELb0EPySB_N6thrust23THRUST_200600_302600_NS5minusIyEEEE10hipError_tPvRmT2_T3_mT4_P12ihipStream_tbEUlmE_yEESB_NS0_8identityIvEEEESG_SJ_SK_mSL_SN_bEUlT_E_NS1_11comp_targetILNS1_3genE8ELNS1_11target_archE1030ELNS1_3gpuE2ELNS1_3repE0EEENS1_30default_config_static_selectorELNS0_4arch9wavefront6targetE1EEEvT1_.private_seg_size, 0
	.set _ZN7rocprim17ROCPRIM_400000_NS6detail17trampoline_kernelINS0_14default_configENS1_25transform_config_selectorIyLb0EEEZNS1_14transform_implILb0ES3_S5_NS0_18transform_iteratorINS0_17counting_iteratorImlEEZNS1_24adjacent_difference_implIS3_Lb1ELb0EPySB_N6thrust23THRUST_200600_302600_NS5minusIyEEEE10hipError_tPvRmT2_T3_mT4_P12ihipStream_tbEUlmE_yEESB_NS0_8identityIvEEEESG_SJ_SK_mSL_SN_bEUlT_E_NS1_11comp_targetILNS1_3genE8ELNS1_11target_archE1030ELNS1_3gpuE2ELNS1_3repE0EEENS1_30default_config_static_selectorELNS0_4arch9wavefront6targetE1EEEvT1_.uses_vcc, 0
	.set _ZN7rocprim17ROCPRIM_400000_NS6detail17trampoline_kernelINS0_14default_configENS1_25transform_config_selectorIyLb0EEEZNS1_14transform_implILb0ES3_S5_NS0_18transform_iteratorINS0_17counting_iteratorImlEEZNS1_24adjacent_difference_implIS3_Lb1ELb0EPySB_N6thrust23THRUST_200600_302600_NS5minusIyEEEE10hipError_tPvRmT2_T3_mT4_P12ihipStream_tbEUlmE_yEESB_NS0_8identityIvEEEESG_SJ_SK_mSL_SN_bEUlT_E_NS1_11comp_targetILNS1_3genE8ELNS1_11target_archE1030ELNS1_3gpuE2ELNS1_3repE0EEENS1_30default_config_static_selectorELNS0_4arch9wavefront6targetE1EEEvT1_.uses_flat_scratch, 0
	.set _ZN7rocprim17ROCPRIM_400000_NS6detail17trampoline_kernelINS0_14default_configENS1_25transform_config_selectorIyLb0EEEZNS1_14transform_implILb0ES3_S5_NS0_18transform_iteratorINS0_17counting_iteratorImlEEZNS1_24adjacent_difference_implIS3_Lb1ELb0EPySB_N6thrust23THRUST_200600_302600_NS5minusIyEEEE10hipError_tPvRmT2_T3_mT4_P12ihipStream_tbEUlmE_yEESB_NS0_8identityIvEEEESG_SJ_SK_mSL_SN_bEUlT_E_NS1_11comp_targetILNS1_3genE8ELNS1_11target_archE1030ELNS1_3gpuE2ELNS1_3repE0EEENS1_30default_config_static_selectorELNS0_4arch9wavefront6targetE1EEEvT1_.has_dyn_sized_stack, 0
	.set _ZN7rocprim17ROCPRIM_400000_NS6detail17trampoline_kernelINS0_14default_configENS1_25transform_config_selectorIyLb0EEEZNS1_14transform_implILb0ES3_S5_NS0_18transform_iteratorINS0_17counting_iteratorImlEEZNS1_24adjacent_difference_implIS3_Lb1ELb0EPySB_N6thrust23THRUST_200600_302600_NS5minusIyEEEE10hipError_tPvRmT2_T3_mT4_P12ihipStream_tbEUlmE_yEESB_NS0_8identityIvEEEESG_SJ_SK_mSL_SN_bEUlT_E_NS1_11comp_targetILNS1_3genE8ELNS1_11target_archE1030ELNS1_3gpuE2ELNS1_3repE0EEENS1_30default_config_static_selectorELNS0_4arch9wavefront6targetE1EEEvT1_.has_recursion, 0
	.set _ZN7rocprim17ROCPRIM_400000_NS6detail17trampoline_kernelINS0_14default_configENS1_25transform_config_selectorIyLb0EEEZNS1_14transform_implILb0ES3_S5_NS0_18transform_iteratorINS0_17counting_iteratorImlEEZNS1_24adjacent_difference_implIS3_Lb1ELb0EPySB_N6thrust23THRUST_200600_302600_NS5minusIyEEEE10hipError_tPvRmT2_T3_mT4_P12ihipStream_tbEUlmE_yEESB_NS0_8identityIvEEEESG_SJ_SK_mSL_SN_bEUlT_E_NS1_11comp_targetILNS1_3genE8ELNS1_11target_archE1030ELNS1_3gpuE2ELNS1_3repE0EEENS1_30default_config_static_selectorELNS0_4arch9wavefront6targetE1EEEvT1_.has_indirect_call, 0
	.section	.AMDGPU.csdata,"",@progbits
; Kernel info:
; codeLenInByte = 0
; TotalNumSgprs: 4
; NumVgprs: 0
; ScratchSize: 0
; MemoryBound: 0
; FloatMode: 240
; IeeeMode: 1
; LDSByteSize: 0 bytes/workgroup (compile time only)
; SGPRBlocks: 0
; VGPRBlocks: 0
; NumSGPRsForWavesPerEU: 4
; NumVGPRsForWavesPerEU: 1
; Occupancy: 10
; WaveLimiterHint : 0
; COMPUTE_PGM_RSRC2:SCRATCH_EN: 0
; COMPUTE_PGM_RSRC2:USER_SGPR: 6
; COMPUTE_PGM_RSRC2:TRAP_HANDLER: 0
; COMPUTE_PGM_RSRC2:TGID_X_EN: 1
; COMPUTE_PGM_RSRC2:TGID_Y_EN: 0
; COMPUTE_PGM_RSRC2:TGID_Z_EN: 0
; COMPUTE_PGM_RSRC2:TIDIG_COMP_CNT: 0
	.section	.text._ZN7rocprim17ROCPRIM_400000_NS6detail17trampoline_kernelINS0_14default_configENS1_35adjacent_difference_config_selectorILb1EyEEZNS1_24adjacent_difference_implIS3_Lb1ELb0EPyS7_N6thrust23THRUST_200600_302600_NS5minusIyEEEE10hipError_tPvRmT2_T3_mT4_P12ihipStream_tbEUlT_E_NS1_11comp_targetILNS1_3genE0ELNS1_11target_archE4294967295ELNS1_3gpuE0ELNS1_3repE0EEENS1_30default_config_static_selectorELNS0_4arch9wavefront6targetE1EEEvT1_,"axG",@progbits,_ZN7rocprim17ROCPRIM_400000_NS6detail17trampoline_kernelINS0_14default_configENS1_35adjacent_difference_config_selectorILb1EyEEZNS1_24adjacent_difference_implIS3_Lb1ELb0EPyS7_N6thrust23THRUST_200600_302600_NS5minusIyEEEE10hipError_tPvRmT2_T3_mT4_P12ihipStream_tbEUlT_E_NS1_11comp_targetILNS1_3genE0ELNS1_11target_archE4294967295ELNS1_3gpuE0ELNS1_3repE0EEENS1_30default_config_static_selectorELNS0_4arch9wavefront6targetE1EEEvT1_,comdat
	.protected	_ZN7rocprim17ROCPRIM_400000_NS6detail17trampoline_kernelINS0_14default_configENS1_35adjacent_difference_config_selectorILb1EyEEZNS1_24adjacent_difference_implIS3_Lb1ELb0EPyS7_N6thrust23THRUST_200600_302600_NS5minusIyEEEE10hipError_tPvRmT2_T3_mT4_P12ihipStream_tbEUlT_E_NS1_11comp_targetILNS1_3genE0ELNS1_11target_archE4294967295ELNS1_3gpuE0ELNS1_3repE0EEENS1_30default_config_static_selectorELNS0_4arch9wavefront6targetE1EEEvT1_ ; -- Begin function _ZN7rocprim17ROCPRIM_400000_NS6detail17trampoline_kernelINS0_14default_configENS1_35adjacent_difference_config_selectorILb1EyEEZNS1_24adjacent_difference_implIS3_Lb1ELb0EPyS7_N6thrust23THRUST_200600_302600_NS5minusIyEEEE10hipError_tPvRmT2_T3_mT4_P12ihipStream_tbEUlT_E_NS1_11comp_targetILNS1_3genE0ELNS1_11target_archE4294967295ELNS1_3gpuE0ELNS1_3repE0EEENS1_30default_config_static_selectorELNS0_4arch9wavefront6targetE1EEEvT1_
	.globl	_ZN7rocprim17ROCPRIM_400000_NS6detail17trampoline_kernelINS0_14default_configENS1_35adjacent_difference_config_selectorILb1EyEEZNS1_24adjacent_difference_implIS3_Lb1ELb0EPyS7_N6thrust23THRUST_200600_302600_NS5minusIyEEEE10hipError_tPvRmT2_T3_mT4_P12ihipStream_tbEUlT_E_NS1_11comp_targetILNS1_3genE0ELNS1_11target_archE4294967295ELNS1_3gpuE0ELNS1_3repE0EEENS1_30default_config_static_selectorELNS0_4arch9wavefront6targetE1EEEvT1_
	.p2align	8
	.type	_ZN7rocprim17ROCPRIM_400000_NS6detail17trampoline_kernelINS0_14default_configENS1_35adjacent_difference_config_selectorILb1EyEEZNS1_24adjacent_difference_implIS3_Lb1ELb0EPyS7_N6thrust23THRUST_200600_302600_NS5minusIyEEEE10hipError_tPvRmT2_T3_mT4_P12ihipStream_tbEUlT_E_NS1_11comp_targetILNS1_3genE0ELNS1_11target_archE4294967295ELNS1_3gpuE0ELNS1_3repE0EEENS1_30default_config_static_selectorELNS0_4arch9wavefront6targetE1EEEvT1_,@function
_ZN7rocprim17ROCPRIM_400000_NS6detail17trampoline_kernelINS0_14default_configENS1_35adjacent_difference_config_selectorILb1EyEEZNS1_24adjacent_difference_implIS3_Lb1ELb0EPyS7_N6thrust23THRUST_200600_302600_NS5minusIyEEEE10hipError_tPvRmT2_T3_mT4_P12ihipStream_tbEUlT_E_NS1_11comp_targetILNS1_3genE0ELNS1_11target_archE4294967295ELNS1_3gpuE0ELNS1_3repE0EEENS1_30default_config_static_selectorELNS0_4arch9wavefront6targetE1EEEvT1_: ; @_ZN7rocprim17ROCPRIM_400000_NS6detail17trampoline_kernelINS0_14default_configENS1_35adjacent_difference_config_selectorILb1EyEEZNS1_24adjacent_difference_implIS3_Lb1ELb0EPyS7_N6thrust23THRUST_200600_302600_NS5minusIyEEEE10hipError_tPvRmT2_T3_mT4_P12ihipStream_tbEUlT_E_NS1_11comp_targetILNS1_3genE0ELNS1_11target_archE4294967295ELNS1_3gpuE0ELNS1_3repE0EEENS1_30default_config_static_selectorELNS0_4arch9wavefront6targetE1EEEvT1_
; %bb.0:
	.section	.rodata,"a",@progbits
	.p2align	6, 0x0
	.amdhsa_kernel _ZN7rocprim17ROCPRIM_400000_NS6detail17trampoline_kernelINS0_14default_configENS1_35adjacent_difference_config_selectorILb1EyEEZNS1_24adjacent_difference_implIS3_Lb1ELb0EPyS7_N6thrust23THRUST_200600_302600_NS5minusIyEEEE10hipError_tPvRmT2_T3_mT4_P12ihipStream_tbEUlT_E_NS1_11comp_targetILNS1_3genE0ELNS1_11target_archE4294967295ELNS1_3gpuE0ELNS1_3repE0EEENS1_30default_config_static_selectorELNS0_4arch9wavefront6targetE1EEEvT1_
		.amdhsa_group_segment_fixed_size 0
		.amdhsa_private_segment_fixed_size 0
		.amdhsa_kernarg_size 56
		.amdhsa_user_sgpr_count 6
		.amdhsa_user_sgpr_private_segment_buffer 1
		.amdhsa_user_sgpr_dispatch_ptr 0
		.amdhsa_user_sgpr_queue_ptr 0
		.amdhsa_user_sgpr_kernarg_segment_ptr 1
		.amdhsa_user_sgpr_dispatch_id 0
		.amdhsa_user_sgpr_flat_scratch_init 0
		.amdhsa_user_sgpr_private_segment_size 0
		.amdhsa_uses_dynamic_stack 0
		.amdhsa_system_sgpr_private_segment_wavefront_offset 0
		.amdhsa_system_sgpr_workgroup_id_x 1
		.amdhsa_system_sgpr_workgroup_id_y 0
		.amdhsa_system_sgpr_workgroup_id_z 0
		.amdhsa_system_sgpr_workgroup_info 0
		.amdhsa_system_vgpr_workitem_id 0
		.amdhsa_next_free_vgpr 1
		.amdhsa_next_free_sgpr 0
		.amdhsa_reserve_vcc 0
		.amdhsa_reserve_flat_scratch 0
		.amdhsa_float_round_mode_32 0
		.amdhsa_float_round_mode_16_64 0
		.amdhsa_float_denorm_mode_32 3
		.amdhsa_float_denorm_mode_16_64 3
		.amdhsa_dx10_clamp 1
		.amdhsa_ieee_mode 1
		.amdhsa_fp16_overflow 0
		.amdhsa_exception_fp_ieee_invalid_op 0
		.amdhsa_exception_fp_denorm_src 0
		.amdhsa_exception_fp_ieee_div_zero 0
		.amdhsa_exception_fp_ieee_overflow 0
		.amdhsa_exception_fp_ieee_underflow 0
		.amdhsa_exception_fp_ieee_inexact 0
		.amdhsa_exception_int_div_zero 0
	.end_amdhsa_kernel
	.section	.text._ZN7rocprim17ROCPRIM_400000_NS6detail17trampoline_kernelINS0_14default_configENS1_35adjacent_difference_config_selectorILb1EyEEZNS1_24adjacent_difference_implIS3_Lb1ELb0EPyS7_N6thrust23THRUST_200600_302600_NS5minusIyEEEE10hipError_tPvRmT2_T3_mT4_P12ihipStream_tbEUlT_E_NS1_11comp_targetILNS1_3genE0ELNS1_11target_archE4294967295ELNS1_3gpuE0ELNS1_3repE0EEENS1_30default_config_static_selectorELNS0_4arch9wavefront6targetE1EEEvT1_,"axG",@progbits,_ZN7rocprim17ROCPRIM_400000_NS6detail17trampoline_kernelINS0_14default_configENS1_35adjacent_difference_config_selectorILb1EyEEZNS1_24adjacent_difference_implIS3_Lb1ELb0EPyS7_N6thrust23THRUST_200600_302600_NS5minusIyEEEE10hipError_tPvRmT2_T3_mT4_P12ihipStream_tbEUlT_E_NS1_11comp_targetILNS1_3genE0ELNS1_11target_archE4294967295ELNS1_3gpuE0ELNS1_3repE0EEENS1_30default_config_static_selectorELNS0_4arch9wavefront6targetE1EEEvT1_,comdat
.Lfunc_end121:
	.size	_ZN7rocprim17ROCPRIM_400000_NS6detail17trampoline_kernelINS0_14default_configENS1_35adjacent_difference_config_selectorILb1EyEEZNS1_24adjacent_difference_implIS3_Lb1ELb0EPyS7_N6thrust23THRUST_200600_302600_NS5minusIyEEEE10hipError_tPvRmT2_T3_mT4_P12ihipStream_tbEUlT_E_NS1_11comp_targetILNS1_3genE0ELNS1_11target_archE4294967295ELNS1_3gpuE0ELNS1_3repE0EEENS1_30default_config_static_selectorELNS0_4arch9wavefront6targetE1EEEvT1_, .Lfunc_end121-_ZN7rocprim17ROCPRIM_400000_NS6detail17trampoline_kernelINS0_14default_configENS1_35adjacent_difference_config_selectorILb1EyEEZNS1_24adjacent_difference_implIS3_Lb1ELb0EPyS7_N6thrust23THRUST_200600_302600_NS5minusIyEEEE10hipError_tPvRmT2_T3_mT4_P12ihipStream_tbEUlT_E_NS1_11comp_targetILNS1_3genE0ELNS1_11target_archE4294967295ELNS1_3gpuE0ELNS1_3repE0EEENS1_30default_config_static_selectorELNS0_4arch9wavefront6targetE1EEEvT1_
                                        ; -- End function
	.set _ZN7rocprim17ROCPRIM_400000_NS6detail17trampoline_kernelINS0_14default_configENS1_35adjacent_difference_config_selectorILb1EyEEZNS1_24adjacent_difference_implIS3_Lb1ELb0EPyS7_N6thrust23THRUST_200600_302600_NS5minusIyEEEE10hipError_tPvRmT2_T3_mT4_P12ihipStream_tbEUlT_E_NS1_11comp_targetILNS1_3genE0ELNS1_11target_archE4294967295ELNS1_3gpuE0ELNS1_3repE0EEENS1_30default_config_static_selectorELNS0_4arch9wavefront6targetE1EEEvT1_.num_vgpr, 0
	.set _ZN7rocprim17ROCPRIM_400000_NS6detail17trampoline_kernelINS0_14default_configENS1_35adjacent_difference_config_selectorILb1EyEEZNS1_24adjacent_difference_implIS3_Lb1ELb0EPyS7_N6thrust23THRUST_200600_302600_NS5minusIyEEEE10hipError_tPvRmT2_T3_mT4_P12ihipStream_tbEUlT_E_NS1_11comp_targetILNS1_3genE0ELNS1_11target_archE4294967295ELNS1_3gpuE0ELNS1_3repE0EEENS1_30default_config_static_selectorELNS0_4arch9wavefront6targetE1EEEvT1_.num_agpr, 0
	.set _ZN7rocprim17ROCPRIM_400000_NS6detail17trampoline_kernelINS0_14default_configENS1_35adjacent_difference_config_selectorILb1EyEEZNS1_24adjacent_difference_implIS3_Lb1ELb0EPyS7_N6thrust23THRUST_200600_302600_NS5minusIyEEEE10hipError_tPvRmT2_T3_mT4_P12ihipStream_tbEUlT_E_NS1_11comp_targetILNS1_3genE0ELNS1_11target_archE4294967295ELNS1_3gpuE0ELNS1_3repE0EEENS1_30default_config_static_selectorELNS0_4arch9wavefront6targetE1EEEvT1_.numbered_sgpr, 0
	.set _ZN7rocprim17ROCPRIM_400000_NS6detail17trampoline_kernelINS0_14default_configENS1_35adjacent_difference_config_selectorILb1EyEEZNS1_24adjacent_difference_implIS3_Lb1ELb0EPyS7_N6thrust23THRUST_200600_302600_NS5minusIyEEEE10hipError_tPvRmT2_T3_mT4_P12ihipStream_tbEUlT_E_NS1_11comp_targetILNS1_3genE0ELNS1_11target_archE4294967295ELNS1_3gpuE0ELNS1_3repE0EEENS1_30default_config_static_selectorELNS0_4arch9wavefront6targetE1EEEvT1_.num_named_barrier, 0
	.set _ZN7rocprim17ROCPRIM_400000_NS6detail17trampoline_kernelINS0_14default_configENS1_35adjacent_difference_config_selectorILb1EyEEZNS1_24adjacent_difference_implIS3_Lb1ELb0EPyS7_N6thrust23THRUST_200600_302600_NS5minusIyEEEE10hipError_tPvRmT2_T3_mT4_P12ihipStream_tbEUlT_E_NS1_11comp_targetILNS1_3genE0ELNS1_11target_archE4294967295ELNS1_3gpuE0ELNS1_3repE0EEENS1_30default_config_static_selectorELNS0_4arch9wavefront6targetE1EEEvT1_.private_seg_size, 0
	.set _ZN7rocprim17ROCPRIM_400000_NS6detail17trampoline_kernelINS0_14default_configENS1_35adjacent_difference_config_selectorILb1EyEEZNS1_24adjacent_difference_implIS3_Lb1ELb0EPyS7_N6thrust23THRUST_200600_302600_NS5minusIyEEEE10hipError_tPvRmT2_T3_mT4_P12ihipStream_tbEUlT_E_NS1_11comp_targetILNS1_3genE0ELNS1_11target_archE4294967295ELNS1_3gpuE0ELNS1_3repE0EEENS1_30default_config_static_selectorELNS0_4arch9wavefront6targetE1EEEvT1_.uses_vcc, 0
	.set _ZN7rocprim17ROCPRIM_400000_NS6detail17trampoline_kernelINS0_14default_configENS1_35adjacent_difference_config_selectorILb1EyEEZNS1_24adjacent_difference_implIS3_Lb1ELb0EPyS7_N6thrust23THRUST_200600_302600_NS5minusIyEEEE10hipError_tPvRmT2_T3_mT4_P12ihipStream_tbEUlT_E_NS1_11comp_targetILNS1_3genE0ELNS1_11target_archE4294967295ELNS1_3gpuE0ELNS1_3repE0EEENS1_30default_config_static_selectorELNS0_4arch9wavefront6targetE1EEEvT1_.uses_flat_scratch, 0
	.set _ZN7rocprim17ROCPRIM_400000_NS6detail17trampoline_kernelINS0_14default_configENS1_35adjacent_difference_config_selectorILb1EyEEZNS1_24adjacent_difference_implIS3_Lb1ELb0EPyS7_N6thrust23THRUST_200600_302600_NS5minusIyEEEE10hipError_tPvRmT2_T3_mT4_P12ihipStream_tbEUlT_E_NS1_11comp_targetILNS1_3genE0ELNS1_11target_archE4294967295ELNS1_3gpuE0ELNS1_3repE0EEENS1_30default_config_static_selectorELNS0_4arch9wavefront6targetE1EEEvT1_.has_dyn_sized_stack, 0
	.set _ZN7rocprim17ROCPRIM_400000_NS6detail17trampoline_kernelINS0_14default_configENS1_35adjacent_difference_config_selectorILb1EyEEZNS1_24adjacent_difference_implIS3_Lb1ELb0EPyS7_N6thrust23THRUST_200600_302600_NS5minusIyEEEE10hipError_tPvRmT2_T3_mT4_P12ihipStream_tbEUlT_E_NS1_11comp_targetILNS1_3genE0ELNS1_11target_archE4294967295ELNS1_3gpuE0ELNS1_3repE0EEENS1_30default_config_static_selectorELNS0_4arch9wavefront6targetE1EEEvT1_.has_recursion, 0
	.set _ZN7rocprim17ROCPRIM_400000_NS6detail17trampoline_kernelINS0_14default_configENS1_35adjacent_difference_config_selectorILb1EyEEZNS1_24adjacent_difference_implIS3_Lb1ELb0EPyS7_N6thrust23THRUST_200600_302600_NS5minusIyEEEE10hipError_tPvRmT2_T3_mT4_P12ihipStream_tbEUlT_E_NS1_11comp_targetILNS1_3genE0ELNS1_11target_archE4294967295ELNS1_3gpuE0ELNS1_3repE0EEENS1_30default_config_static_selectorELNS0_4arch9wavefront6targetE1EEEvT1_.has_indirect_call, 0
	.section	.AMDGPU.csdata,"",@progbits
; Kernel info:
; codeLenInByte = 0
; TotalNumSgprs: 4
; NumVgprs: 0
; ScratchSize: 0
; MemoryBound: 0
; FloatMode: 240
; IeeeMode: 1
; LDSByteSize: 0 bytes/workgroup (compile time only)
; SGPRBlocks: 0
; VGPRBlocks: 0
; NumSGPRsForWavesPerEU: 4
; NumVGPRsForWavesPerEU: 1
; Occupancy: 10
; WaveLimiterHint : 0
; COMPUTE_PGM_RSRC2:SCRATCH_EN: 0
; COMPUTE_PGM_RSRC2:USER_SGPR: 6
; COMPUTE_PGM_RSRC2:TRAP_HANDLER: 0
; COMPUTE_PGM_RSRC2:TGID_X_EN: 1
; COMPUTE_PGM_RSRC2:TGID_Y_EN: 0
; COMPUTE_PGM_RSRC2:TGID_Z_EN: 0
; COMPUTE_PGM_RSRC2:TIDIG_COMP_CNT: 0
	.section	.text._ZN7rocprim17ROCPRIM_400000_NS6detail17trampoline_kernelINS0_14default_configENS1_35adjacent_difference_config_selectorILb1EyEEZNS1_24adjacent_difference_implIS3_Lb1ELb0EPyS7_N6thrust23THRUST_200600_302600_NS5minusIyEEEE10hipError_tPvRmT2_T3_mT4_P12ihipStream_tbEUlT_E_NS1_11comp_targetILNS1_3genE10ELNS1_11target_archE1201ELNS1_3gpuE5ELNS1_3repE0EEENS1_30default_config_static_selectorELNS0_4arch9wavefront6targetE1EEEvT1_,"axG",@progbits,_ZN7rocprim17ROCPRIM_400000_NS6detail17trampoline_kernelINS0_14default_configENS1_35adjacent_difference_config_selectorILb1EyEEZNS1_24adjacent_difference_implIS3_Lb1ELb0EPyS7_N6thrust23THRUST_200600_302600_NS5minusIyEEEE10hipError_tPvRmT2_T3_mT4_P12ihipStream_tbEUlT_E_NS1_11comp_targetILNS1_3genE10ELNS1_11target_archE1201ELNS1_3gpuE5ELNS1_3repE0EEENS1_30default_config_static_selectorELNS0_4arch9wavefront6targetE1EEEvT1_,comdat
	.protected	_ZN7rocprim17ROCPRIM_400000_NS6detail17trampoline_kernelINS0_14default_configENS1_35adjacent_difference_config_selectorILb1EyEEZNS1_24adjacent_difference_implIS3_Lb1ELb0EPyS7_N6thrust23THRUST_200600_302600_NS5minusIyEEEE10hipError_tPvRmT2_T3_mT4_P12ihipStream_tbEUlT_E_NS1_11comp_targetILNS1_3genE10ELNS1_11target_archE1201ELNS1_3gpuE5ELNS1_3repE0EEENS1_30default_config_static_selectorELNS0_4arch9wavefront6targetE1EEEvT1_ ; -- Begin function _ZN7rocprim17ROCPRIM_400000_NS6detail17trampoline_kernelINS0_14default_configENS1_35adjacent_difference_config_selectorILb1EyEEZNS1_24adjacent_difference_implIS3_Lb1ELb0EPyS7_N6thrust23THRUST_200600_302600_NS5minusIyEEEE10hipError_tPvRmT2_T3_mT4_P12ihipStream_tbEUlT_E_NS1_11comp_targetILNS1_3genE10ELNS1_11target_archE1201ELNS1_3gpuE5ELNS1_3repE0EEENS1_30default_config_static_selectorELNS0_4arch9wavefront6targetE1EEEvT1_
	.globl	_ZN7rocprim17ROCPRIM_400000_NS6detail17trampoline_kernelINS0_14default_configENS1_35adjacent_difference_config_selectorILb1EyEEZNS1_24adjacent_difference_implIS3_Lb1ELb0EPyS7_N6thrust23THRUST_200600_302600_NS5minusIyEEEE10hipError_tPvRmT2_T3_mT4_P12ihipStream_tbEUlT_E_NS1_11comp_targetILNS1_3genE10ELNS1_11target_archE1201ELNS1_3gpuE5ELNS1_3repE0EEENS1_30default_config_static_selectorELNS0_4arch9wavefront6targetE1EEEvT1_
	.p2align	8
	.type	_ZN7rocprim17ROCPRIM_400000_NS6detail17trampoline_kernelINS0_14default_configENS1_35adjacent_difference_config_selectorILb1EyEEZNS1_24adjacent_difference_implIS3_Lb1ELb0EPyS7_N6thrust23THRUST_200600_302600_NS5minusIyEEEE10hipError_tPvRmT2_T3_mT4_P12ihipStream_tbEUlT_E_NS1_11comp_targetILNS1_3genE10ELNS1_11target_archE1201ELNS1_3gpuE5ELNS1_3repE0EEENS1_30default_config_static_selectorELNS0_4arch9wavefront6targetE1EEEvT1_,@function
_ZN7rocprim17ROCPRIM_400000_NS6detail17trampoline_kernelINS0_14default_configENS1_35adjacent_difference_config_selectorILb1EyEEZNS1_24adjacent_difference_implIS3_Lb1ELb0EPyS7_N6thrust23THRUST_200600_302600_NS5minusIyEEEE10hipError_tPvRmT2_T3_mT4_P12ihipStream_tbEUlT_E_NS1_11comp_targetILNS1_3genE10ELNS1_11target_archE1201ELNS1_3gpuE5ELNS1_3repE0EEENS1_30default_config_static_selectorELNS0_4arch9wavefront6targetE1EEEvT1_: ; @_ZN7rocprim17ROCPRIM_400000_NS6detail17trampoline_kernelINS0_14default_configENS1_35adjacent_difference_config_selectorILb1EyEEZNS1_24adjacent_difference_implIS3_Lb1ELb0EPyS7_N6thrust23THRUST_200600_302600_NS5minusIyEEEE10hipError_tPvRmT2_T3_mT4_P12ihipStream_tbEUlT_E_NS1_11comp_targetILNS1_3genE10ELNS1_11target_archE1201ELNS1_3gpuE5ELNS1_3repE0EEENS1_30default_config_static_selectorELNS0_4arch9wavefront6targetE1EEEvT1_
; %bb.0:
	.section	.rodata,"a",@progbits
	.p2align	6, 0x0
	.amdhsa_kernel _ZN7rocprim17ROCPRIM_400000_NS6detail17trampoline_kernelINS0_14default_configENS1_35adjacent_difference_config_selectorILb1EyEEZNS1_24adjacent_difference_implIS3_Lb1ELb0EPyS7_N6thrust23THRUST_200600_302600_NS5minusIyEEEE10hipError_tPvRmT2_T3_mT4_P12ihipStream_tbEUlT_E_NS1_11comp_targetILNS1_3genE10ELNS1_11target_archE1201ELNS1_3gpuE5ELNS1_3repE0EEENS1_30default_config_static_selectorELNS0_4arch9wavefront6targetE1EEEvT1_
		.amdhsa_group_segment_fixed_size 0
		.amdhsa_private_segment_fixed_size 0
		.amdhsa_kernarg_size 56
		.amdhsa_user_sgpr_count 6
		.amdhsa_user_sgpr_private_segment_buffer 1
		.amdhsa_user_sgpr_dispatch_ptr 0
		.amdhsa_user_sgpr_queue_ptr 0
		.amdhsa_user_sgpr_kernarg_segment_ptr 1
		.amdhsa_user_sgpr_dispatch_id 0
		.amdhsa_user_sgpr_flat_scratch_init 0
		.amdhsa_user_sgpr_private_segment_size 0
		.amdhsa_uses_dynamic_stack 0
		.amdhsa_system_sgpr_private_segment_wavefront_offset 0
		.amdhsa_system_sgpr_workgroup_id_x 1
		.amdhsa_system_sgpr_workgroup_id_y 0
		.amdhsa_system_sgpr_workgroup_id_z 0
		.amdhsa_system_sgpr_workgroup_info 0
		.amdhsa_system_vgpr_workitem_id 0
		.amdhsa_next_free_vgpr 1
		.amdhsa_next_free_sgpr 0
		.amdhsa_reserve_vcc 0
		.amdhsa_reserve_flat_scratch 0
		.amdhsa_float_round_mode_32 0
		.amdhsa_float_round_mode_16_64 0
		.amdhsa_float_denorm_mode_32 3
		.amdhsa_float_denorm_mode_16_64 3
		.amdhsa_dx10_clamp 1
		.amdhsa_ieee_mode 1
		.amdhsa_fp16_overflow 0
		.amdhsa_exception_fp_ieee_invalid_op 0
		.amdhsa_exception_fp_denorm_src 0
		.amdhsa_exception_fp_ieee_div_zero 0
		.amdhsa_exception_fp_ieee_overflow 0
		.amdhsa_exception_fp_ieee_underflow 0
		.amdhsa_exception_fp_ieee_inexact 0
		.amdhsa_exception_int_div_zero 0
	.end_amdhsa_kernel
	.section	.text._ZN7rocprim17ROCPRIM_400000_NS6detail17trampoline_kernelINS0_14default_configENS1_35adjacent_difference_config_selectorILb1EyEEZNS1_24adjacent_difference_implIS3_Lb1ELb0EPyS7_N6thrust23THRUST_200600_302600_NS5minusIyEEEE10hipError_tPvRmT2_T3_mT4_P12ihipStream_tbEUlT_E_NS1_11comp_targetILNS1_3genE10ELNS1_11target_archE1201ELNS1_3gpuE5ELNS1_3repE0EEENS1_30default_config_static_selectorELNS0_4arch9wavefront6targetE1EEEvT1_,"axG",@progbits,_ZN7rocprim17ROCPRIM_400000_NS6detail17trampoline_kernelINS0_14default_configENS1_35adjacent_difference_config_selectorILb1EyEEZNS1_24adjacent_difference_implIS3_Lb1ELb0EPyS7_N6thrust23THRUST_200600_302600_NS5minusIyEEEE10hipError_tPvRmT2_T3_mT4_P12ihipStream_tbEUlT_E_NS1_11comp_targetILNS1_3genE10ELNS1_11target_archE1201ELNS1_3gpuE5ELNS1_3repE0EEENS1_30default_config_static_selectorELNS0_4arch9wavefront6targetE1EEEvT1_,comdat
.Lfunc_end122:
	.size	_ZN7rocprim17ROCPRIM_400000_NS6detail17trampoline_kernelINS0_14default_configENS1_35adjacent_difference_config_selectorILb1EyEEZNS1_24adjacent_difference_implIS3_Lb1ELb0EPyS7_N6thrust23THRUST_200600_302600_NS5minusIyEEEE10hipError_tPvRmT2_T3_mT4_P12ihipStream_tbEUlT_E_NS1_11comp_targetILNS1_3genE10ELNS1_11target_archE1201ELNS1_3gpuE5ELNS1_3repE0EEENS1_30default_config_static_selectorELNS0_4arch9wavefront6targetE1EEEvT1_, .Lfunc_end122-_ZN7rocprim17ROCPRIM_400000_NS6detail17trampoline_kernelINS0_14default_configENS1_35adjacent_difference_config_selectorILb1EyEEZNS1_24adjacent_difference_implIS3_Lb1ELb0EPyS7_N6thrust23THRUST_200600_302600_NS5minusIyEEEE10hipError_tPvRmT2_T3_mT4_P12ihipStream_tbEUlT_E_NS1_11comp_targetILNS1_3genE10ELNS1_11target_archE1201ELNS1_3gpuE5ELNS1_3repE0EEENS1_30default_config_static_selectorELNS0_4arch9wavefront6targetE1EEEvT1_
                                        ; -- End function
	.set _ZN7rocprim17ROCPRIM_400000_NS6detail17trampoline_kernelINS0_14default_configENS1_35adjacent_difference_config_selectorILb1EyEEZNS1_24adjacent_difference_implIS3_Lb1ELb0EPyS7_N6thrust23THRUST_200600_302600_NS5minusIyEEEE10hipError_tPvRmT2_T3_mT4_P12ihipStream_tbEUlT_E_NS1_11comp_targetILNS1_3genE10ELNS1_11target_archE1201ELNS1_3gpuE5ELNS1_3repE0EEENS1_30default_config_static_selectorELNS0_4arch9wavefront6targetE1EEEvT1_.num_vgpr, 0
	.set _ZN7rocprim17ROCPRIM_400000_NS6detail17trampoline_kernelINS0_14default_configENS1_35adjacent_difference_config_selectorILb1EyEEZNS1_24adjacent_difference_implIS3_Lb1ELb0EPyS7_N6thrust23THRUST_200600_302600_NS5minusIyEEEE10hipError_tPvRmT2_T3_mT4_P12ihipStream_tbEUlT_E_NS1_11comp_targetILNS1_3genE10ELNS1_11target_archE1201ELNS1_3gpuE5ELNS1_3repE0EEENS1_30default_config_static_selectorELNS0_4arch9wavefront6targetE1EEEvT1_.num_agpr, 0
	.set _ZN7rocprim17ROCPRIM_400000_NS6detail17trampoline_kernelINS0_14default_configENS1_35adjacent_difference_config_selectorILb1EyEEZNS1_24adjacent_difference_implIS3_Lb1ELb0EPyS7_N6thrust23THRUST_200600_302600_NS5minusIyEEEE10hipError_tPvRmT2_T3_mT4_P12ihipStream_tbEUlT_E_NS1_11comp_targetILNS1_3genE10ELNS1_11target_archE1201ELNS1_3gpuE5ELNS1_3repE0EEENS1_30default_config_static_selectorELNS0_4arch9wavefront6targetE1EEEvT1_.numbered_sgpr, 0
	.set _ZN7rocprim17ROCPRIM_400000_NS6detail17trampoline_kernelINS0_14default_configENS1_35adjacent_difference_config_selectorILb1EyEEZNS1_24adjacent_difference_implIS3_Lb1ELb0EPyS7_N6thrust23THRUST_200600_302600_NS5minusIyEEEE10hipError_tPvRmT2_T3_mT4_P12ihipStream_tbEUlT_E_NS1_11comp_targetILNS1_3genE10ELNS1_11target_archE1201ELNS1_3gpuE5ELNS1_3repE0EEENS1_30default_config_static_selectorELNS0_4arch9wavefront6targetE1EEEvT1_.num_named_barrier, 0
	.set _ZN7rocprim17ROCPRIM_400000_NS6detail17trampoline_kernelINS0_14default_configENS1_35adjacent_difference_config_selectorILb1EyEEZNS1_24adjacent_difference_implIS3_Lb1ELb0EPyS7_N6thrust23THRUST_200600_302600_NS5minusIyEEEE10hipError_tPvRmT2_T3_mT4_P12ihipStream_tbEUlT_E_NS1_11comp_targetILNS1_3genE10ELNS1_11target_archE1201ELNS1_3gpuE5ELNS1_3repE0EEENS1_30default_config_static_selectorELNS0_4arch9wavefront6targetE1EEEvT1_.private_seg_size, 0
	.set _ZN7rocprim17ROCPRIM_400000_NS6detail17trampoline_kernelINS0_14default_configENS1_35adjacent_difference_config_selectorILb1EyEEZNS1_24adjacent_difference_implIS3_Lb1ELb0EPyS7_N6thrust23THRUST_200600_302600_NS5minusIyEEEE10hipError_tPvRmT2_T3_mT4_P12ihipStream_tbEUlT_E_NS1_11comp_targetILNS1_3genE10ELNS1_11target_archE1201ELNS1_3gpuE5ELNS1_3repE0EEENS1_30default_config_static_selectorELNS0_4arch9wavefront6targetE1EEEvT1_.uses_vcc, 0
	.set _ZN7rocprim17ROCPRIM_400000_NS6detail17trampoline_kernelINS0_14default_configENS1_35adjacent_difference_config_selectorILb1EyEEZNS1_24adjacent_difference_implIS3_Lb1ELb0EPyS7_N6thrust23THRUST_200600_302600_NS5minusIyEEEE10hipError_tPvRmT2_T3_mT4_P12ihipStream_tbEUlT_E_NS1_11comp_targetILNS1_3genE10ELNS1_11target_archE1201ELNS1_3gpuE5ELNS1_3repE0EEENS1_30default_config_static_selectorELNS0_4arch9wavefront6targetE1EEEvT1_.uses_flat_scratch, 0
	.set _ZN7rocprim17ROCPRIM_400000_NS6detail17trampoline_kernelINS0_14default_configENS1_35adjacent_difference_config_selectorILb1EyEEZNS1_24adjacent_difference_implIS3_Lb1ELb0EPyS7_N6thrust23THRUST_200600_302600_NS5minusIyEEEE10hipError_tPvRmT2_T3_mT4_P12ihipStream_tbEUlT_E_NS1_11comp_targetILNS1_3genE10ELNS1_11target_archE1201ELNS1_3gpuE5ELNS1_3repE0EEENS1_30default_config_static_selectorELNS0_4arch9wavefront6targetE1EEEvT1_.has_dyn_sized_stack, 0
	.set _ZN7rocprim17ROCPRIM_400000_NS6detail17trampoline_kernelINS0_14default_configENS1_35adjacent_difference_config_selectorILb1EyEEZNS1_24adjacent_difference_implIS3_Lb1ELb0EPyS7_N6thrust23THRUST_200600_302600_NS5minusIyEEEE10hipError_tPvRmT2_T3_mT4_P12ihipStream_tbEUlT_E_NS1_11comp_targetILNS1_3genE10ELNS1_11target_archE1201ELNS1_3gpuE5ELNS1_3repE0EEENS1_30default_config_static_selectorELNS0_4arch9wavefront6targetE1EEEvT1_.has_recursion, 0
	.set _ZN7rocprim17ROCPRIM_400000_NS6detail17trampoline_kernelINS0_14default_configENS1_35adjacent_difference_config_selectorILb1EyEEZNS1_24adjacent_difference_implIS3_Lb1ELb0EPyS7_N6thrust23THRUST_200600_302600_NS5minusIyEEEE10hipError_tPvRmT2_T3_mT4_P12ihipStream_tbEUlT_E_NS1_11comp_targetILNS1_3genE10ELNS1_11target_archE1201ELNS1_3gpuE5ELNS1_3repE0EEENS1_30default_config_static_selectorELNS0_4arch9wavefront6targetE1EEEvT1_.has_indirect_call, 0
	.section	.AMDGPU.csdata,"",@progbits
; Kernel info:
; codeLenInByte = 0
; TotalNumSgprs: 4
; NumVgprs: 0
; ScratchSize: 0
; MemoryBound: 0
; FloatMode: 240
; IeeeMode: 1
; LDSByteSize: 0 bytes/workgroup (compile time only)
; SGPRBlocks: 0
; VGPRBlocks: 0
; NumSGPRsForWavesPerEU: 4
; NumVGPRsForWavesPerEU: 1
; Occupancy: 10
; WaveLimiterHint : 0
; COMPUTE_PGM_RSRC2:SCRATCH_EN: 0
; COMPUTE_PGM_RSRC2:USER_SGPR: 6
; COMPUTE_PGM_RSRC2:TRAP_HANDLER: 0
; COMPUTE_PGM_RSRC2:TGID_X_EN: 1
; COMPUTE_PGM_RSRC2:TGID_Y_EN: 0
; COMPUTE_PGM_RSRC2:TGID_Z_EN: 0
; COMPUTE_PGM_RSRC2:TIDIG_COMP_CNT: 0
	.section	.text._ZN7rocprim17ROCPRIM_400000_NS6detail17trampoline_kernelINS0_14default_configENS1_35adjacent_difference_config_selectorILb1EyEEZNS1_24adjacent_difference_implIS3_Lb1ELb0EPyS7_N6thrust23THRUST_200600_302600_NS5minusIyEEEE10hipError_tPvRmT2_T3_mT4_P12ihipStream_tbEUlT_E_NS1_11comp_targetILNS1_3genE5ELNS1_11target_archE942ELNS1_3gpuE9ELNS1_3repE0EEENS1_30default_config_static_selectorELNS0_4arch9wavefront6targetE1EEEvT1_,"axG",@progbits,_ZN7rocprim17ROCPRIM_400000_NS6detail17trampoline_kernelINS0_14default_configENS1_35adjacent_difference_config_selectorILb1EyEEZNS1_24adjacent_difference_implIS3_Lb1ELb0EPyS7_N6thrust23THRUST_200600_302600_NS5minusIyEEEE10hipError_tPvRmT2_T3_mT4_P12ihipStream_tbEUlT_E_NS1_11comp_targetILNS1_3genE5ELNS1_11target_archE942ELNS1_3gpuE9ELNS1_3repE0EEENS1_30default_config_static_selectorELNS0_4arch9wavefront6targetE1EEEvT1_,comdat
	.protected	_ZN7rocprim17ROCPRIM_400000_NS6detail17trampoline_kernelINS0_14default_configENS1_35adjacent_difference_config_selectorILb1EyEEZNS1_24adjacent_difference_implIS3_Lb1ELb0EPyS7_N6thrust23THRUST_200600_302600_NS5minusIyEEEE10hipError_tPvRmT2_T3_mT4_P12ihipStream_tbEUlT_E_NS1_11comp_targetILNS1_3genE5ELNS1_11target_archE942ELNS1_3gpuE9ELNS1_3repE0EEENS1_30default_config_static_selectorELNS0_4arch9wavefront6targetE1EEEvT1_ ; -- Begin function _ZN7rocprim17ROCPRIM_400000_NS6detail17trampoline_kernelINS0_14default_configENS1_35adjacent_difference_config_selectorILb1EyEEZNS1_24adjacent_difference_implIS3_Lb1ELb0EPyS7_N6thrust23THRUST_200600_302600_NS5minusIyEEEE10hipError_tPvRmT2_T3_mT4_P12ihipStream_tbEUlT_E_NS1_11comp_targetILNS1_3genE5ELNS1_11target_archE942ELNS1_3gpuE9ELNS1_3repE0EEENS1_30default_config_static_selectorELNS0_4arch9wavefront6targetE1EEEvT1_
	.globl	_ZN7rocprim17ROCPRIM_400000_NS6detail17trampoline_kernelINS0_14default_configENS1_35adjacent_difference_config_selectorILb1EyEEZNS1_24adjacent_difference_implIS3_Lb1ELb0EPyS7_N6thrust23THRUST_200600_302600_NS5minusIyEEEE10hipError_tPvRmT2_T3_mT4_P12ihipStream_tbEUlT_E_NS1_11comp_targetILNS1_3genE5ELNS1_11target_archE942ELNS1_3gpuE9ELNS1_3repE0EEENS1_30default_config_static_selectorELNS0_4arch9wavefront6targetE1EEEvT1_
	.p2align	8
	.type	_ZN7rocprim17ROCPRIM_400000_NS6detail17trampoline_kernelINS0_14default_configENS1_35adjacent_difference_config_selectorILb1EyEEZNS1_24adjacent_difference_implIS3_Lb1ELb0EPyS7_N6thrust23THRUST_200600_302600_NS5minusIyEEEE10hipError_tPvRmT2_T3_mT4_P12ihipStream_tbEUlT_E_NS1_11comp_targetILNS1_3genE5ELNS1_11target_archE942ELNS1_3gpuE9ELNS1_3repE0EEENS1_30default_config_static_selectorELNS0_4arch9wavefront6targetE1EEEvT1_,@function
_ZN7rocprim17ROCPRIM_400000_NS6detail17trampoline_kernelINS0_14default_configENS1_35adjacent_difference_config_selectorILb1EyEEZNS1_24adjacent_difference_implIS3_Lb1ELb0EPyS7_N6thrust23THRUST_200600_302600_NS5minusIyEEEE10hipError_tPvRmT2_T3_mT4_P12ihipStream_tbEUlT_E_NS1_11comp_targetILNS1_3genE5ELNS1_11target_archE942ELNS1_3gpuE9ELNS1_3repE0EEENS1_30default_config_static_selectorELNS0_4arch9wavefront6targetE1EEEvT1_: ; @_ZN7rocprim17ROCPRIM_400000_NS6detail17trampoline_kernelINS0_14default_configENS1_35adjacent_difference_config_selectorILb1EyEEZNS1_24adjacent_difference_implIS3_Lb1ELb0EPyS7_N6thrust23THRUST_200600_302600_NS5minusIyEEEE10hipError_tPvRmT2_T3_mT4_P12ihipStream_tbEUlT_E_NS1_11comp_targetILNS1_3genE5ELNS1_11target_archE942ELNS1_3gpuE9ELNS1_3repE0EEENS1_30default_config_static_selectorELNS0_4arch9wavefront6targetE1EEEvT1_
; %bb.0:
	.section	.rodata,"a",@progbits
	.p2align	6, 0x0
	.amdhsa_kernel _ZN7rocprim17ROCPRIM_400000_NS6detail17trampoline_kernelINS0_14default_configENS1_35adjacent_difference_config_selectorILb1EyEEZNS1_24adjacent_difference_implIS3_Lb1ELb0EPyS7_N6thrust23THRUST_200600_302600_NS5minusIyEEEE10hipError_tPvRmT2_T3_mT4_P12ihipStream_tbEUlT_E_NS1_11comp_targetILNS1_3genE5ELNS1_11target_archE942ELNS1_3gpuE9ELNS1_3repE0EEENS1_30default_config_static_selectorELNS0_4arch9wavefront6targetE1EEEvT1_
		.amdhsa_group_segment_fixed_size 0
		.amdhsa_private_segment_fixed_size 0
		.amdhsa_kernarg_size 56
		.amdhsa_user_sgpr_count 6
		.amdhsa_user_sgpr_private_segment_buffer 1
		.amdhsa_user_sgpr_dispatch_ptr 0
		.amdhsa_user_sgpr_queue_ptr 0
		.amdhsa_user_sgpr_kernarg_segment_ptr 1
		.amdhsa_user_sgpr_dispatch_id 0
		.amdhsa_user_sgpr_flat_scratch_init 0
		.amdhsa_user_sgpr_private_segment_size 0
		.amdhsa_uses_dynamic_stack 0
		.amdhsa_system_sgpr_private_segment_wavefront_offset 0
		.amdhsa_system_sgpr_workgroup_id_x 1
		.amdhsa_system_sgpr_workgroup_id_y 0
		.amdhsa_system_sgpr_workgroup_id_z 0
		.amdhsa_system_sgpr_workgroup_info 0
		.amdhsa_system_vgpr_workitem_id 0
		.amdhsa_next_free_vgpr 1
		.amdhsa_next_free_sgpr 0
		.amdhsa_reserve_vcc 0
		.amdhsa_reserve_flat_scratch 0
		.amdhsa_float_round_mode_32 0
		.amdhsa_float_round_mode_16_64 0
		.amdhsa_float_denorm_mode_32 3
		.amdhsa_float_denorm_mode_16_64 3
		.amdhsa_dx10_clamp 1
		.amdhsa_ieee_mode 1
		.amdhsa_fp16_overflow 0
		.amdhsa_exception_fp_ieee_invalid_op 0
		.amdhsa_exception_fp_denorm_src 0
		.amdhsa_exception_fp_ieee_div_zero 0
		.amdhsa_exception_fp_ieee_overflow 0
		.amdhsa_exception_fp_ieee_underflow 0
		.amdhsa_exception_fp_ieee_inexact 0
		.amdhsa_exception_int_div_zero 0
	.end_amdhsa_kernel
	.section	.text._ZN7rocprim17ROCPRIM_400000_NS6detail17trampoline_kernelINS0_14default_configENS1_35adjacent_difference_config_selectorILb1EyEEZNS1_24adjacent_difference_implIS3_Lb1ELb0EPyS7_N6thrust23THRUST_200600_302600_NS5minusIyEEEE10hipError_tPvRmT2_T3_mT4_P12ihipStream_tbEUlT_E_NS1_11comp_targetILNS1_3genE5ELNS1_11target_archE942ELNS1_3gpuE9ELNS1_3repE0EEENS1_30default_config_static_selectorELNS0_4arch9wavefront6targetE1EEEvT1_,"axG",@progbits,_ZN7rocprim17ROCPRIM_400000_NS6detail17trampoline_kernelINS0_14default_configENS1_35adjacent_difference_config_selectorILb1EyEEZNS1_24adjacent_difference_implIS3_Lb1ELb0EPyS7_N6thrust23THRUST_200600_302600_NS5minusIyEEEE10hipError_tPvRmT2_T3_mT4_P12ihipStream_tbEUlT_E_NS1_11comp_targetILNS1_3genE5ELNS1_11target_archE942ELNS1_3gpuE9ELNS1_3repE0EEENS1_30default_config_static_selectorELNS0_4arch9wavefront6targetE1EEEvT1_,comdat
.Lfunc_end123:
	.size	_ZN7rocprim17ROCPRIM_400000_NS6detail17trampoline_kernelINS0_14default_configENS1_35adjacent_difference_config_selectorILb1EyEEZNS1_24adjacent_difference_implIS3_Lb1ELb0EPyS7_N6thrust23THRUST_200600_302600_NS5minusIyEEEE10hipError_tPvRmT2_T3_mT4_P12ihipStream_tbEUlT_E_NS1_11comp_targetILNS1_3genE5ELNS1_11target_archE942ELNS1_3gpuE9ELNS1_3repE0EEENS1_30default_config_static_selectorELNS0_4arch9wavefront6targetE1EEEvT1_, .Lfunc_end123-_ZN7rocprim17ROCPRIM_400000_NS6detail17trampoline_kernelINS0_14default_configENS1_35adjacent_difference_config_selectorILb1EyEEZNS1_24adjacent_difference_implIS3_Lb1ELb0EPyS7_N6thrust23THRUST_200600_302600_NS5minusIyEEEE10hipError_tPvRmT2_T3_mT4_P12ihipStream_tbEUlT_E_NS1_11comp_targetILNS1_3genE5ELNS1_11target_archE942ELNS1_3gpuE9ELNS1_3repE0EEENS1_30default_config_static_selectorELNS0_4arch9wavefront6targetE1EEEvT1_
                                        ; -- End function
	.set _ZN7rocprim17ROCPRIM_400000_NS6detail17trampoline_kernelINS0_14default_configENS1_35adjacent_difference_config_selectorILb1EyEEZNS1_24adjacent_difference_implIS3_Lb1ELb0EPyS7_N6thrust23THRUST_200600_302600_NS5minusIyEEEE10hipError_tPvRmT2_T3_mT4_P12ihipStream_tbEUlT_E_NS1_11comp_targetILNS1_3genE5ELNS1_11target_archE942ELNS1_3gpuE9ELNS1_3repE0EEENS1_30default_config_static_selectorELNS0_4arch9wavefront6targetE1EEEvT1_.num_vgpr, 0
	.set _ZN7rocprim17ROCPRIM_400000_NS6detail17trampoline_kernelINS0_14default_configENS1_35adjacent_difference_config_selectorILb1EyEEZNS1_24adjacent_difference_implIS3_Lb1ELb0EPyS7_N6thrust23THRUST_200600_302600_NS5minusIyEEEE10hipError_tPvRmT2_T3_mT4_P12ihipStream_tbEUlT_E_NS1_11comp_targetILNS1_3genE5ELNS1_11target_archE942ELNS1_3gpuE9ELNS1_3repE0EEENS1_30default_config_static_selectorELNS0_4arch9wavefront6targetE1EEEvT1_.num_agpr, 0
	.set _ZN7rocprim17ROCPRIM_400000_NS6detail17trampoline_kernelINS0_14default_configENS1_35adjacent_difference_config_selectorILb1EyEEZNS1_24adjacent_difference_implIS3_Lb1ELb0EPyS7_N6thrust23THRUST_200600_302600_NS5minusIyEEEE10hipError_tPvRmT2_T3_mT4_P12ihipStream_tbEUlT_E_NS1_11comp_targetILNS1_3genE5ELNS1_11target_archE942ELNS1_3gpuE9ELNS1_3repE0EEENS1_30default_config_static_selectorELNS0_4arch9wavefront6targetE1EEEvT1_.numbered_sgpr, 0
	.set _ZN7rocprim17ROCPRIM_400000_NS6detail17trampoline_kernelINS0_14default_configENS1_35adjacent_difference_config_selectorILb1EyEEZNS1_24adjacent_difference_implIS3_Lb1ELb0EPyS7_N6thrust23THRUST_200600_302600_NS5minusIyEEEE10hipError_tPvRmT2_T3_mT4_P12ihipStream_tbEUlT_E_NS1_11comp_targetILNS1_3genE5ELNS1_11target_archE942ELNS1_3gpuE9ELNS1_3repE0EEENS1_30default_config_static_selectorELNS0_4arch9wavefront6targetE1EEEvT1_.num_named_barrier, 0
	.set _ZN7rocprim17ROCPRIM_400000_NS6detail17trampoline_kernelINS0_14default_configENS1_35adjacent_difference_config_selectorILb1EyEEZNS1_24adjacent_difference_implIS3_Lb1ELb0EPyS7_N6thrust23THRUST_200600_302600_NS5minusIyEEEE10hipError_tPvRmT2_T3_mT4_P12ihipStream_tbEUlT_E_NS1_11comp_targetILNS1_3genE5ELNS1_11target_archE942ELNS1_3gpuE9ELNS1_3repE0EEENS1_30default_config_static_selectorELNS0_4arch9wavefront6targetE1EEEvT1_.private_seg_size, 0
	.set _ZN7rocprim17ROCPRIM_400000_NS6detail17trampoline_kernelINS0_14default_configENS1_35adjacent_difference_config_selectorILb1EyEEZNS1_24adjacent_difference_implIS3_Lb1ELb0EPyS7_N6thrust23THRUST_200600_302600_NS5minusIyEEEE10hipError_tPvRmT2_T3_mT4_P12ihipStream_tbEUlT_E_NS1_11comp_targetILNS1_3genE5ELNS1_11target_archE942ELNS1_3gpuE9ELNS1_3repE0EEENS1_30default_config_static_selectorELNS0_4arch9wavefront6targetE1EEEvT1_.uses_vcc, 0
	.set _ZN7rocprim17ROCPRIM_400000_NS6detail17trampoline_kernelINS0_14default_configENS1_35adjacent_difference_config_selectorILb1EyEEZNS1_24adjacent_difference_implIS3_Lb1ELb0EPyS7_N6thrust23THRUST_200600_302600_NS5minusIyEEEE10hipError_tPvRmT2_T3_mT4_P12ihipStream_tbEUlT_E_NS1_11comp_targetILNS1_3genE5ELNS1_11target_archE942ELNS1_3gpuE9ELNS1_3repE0EEENS1_30default_config_static_selectorELNS0_4arch9wavefront6targetE1EEEvT1_.uses_flat_scratch, 0
	.set _ZN7rocprim17ROCPRIM_400000_NS6detail17trampoline_kernelINS0_14default_configENS1_35adjacent_difference_config_selectorILb1EyEEZNS1_24adjacent_difference_implIS3_Lb1ELb0EPyS7_N6thrust23THRUST_200600_302600_NS5minusIyEEEE10hipError_tPvRmT2_T3_mT4_P12ihipStream_tbEUlT_E_NS1_11comp_targetILNS1_3genE5ELNS1_11target_archE942ELNS1_3gpuE9ELNS1_3repE0EEENS1_30default_config_static_selectorELNS0_4arch9wavefront6targetE1EEEvT1_.has_dyn_sized_stack, 0
	.set _ZN7rocprim17ROCPRIM_400000_NS6detail17trampoline_kernelINS0_14default_configENS1_35adjacent_difference_config_selectorILb1EyEEZNS1_24adjacent_difference_implIS3_Lb1ELb0EPyS7_N6thrust23THRUST_200600_302600_NS5minusIyEEEE10hipError_tPvRmT2_T3_mT4_P12ihipStream_tbEUlT_E_NS1_11comp_targetILNS1_3genE5ELNS1_11target_archE942ELNS1_3gpuE9ELNS1_3repE0EEENS1_30default_config_static_selectorELNS0_4arch9wavefront6targetE1EEEvT1_.has_recursion, 0
	.set _ZN7rocprim17ROCPRIM_400000_NS6detail17trampoline_kernelINS0_14default_configENS1_35adjacent_difference_config_selectorILb1EyEEZNS1_24adjacent_difference_implIS3_Lb1ELb0EPyS7_N6thrust23THRUST_200600_302600_NS5minusIyEEEE10hipError_tPvRmT2_T3_mT4_P12ihipStream_tbEUlT_E_NS1_11comp_targetILNS1_3genE5ELNS1_11target_archE942ELNS1_3gpuE9ELNS1_3repE0EEENS1_30default_config_static_selectorELNS0_4arch9wavefront6targetE1EEEvT1_.has_indirect_call, 0
	.section	.AMDGPU.csdata,"",@progbits
; Kernel info:
; codeLenInByte = 0
; TotalNumSgprs: 4
; NumVgprs: 0
; ScratchSize: 0
; MemoryBound: 0
; FloatMode: 240
; IeeeMode: 1
; LDSByteSize: 0 bytes/workgroup (compile time only)
; SGPRBlocks: 0
; VGPRBlocks: 0
; NumSGPRsForWavesPerEU: 4
; NumVGPRsForWavesPerEU: 1
; Occupancy: 10
; WaveLimiterHint : 0
; COMPUTE_PGM_RSRC2:SCRATCH_EN: 0
; COMPUTE_PGM_RSRC2:USER_SGPR: 6
; COMPUTE_PGM_RSRC2:TRAP_HANDLER: 0
; COMPUTE_PGM_RSRC2:TGID_X_EN: 1
; COMPUTE_PGM_RSRC2:TGID_Y_EN: 0
; COMPUTE_PGM_RSRC2:TGID_Z_EN: 0
; COMPUTE_PGM_RSRC2:TIDIG_COMP_CNT: 0
	.section	.text._ZN7rocprim17ROCPRIM_400000_NS6detail17trampoline_kernelINS0_14default_configENS1_35adjacent_difference_config_selectorILb1EyEEZNS1_24adjacent_difference_implIS3_Lb1ELb0EPyS7_N6thrust23THRUST_200600_302600_NS5minusIyEEEE10hipError_tPvRmT2_T3_mT4_P12ihipStream_tbEUlT_E_NS1_11comp_targetILNS1_3genE4ELNS1_11target_archE910ELNS1_3gpuE8ELNS1_3repE0EEENS1_30default_config_static_selectorELNS0_4arch9wavefront6targetE1EEEvT1_,"axG",@progbits,_ZN7rocprim17ROCPRIM_400000_NS6detail17trampoline_kernelINS0_14default_configENS1_35adjacent_difference_config_selectorILb1EyEEZNS1_24adjacent_difference_implIS3_Lb1ELb0EPyS7_N6thrust23THRUST_200600_302600_NS5minusIyEEEE10hipError_tPvRmT2_T3_mT4_P12ihipStream_tbEUlT_E_NS1_11comp_targetILNS1_3genE4ELNS1_11target_archE910ELNS1_3gpuE8ELNS1_3repE0EEENS1_30default_config_static_selectorELNS0_4arch9wavefront6targetE1EEEvT1_,comdat
	.protected	_ZN7rocprim17ROCPRIM_400000_NS6detail17trampoline_kernelINS0_14default_configENS1_35adjacent_difference_config_selectorILb1EyEEZNS1_24adjacent_difference_implIS3_Lb1ELb0EPyS7_N6thrust23THRUST_200600_302600_NS5minusIyEEEE10hipError_tPvRmT2_T3_mT4_P12ihipStream_tbEUlT_E_NS1_11comp_targetILNS1_3genE4ELNS1_11target_archE910ELNS1_3gpuE8ELNS1_3repE0EEENS1_30default_config_static_selectorELNS0_4arch9wavefront6targetE1EEEvT1_ ; -- Begin function _ZN7rocprim17ROCPRIM_400000_NS6detail17trampoline_kernelINS0_14default_configENS1_35adjacent_difference_config_selectorILb1EyEEZNS1_24adjacent_difference_implIS3_Lb1ELb0EPyS7_N6thrust23THRUST_200600_302600_NS5minusIyEEEE10hipError_tPvRmT2_T3_mT4_P12ihipStream_tbEUlT_E_NS1_11comp_targetILNS1_3genE4ELNS1_11target_archE910ELNS1_3gpuE8ELNS1_3repE0EEENS1_30default_config_static_selectorELNS0_4arch9wavefront6targetE1EEEvT1_
	.globl	_ZN7rocprim17ROCPRIM_400000_NS6detail17trampoline_kernelINS0_14default_configENS1_35adjacent_difference_config_selectorILb1EyEEZNS1_24adjacent_difference_implIS3_Lb1ELb0EPyS7_N6thrust23THRUST_200600_302600_NS5minusIyEEEE10hipError_tPvRmT2_T3_mT4_P12ihipStream_tbEUlT_E_NS1_11comp_targetILNS1_3genE4ELNS1_11target_archE910ELNS1_3gpuE8ELNS1_3repE0EEENS1_30default_config_static_selectorELNS0_4arch9wavefront6targetE1EEEvT1_
	.p2align	8
	.type	_ZN7rocprim17ROCPRIM_400000_NS6detail17trampoline_kernelINS0_14default_configENS1_35adjacent_difference_config_selectorILb1EyEEZNS1_24adjacent_difference_implIS3_Lb1ELb0EPyS7_N6thrust23THRUST_200600_302600_NS5minusIyEEEE10hipError_tPvRmT2_T3_mT4_P12ihipStream_tbEUlT_E_NS1_11comp_targetILNS1_3genE4ELNS1_11target_archE910ELNS1_3gpuE8ELNS1_3repE0EEENS1_30default_config_static_selectorELNS0_4arch9wavefront6targetE1EEEvT1_,@function
_ZN7rocprim17ROCPRIM_400000_NS6detail17trampoline_kernelINS0_14default_configENS1_35adjacent_difference_config_selectorILb1EyEEZNS1_24adjacent_difference_implIS3_Lb1ELb0EPyS7_N6thrust23THRUST_200600_302600_NS5minusIyEEEE10hipError_tPvRmT2_T3_mT4_P12ihipStream_tbEUlT_E_NS1_11comp_targetILNS1_3genE4ELNS1_11target_archE910ELNS1_3gpuE8ELNS1_3repE0EEENS1_30default_config_static_selectorELNS0_4arch9wavefront6targetE1EEEvT1_: ; @_ZN7rocprim17ROCPRIM_400000_NS6detail17trampoline_kernelINS0_14default_configENS1_35adjacent_difference_config_selectorILb1EyEEZNS1_24adjacent_difference_implIS3_Lb1ELb0EPyS7_N6thrust23THRUST_200600_302600_NS5minusIyEEEE10hipError_tPvRmT2_T3_mT4_P12ihipStream_tbEUlT_E_NS1_11comp_targetILNS1_3genE4ELNS1_11target_archE910ELNS1_3gpuE8ELNS1_3repE0EEENS1_30default_config_static_selectorELNS0_4arch9wavefront6targetE1EEEvT1_
; %bb.0:
	.section	.rodata,"a",@progbits
	.p2align	6, 0x0
	.amdhsa_kernel _ZN7rocprim17ROCPRIM_400000_NS6detail17trampoline_kernelINS0_14default_configENS1_35adjacent_difference_config_selectorILb1EyEEZNS1_24adjacent_difference_implIS3_Lb1ELb0EPyS7_N6thrust23THRUST_200600_302600_NS5minusIyEEEE10hipError_tPvRmT2_T3_mT4_P12ihipStream_tbEUlT_E_NS1_11comp_targetILNS1_3genE4ELNS1_11target_archE910ELNS1_3gpuE8ELNS1_3repE0EEENS1_30default_config_static_selectorELNS0_4arch9wavefront6targetE1EEEvT1_
		.amdhsa_group_segment_fixed_size 0
		.amdhsa_private_segment_fixed_size 0
		.amdhsa_kernarg_size 56
		.amdhsa_user_sgpr_count 6
		.amdhsa_user_sgpr_private_segment_buffer 1
		.amdhsa_user_sgpr_dispatch_ptr 0
		.amdhsa_user_sgpr_queue_ptr 0
		.amdhsa_user_sgpr_kernarg_segment_ptr 1
		.amdhsa_user_sgpr_dispatch_id 0
		.amdhsa_user_sgpr_flat_scratch_init 0
		.amdhsa_user_sgpr_private_segment_size 0
		.amdhsa_uses_dynamic_stack 0
		.amdhsa_system_sgpr_private_segment_wavefront_offset 0
		.amdhsa_system_sgpr_workgroup_id_x 1
		.amdhsa_system_sgpr_workgroup_id_y 0
		.amdhsa_system_sgpr_workgroup_id_z 0
		.amdhsa_system_sgpr_workgroup_info 0
		.amdhsa_system_vgpr_workitem_id 0
		.amdhsa_next_free_vgpr 1
		.amdhsa_next_free_sgpr 0
		.amdhsa_reserve_vcc 0
		.amdhsa_reserve_flat_scratch 0
		.amdhsa_float_round_mode_32 0
		.amdhsa_float_round_mode_16_64 0
		.amdhsa_float_denorm_mode_32 3
		.amdhsa_float_denorm_mode_16_64 3
		.amdhsa_dx10_clamp 1
		.amdhsa_ieee_mode 1
		.amdhsa_fp16_overflow 0
		.amdhsa_exception_fp_ieee_invalid_op 0
		.amdhsa_exception_fp_denorm_src 0
		.amdhsa_exception_fp_ieee_div_zero 0
		.amdhsa_exception_fp_ieee_overflow 0
		.amdhsa_exception_fp_ieee_underflow 0
		.amdhsa_exception_fp_ieee_inexact 0
		.amdhsa_exception_int_div_zero 0
	.end_amdhsa_kernel
	.section	.text._ZN7rocprim17ROCPRIM_400000_NS6detail17trampoline_kernelINS0_14default_configENS1_35adjacent_difference_config_selectorILb1EyEEZNS1_24adjacent_difference_implIS3_Lb1ELb0EPyS7_N6thrust23THRUST_200600_302600_NS5minusIyEEEE10hipError_tPvRmT2_T3_mT4_P12ihipStream_tbEUlT_E_NS1_11comp_targetILNS1_3genE4ELNS1_11target_archE910ELNS1_3gpuE8ELNS1_3repE0EEENS1_30default_config_static_selectorELNS0_4arch9wavefront6targetE1EEEvT1_,"axG",@progbits,_ZN7rocprim17ROCPRIM_400000_NS6detail17trampoline_kernelINS0_14default_configENS1_35adjacent_difference_config_selectorILb1EyEEZNS1_24adjacent_difference_implIS3_Lb1ELb0EPyS7_N6thrust23THRUST_200600_302600_NS5minusIyEEEE10hipError_tPvRmT2_T3_mT4_P12ihipStream_tbEUlT_E_NS1_11comp_targetILNS1_3genE4ELNS1_11target_archE910ELNS1_3gpuE8ELNS1_3repE0EEENS1_30default_config_static_selectorELNS0_4arch9wavefront6targetE1EEEvT1_,comdat
.Lfunc_end124:
	.size	_ZN7rocprim17ROCPRIM_400000_NS6detail17trampoline_kernelINS0_14default_configENS1_35adjacent_difference_config_selectorILb1EyEEZNS1_24adjacent_difference_implIS3_Lb1ELb0EPyS7_N6thrust23THRUST_200600_302600_NS5minusIyEEEE10hipError_tPvRmT2_T3_mT4_P12ihipStream_tbEUlT_E_NS1_11comp_targetILNS1_3genE4ELNS1_11target_archE910ELNS1_3gpuE8ELNS1_3repE0EEENS1_30default_config_static_selectorELNS0_4arch9wavefront6targetE1EEEvT1_, .Lfunc_end124-_ZN7rocprim17ROCPRIM_400000_NS6detail17trampoline_kernelINS0_14default_configENS1_35adjacent_difference_config_selectorILb1EyEEZNS1_24adjacent_difference_implIS3_Lb1ELb0EPyS7_N6thrust23THRUST_200600_302600_NS5minusIyEEEE10hipError_tPvRmT2_T3_mT4_P12ihipStream_tbEUlT_E_NS1_11comp_targetILNS1_3genE4ELNS1_11target_archE910ELNS1_3gpuE8ELNS1_3repE0EEENS1_30default_config_static_selectorELNS0_4arch9wavefront6targetE1EEEvT1_
                                        ; -- End function
	.set _ZN7rocprim17ROCPRIM_400000_NS6detail17trampoline_kernelINS0_14default_configENS1_35adjacent_difference_config_selectorILb1EyEEZNS1_24adjacent_difference_implIS3_Lb1ELb0EPyS7_N6thrust23THRUST_200600_302600_NS5minusIyEEEE10hipError_tPvRmT2_T3_mT4_P12ihipStream_tbEUlT_E_NS1_11comp_targetILNS1_3genE4ELNS1_11target_archE910ELNS1_3gpuE8ELNS1_3repE0EEENS1_30default_config_static_selectorELNS0_4arch9wavefront6targetE1EEEvT1_.num_vgpr, 0
	.set _ZN7rocprim17ROCPRIM_400000_NS6detail17trampoline_kernelINS0_14default_configENS1_35adjacent_difference_config_selectorILb1EyEEZNS1_24adjacent_difference_implIS3_Lb1ELb0EPyS7_N6thrust23THRUST_200600_302600_NS5minusIyEEEE10hipError_tPvRmT2_T3_mT4_P12ihipStream_tbEUlT_E_NS1_11comp_targetILNS1_3genE4ELNS1_11target_archE910ELNS1_3gpuE8ELNS1_3repE0EEENS1_30default_config_static_selectorELNS0_4arch9wavefront6targetE1EEEvT1_.num_agpr, 0
	.set _ZN7rocprim17ROCPRIM_400000_NS6detail17trampoline_kernelINS0_14default_configENS1_35adjacent_difference_config_selectorILb1EyEEZNS1_24adjacent_difference_implIS3_Lb1ELb0EPyS7_N6thrust23THRUST_200600_302600_NS5minusIyEEEE10hipError_tPvRmT2_T3_mT4_P12ihipStream_tbEUlT_E_NS1_11comp_targetILNS1_3genE4ELNS1_11target_archE910ELNS1_3gpuE8ELNS1_3repE0EEENS1_30default_config_static_selectorELNS0_4arch9wavefront6targetE1EEEvT1_.numbered_sgpr, 0
	.set _ZN7rocprim17ROCPRIM_400000_NS6detail17trampoline_kernelINS0_14default_configENS1_35adjacent_difference_config_selectorILb1EyEEZNS1_24adjacent_difference_implIS3_Lb1ELb0EPyS7_N6thrust23THRUST_200600_302600_NS5minusIyEEEE10hipError_tPvRmT2_T3_mT4_P12ihipStream_tbEUlT_E_NS1_11comp_targetILNS1_3genE4ELNS1_11target_archE910ELNS1_3gpuE8ELNS1_3repE0EEENS1_30default_config_static_selectorELNS0_4arch9wavefront6targetE1EEEvT1_.num_named_barrier, 0
	.set _ZN7rocprim17ROCPRIM_400000_NS6detail17trampoline_kernelINS0_14default_configENS1_35adjacent_difference_config_selectorILb1EyEEZNS1_24adjacent_difference_implIS3_Lb1ELb0EPyS7_N6thrust23THRUST_200600_302600_NS5minusIyEEEE10hipError_tPvRmT2_T3_mT4_P12ihipStream_tbEUlT_E_NS1_11comp_targetILNS1_3genE4ELNS1_11target_archE910ELNS1_3gpuE8ELNS1_3repE0EEENS1_30default_config_static_selectorELNS0_4arch9wavefront6targetE1EEEvT1_.private_seg_size, 0
	.set _ZN7rocprim17ROCPRIM_400000_NS6detail17trampoline_kernelINS0_14default_configENS1_35adjacent_difference_config_selectorILb1EyEEZNS1_24adjacent_difference_implIS3_Lb1ELb0EPyS7_N6thrust23THRUST_200600_302600_NS5minusIyEEEE10hipError_tPvRmT2_T3_mT4_P12ihipStream_tbEUlT_E_NS1_11comp_targetILNS1_3genE4ELNS1_11target_archE910ELNS1_3gpuE8ELNS1_3repE0EEENS1_30default_config_static_selectorELNS0_4arch9wavefront6targetE1EEEvT1_.uses_vcc, 0
	.set _ZN7rocprim17ROCPRIM_400000_NS6detail17trampoline_kernelINS0_14default_configENS1_35adjacent_difference_config_selectorILb1EyEEZNS1_24adjacent_difference_implIS3_Lb1ELb0EPyS7_N6thrust23THRUST_200600_302600_NS5minusIyEEEE10hipError_tPvRmT2_T3_mT4_P12ihipStream_tbEUlT_E_NS1_11comp_targetILNS1_3genE4ELNS1_11target_archE910ELNS1_3gpuE8ELNS1_3repE0EEENS1_30default_config_static_selectorELNS0_4arch9wavefront6targetE1EEEvT1_.uses_flat_scratch, 0
	.set _ZN7rocprim17ROCPRIM_400000_NS6detail17trampoline_kernelINS0_14default_configENS1_35adjacent_difference_config_selectorILb1EyEEZNS1_24adjacent_difference_implIS3_Lb1ELb0EPyS7_N6thrust23THRUST_200600_302600_NS5minusIyEEEE10hipError_tPvRmT2_T3_mT4_P12ihipStream_tbEUlT_E_NS1_11comp_targetILNS1_3genE4ELNS1_11target_archE910ELNS1_3gpuE8ELNS1_3repE0EEENS1_30default_config_static_selectorELNS0_4arch9wavefront6targetE1EEEvT1_.has_dyn_sized_stack, 0
	.set _ZN7rocprim17ROCPRIM_400000_NS6detail17trampoline_kernelINS0_14default_configENS1_35adjacent_difference_config_selectorILb1EyEEZNS1_24adjacent_difference_implIS3_Lb1ELb0EPyS7_N6thrust23THRUST_200600_302600_NS5minusIyEEEE10hipError_tPvRmT2_T3_mT4_P12ihipStream_tbEUlT_E_NS1_11comp_targetILNS1_3genE4ELNS1_11target_archE910ELNS1_3gpuE8ELNS1_3repE0EEENS1_30default_config_static_selectorELNS0_4arch9wavefront6targetE1EEEvT1_.has_recursion, 0
	.set _ZN7rocprim17ROCPRIM_400000_NS6detail17trampoline_kernelINS0_14default_configENS1_35adjacent_difference_config_selectorILb1EyEEZNS1_24adjacent_difference_implIS3_Lb1ELb0EPyS7_N6thrust23THRUST_200600_302600_NS5minusIyEEEE10hipError_tPvRmT2_T3_mT4_P12ihipStream_tbEUlT_E_NS1_11comp_targetILNS1_3genE4ELNS1_11target_archE910ELNS1_3gpuE8ELNS1_3repE0EEENS1_30default_config_static_selectorELNS0_4arch9wavefront6targetE1EEEvT1_.has_indirect_call, 0
	.section	.AMDGPU.csdata,"",@progbits
; Kernel info:
; codeLenInByte = 0
; TotalNumSgprs: 4
; NumVgprs: 0
; ScratchSize: 0
; MemoryBound: 0
; FloatMode: 240
; IeeeMode: 1
; LDSByteSize: 0 bytes/workgroup (compile time only)
; SGPRBlocks: 0
; VGPRBlocks: 0
; NumSGPRsForWavesPerEU: 4
; NumVGPRsForWavesPerEU: 1
; Occupancy: 10
; WaveLimiterHint : 0
; COMPUTE_PGM_RSRC2:SCRATCH_EN: 0
; COMPUTE_PGM_RSRC2:USER_SGPR: 6
; COMPUTE_PGM_RSRC2:TRAP_HANDLER: 0
; COMPUTE_PGM_RSRC2:TGID_X_EN: 1
; COMPUTE_PGM_RSRC2:TGID_Y_EN: 0
; COMPUTE_PGM_RSRC2:TGID_Z_EN: 0
; COMPUTE_PGM_RSRC2:TIDIG_COMP_CNT: 0
	.section	.text._ZN7rocprim17ROCPRIM_400000_NS6detail17trampoline_kernelINS0_14default_configENS1_35adjacent_difference_config_selectorILb1EyEEZNS1_24adjacent_difference_implIS3_Lb1ELb0EPyS7_N6thrust23THRUST_200600_302600_NS5minusIyEEEE10hipError_tPvRmT2_T3_mT4_P12ihipStream_tbEUlT_E_NS1_11comp_targetILNS1_3genE3ELNS1_11target_archE908ELNS1_3gpuE7ELNS1_3repE0EEENS1_30default_config_static_selectorELNS0_4arch9wavefront6targetE1EEEvT1_,"axG",@progbits,_ZN7rocprim17ROCPRIM_400000_NS6detail17trampoline_kernelINS0_14default_configENS1_35adjacent_difference_config_selectorILb1EyEEZNS1_24adjacent_difference_implIS3_Lb1ELb0EPyS7_N6thrust23THRUST_200600_302600_NS5minusIyEEEE10hipError_tPvRmT2_T3_mT4_P12ihipStream_tbEUlT_E_NS1_11comp_targetILNS1_3genE3ELNS1_11target_archE908ELNS1_3gpuE7ELNS1_3repE0EEENS1_30default_config_static_selectorELNS0_4arch9wavefront6targetE1EEEvT1_,comdat
	.protected	_ZN7rocprim17ROCPRIM_400000_NS6detail17trampoline_kernelINS0_14default_configENS1_35adjacent_difference_config_selectorILb1EyEEZNS1_24adjacent_difference_implIS3_Lb1ELb0EPyS7_N6thrust23THRUST_200600_302600_NS5minusIyEEEE10hipError_tPvRmT2_T3_mT4_P12ihipStream_tbEUlT_E_NS1_11comp_targetILNS1_3genE3ELNS1_11target_archE908ELNS1_3gpuE7ELNS1_3repE0EEENS1_30default_config_static_selectorELNS0_4arch9wavefront6targetE1EEEvT1_ ; -- Begin function _ZN7rocprim17ROCPRIM_400000_NS6detail17trampoline_kernelINS0_14default_configENS1_35adjacent_difference_config_selectorILb1EyEEZNS1_24adjacent_difference_implIS3_Lb1ELb0EPyS7_N6thrust23THRUST_200600_302600_NS5minusIyEEEE10hipError_tPvRmT2_T3_mT4_P12ihipStream_tbEUlT_E_NS1_11comp_targetILNS1_3genE3ELNS1_11target_archE908ELNS1_3gpuE7ELNS1_3repE0EEENS1_30default_config_static_selectorELNS0_4arch9wavefront6targetE1EEEvT1_
	.globl	_ZN7rocprim17ROCPRIM_400000_NS6detail17trampoline_kernelINS0_14default_configENS1_35adjacent_difference_config_selectorILb1EyEEZNS1_24adjacent_difference_implIS3_Lb1ELb0EPyS7_N6thrust23THRUST_200600_302600_NS5minusIyEEEE10hipError_tPvRmT2_T3_mT4_P12ihipStream_tbEUlT_E_NS1_11comp_targetILNS1_3genE3ELNS1_11target_archE908ELNS1_3gpuE7ELNS1_3repE0EEENS1_30default_config_static_selectorELNS0_4arch9wavefront6targetE1EEEvT1_
	.p2align	8
	.type	_ZN7rocprim17ROCPRIM_400000_NS6detail17trampoline_kernelINS0_14default_configENS1_35adjacent_difference_config_selectorILb1EyEEZNS1_24adjacent_difference_implIS3_Lb1ELb0EPyS7_N6thrust23THRUST_200600_302600_NS5minusIyEEEE10hipError_tPvRmT2_T3_mT4_P12ihipStream_tbEUlT_E_NS1_11comp_targetILNS1_3genE3ELNS1_11target_archE908ELNS1_3gpuE7ELNS1_3repE0EEENS1_30default_config_static_selectorELNS0_4arch9wavefront6targetE1EEEvT1_,@function
_ZN7rocprim17ROCPRIM_400000_NS6detail17trampoline_kernelINS0_14default_configENS1_35adjacent_difference_config_selectorILb1EyEEZNS1_24adjacent_difference_implIS3_Lb1ELb0EPyS7_N6thrust23THRUST_200600_302600_NS5minusIyEEEE10hipError_tPvRmT2_T3_mT4_P12ihipStream_tbEUlT_E_NS1_11comp_targetILNS1_3genE3ELNS1_11target_archE908ELNS1_3gpuE7ELNS1_3repE0EEENS1_30default_config_static_selectorELNS0_4arch9wavefront6targetE1EEEvT1_: ; @_ZN7rocprim17ROCPRIM_400000_NS6detail17trampoline_kernelINS0_14default_configENS1_35adjacent_difference_config_selectorILb1EyEEZNS1_24adjacent_difference_implIS3_Lb1ELb0EPyS7_N6thrust23THRUST_200600_302600_NS5minusIyEEEE10hipError_tPvRmT2_T3_mT4_P12ihipStream_tbEUlT_E_NS1_11comp_targetILNS1_3genE3ELNS1_11target_archE908ELNS1_3gpuE7ELNS1_3repE0EEENS1_30default_config_static_selectorELNS0_4arch9wavefront6targetE1EEEvT1_
; %bb.0:
	.section	.rodata,"a",@progbits
	.p2align	6, 0x0
	.amdhsa_kernel _ZN7rocprim17ROCPRIM_400000_NS6detail17trampoline_kernelINS0_14default_configENS1_35adjacent_difference_config_selectorILb1EyEEZNS1_24adjacent_difference_implIS3_Lb1ELb0EPyS7_N6thrust23THRUST_200600_302600_NS5minusIyEEEE10hipError_tPvRmT2_T3_mT4_P12ihipStream_tbEUlT_E_NS1_11comp_targetILNS1_3genE3ELNS1_11target_archE908ELNS1_3gpuE7ELNS1_3repE0EEENS1_30default_config_static_selectorELNS0_4arch9wavefront6targetE1EEEvT1_
		.amdhsa_group_segment_fixed_size 0
		.amdhsa_private_segment_fixed_size 0
		.amdhsa_kernarg_size 56
		.amdhsa_user_sgpr_count 6
		.amdhsa_user_sgpr_private_segment_buffer 1
		.amdhsa_user_sgpr_dispatch_ptr 0
		.amdhsa_user_sgpr_queue_ptr 0
		.amdhsa_user_sgpr_kernarg_segment_ptr 1
		.amdhsa_user_sgpr_dispatch_id 0
		.amdhsa_user_sgpr_flat_scratch_init 0
		.amdhsa_user_sgpr_private_segment_size 0
		.amdhsa_uses_dynamic_stack 0
		.amdhsa_system_sgpr_private_segment_wavefront_offset 0
		.amdhsa_system_sgpr_workgroup_id_x 1
		.amdhsa_system_sgpr_workgroup_id_y 0
		.amdhsa_system_sgpr_workgroup_id_z 0
		.amdhsa_system_sgpr_workgroup_info 0
		.amdhsa_system_vgpr_workitem_id 0
		.amdhsa_next_free_vgpr 1
		.amdhsa_next_free_sgpr 0
		.amdhsa_reserve_vcc 0
		.amdhsa_reserve_flat_scratch 0
		.amdhsa_float_round_mode_32 0
		.amdhsa_float_round_mode_16_64 0
		.amdhsa_float_denorm_mode_32 3
		.amdhsa_float_denorm_mode_16_64 3
		.amdhsa_dx10_clamp 1
		.amdhsa_ieee_mode 1
		.amdhsa_fp16_overflow 0
		.amdhsa_exception_fp_ieee_invalid_op 0
		.amdhsa_exception_fp_denorm_src 0
		.amdhsa_exception_fp_ieee_div_zero 0
		.amdhsa_exception_fp_ieee_overflow 0
		.amdhsa_exception_fp_ieee_underflow 0
		.amdhsa_exception_fp_ieee_inexact 0
		.amdhsa_exception_int_div_zero 0
	.end_amdhsa_kernel
	.section	.text._ZN7rocprim17ROCPRIM_400000_NS6detail17trampoline_kernelINS0_14default_configENS1_35adjacent_difference_config_selectorILb1EyEEZNS1_24adjacent_difference_implIS3_Lb1ELb0EPyS7_N6thrust23THRUST_200600_302600_NS5minusIyEEEE10hipError_tPvRmT2_T3_mT4_P12ihipStream_tbEUlT_E_NS1_11comp_targetILNS1_3genE3ELNS1_11target_archE908ELNS1_3gpuE7ELNS1_3repE0EEENS1_30default_config_static_selectorELNS0_4arch9wavefront6targetE1EEEvT1_,"axG",@progbits,_ZN7rocprim17ROCPRIM_400000_NS6detail17trampoline_kernelINS0_14default_configENS1_35adjacent_difference_config_selectorILb1EyEEZNS1_24adjacent_difference_implIS3_Lb1ELb0EPyS7_N6thrust23THRUST_200600_302600_NS5minusIyEEEE10hipError_tPvRmT2_T3_mT4_P12ihipStream_tbEUlT_E_NS1_11comp_targetILNS1_3genE3ELNS1_11target_archE908ELNS1_3gpuE7ELNS1_3repE0EEENS1_30default_config_static_selectorELNS0_4arch9wavefront6targetE1EEEvT1_,comdat
.Lfunc_end125:
	.size	_ZN7rocprim17ROCPRIM_400000_NS6detail17trampoline_kernelINS0_14default_configENS1_35adjacent_difference_config_selectorILb1EyEEZNS1_24adjacent_difference_implIS3_Lb1ELb0EPyS7_N6thrust23THRUST_200600_302600_NS5minusIyEEEE10hipError_tPvRmT2_T3_mT4_P12ihipStream_tbEUlT_E_NS1_11comp_targetILNS1_3genE3ELNS1_11target_archE908ELNS1_3gpuE7ELNS1_3repE0EEENS1_30default_config_static_selectorELNS0_4arch9wavefront6targetE1EEEvT1_, .Lfunc_end125-_ZN7rocprim17ROCPRIM_400000_NS6detail17trampoline_kernelINS0_14default_configENS1_35adjacent_difference_config_selectorILb1EyEEZNS1_24adjacent_difference_implIS3_Lb1ELb0EPyS7_N6thrust23THRUST_200600_302600_NS5minusIyEEEE10hipError_tPvRmT2_T3_mT4_P12ihipStream_tbEUlT_E_NS1_11comp_targetILNS1_3genE3ELNS1_11target_archE908ELNS1_3gpuE7ELNS1_3repE0EEENS1_30default_config_static_selectorELNS0_4arch9wavefront6targetE1EEEvT1_
                                        ; -- End function
	.set _ZN7rocprim17ROCPRIM_400000_NS6detail17trampoline_kernelINS0_14default_configENS1_35adjacent_difference_config_selectorILb1EyEEZNS1_24adjacent_difference_implIS3_Lb1ELb0EPyS7_N6thrust23THRUST_200600_302600_NS5minusIyEEEE10hipError_tPvRmT2_T3_mT4_P12ihipStream_tbEUlT_E_NS1_11comp_targetILNS1_3genE3ELNS1_11target_archE908ELNS1_3gpuE7ELNS1_3repE0EEENS1_30default_config_static_selectorELNS0_4arch9wavefront6targetE1EEEvT1_.num_vgpr, 0
	.set _ZN7rocprim17ROCPRIM_400000_NS6detail17trampoline_kernelINS0_14default_configENS1_35adjacent_difference_config_selectorILb1EyEEZNS1_24adjacent_difference_implIS3_Lb1ELb0EPyS7_N6thrust23THRUST_200600_302600_NS5minusIyEEEE10hipError_tPvRmT2_T3_mT4_P12ihipStream_tbEUlT_E_NS1_11comp_targetILNS1_3genE3ELNS1_11target_archE908ELNS1_3gpuE7ELNS1_3repE0EEENS1_30default_config_static_selectorELNS0_4arch9wavefront6targetE1EEEvT1_.num_agpr, 0
	.set _ZN7rocprim17ROCPRIM_400000_NS6detail17trampoline_kernelINS0_14default_configENS1_35adjacent_difference_config_selectorILb1EyEEZNS1_24adjacent_difference_implIS3_Lb1ELb0EPyS7_N6thrust23THRUST_200600_302600_NS5minusIyEEEE10hipError_tPvRmT2_T3_mT4_P12ihipStream_tbEUlT_E_NS1_11comp_targetILNS1_3genE3ELNS1_11target_archE908ELNS1_3gpuE7ELNS1_3repE0EEENS1_30default_config_static_selectorELNS0_4arch9wavefront6targetE1EEEvT1_.numbered_sgpr, 0
	.set _ZN7rocprim17ROCPRIM_400000_NS6detail17trampoline_kernelINS0_14default_configENS1_35adjacent_difference_config_selectorILb1EyEEZNS1_24adjacent_difference_implIS3_Lb1ELb0EPyS7_N6thrust23THRUST_200600_302600_NS5minusIyEEEE10hipError_tPvRmT2_T3_mT4_P12ihipStream_tbEUlT_E_NS1_11comp_targetILNS1_3genE3ELNS1_11target_archE908ELNS1_3gpuE7ELNS1_3repE0EEENS1_30default_config_static_selectorELNS0_4arch9wavefront6targetE1EEEvT1_.num_named_barrier, 0
	.set _ZN7rocprim17ROCPRIM_400000_NS6detail17trampoline_kernelINS0_14default_configENS1_35adjacent_difference_config_selectorILb1EyEEZNS1_24adjacent_difference_implIS3_Lb1ELb0EPyS7_N6thrust23THRUST_200600_302600_NS5minusIyEEEE10hipError_tPvRmT2_T3_mT4_P12ihipStream_tbEUlT_E_NS1_11comp_targetILNS1_3genE3ELNS1_11target_archE908ELNS1_3gpuE7ELNS1_3repE0EEENS1_30default_config_static_selectorELNS0_4arch9wavefront6targetE1EEEvT1_.private_seg_size, 0
	.set _ZN7rocprim17ROCPRIM_400000_NS6detail17trampoline_kernelINS0_14default_configENS1_35adjacent_difference_config_selectorILb1EyEEZNS1_24adjacent_difference_implIS3_Lb1ELb0EPyS7_N6thrust23THRUST_200600_302600_NS5minusIyEEEE10hipError_tPvRmT2_T3_mT4_P12ihipStream_tbEUlT_E_NS1_11comp_targetILNS1_3genE3ELNS1_11target_archE908ELNS1_3gpuE7ELNS1_3repE0EEENS1_30default_config_static_selectorELNS0_4arch9wavefront6targetE1EEEvT1_.uses_vcc, 0
	.set _ZN7rocprim17ROCPRIM_400000_NS6detail17trampoline_kernelINS0_14default_configENS1_35adjacent_difference_config_selectorILb1EyEEZNS1_24adjacent_difference_implIS3_Lb1ELb0EPyS7_N6thrust23THRUST_200600_302600_NS5minusIyEEEE10hipError_tPvRmT2_T3_mT4_P12ihipStream_tbEUlT_E_NS1_11comp_targetILNS1_3genE3ELNS1_11target_archE908ELNS1_3gpuE7ELNS1_3repE0EEENS1_30default_config_static_selectorELNS0_4arch9wavefront6targetE1EEEvT1_.uses_flat_scratch, 0
	.set _ZN7rocprim17ROCPRIM_400000_NS6detail17trampoline_kernelINS0_14default_configENS1_35adjacent_difference_config_selectorILb1EyEEZNS1_24adjacent_difference_implIS3_Lb1ELb0EPyS7_N6thrust23THRUST_200600_302600_NS5minusIyEEEE10hipError_tPvRmT2_T3_mT4_P12ihipStream_tbEUlT_E_NS1_11comp_targetILNS1_3genE3ELNS1_11target_archE908ELNS1_3gpuE7ELNS1_3repE0EEENS1_30default_config_static_selectorELNS0_4arch9wavefront6targetE1EEEvT1_.has_dyn_sized_stack, 0
	.set _ZN7rocprim17ROCPRIM_400000_NS6detail17trampoline_kernelINS0_14default_configENS1_35adjacent_difference_config_selectorILb1EyEEZNS1_24adjacent_difference_implIS3_Lb1ELb0EPyS7_N6thrust23THRUST_200600_302600_NS5minusIyEEEE10hipError_tPvRmT2_T3_mT4_P12ihipStream_tbEUlT_E_NS1_11comp_targetILNS1_3genE3ELNS1_11target_archE908ELNS1_3gpuE7ELNS1_3repE0EEENS1_30default_config_static_selectorELNS0_4arch9wavefront6targetE1EEEvT1_.has_recursion, 0
	.set _ZN7rocprim17ROCPRIM_400000_NS6detail17trampoline_kernelINS0_14default_configENS1_35adjacent_difference_config_selectorILb1EyEEZNS1_24adjacent_difference_implIS3_Lb1ELb0EPyS7_N6thrust23THRUST_200600_302600_NS5minusIyEEEE10hipError_tPvRmT2_T3_mT4_P12ihipStream_tbEUlT_E_NS1_11comp_targetILNS1_3genE3ELNS1_11target_archE908ELNS1_3gpuE7ELNS1_3repE0EEENS1_30default_config_static_selectorELNS0_4arch9wavefront6targetE1EEEvT1_.has_indirect_call, 0
	.section	.AMDGPU.csdata,"",@progbits
; Kernel info:
; codeLenInByte = 0
; TotalNumSgprs: 4
; NumVgprs: 0
; ScratchSize: 0
; MemoryBound: 0
; FloatMode: 240
; IeeeMode: 1
; LDSByteSize: 0 bytes/workgroup (compile time only)
; SGPRBlocks: 0
; VGPRBlocks: 0
; NumSGPRsForWavesPerEU: 4
; NumVGPRsForWavesPerEU: 1
; Occupancy: 10
; WaveLimiterHint : 0
; COMPUTE_PGM_RSRC2:SCRATCH_EN: 0
; COMPUTE_PGM_RSRC2:USER_SGPR: 6
; COMPUTE_PGM_RSRC2:TRAP_HANDLER: 0
; COMPUTE_PGM_RSRC2:TGID_X_EN: 1
; COMPUTE_PGM_RSRC2:TGID_Y_EN: 0
; COMPUTE_PGM_RSRC2:TGID_Z_EN: 0
; COMPUTE_PGM_RSRC2:TIDIG_COMP_CNT: 0
	.section	.text._ZN7rocprim17ROCPRIM_400000_NS6detail17trampoline_kernelINS0_14default_configENS1_35adjacent_difference_config_selectorILb1EyEEZNS1_24adjacent_difference_implIS3_Lb1ELb0EPyS7_N6thrust23THRUST_200600_302600_NS5minusIyEEEE10hipError_tPvRmT2_T3_mT4_P12ihipStream_tbEUlT_E_NS1_11comp_targetILNS1_3genE2ELNS1_11target_archE906ELNS1_3gpuE6ELNS1_3repE0EEENS1_30default_config_static_selectorELNS0_4arch9wavefront6targetE1EEEvT1_,"axG",@progbits,_ZN7rocprim17ROCPRIM_400000_NS6detail17trampoline_kernelINS0_14default_configENS1_35adjacent_difference_config_selectorILb1EyEEZNS1_24adjacent_difference_implIS3_Lb1ELb0EPyS7_N6thrust23THRUST_200600_302600_NS5minusIyEEEE10hipError_tPvRmT2_T3_mT4_P12ihipStream_tbEUlT_E_NS1_11comp_targetILNS1_3genE2ELNS1_11target_archE906ELNS1_3gpuE6ELNS1_3repE0EEENS1_30default_config_static_selectorELNS0_4arch9wavefront6targetE1EEEvT1_,comdat
	.protected	_ZN7rocprim17ROCPRIM_400000_NS6detail17trampoline_kernelINS0_14default_configENS1_35adjacent_difference_config_selectorILb1EyEEZNS1_24adjacent_difference_implIS3_Lb1ELb0EPyS7_N6thrust23THRUST_200600_302600_NS5minusIyEEEE10hipError_tPvRmT2_T3_mT4_P12ihipStream_tbEUlT_E_NS1_11comp_targetILNS1_3genE2ELNS1_11target_archE906ELNS1_3gpuE6ELNS1_3repE0EEENS1_30default_config_static_selectorELNS0_4arch9wavefront6targetE1EEEvT1_ ; -- Begin function _ZN7rocprim17ROCPRIM_400000_NS6detail17trampoline_kernelINS0_14default_configENS1_35adjacent_difference_config_selectorILb1EyEEZNS1_24adjacent_difference_implIS3_Lb1ELb0EPyS7_N6thrust23THRUST_200600_302600_NS5minusIyEEEE10hipError_tPvRmT2_T3_mT4_P12ihipStream_tbEUlT_E_NS1_11comp_targetILNS1_3genE2ELNS1_11target_archE906ELNS1_3gpuE6ELNS1_3repE0EEENS1_30default_config_static_selectorELNS0_4arch9wavefront6targetE1EEEvT1_
	.globl	_ZN7rocprim17ROCPRIM_400000_NS6detail17trampoline_kernelINS0_14default_configENS1_35adjacent_difference_config_selectorILb1EyEEZNS1_24adjacent_difference_implIS3_Lb1ELb0EPyS7_N6thrust23THRUST_200600_302600_NS5minusIyEEEE10hipError_tPvRmT2_T3_mT4_P12ihipStream_tbEUlT_E_NS1_11comp_targetILNS1_3genE2ELNS1_11target_archE906ELNS1_3gpuE6ELNS1_3repE0EEENS1_30default_config_static_selectorELNS0_4arch9wavefront6targetE1EEEvT1_
	.p2align	8
	.type	_ZN7rocprim17ROCPRIM_400000_NS6detail17trampoline_kernelINS0_14default_configENS1_35adjacent_difference_config_selectorILb1EyEEZNS1_24adjacent_difference_implIS3_Lb1ELb0EPyS7_N6thrust23THRUST_200600_302600_NS5minusIyEEEE10hipError_tPvRmT2_T3_mT4_P12ihipStream_tbEUlT_E_NS1_11comp_targetILNS1_3genE2ELNS1_11target_archE906ELNS1_3gpuE6ELNS1_3repE0EEENS1_30default_config_static_selectorELNS0_4arch9wavefront6targetE1EEEvT1_,@function
_ZN7rocprim17ROCPRIM_400000_NS6detail17trampoline_kernelINS0_14default_configENS1_35adjacent_difference_config_selectorILb1EyEEZNS1_24adjacent_difference_implIS3_Lb1ELb0EPyS7_N6thrust23THRUST_200600_302600_NS5minusIyEEEE10hipError_tPvRmT2_T3_mT4_P12ihipStream_tbEUlT_E_NS1_11comp_targetILNS1_3genE2ELNS1_11target_archE906ELNS1_3gpuE6ELNS1_3repE0EEENS1_30default_config_static_selectorELNS0_4arch9wavefront6targetE1EEEvT1_: ; @_ZN7rocprim17ROCPRIM_400000_NS6detail17trampoline_kernelINS0_14default_configENS1_35adjacent_difference_config_selectorILb1EyEEZNS1_24adjacent_difference_implIS3_Lb1ELb0EPyS7_N6thrust23THRUST_200600_302600_NS5minusIyEEEE10hipError_tPvRmT2_T3_mT4_P12ihipStream_tbEUlT_E_NS1_11comp_targetILNS1_3genE2ELNS1_11target_archE906ELNS1_3gpuE6ELNS1_3repE0EEENS1_30default_config_static_selectorELNS0_4arch9wavefront6targetE1EEEvT1_
; %bb.0:
	s_load_dwordx8 s[8:15], s[4:5], 0x0
	s_load_dwordx4 s[16:19], s[4:5], 0x28
	s_mul_i32 s4, s6, 0x580
	s_mov_b32 s7, 0
	s_mov_b64 s[22:23], -1
	s_waitcnt lgkmcnt(0)
	s_lshl_b64 s[10:11], s[10:11], 3
	s_add_u32 s26, s8, s10
	s_addc_u32 s27, s9, s11
	s_mul_i32 s3, s15, 0xba2e8ba3
	s_mul_hi_u32 s5, s14, 0xba2e8ba3
	s_mul_hi_u32 s2, s15, 0xba2e8ba3
	s_add_u32 s3, s3, s5
	s_mul_i32 s1, s14, 0x2e8ba2e8
	s_addc_u32 s2, s2, 0
	s_mul_hi_u32 s0, s14, 0x2e8ba2e8
	s_add_u32 s1, s1, s3
	s_addc_u32 s0, s0, 0
	s_add_u32 s0, s2, s0
	s_addc_u32 s1, 0, 0
	s_mul_i32 s3, s15, 0x2e8ba2e8
	s_mul_hi_u32 s2, s15, 0x2e8ba2e8
	s_add_u32 s0, s3, s0
	s_addc_u32 s1, s2, s1
	s_lshr_b64 s[2:3], s[0:1], 8
	s_lshr_b32 s0, s1, 8
	s_mulk_i32 s0, 0x580
	s_mul_hi_u32 s1, s2, 0x580
	s_add_i32 s1, s1, s0
	s_mul_i32 s0, s2, 0x580
	s_sub_u32 s0, s14, s0
	s_subb_u32 s1, s15, s1
	s_cmp_lg_u64 s[0:1], 0
	s_cselect_b64 s[0:1], -1, 0
	v_cndmask_b32_e64 v1, 0, 1, s[0:1]
	v_readfirstlane_b32 s0, v1
	s_add_u32 s2, s2, s0
	s_addc_u32 s3, s3, 0
	s_add_u32 s8, s18, s6
	s_addc_u32 s9, s19, 0
	s_add_u32 s20, s2, -1
	s_addc_u32 s21, s3, -1
	v_mov_b32_e32 v1, s20
	v_mov_b32_e32 v2, s21
	v_cmp_ge_u64_e64 s[0:1], s[8:9], v[1:2]
	s_mul_i32 s15, s20, 0xfffffa80
	s_and_b64 vcc, exec, s[0:1]
	s_cbranch_vccz .LBB126_24
; %bb.1:
	s_mov_b32 s5, s7
	s_add_i32 s28, s15, s14
	s_lshl_b64 s[22:23], s[4:5], 3
	s_add_u32 s22, s26, s22
	s_addc_u32 s23, s27, s23
	v_cmp_gt_u32_e32 vcc, s28, v0
                                        ; implicit-def: $vgpr1_vgpr2
	s_and_saveexec_b64 s[24:25], vcc
	s_cbranch_execz .LBB126_3
; %bb.2:
	v_lshlrev_b32_e32 v1, 3, v0
	global_load_dwordx2 v[1:2], v1, s[22:23]
.LBB126_3:
	s_or_b64 exec, exec, s[24:25]
	v_or_b32_e32 v3, 0x80, v0
	v_cmp_gt_u32_e32 vcc, s28, v3
                                        ; implicit-def: $vgpr3_vgpr4
	s_and_saveexec_b64 s[24:25], vcc
	s_cbranch_execz .LBB126_5
; %bb.4:
	v_lshlrev_b32_e32 v3, 3, v0
	global_load_dwordx2 v[3:4], v3, s[22:23] offset:1024
.LBB126_5:
	s_or_b64 exec, exec, s[24:25]
	v_or_b32_e32 v5, 0x100, v0
	v_cmp_gt_u32_e32 vcc, s28, v5
                                        ; implicit-def: $vgpr5_vgpr6
	s_and_saveexec_b64 s[24:25], vcc
	s_cbranch_execz .LBB126_7
; %bb.6:
	v_lshlrev_b32_e32 v5, 3, v0
	global_load_dwordx2 v[5:6], v5, s[22:23] offset:2048
.LBB126_7:
	s_or_b64 exec, exec, s[24:25]
	v_or_b32_e32 v7, 0x180, v0
	v_cmp_gt_u32_e32 vcc, s28, v7
                                        ; implicit-def: $vgpr7_vgpr8
	s_and_saveexec_b64 s[24:25], vcc
	s_cbranch_execz .LBB126_9
; %bb.8:
	v_lshlrev_b32_e32 v7, 3, v0
	global_load_dwordx2 v[7:8], v7, s[22:23] offset:3072
.LBB126_9:
	s_or_b64 exec, exec, s[24:25]
	v_or_b32_e32 v11, 0x200, v0
	v_cmp_gt_u32_e32 vcc, s28, v11
                                        ; implicit-def: $vgpr9_vgpr10
	s_and_saveexec_b64 s[24:25], vcc
	s_cbranch_execz .LBB126_11
; %bb.10:
	v_lshlrev_b32_e32 v9, 3, v11
	global_load_dwordx2 v[9:10], v9, s[22:23]
.LBB126_11:
	s_or_b64 exec, exec, s[24:25]
	v_or_b32_e32 v13, 0x280, v0
	v_cmp_gt_u32_e32 vcc, s28, v13
                                        ; implicit-def: $vgpr11_vgpr12
	s_and_saveexec_b64 s[24:25], vcc
	s_cbranch_execz .LBB126_13
; %bb.12:
	v_lshlrev_b32_e32 v11, 3, v13
	global_load_dwordx2 v[11:12], v11, s[22:23]
.LBB126_13:
	s_or_b64 exec, exec, s[24:25]
	v_or_b32_e32 v15, 0x300, v0
	v_cmp_gt_u32_e32 vcc, s28, v15
                                        ; implicit-def: $vgpr13_vgpr14
	s_and_saveexec_b64 s[24:25], vcc
	s_cbranch_execz .LBB126_15
; %bb.14:
	v_lshlrev_b32_e32 v13, 3, v15
	global_load_dwordx2 v[13:14], v13, s[22:23]
.LBB126_15:
	s_or_b64 exec, exec, s[24:25]
	v_or_b32_e32 v17, 0x380, v0
	v_cmp_gt_u32_e32 vcc, s28, v17
                                        ; implicit-def: $vgpr15_vgpr16
	s_and_saveexec_b64 s[24:25], vcc
	s_cbranch_execz .LBB126_17
; %bb.16:
	v_lshlrev_b32_e32 v15, 3, v17
	global_load_dwordx2 v[15:16], v15, s[22:23]
.LBB126_17:
	s_or_b64 exec, exec, s[24:25]
	v_or_b32_e32 v19, 0x400, v0
	v_cmp_gt_u32_e32 vcc, s28, v19
                                        ; implicit-def: $vgpr17_vgpr18
	s_and_saveexec_b64 s[24:25], vcc
	s_cbranch_execz .LBB126_19
; %bb.18:
	v_lshlrev_b32_e32 v17, 3, v19
	global_load_dwordx2 v[17:18], v17, s[22:23]
.LBB126_19:
	s_or_b64 exec, exec, s[24:25]
	v_or_b32_e32 v21, 0x480, v0
	v_cmp_gt_u32_e32 vcc, s28, v21
                                        ; implicit-def: $vgpr19_vgpr20
	s_and_saveexec_b64 s[24:25], vcc
	s_cbranch_execz .LBB126_21
; %bb.20:
	v_lshlrev_b32_e32 v19, 3, v21
	global_load_dwordx2 v[19:20], v19, s[22:23]
.LBB126_21:
	s_or_b64 exec, exec, s[24:25]
	v_or_b32_e32 v23, 0x500, v0
	v_cmp_gt_u32_e32 vcc, s28, v23
                                        ; implicit-def: $vgpr21_vgpr22
	s_and_saveexec_b64 s[24:25], vcc
	s_cbranch_execz .LBB126_23
; %bb.22:
	v_lshlrev_b32_e32 v21, 3, v23
	global_load_dwordx2 v[21:22], v21, s[22:23]
.LBB126_23:
	s_or_b64 exec, exec, s[24:25]
	v_lshlrev_b32_e32 v23, 3, v0
	s_mov_b64 s[22:23], 0
	s_waitcnt vmcnt(0)
	ds_write2st64_b64 v23, v[1:2], v[3:4] offset1:2
	ds_write2st64_b64 v23, v[5:6], v[7:8] offset0:4 offset1:6
	ds_write2st64_b64 v23, v[9:10], v[11:12] offset0:8 offset1:10
	;; [unrolled: 1-line block ×4, first 2 shown]
	ds_write_b64 v23, v[21:22] offset:10240
	s_waitcnt lgkmcnt(0)
	s_barrier
.LBB126_24:
	s_and_b64 vcc, exec, s[22:23]
	v_lshlrev_b32_e32 v45, 3, v0
	s_cbranch_vccz .LBB126_26
; %bb.25:
	s_mov_b32 s5, 0
	s_lshl_b64 s[22:23], s[4:5], 3
	s_add_u32 s22, s26, s22
	s_addc_u32 s23, s27, s23
	v_mov_b32_e32 v1, s23
	v_add_co_u32_e32 v19, vcc, s22, v45
	v_addc_co_u32_e32 v20, vcc, 0, v1, vcc
	v_add_co_u32_e32 v9, vcc, 0x1000, v19
	v_addc_co_u32_e32 v10, vcc, 0, v20, vcc
	global_load_dwordx2 v[1:2], v45, s[22:23]
	global_load_dwordx2 v[3:4], v45, s[22:23] offset:1024
	global_load_dwordx2 v[5:6], v45, s[22:23] offset:2048
	;; [unrolled: 1-line block ×3, first 2 shown]
	global_load_dwordx2 v[11:12], v[9:10], off
	global_load_dwordx2 v[13:14], v[9:10], off offset:1024
	global_load_dwordx2 v[15:16], v[9:10], off offset:2048
	;; [unrolled: 1-line block ×3, first 2 shown]
	v_add_co_u32_e32 v9, vcc, 0x2000, v19
	v_addc_co_u32_e32 v10, vcc, 0, v20, vcc
	global_load_dwordx2 v[19:20], v[9:10], off
	global_load_dwordx2 v[21:22], v[9:10], off offset:1024
	global_load_dwordx2 v[23:24], v[9:10], off offset:2048
	s_waitcnt vmcnt(9)
	ds_write2st64_b64 v45, v[1:2], v[3:4] offset1:2
	s_waitcnt vmcnt(7)
	ds_write2st64_b64 v45, v[5:6], v[7:8] offset0:4 offset1:6
	s_waitcnt vmcnt(5)
	ds_write2st64_b64 v45, v[11:12], v[13:14] offset0:8 offset1:10
	;; [unrolled: 2-line block ×4, first 2 shown]
	s_waitcnt vmcnt(0)
	ds_write_b64 v45, v[23:24] offset:10240
	s_waitcnt lgkmcnt(0)
	s_barrier
.LBB126_26:
	v_mul_u32_u24_e32 v17, 0x58, v0
	ds_read_b64 v[21:22], v17 offset:80
	ds_read2_b64 v[1:4], v17 offset0:8 offset1:9
	ds_read2_b64 v[9:12], v17 offset1:1
	ds_read2_b64 v[13:16], v17 offset0:2 offset1:3
	ds_read2_b64 v[5:8], v17 offset0:6 offset1:7
	;; [unrolled: 1-line block ×3, first 2 shown]
	s_cmp_eq_u64 s[8:9], 0
	s_waitcnt lgkmcnt(0)
	s_barrier
	s_cbranch_scc1 .LBB126_31
; %bb.27:
	s_lshl_b64 s[18:19], s[18:19], 3
	s_add_u32 s5, s16, s18
	s_addc_u32 s16, s17, s19
	s_lshl_b64 s[6:7], s[6:7], 3
	s_add_u32 s5, s5, s6
	s_addc_u32 s7, s16, s7
	s_add_u32 s6, s5, -8
	s_addc_u32 s7, s7, -1
	s_load_dwordx2 s[6:7], s[6:7], 0x0
	s_cmp_eq_u64 s[8:9], s[20:21]
	s_cbranch_scc1 .LBB126_32
; %bb.28:
	s_waitcnt lgkmcnt(0)
	v_mov_b32_e32 v24, s7
	v_cmp_ne_u32_e32 vcc, 0, v0
	v_mov_b32_e32 v23, s6
	ds_write_b64 v45, v[21:22]
	s_waitcnt lgkmcnt(0)
	s_barrier
	s_and_saveexec_b64 s[16:17], vcc
; %bb.29:
	v_add_u32_e32 v23, -8, v45
	ds_read_b64 v[23:24], v23
; %bb.30:
	s_or_b64 exec, exec, s[16:17]
	s_waitcnt lgkmcnt(0)
	v_sub_co_u32_e32 v23, vcc, v9, v23
	v_subb_co_u32_e32 v24, vcc, v10, v24, vcc
	s_mov_b64 s[16:17], 0
	s_branch .LBB126_33
.LBB126_31:
                                        ; implicit-def: $vgpr23_vgpr24
                                        ; implicit-def: $vgpr43_vgpr44
                                        ; implicit-def: $vgpr35_vgpr36
                                        ; implicit-def: $vgpr41_vgpr42
                                        ; implicit-def: $vgpr33_vgpr34
                                        ; implicit-def: $vgpr39_vgpr40
                                        ; implicit-def: $vgpr31_vgpr32
                                        ; implicit-def: $vgpr37_vgpr38
                                        ; implicit-def: $vgpr29_vgpr30
                                        ; implicit-def: $vgpr27_vgpr28
                                        ; implicit-def: $vgpr25_vgpr26
	s_branch .LBB126_38
.LBB126_32:
	s_mov_b64 s[16:17], -1
                                        ; implicit-def: $vgpr23_vgpr24
.LBB126_33:
	v_mov_b32_e32 v44, v10
	v_mov_b32_e32 v36, v12
	;; [unrolled: 1-line block ×10, first 2 shown]
	s_and_b64 vcc, exec, s[16:17]
	v_mov_b32_e32 v43, v9
	v_mov_b32_e32 v35, v11
	;; [unrolled: 1-line block ×10, first 2 shown]
	s_cbranch_vccz .LBB126_37
; %bb.34:
	s_waitcnt lgkmcnt(0)
	v_mov_b32_e32 v24, s7
	v_mul_u32_u24_e32 v46, 11, v0
	v_cmp_ne_u32_e32 vcc, 0, v0
	v_mov_b32_e32 v23, s6
	ds_write_b64 v45, v[21:22]
	s_waitcnt lgkmcnt(0)
	s_barrier
	s_and_saveexec_b64 s[6:7], vcc
; %bb.35:
	v_add_u32_e32 v23, -8, v45
	ds_read_b64 v[23:24], v23
; %bb.36:
	s_or_b64 exec, exec, s[6:7]
	s_mul_i32 s5, s8, 0xfffffa80
	s_add_i32 s5, s5, s14
	v_add_u32_e32 v25, 10, v46
	v_cmp_gt_u32_e32 vcc, s5, v25
	v_add_u32_e32 v27, 9, v46
	v_cndmask_b32_e32 v26, 0, v4, vcc
	v_cndmask_b32_e32 v25, 0, v3, vcc
	v_cmp_gt_u32_e32 vcc, s5, v27
	v_add_u32_e32 v29, 8, v46
	v_cndmask_b32_e32 v28, 0, v2, vcc
	v_cndmask_b32_e32 v27, 0, v1, vcc
	;; [unrolled: 4-line block ×9, first 2 shown]
	v_cmp_gt_u32_e32 vcc, s5, v43
	v_cndmask_b32_e32 v44, 0, v10, vcc
	v_cndmask_b32_e32 v43, 0, v9, vcc
	v_cmp_gt_u32_e32 vcc, s5, v46
	s_waitcnt lgkmcnt(0)
	v_cndmask_b32_e32 v23, 0, v23, vcc
	v_cndmask_b32_e32 v24, 0, v24, vcc
	v_sub_co_u32_e32 v23, vcc, v9, v23
	v_subb_co_u32_e32 v24, vcc, v10, v24, vcc
.LBB126_37:
	s_waitcnt lgkmcnt(0)
	s_cbranch_execnz .LBB126_48
.LBB126_38:
	s_cmp_eq_u64 s[2:3], 1
	v_cmp_ne_u32_e32 vcc, 0, v0
	s_cbranch_scc1 .LBB126_43
; %bb.39:
	v_mov_b32_e32 v24, v10
	v_mov_b32_e32 v23, v9
	ds_write_b64 v45, v[21:22]
	s_waitcnt lgkmcnt(0)
	s_barrier
	s_and_saveexec_b64 s[2:3], vcc
	s_cbranch_execz .LBB126_41
; %bb.40:
	v_add_u32_e32 v23, -8, v45
	ds_read_b64 v[23:24], v23
	s_waitcnt lgkmcnt(0)
	v_sub_co_u32_e32 v23, vcc, v9, v23
	v_subb_co_u32_e32 v24, vcc, v10, v24, vcc
.LBB126_41:
	s_or_b64 exec, exec, s[2:3]
	s_cbranch_execz .LBB126_44
; %bb.42:
	v_mov_b32_e32 v36, v12
	v_mov_b32_e32 v42, v14
	;; [unrolled: 1-line block ×18, first 2 shown]
	s_branch .LBB126_47
.LBB126_43:
                                        ; implicit-def: $vgpr23_vgpr24
.LBB126_44:
	v_mul_u32_u24_e32 v23, 11, v0
	v_add_u32_e32 v24, 10, v23
	v_cmp_gt_u32_e32 vcc, s14, v24
	v_add_u32_e32 v24, 9, v23
	v_cndmask_b32_e32 v26, 0, v4, vcc
	v_cndmask_b32_e32 v25, 0, v3, vcc
	v_cmp_gt_u32_e32 vcc, s14, v24
	v_add_u32_e32 v24, 8, v23
	v_cndmask_b32_e32 v28, 0, v2, vcc
	v_cndmask_b32_e32 v27, 0, v1, vcc
	;; [unrolled: 4-line block ×9, first 2 shown]
	v_cmp_gt_u32_e32 vcc, s14, v24
	v_cndmask_b32_e32 v44, 0, v10, vcc
	v_cndmask_b32_e32 v43, 0, v9, vcc
	v_cmp_ne_u32_e32 vcc, 0, v0
	v_cmp_gt_u32_e64 s[2:3], s14, v23
	s_and_b64 s[6:7], vcc, s[2:3]
	ds_write_b64 v45, v[21:22]
	s_waitcnt lgkmcnt(0)
	s_barrier
	s_and_saveexec_b64 s[2:3], s[6:7]
	s_cbranch_execz .LBB126_46
; %bb.45:
	v_add_u32_e32 v23, -8, v45
	ds_read_b64 v[23:24], v23
	s_waitcnt lgkmcnt(0)
	v_sub_co_u32_e32 v9, vcc, v9, v23
	v_subb_co_u32_e32 v10, vcc, v10, v24, vcc
.LBB126_46:
	s_or_b64 exec, exec, s[2:3]
	v_mov_b32_e32 v24, v10
	v_mov_b32_e32 v23, v9
	;; [unrolled: 1-line block ×4, first 2 shown]
.LBB126_47:
	v_mov_b32_e32 v44, v10
	v_mov_b32_e32 v43, v9
.LBB126_48:
	v_sub_co_u32_e32 v43, vcc, v11, v43
	v_subb_co_u32_e32 v44, vcc, v12, v44, vcc
	v_sub_co_u32_e32 v35, vcc, v13, v35
	v_subb_co_u32_e32 v36, vcc, v14, v36, vcc
	;; [unrolled: 2-line block ×9, first 2 shown]
	v_sub_co_u32_e32 v21, vcc, v21, v25
	s_add_u32 s6, s12, s10
	v_subb_co_u32_e32 v22, vcc, v22, v26, vcc
	s_addc_u32 s7, s13, s11
	s_and_b64 vcc, exec, s[0:1]
	s_barrier
	s_cbranch_vccz .LBB126_70
; %bb.49:
	s_movk_i32 s2, 0x58
	v_mul_i32_i24_e32 v47, 0xffffffb0, v0
	v_mul_u32_u24_e32 v46, 0x58, v0
	v_mad_u32_u24 v1, v0, s2, v47
	ds_write2_b64 v46, v[23:24], v[43:44] offset1:1
	ds_write2_b64 v46, v[35:36], v[41:42] offset0:2 offset1:3
	ds_write2_b64 v46, v[33:34], v[39:40] offset0:4 offset1:5
	;; [unrolled: 1-line block ×4, first 2 shown]
	ds_write_b64 v46, v[21:22] offset:80
	s_waitcnt lgkmcnt(0)
	s_barrier
	ds_read2st64_b64 v[17:20], v1 offset0:2 offset1:4
	ds_read2st64_b64 v[13:16], v1 offset0:6 offset1:8
	;; [unrolled: 1-line block ×5, first 2 shown]
	s_mov_b32 s5, 0
	s_add_i32 s15, s15, s14
	s_lshl_b64 s[0:1], s[4:5], 3
	s_add_u32 s0, s6, s0
	s_addc_u32 s1, s7, s1
	v_mov_b32_e32 v26, s1
	v_add_co_u32_e32 v25, vcc, s0, v45
	v_addc_co_u32_e32 v26, vcc, 0, v26, vcc
	v_cmp_gt_u32_e32 vcc, s15, v0
	s_and_saveexec_b64 s[0:1], vcc
	s_cbranch_execz .LBB126_51
; %bb.50:
	v_add_u32_e32 v46, v46, v47
	ds_read_b64 v[46:47], v46
	s_waitcnt lgkmcnt(0)
	global_store_dwordx2 v[25:26], v[46:47], off
.LBB126_51:
	s_or_b64 exec, exec, s[0:1]
	v_or_b32_e32 v46, 0x80, v0
	v_cmp_gt_u32_e32 vcc, s15, v46
	s_and_saveexec_b64 s[0:1], vcc
	s_cbranch_execz .LBB126_53
; %bb.52:
	s_waitcnt lgkmcnt(4)
	global_store_dwordx2 v[25:26], v[17:18], off offset:1024
.LBB126_53:
	s_or_b64 exec, exec, s[0:1]
	s_waitcnt lgkmcnt(4)
	v_or_b32_e32 v17, 0x100, v0
	v_cmp_gt_u32_e32 vcc, s15, v17
	s_and_saveexec_b64 s[0:1], vcc
	s_cbranch_execz .LBB126_55
; %bb.54:
	global_store_dwordx2 v[25:26], v[19:20], off offset:2048
.LBB126_55:
	s_or_b64 exec, exec, s[0:1]
	v_or_b32_e32 v17, 0x180, v0
	v_cmp_gt_u32_e32 vcc, s15, v17
	s_and_saveexec_b64 s[0:1], vcc
	s_cbranch_execz .LBB126_57
; %bb.56:
	s_waitcnt lgkmcnt(3)
	global_store_dwordx2 v[25:26], v[13:14], off offset:3072
.LBB126_57:
	s_or_b64 exec, exec, s[0:1]
	s_waitcnt lgkmcnt(3)
	v_or_b32_e32 v13, 0x200, v0
	v_cmp_gt_u32_e32 vcc, s15, v13
	s_and_saveexec_b64 s[0:1], vcc
	s_cbranch_execz .LBB126_59
; %bb.58:
	v_add_co_u32_e32 v13, vcc, 0x1000, v25
	v_addc_co_u32_e32 v14, vcc, 0, v26, vcc
	global_store_dwordx2 v[13:14], v[15:16], off
.LBB126_59:
	s_or_b64 exec, exec, s[0:1]
	v_or_b32_e32 v13, 0x280, v0
	v_cmp_gt_u32_e32 vcc, s15, v13
	s_and_saveexec_b64 s[0:1], vcc
	s_cbranch_execz .LBB126_61
; %bb.60:
	v_add_co_u32_e32 v13, vcc, 0x1000, v25
	v_addc_co_u32_e32 v14, vcc, 0, v26, vcc
	s_waitcnt lgkmcnt(2)
	global_store_dwordx2 v[13:14], v[9:10], off offset:1024
.LBB126_61:
	s_or_b64 exec, exec, s[0:1]
	s_waitcnt lgkmcnt(2)
	v_or_b32_e32 v9, 0x300, v0
	v_cmp_gt_u32_e32 vcc, s15, v9
	s_and_saveexec_b64 s[0:1], vcc
	s_cbranch_execz .LBB126_63
; %bb.62:
	v_add_co_u32_e32 v9, vcc, 0x1000, v25
	v_addc_co_u32_e32 v10, vcc, 0, v26, vcc
	global_store_dwordx2 v[9:10], v[11:12], off offset:2048
.LBB126_63:
	s_or_b64 exec, exec, s[0:1]
	v_or_b32_e32 v9, 0x380, v0
	v_cmp_gt_u32_e32 vcc, s15, v9
	s_and_saveexec_b64 s[0:1], vcc
	s_cbranch_execz .LBB126_65
; %bb.64:
	v_add_co_u32_e32 v9, vcc, 0x1000, v25
	v_addc_co_u32_e32 v10, vcc, 0, v26, vcc
	s_waitcnt lgkmcnt(1)
	global_store_dwordx2 v[9:10], v[5:6], off offset:3072
.LBB126_65:
	s_or_b64 exec, exec, s[0:1]
	s_waitcnt lgkmcnt(1)
	v_or_b32_e32 v5, 0x400, v0
	v_cmp_gt_u32_e32 vcc, s15, v5
	s_and_saveexec_b64 s[0:1], vcc
	s_cbranch_execz .LBB126_67
; %bb.66:
	v_add_co_u32_e32 v5, vcc, 0x2000, v25
	v_addc_co_u32_e32 v6, vcc, 0, v26, vcc
	global_store_dwordx2 v[5:6], v[7:8], off
.LBB126_67:
	s_or_b64 exec, exec, s[0:1]
	v_or_b32_e32 v5, 0x480, v0
	v_cmp_gt_u32_e32 vcc, s15, v5
	s_and_saveexec_b64 s[0:1], vcc
	s_cbranch_execz .LBB126_69
; %bb.68:
	v_add_co_u32_e32 v5, vcc, 0x2000, v25
	v_addc_co_u32_e32 v6, vcc, 0, v26, vcc
	s_waitcnt lgkmcnt(0)
	global_store_dwordx2 v[5:6], v[1:2], off offset:1024
.LBB126_69:
	s_or_b64 exec, exec, s[0:1]
	s_waitcnt lgkmcnt(0)
	v_or_b32_e32 v1, 0x500, v0
	v_cmp_gt_u32_e64 s[0:1], s15, v1
	s_branch .LBB126_72
.LBB126_70:
	s_mov_b64 s[0:1], 0
                                        ; implicit-def: $vgpr3_vgpr4
                                        ; implicit-def: $vgpr25_vgpr26
	s_cbranch_execz .LBB126_72
; %bb.71:
	s_mov_b32 s5, 0
	s_lshl_b64 s[2:3], s[4:5], 3
	v_mul_u32_u24_e32 v1, 0x58, v0
	s_add_u32 s2, s6, s2
	s_movk_i32 s4, 0x58
	ds_write2_b64 v1, v[23:24], v[43:44] offset1:1
	ds_write2_b64 v1, v[35:36], v[41:42] offset0:2 offset1:3
	ds_write2_b64 v1, v[33:34], v[39:40] offset0:4 offset1:5
	ds_write2_b64 v1, v[31:32], v[37:38] offset0:6 offset1:7
	ds_write2_b64 v1, v[29:30], v[27:28] offset0:8 offset1:9
	ds_write_b64 v1, v[21:22] offset:80
	v_mul_i32_i24_e32 v1, 0xffffffb0, v0
	s_addc_u32 s3, s7, s3
	v_mad_u32_u24 v0, v0, s4, v1
	s_waitcnt vmcnt(0) lgkmcnt(0)
	s_barrier
	ds_read2st64_b64 v[5:8], v0 offset1:2
	ds_read2st64_b64 v[9:12], v0 offset0:4 offset1:6
	ds_read2st64_b64 v[13:16], v0 offset0:8 offset1:10
	;; [unrolled: 1-line block ×4, first 2 shown]
	ds_read_b64 v[3:4], v0 offset:10240
	v_mov_b32_e32 v0, s3
	v_add_co_u32_e32 v25, vcc, s2, v45
	v_addc_co_u32_e32 v26, vcc, 0, v0, vcc
	s_waitcnt lgkmcnt(5)
	global_store_dwordx2 v45, v[5:6], s[2:3]
	global_store_dwordx2 v45, v[7:8], s[2:3] offset:1024
	s_waitcnt lgkmcnt(4)
	global_store_dwordx2 v45, v[9:10], s[2:3] offset:2048
	global_store_dwordx2 v45, v[11:12], s[2:3] offset:3072
	s_movk_i32 s2, 0x1000
	v_add_co_u32_e32 v0, vcc, s2, v25
	v_addc_co_u32_e32 v1, vcc, 0, v26, vcc
	s_waitcnt lgkmcnt(3)
	global_store_dwordx2 v[0:1], v[13:14], off
	global_store_dwordx2 v[0:1], v[15:16], off offset:1024
	s_waitcnt lgkmcnt(2)
	global_store_dwordx2 v[0:1], v[17:18], off offset:2048
	global_store_dwordx2 v[0:1], v[19:20], off offset:3072
	v_add_co_u32_e32 v0, vcc, 0x2000, v25
	v_addc_co_u32_e32 v1, vcc, 0, v26, vcc
	s_or_b64 s[0:1], s[0:1], exec
	s_waitcnt lgkmcnt(1)
	global_store_dwordx2 v[0:1], v[21:22], off
	global_store_dwordx2 v[0:1], v[23:24], off offset:1024
.LBB126_72:
	s_and_saveexec_b64 s[2:3], s[0:1]
	s_cbranch_execnz .LBB126_74
; %bb.73:
	s_endpgm
.LBB126_74:
	v_add_co_u32_e32 v0, vcc, 0x2000, v25
	v_addc_co_u32_e32 v1, vcc, 0, v26, vcc
	s_waitcnt lgkmcnt(0)
	global_store_dwordx2 v[0:1], v[3:4], off offset:2048
	s_endpgm
	.section	.rodata,"a",@progbits
	.p2align	6, 0x0
	.amdhsa_kernel _ZN7rocprim17ROCPRIM_400000_NS6detail17trampoline_kernelINS0_14default_configENS1_35adjacent_difference_config_selectorILb1EyEEZNS1_24adjacent_difference_implIS3_Lb1ELb0EPyS7_N6thrust23THRUST_200600_302600_NS5minusIyEEEE10hipError_tPvRmT2_T3_mT4_P12ihipStream_tbEUlT_E_NS1_11comp_targetILNS1_3genE2ELNS1_11target_archE906ELNS1_3gpuE6ELNS1_3repE0EEENS1_30default_config_static_selectorELNS0_4arch9wavefront6targetE1EEEvT1_
		.amdhsa_group_segment_fixed_size 11264
		.amdhsa_private_segment_fixed_size 0
		.amdhsa_kernarg_size 56
		.amdhsa_user_sgpr_count 6
		.amdhsa_user_sgpr_private_segment_buffer 1
		.amdhsa_user_sgpr_dispatch_ptr 0
		.amdhsa_user_sgpr_queue_ptr 0
		.amdhsa_user_sgpr_kernarg_segment_ptr 1
		.amdhsa_user_sgpr_dispatch_id 0
		.amdhsa_user_sgpr_flat_scratch_init 0
		.amdhsa_user_sgpr_private_segment_size 0
		.amdhsa_uses_dynamic_stack 0
		.amdhsa_system_sgpr_private_segment_wavefront_offset 0
		.amdhsa_system_sgpr_workgroup_id_x 1
		.amdhsa_system_sgpr_workgroup_id_y 0
		.amdhsa_system_sgpr_workgroup_id_z 0
		.amdhsa_system_sgpr_workgroup_info 0
		.amdhsa_system_vgpr_workitem_id 0
		.amdhsa_next_free_vgpr 65
		.amdhsa_next_free_sgpr 98
		.amdhsa_reserve_vcc 1
		.amdhsa_reserve_flat_scratch 0
		.amdhsa_float_round_mode_32 0
		.amdhsa_float_round_mode_16_64 0
		.amdhsa_float_denorm_mode_32 3
		.amdhsa_float_denorm_mode_16_64 3
		.amdhsa_dx10_clamp 1
		.amdhsa_ieee_mode 1
		.amdhsa_fp16_overflow 0
		.amdhsa_exception_fp_ieee_invalid_op 0
		.amdhsa_exception_fp_denorm_src 0
		.amdhsa_exception_fp_ieee_div_zero 0
		.amdhsa_exception_fp_ieee_overflow 0
		.amdhsa_exception_fp_ieee_underflow 0
		.amdhsa_exception_fp_ieee_inexact 0
		.amdhsa_exception_int_div_zero 0
	.end_amdhsa_kernel
	.section	.text._ZN7rocprim17ROCPRIM_400000_NS6detail17trampoline_kernelINS0_14default_configENS1_35adjacent_difference_config_selectorILb1EyEEZNS1_24adjacent_difference_implIS3_Lb1ELb0EPyS7_N6thrust23THRUST_200600_302600_NS5minusIyEEEE10hipError_tPvRmT2_T3_mT4_P12ihipStream_tbEUlT_E_NS1_11comp_targetILNS1_3genE2ELNS1_11target_archE906ELNS1_3gpuE6ELNS1_3repE0EEENS1_30default_config_static_selectorELNS0_4arch9wavefront6targetE1EEEvT1_,"axG",@progbits,_ZN7rocprim17ROCPRIM_400000_NS6detail17trampoline_kernelINS0_14default_configENS1_35adjacent_difference_config_selectorILb1EyEEZNS1_24adjacent_difference_implIS3_Lb1ELb0EPyS7_N6thrust23THRUST_200600_302600_NS5minusIyEEEE10hipError_tPvRmT2_T3_mT4_P12ihipStream_tbEUlT_E_NS1_11comp_targetILNS1_3genE2ELNS1_11target_archE906ELNS1_3gpuE6ELNS1_3repE0EEENS1_30default_config_static_selectorELNS0_4arch9wavefront6targetE1EEEvT1_,comdat
.Lfunc_end126:
	.size	_ZN7rocprim17ROCPRIM_400000_NS6detail17trampoline_kernelINS0_14default_configENS1_35adjacent_difference_config_selectorILb1EyEEZNS1_24adjacent_difference_implIS3_Lb1ELb0EPyS7_N6thrust23THRUST_200600_302600_NS5minusIyEEEE10hipError_tPvRmT2_T3_mT4_P12ihipStream_tbEUlT_E_NS1_11comp_targetILNS1_3genE2ELNS1_11target_archE906ELNS1_3gpuE6ELNS1_3repE0EEENS1_30default_config_static_selectorELNS0_4arch9wavefront6targetE1EEEvT1_, .Lfunc_end126-_ZN7rocprim17ROCPRIM_400000_NS6detail17trampoline_kernelINS0_14default_configENS1_35adjacent_difference_config_selectorILb1EyEEZNS1_24adjacent_difference_implIS3_Lb1ELb0EPyS7_N6thrust23THRUST_200600_302600_NS5minusIyEEEE10hipError_tPvRmT2_T3_mT4_P12ihipStream_tbEUlT_E_NS1_11comp_targetILNS1_3genE2ELNS1_11target_archE906ELNS1_3gpuE6ELNS1_3repE0EEENS1_30default_config_static_selectorELNS0_4arch9wavefront6targetE1EEEvT1_
                                        ; -- End function
	.set _ZN7rocprim17ROCPRIM_400000_NS6detail17trampoline_kernelINS0_14default_configENS1_35adjacent_difference_config_selectorILb1EyEEZNS1_24adjacent_difference_implIS3_Lb1ELb0EPyS7_N6thrust23THRUST_200600_302600_NS5minusIyEEEE10hipError_tPvRmT2_T3_mT4_P12ihipStream_tbEUlT_E_NS1_11comp_targetILNS1_3genE2ELNS1_11target_archE906ELNS1_3gpuE6ELNS1_3repE0EEENS1_30default_config_static_selectorELNS0_4arch9wavefront6targetE1EEEvT1_.num_vgpr, 48
	.set _ZN7rocprim17ROCPRIM_400000_NS6detail17trampoline_kernelINS0_14default_configENS1_35adjacent_difference_config_selectorILb1EyEEZNS1_24adjacent_difference_implIS3_Lb1ELb0EPyS7_N6thrust23THRUST_200600_302600_NS5minusIyEEEE10hipError_tPvRmT2_T3_mT4_P12ihipStream_tbEUlT_E_NS1_11comp_targetILNS1_3genE2ELNS1_11target_archE906ELNS1_3gpuE6ELNS1_3repE0EEENS1_30default_config_static_selectorELNS0_4arch9wavefront6targetE1EEEvT1_.num_agpr, 0
	.set _ZN7rocprim17ROCPRIM_400000_NS6detail17trampoline_kernelINS0_14default_configENS1_35adjacent_difference_config_selectorILb1EyEEZNS1_24adjacent_difference_implIS3_Lb1ELb0EPyS7_N6thrust23THRUST_200600_302600_NS5minusIyEEEE10hipError_tPvRmT2_T3_mT4_P12ihipStream_tbEUlT_E_NS1_11comp_targetILNS1_3genE2ELNS1_11target_archE906ELNS1_3gpuE6ELNS1_3repE0EEENS1_30default_config_static_selectorELNS0_4arch9wavefront6targetE1EEEvT1_.numbered_sgpr, 29
	.set _ZN7rocprim17ROCPRIM_400000_NS6detail17trampoline_kernelINS0_14default_configENS1_35adjacent_difference_config_selectorILb1EyEEZNS1_24adjacent_difference_implIS3_Lb1ELb0EPyS7_N6thrust23THRUST_200600_302600_NS5minusIyEEEE10hipError_tPvRmT2_T3_mT4_P12ihipStream_tbEUlT_E_NS1_11comp_targetILNS1_3genE2ELNS1_11target_archE906ELNS1_3gpuE6ELNS1_3repE0EEENS1_30default_config_static_selectorELNS0_4arch9wavefront6targetE1EEEvT1_.num_named_barrier, 0
	.set _ZN7rocprim17ROCPRIM_400000_NS6detail17trampoline_kernelINS0_14default_configENS1_35adjacent_difference_config_selectorILb1EyEEZNS1_24adjacent_difference_implIS3_Lb1ELb0EPyS7_N6thrust23THRUST_200600_302600_NS5minusIyEEEE10hipError_tPvRmT2_T3_mT4_P12ihipStream_tbEUlT_E_NS1_11comp_targetILNS1_3genE2ELNS1_11target_archE906ELNS1_3gpuE6ELNS1_3repE0EEENS1_30default_config_static_selectorELNS0_4arch9wavefront6targetE1EEEvT1_.private_seg_size, 0
	.set _ZN7rocprim17ROCPRIM_400000_NS6detail17trampoline_kernelINS0_14default_configENS1_35adjacent_difference_config_selectorILb1EyEEZNS1_24adjacent_difference_implIS3_Lb1ELb0EPyS7_N6thrust23THRUST_200600_302600_NS5minusIyEEEE10hipError_tPvRmT2_T3_mT4_P12ihipStream_tbEUlT_E_NS1_11comp_targetILNS1_3genE2ELNS1_11target_archE906ELNS1_3gpuE6ELNS1_3repE0EEENS1_30default_config_static_selectorELNS0_4arch9wavefront6targetE1EEEvT1_.uses_vcc, 1
	.set _ZN7rocprim17ROCPRIM_400000_NS6detail17trampoline_kernelINS0_14default_configENS1_35adjacent_difference_config_selectorILb1EyEEZNS1_24adjacent_difference_implIS3_Lb1ELb0EPyS7_N6thrust23THRUST_200600_302600_NS5minusIyEEEE10hipError_tPvRmT2_T3_mT4_P12ihipStream_tbEUlT_E_NS1_11comp_targetILNS1_3genE2ELNS1_11target_archE906ELNS1_3gpuE6ELNS1_3repE0EEENS1_30default_config_static_selectorELNS0_4arch9wavefront6targetE1EEEvT1_.uses_flat_scratch, 0
	.set _ZN7rocprim17ROCPRIM_400000_NS6detail17trampoline_kernelINS0_14default_configENS1_35adjacent_difference_config_selectorILb1EyEEZNS1_24adjacent_difference_implIS3_Lb1ELb0EPyS7_N6thrust23THRUST_200600_302600_NS5minusIyEEEE10hipError_tPvRmT2_T3_mT4_P12ihipStream_tbEUlT_E_NS1_11comp_targetILNS1_3genE2ELNS1_11target_archE906ELNS1_3gpuE6ELNS1_3repE0EEENS1_30default_config_static_selectorELNS0_4arch9wavefront6targetE1EEEvT1_.has_dyn_sized_stack, 0
	.set _ZN7rocprim17ROCPRIM_400000_NS6detail17trampoline_kernelINS0_14default_configENS1_35adjacent_difference_config_selectorILb1EyEEZNS1_24adjacent_difference_implIS3_Lb1ELb0EPyS7_N6thrust23THRUST_200600_302600_NS5minusIyEEEE10hipError_tPvRmT2_T3_mT4_P12ihipStream_tbEUlT_E_NS1_11comp_targetILNS1_3genE2ELNS1_11target_archE906ELNS1_3gpuE6ELNS1_3repE0EEENS1_30default_config_static_selectorELNS0_4arch9wavefront6targetE1EEEvT1_.has_recursion, 0
	.set _ZN7rocprim17ROCPRIM_400000_NS6detail17trampoline_kernelINS0_14default_configENS1_35adjacent_difference_config_selectorILb1EyEEZNS1_24adjacent_difference_implIS3_Lb1ELb0EPyS7_N6thrust23THRUST_200600_302600_NS5minusIyEEEE10hipError_tPvRmT2_T3_mT4_P12ihipStream_tbEUlT_E_NS1_11comp_targetILNS1_3genE2ELNS1_11target_archE906ELNS1_3gpuE6ELNS1_3repE0EEENS1_30default_config_static_selectorELNS0_4arch9wavefront6targetE1EEEvT1_.has_indirect_call, 0
	.section	.AMDGPU.csdata,"",@progbits
; Kernel info:
; codeLenInByte = 2968
; TotalNumSgprs: 33
; NumVgprs: 48
; ScratchSize: 0
; MemoryBound: 0
; FloatMode: 240
; IeeeMode: 1
; LDSByteSize: 11264 bytes/workgroup (compile time only)
; SGPRBlocks: 12
; VGPRBlocks: 16
; NumSGPRsForWavesPerEU: 102
; NumVGPRsForWavesPerEU: 65
; Occupancy: 3
; WaveLimiterHint : 1
; COMPUTE_PGM_RSRC2:SCRATCH_EN: 0
; COMPUTE_PGM_RSRC2:USER_SGPR: 6
; COMPUTE_PGM_RSRC2:TRAP_HANDLER: 0
; COMPUTE_PGM_RSRC2:TGID_X_EN: 1
; COMPUTE_PGM_RSRC2:TGID_Y_EN: 0
; COMPUTE_PGM_RSRC2:TGID_Z_EN: 0
; COMPUTE_PGM_RSRC2:TIDIG_COMP_CNT: 0
	.section	.text._ZN7rocprim17ROCPRIM_400000_NS6detail17trampoline_kernelINS0_14default_configENS1_35adjacent_difference_config_selectorILb1EyEEZNS1_24adjacent_difference_implIS3_Lb1ELb0EPyS7_N6thrust23THRUST_200600_302600_NS5minusIyEEEE10hipError_tPvRmT2_T3_mT4_P12ihipStream_tbEUlT_E_NS1_11comp_targetILNS1_3genE9ELNS1_11target_archE1100ELNS1_3gpuE3ELNS1_3repE0EEENS1_30default_config_static_selectorELNS0_4arch9wavefront6targetE1EEEvT1_,"axG",@progbits,_ZN7rocprim17ROCPRIM_400000_NS6detail17trampoline_kernelINS0_14default_configENS1_35adjacent_difference_config_selectorILb1EyEEZNS1_24adjacent_difference_implIS3_Lb1ELb0EPyS7_N6thrust23THRUST_200600_302600_NS5minusIyEEEE10hipError_tPvRmT2_T3_mT4_P12ihipStream_tbEUlT_E_NS1_11comp_targetILNS1_3genE9ELNS1_11target_archE1100ELNS1_3gpuE3ELNS1_3repE0EEENS1_30default_config_static_selectorELNS0_4arch9wavefront6targetE1EEEvT1_,comdat
	.protected	_ZN7rocprim17ROCPRIM_400000_NS6detail17trampoline_kernelINS0_14default_configENS1_35adjacent_difference_config_selectorILb1EyEEZNS1_24adjacent_difference_implIS3_Lb1ELb0EPyS7_N6thrust23THRUST_200600_302600_NS5minusIyEEEE10hipError_tPvRmT2_T3_mT4_P12ihipStream_tbEUlT_E_NS1_11comp_targetILNS1_3genE9ELNS1_11target_archE1100ELNS1_3gpuE3ELNS1_3repE0EEENS1_30default_config_static_selectorELNS0_4arch9wavefront6targetE1EEEvT1_ ; -- Begin function _ZN7rocprim17ROCPRIM_400000_NS6detail17trampoline_kernelINS0_14default_configENS1_35adjacent_difference_config_selectorILb1EyEEZNS1_24adjacent_difference_implIS3_Lb1ELb0EPyS7_N6thrust23THRUST_200600_302600_NS5minusIyEEEE10hipError_tPvRmT2_T3_mT4_P12ihipStream_tbEUlT_E_NS1_11comp_targetILNS1_3genE9ELNS1_11target_archE1100ELNS1_3gpuE3ELNS1_3repE0EEENS1_30default_config_static_selectorELNS0_4arch9wavefront6targetE1EEEvT1_
	.globl	_ZN7rocprim17ROCPRIM_400000_NS6detail17trampoline_kernelINS0_14default_configENS1_35adjacent_difference_config_selectorILb1EyEEZNS1_24adjacent_difference_implIS3_Lb1ELb0EPyS7_N6thrust23THRUST_200600_302600_NS5minusIyEEEE10hipError_tPvRmT2_T3_mT4_P12ihipStream_tbEUlT_E_NS1_11comp_targetILNS1_3genE9ELNS1_11target_archE1100ELNS1_3gpuE3ELNS1_3repE0EEENS1_30default_config_static_selectorELNS0_4arch9wavefront6targetE1EEEvT1_
	.p2align	8
	.type	_ZN7rocprim17ROCPRIM_400000_NS6detail17trampoline_kernelINS0_14default_configENS1_35adjacent_difference_config_selectorILb1EyEEZNS1_24adjacent_difference_implIS3_Lb1ELb0EPyS7_N6thrust23THRUST_200600_302600_NS5minusIyEEEE10hipError_tPvRmT2_T3_mT4_P12ihipStream_tbEUlT_E_NS1_11comp_targetILNS1_3genE9ELNS1_11target_archE1100ELNS1_3gpuE3ELNS1_3repE0EEENS1_30default_config_static_selectorELNS0_4arch9wavefront6targetE1EEEvT1_,@function
_ZN7rocprim17ROCPRIM_400000_NS6detail17trampoline_kernelINS0_14default_configENS1_35adjacent_difference_config_selectorILb1EyEEZNS1_24adjacent_difference_implIS3_Lb1ELb0EPyS7_N6thrust23THRUST_200600_302600_NS5minusIyEEEE10hipError_tPvRmT2_T3_mT4_P12ihipStream_tbEUlT_E_NS1_11comp_targetILNS1_3genE9ELNS1_11target_archE1100ELNS1_3gpuE3ELNS1_3repE0EEENS1_30default_config_static_selectorELNS0_4arch9wavefront6targetE1EEEvT1_: ; @_ZN7rocprim17ROCPRIM_400000_NS6detail17trampoline_kernelINS0_14default_configENS1_35adjacent_difference_config_selectorILb1EyEEZNS1_24adjacent_difference_implIS3_Lb1ELb0EPyS7_N6thrust23THRUST_200600_302600_NS5minusIyEEEE10hipError_tPvRmT2_T3_mT4_P12ihipStream_tbEUlT_E_NS1_11comp_targetILNS1_3genE9ELNS1_11target_archE1100ELNS1_3gpuE3ELNS1_3repE0EEENS1_30default_config_static_selectorELNS0_4arch9wavefront6targetE1EEEvT1_
; %bb.0:
	.section	.rodata,"a",@progbits
	.p2align	6, 0x0
	.amdhsa_kernel _ZN7rocprim17ROCPRIM_400000_NS6detail17trampoline_kernelINS0_14default_configENS1_35adjacent_difference_config_selectorILb1EyEEZNS1_24adjacent_difference_implIS3_Lb1ELb0EPyS7_N6thrust23THRUST_200600_302600_NS5minusIyEEEE10hipError_tPvRmT2_T3_mT4_P12ihipStream_tbEUlT_E_NS1_11comp_targetILNS1_3genE9ELNS1_11target_archE1100ELNS1_3gpuE3ELNS1_3repE0EEENS1_30default_config_static_selectorELNS0_4arch9wavefront6targetE1EEEvT1_
		.amdhsa_group_segment_fixed_size 0
		.amdhsa_private_segment_fixed_size 0
		.amdhsa_kernarg_size 56
		.amdhsa_user_sgpr_count 6
		.amdhsa_user_sgpr_private_segment_buffer 1
		.amdhsa_user_sgpr_dispatch_ptr 0
		.amdhsa_user_sgpr_queue_ptr 0
		.amdhsa_user_sgpr_kernarg_segment_ptr 1
		.amdhsa_user_sgpr_dispatch_id 0
		.amdhsa_user_sgpr_flat_scratch_init 0
		.amdhsa_user_sgpr_private_segment_size 0
		.amdhsa_uses_dynamic_stack 0
		.amdhsa_system_sgpr_private_segment_wavefront_offset 0
		.amdhsa_system_sgpr_workgroup_id_x 1
		.amdhsa_system_sgpr_workgroup_id_y 0
		.amdhsa_system_sgpr_workgroup_id_z 0
		.amdhsa_system_sgpr_workgroup_info 0
		.amdhsa_system_vgpr_workitem_id 0
		.amdhsa_next_free_vgpr 1
		.amdhsa_next_free_sgpr 0
		.amdhsa_reserve_vcc 0
		.amdhsa_reserve_flat_scratch 0
		.amdhsa_float_round_mode_32 0
		.amdhsa_float_round_mode_16_64 0
		.amdhsa_float_denorm_mode_32 3
		.amdhsa_float_denorm_mode_16_64 3
		.amdhsa_dx10_clamp 1
		.amdhsa_ieee_mode 1
		.amdhsa_fp16_overflow 0
		.amdhsa_exception_fp_ieee_invalid_op 0
		.amdhsa_exception_fp_denorm_src 0
		.amdhsa_exception_fp_ieee_div_zero 0
		.amdhsa_exception_fp_ieee_overflow 0
		.amdhsa_exception_fp_ieee_underflow 0
		.amdhsa_exception_fp_ieee_inexact 0
		.amdhsa_exception_int_div_zero 0
	.end_amdhsa_kernel
	.section	.text._ZN7rocprim17ROCPRIM_400000_NS6detail17trampoline_kernelINS0_14default_configENS1_35adjacent_difference_config_selectorILb1EyEEZNS1_24adjacent_difference_implIS3_Lb1ELb0EPyS7_N6thrust23THRUST_200600_302600_NS5minusIyEEEE10hipError_tPvRmT2_T3_mT4_P12ihipStream_tbEUlT_E_NS1_11comp_targetILNS1_3genE9ELNS1_11target_archE1100ELNS1_3gpuE3ELNS1_3repE0EEENS1_30default_config_static_selectorELNS0_4arch9wavefront6targetE1EEEvT1_,"axG",@progbits,_ZN7rocprim17ROCPRIM_400000_NS6detail17trampoline_kernelINS0_14default_configENS1_35adjacent_difference_config_selectorILb1EyEEZNS1_24adjacent_difference_implIS3_Lb1ELb0EPyS7_N6thrust23THRUST_200600_302600_NS5minusIyEEEE10hipError_tPvRmT2_T3_mT4_P12ihipStream_tbEUlT_E_NS1_11comp_targetILNS1_3genE9ELNS1_11target_archE1100ELNS1_3gpuE3ELNS1_3repE0EEENS1_30default_config_static_selectorELNS0_4arch9wavefront6targetE1EEEvT1_,comdat
.Lfunc_end127:
	.size	_ZN7rocprim17ROCPRIM_400000_NS6detail17trampoline_kernelINS0_14default_configENS1_35adjacent_difference_config_selectorILb1EyEEZNS1_24adjacent_difference_implIS3_Lb1ELb0EPyS7_N6thrust23THRUST_200600_302600_NS5minusIyEEEE10hipError_tPvRmT2_T3_mT4_P12ihipStream_tbEUlT_E_NS1_11comp_targetILNS1_3genE9ELNS1_11target_archE1100ELNS1_3gpuE3ELNS1_3repE0EEENS1_30default_config_static_selectorELNS0_4arch9wavefront6targetE1EEEvT1_, .Lfunc_end127-_ZN7rocprim17ROCPRIM_400000_NS6detail17trampoline_kernelINS0_14default_configENS1_35adjacent_difference_config_selectorILb1EyEEZNS1_24adjacent_difference_implIS3_Lb1ELb0EPyS7_N6thrust23THRUST_200600_302600_NS5minusIyEEEE10hipError_tPvRmT2_T3_mT4_P12ihipStream_tbEUlT_E_NS1_11comp_targetILNS1_3genE9ELNS1_11target_archE1100ELNS1_3gpuE3ELNS1_3repE0EEENS1_30default_config_static_selectorELNS0_4arch9wavefront6targetE1EEEvT1_
                                        ; -- End function
	.set _ZN7rocprim17ROCPRIM_400000_NS6detail17trampoline_kernelINS0_14default_configENS1_35adjacent_difference_config_selectorILb1EyEEZNS1_24adjacent_difference_implIS3_Lb1ELb0EPyS7_N6thrust23THRUST_200600_302600_NS5minusIyEEEE10hipError_tPvRmT2_T3_mT4_P12ihipStream_tbEUlT_E_NS1_11comp_targetILNS1_3genE9ELNS1_11target_archE1100ELNS1_3gpuE3ELNS1_3repE0EEENS1_30default_config_static_selectorELNS0_4arch9wavefront6targetE1EEEvT1_.num_vgpr, 0
	.set _ZN7rocprim17ROCPRIM_400000_NS6detail17trampoline_kernelINS0_14default_configENS1_35adjacent_difference_config_selectorILb1EyEEZNS1_24adjacent_difference_implIS3_Lb1ELb0EPyS7_N6thrust23THRUST_200600_302600_NS5minusIyEEEE10hipError_tPvRmT2_T3_mT4_P12ihipStream_tbEUlT_E_NS1_11comp_targetILNS1_3genE9ELNS1_11target_archE1100ELNS1_3gpuE3ELNS1_3repE0EEENS1_30default_config_static_selectorELNS0_4arch9wavefront6targetE1EEEvT1_.num_agpr, 0
	.set _ZN7rocprim17ROCPRIM_400000_NS6detail17trampoline_kernelINS0_14default_configENS1_35adjacent_difference_config_selectorILb1EyEEZNS1_24adjacent_difference_implIS3_Lb1ELb0EPyS7_N6thrust23THRUST_200600_302600_NS5minusIyEEEE10hipError_tPvRmT2_T3_mT4_P12ihipStream_tbEUlT_E_NS1_11comp_targetILNS1_3genE9ELNS1_11target_archE1100ELNS1_3gpuE3ELNS1_3repE0EEENS1_30default_config_static_selectorELNS0_4arch9wavefront6targetE1EEEvT1_.numbered_sgpr, 0
	.set _ZN7rocprim17ROCPRIM_400000_NS6detail17trampoline_kernelINS0_14default_configENS1_35adjacent_difference_config_selectorILb1EyEEZNS1_24adjacent_difference_implIS3_Lb1ELb0EPyS7_N6thrust23THRUST_200600_302600_NS5minusIyEEEE10hipError_tPvRmT2_T3_mT4_P12ihipStream_tbEUlT_E_NS1_11comp_targetILNS1_3genE9ELNS1_11target_archE1100ELNS1_3gpuE3ELNS1_3repE0EEENS1_30default_config_static_selectorELNS0_4arch9wavefront6targetE1EEEvT1_.num_named_barrier, 0
	.set _ZN7rocprim17ROCPRIM_400000_NS6detail17trampoline_kernelINS0_14default_configENS1_35adjacent_difference_config_selectorILb1EyEEZNS1_24adjacent_difference_implIS3_Lb1ELb0EPyS7_N6thrust23THRUST_200600_302600_NS5minusIyEEEE10hipError_tPvRmT2_T3_mT4_P12ihipStream_tbEUlT_E_NS1_11comp_targetILNS1_3genE9ELNS1_11target_archE1100ELNS1_3gpuE3ELNS1_3repE0EEENS1_30default_config_static_selectorELNS0_4arch9wavefront6targetE1EEEvT1_.private_seg_size, 0
	.set _ZN7rocprim17ROCPRIM_400000_NS6detail17trampoline_kernelINS0_14default_configENS1_35adjacent_difference_config_selectorILb1EyEEZNS1_24adjacent_difference_implIS3_Lb1ELb0EPyS7_N6thrust23THRUST_200600_302600_NS5minusIyEEEE10hipError_tPvRmT2_T3_mT4_P12ihipStream_tbEUlT_E_NS1_11comp_targetILNS1_3genE9ELNS1_11target_archE1100ELNS1_3gpuE3ELNS1_3repE0EEENS1_30default_config_static_selectorELNS0_4arch9wavefront6targetE1EEEvT1_.uses_vcc, 0
	.set _ZN7rocprim17ROCPRIM_400000_NS6detail17trampoline_kernelINS0_14default_configENS1_35adjacent_difference_config_selectorILb1EyEEZNS1_24adjacent_difference_implIS3_Lb1ELb0EPyS7_N6thrust23THRUST_200600_302600_NS5minusIyEEEE10hipError_tPvRmT2_T3_mT4_P12ihipStream_tbEUlT_E_NS1_11comp_targetILNS1_3genE9ELNS1_11target_archE1100ELNS1_3gpuE3ELNS1_3repE0EEENS1_30default_config_static_selectorELNS0_4arch9wavefront6targetE1EEEvT1_.uses_flat_scratch, 0
	.set _ZN7rocprim17ROCPRIM_400000_NS6detail17trampoline_kernelINS0_14default_configENS1_35adjacent_difference_config_selectorILb1EyEEZNS1_24adjacent_difference_implIS3_Lb1ELb0EPyS7_N6thrust23THRUST_200600_302600_NS5minusIyEEEE10hipError_tPvRmT2_T3_mT4_P12ihipStream_tbEUlT_E_NS1_11comp_targetILNS1_3genE9ELNS1_11target_archE1100ELNS1_3gpuE3ELNS1_3repE0EEENS1_30default_config_static_selectorELNS0_4arch9wavefront6targetE1EEEvT1_.has_dyn_sized_stack, 0
	.set _ZN7rocprim17ROCPRIM_400000_NS6detail17trampoline_kernelINS0_14default_configENS1_35adjacent_difference_config_selectorILb1EyEEZNS1_24adjacent_difference_implIS3_Lb1ELb0EPyS7_N6thrust23THRUST_200600_302600_NS5minusIyEEEE10hipError_tPvRmT2_T3_mT4_P12ihipStream_tbEUlT_E_NS1_11comp_targetILNS1_3genE9ELNS1_11target_archE1100ELNS1_3gpuE3ELNS1_3repE0EEENS1_30default_config_static_selectorELNS0_4arch9wavefront6targetE1EEEvT1_.has_recursion, 0
	.set _ZN7rocprim17ROCPRIM_400000_NS6detail17trampoline_kernelINS0_14default_configENS1_35adjacent_difference_config_selectorILb1EyEEZNS1_24adjacent_difference_implIS3_Lb1ELb0EPyS7_N6thrust23THRUST_200600_302600_NS5minusIyEEEE10hipError_tPvRmT2_T3_mT4_P12ihipStream_tbEUlT_E_NS1_11comp_targetILNS1_3genE9ELNS1_11target_archE1100ELNS1_3gpuE3ELNS1_3repE0EEENS1_30default_config_static_selectorELNS0_4arch9wavefront6targetE1EEEvT1_.has_indirect_call, 0
	.section	.AMDGPU.csdata,"",@progbits
; Kernel info:
; codeLenInByte = 0
; TotalNumSgprs: 4
; NumVgprs: 0
; ScratchSize: 0
; MemoryBound: 0
; FloatMode: 240
; IeeeMode: 1
; LDSByteSize: 0 bytes/workgroup (compile time only)
; SGPRBlocks: 0
; VGPRBlocks: 0
; NumSGPRsForWavesPerEU: 4
; NumVGPRsForWavesPerEU: 1
; Occupancy: 10
; WaveLimiterHint : 0
; COMPUTE_PGM_RSRC2:SCRATCH_EN: 0
; COMPUTE_PGM_RSRC2:USER_SGPR: 6
; COMPUTE_PGM_RSRC2:TRAP_HANDLER: 0
; COMPUTE_PGM_RSRC2:TGID_X_EN: 1
; COMPUTE_PGM_RSRC2:TGID_Y_EN: 0
; COMPUTE_PGM_RSRC2:TGID_Z_EN: 0
; COMPUTE_PGM_RSRC2:TIDIG_COMP_CNT: 0
	.section	.text._ZN7rocprim17ROCPRIM_400000_NS6detail17trampoline_kernelINS0_14default_configENS1_35adjacent_difference_config_selectorILb1EyEEZNS1_24adjacent_difference_implIS3_Lb1ELb0EPyS7_N6thrust23THRUST_200600_302600_NS5minusIyEEEE10hipError_tPvRmT2_T3_mT4_P12ihipStream_tbEUlT_E_NS1_11comp_targetILNS1_3genE8ELNS1_11target_archE1030ELNS1_3gpuE2ELNS1_3repE0EEENS1_30default_config_static_selectorELNS0_4arch9wavefront6targetE1EEEvT1_,"axG",@progbits,_ZN7rocprim17ROCPRIM_400000_NS6detail17trampoline_kernelINS0_14default_configENS1_35adjacent_difference_config_selectorILb1EyEEZNS1_24adjacent_difference_implIS3_Lb1ELb0EPyS7_N6thrust23THRUST_200600_302600_NS5minusIyEEEE10hipError_tPvRmT2_T3_mT4_P12ihipStream_tbEUlT_E_NS1_11comp_targetILNS1_3genE8ELNS1_11target_archE1030ELNS1_3gpuE2ELNS1_3repE0EEENS1_30default_config_static_selectorELNS0_4arch9wavefront6targetE1EEEvT1_,comdat
	.protected	_ZN7rocprim17ROCPRIM_400000_NS6detail17trampoline_kernelINS0_14default_configENS1_35adjacent_difference_config_selectorILb1EyEEZNS1_24adjacent_difference_implIS3_Lb1ELb0EPyS7_N6thrust23THRUST_200600_302600_NS5minusIyEEEE10hipError_tPvRmT2_T3_mT4_P12ihipStream_tbEUlT_E_NS1_11comp_targetILNS1_3genE8ELNS1_11target_archE1030ELNS1_3gpuE2ELNS1_3repE0EEENS1_30default_config_static_selectorELNS0_4arch9wavefront6targetE1EEEvT1_ ; -- Begin function _ZN7rocprim17ROCPRIM_400000_NS6detail17trampoline_kernelINS0_14default_configENS1_35adjacent_difference_config_selectorILb1EyEEZNS1_24adjacent_difference_implIS3_Lb1ELb0EPyS7_N6thrust23THRUST_200600_302600_NS5minusIyEEEE10hipError_tPvRmT2_T3_mT4_P12ihipStream_tbEUlT_E_NS1_11comp_targetILNS1_3genE8ELNS1_11target_archE1030ELNS1_3gpuE2ELNS1_3repE0EEENS1_30default_config_static_selectorELNS0_4arch9wavefront6targetE1EEEvT1_
	.globl	_ZN7rocprim17ROCPRIM_400000_NS6detail17trampoline_kernelINS0_14default_configENS1_35adjacent_difference_config_selectorILb1EyEEZNS1_24adjacent_difference_implIS3_Lb1ELb0EPyS7_N6thrust23THRUST_200600_302600_NS5minusIyEEEE10hipError_tPvRmT2_T3_mT4_P12ihipStream_tbEUlT_E_NS1_11comp_targetILNS1_3genE8ELNS1_11target_archE1030ELNS1_3gpuE2ELNS1_3repE0EEENS1_30default_config_static_selectorELNS0_4arch9wavefront6targetE1EEEvT1_
	.p2align	8
	.type	_ZN7rocprim17ROCPRIM_400000_NS6detail17trampoline_kernelINS0_14default_configENS1_35adjacent_difference_config_selectorILb1EyEEZNS1_24adjacent_difference_implIS3_Lb1ELb0EPyS7_N6thrust23THRUST_200600_302600_NS5minusIyEEEE10hipError_tPvRmT2_T3_mT4_P12ihipStream_tbEUlT_E_NS1_11comp_targetILNS1_3genE8ELNS1_11target_archE1030ELNS1_3gpuE2ELNS1_3repE0EEENS1_30default_config_static_selectorELNS0_4arch9wavefront6targetE1EEEvT1_,@function
_ZN7rocprim17ROCPRIM_400000_NS6detail17trampoline_kernelINS0_14default_configENS1_35adjacent_difference_config_selectorILb1EyEEZNS1_24adjacent_difference_implIS3_Lb1ELb0EPyS7_N6thrust23THRUST_200600_302600_NS5minusIyEEEE10hipError_tPvRmT2_T3_mT4_P12ihipStream_tbEUlT_E_NS1_11comp_targetILNS1_3genE8ELNS1_11target_archE1030ELNS1_3gpuE2ELNS1_3repE0EEENS1_30default_config_static_selectorELNS0_4arch9wavefront6targetE1EEEvT1_: ; @_ZN7rocprim17ROCPRIM_400000_NS6detail17trampoline_kernelINS0_14default_configENS1_35adjacent_difference_config_selectorILb1EyEEZNS1_24adjacent_difference_implIS3_Lb1ELb0EPyS7_N6thrust23THRUST_200600_302600_NS5minusIyEEEE10hipError_tPvRmT2_T3_mT4_P12ihipStream_tbEUlT_E_NS1_11comp_targetILNS1_3genE8ELNS1_11target_archE1030ELNS1_3gpuE2ELNS1_3repE0EEENS1_30default_config_static_selectorELNS0_4arch9wavefront6targetE1EEEvT1_
; %bb.0:
	.section	.rodata,"a",@progbits
	.p2align	6, 0x0
	.amdhsa_kernel _ZN7rocprim17ROCPRIM_400000_NS6detail17trampoline_kernelINS0_14default_configENS1_35adjacent_difference_config_selectorILb1EyEEZNS1_24adjacent_difference_implIS3_Lb1ELb0EPyS7_N6thrust23THRUST_200600_302600_NS5minusIyEEEE10hipError_tPvRmT2_T3_mT4_P12ihipStream_tbEUlT_E_NS1_11comp_targetILNS1_3genE8ELNS1_11target_archE1030ELNS1_3gpuE2ELNS1_3repE0EEENS1_30default_config_static_selectorELNS0_4arch9wavefront6targetE1EEEvT1_
		.amdhsa_group_segment_fixed_size 0
		.amdhsa_private_segment_fixed_size 0
		.amdhsa_kernarg_size 56
		.amdhsa_user_sgpr_count 6
		.amdhsa_user_sgpr_private_segment_buffer 1
		.amdhsa_user_sgpr_dispatch_ptr 0
		.amdhsa_user_sgpr_queue_ptr 0
		.amdhsa_user_sgpr_kernarg_segment_ptr 1
		.amdhsa_user_sgpr_dispatch_id 0
		.amdhsa_user_sgpr_flat_scratch_init 0
		.amdhsa_user_sgpr_private_segment_size 0
		.amdhsa_uses_dynamic_stack 0
		.amdhsa_system_sgpr_private_segment_wavefront_offset 0
		.amdhsa_system_sgpr_workgroup_id_x 1
		.amdhsa_system_sgpr_workgroup_id_y 0
		.amdhsa_system_sgpr_workgroup_id_z 0
		.amdhsa_system_sgpr_workgroup_info 0
		.amdhsa_system_vgpr_workitem_id 0
		.amdhsa_next_free_vgpr 1
		.amdhsa_next_free_sgpr 0
		.amdhsa_reserve_vcc 0
		.amdhsa_reserve_flat_scratch 0
		.amdhsa_float_round_mode_32 0
		.amdhsa_float_round_mode_16_64 0
		.amdhsa_float_denorm_mode_32 3
		.amdhsa_float_denorm_mode_16_64 3
		.amdhsa_dx10_clamp 1
		.amdhsa_ieee_mode 1
		.amdhsa_fp16_overflow 0
		.amdhsa_exception_fp_ieee_invalid_op 0
		.amdhsa_exception_fp_denorm_src 0
		.amdhsa_exception_fp_ieee_div_zero 0
		.amdhsa_exception_fp_ieee_overflow 0
		.amdhsa_exception_fp_ieee_underflow 0
		.amdhsa_exception_fp_ieee_inexact 0
		.amdhsa_exception_int_div_zero 0
	.end_amdhsa_kernel
	.section	.text._ZN7rocprim17ROCPRIM_400000_NS6detail17trampoline_kernelINS0_14default_configENS1_35adjacent_difference_config_selectorILb1EyEEZNS1_24adjacent_difference_implIS3_Lb1ELb0EPyS7_N6thrust23THRUST_200600_302600_NS5minusIyEEEE10hipError_tPvRmT2_T3_mT4_P12ihipStream_tbEUlT_E_NS1_11comp_targetILNS1_3genE8ELNS1_11target_archE1030ELNS1_3gpuE2ELNS1_3repE0EEENS1_30default_config_static_selectorELNS0_4arch9wavefront6targetE1EEEvT1_,"axG",@progbits,_ZN7rocprim17ROCPRIM_400000_NS6detail17trampoline_kernelINS0_14default_configENS1_35adjacent_difference_config_selectorILb1EyEEZNS1_24adjacent_difference_implIS3_Lb1ELb0EPyS7_N6thrust23THRUST_200600_302600_NS5minusIyEEEE10hipError_tPvRmT2_T3_mT4_P12ihipStream_tbEUlT_E_NS1_11comp_targetILNS1_3genE8ELNS1_11target_archE1030ELNS1_3gpuE2ELNS1_3repE0EEENS1_30default_config_static_selectorELNS0_4arch9wavefront6targetE1EEEvT1_,comdat
.Lfunc_end128:
	.size	_ZN7rocprim17ROCPRIM_400000_NS6detail17trampoline_kernelINS0_14default_configENS1_35adjacent_difference_config_selectorILb1EyEEZNS1_24adjacent_difference_implIS3_Lb1ELb0EPyS7_N6thrust23THRUST_200600_302600_NS5minusIyEEEE10hipError_tPvRmT2_T3_mT4_P12ihipStream_tbEUlT_E_NS1_11comp_targetILNS1_3genE8ELNS1_11target_archE1030ELNS1_3gpuE2ELNS1_3repE0EEENS1_30default_config_static_selectorELNS0_4arch9wavefront6targetE1EEEvT1_, .Lfunc_end128-_ZN7rocprim17ROCPRIM_400000_NS6detail17trampoline_kernelINS0_14default_configENS1_35adjacent_difference_config_selectorILb1EyEEZNS1_24adjacent_difference_implIS3_Lb1ELb0EPyS7_N6thrust23THRUST_200600_302600_NS5minusIyEEEE10hipError_tPvRmT2_T3_mT4_P12ihipStream_tbEUlT_E_NS1_11comp_targetILNS1_3genE8ELNS1_11target_archE1030ELNS1_3gpuE2ELNS1_3repE0EEENS1_30default_config_static_selectorELNS0_4arch9wavefront6targetE1EEEvT1_
                                        ; -- End function
	.set _ZN7rocprim17ROCPRIM_400000_NS6detail17trampoline_kernelINS0_14default_configENS1_35adjacent_difference_config_selectorILb1EyEEZNS1_24adjacent_difference_implIS3_Lb1ELb0EPyS7_N6thrust23THRUST_200600_302600_NS5minusIyEEEE10hipError_tPvRmT2_T3_mT4_P12ihipStream_tbEUlT_E_NS1_11comp_targetILNS1_3genE8ELNS1_11target_archE1030ELNS1_3gpuE2ELNS1_3repE0EEENS1_30default_config_static_selectorELNS0_4arch9wavefront6targetE1EEEvT1_.num_vgpr, 0
	.set _ZN7rocprim17ROCPRIM_400000_NS6detail17trampoline_kernelINS0_14default_configENS1_35adjacent_difference_config_selectorILb1EyEEZNS1_24adjacent_difference_implIS3_Lb1ELb0EPyS7_N6thrust23THRUST_200600_302600_NS5minusIyEEEE10hipError_tPvRmT2_T3_mT4_P12ihipStream_tbEUlT_E_NS1_11comp_targetILNS1_3genE8ELNS1_11target_archE1030ELNS1_3gpuE2ELNS1_3repE0EEENS1_30default_config_static_selectorELNS0_4arch9wavefront6targetE1EEEvT1_.num_agpr, 0
	.set _ZN7rocprim17ROCPRIM_400000_NS6detail17trampoline_kernelINS0_14default_configENS1_35adjacent_difference_config_selectorILb1EyEEZNS1_24adjacent_difference_implIS3_Lb1ELb0EPyS7_N6thrust23THRUST_200600_302600_NS5minusIyEEEE10hipError_tPvRmT2_T3_mT4_P12ihipStream_tbEUlT_E_NS1_11comp_targetILNS1_3genE8ELNS1_11target_archE1030ELNS1_3gpuE2ELNS1_3repE0EEENS1_30default_config_static_selectorELNS0_4arch9wavefront6targetE1EEEvT1_.numbered_sgpr, 0
	.set _ZN7rocprim17ROCPRIM_400000_NS6detail17trampoline_kernelINS0_14default_configENS1_35adjacent_difference_config_selectorILb1EyEEZNS1_24adjacent_difference_implIS3_Lb1ELb0EPyS7_N6thrust23THRUST_200600_302600_NS5minusIyEEEE10hipError_tPvRmT2_T3_mT4_P12ihipStream_tbEUlT_E_NS1_11comp_targetILNS1_3genE8ELNS1_11target_archE1030ELNS1_3gpuE2ELNS1_3repE0EEENS1_30default_config_static_selectorELNS0_4arch9wavefront6targetE1EEEvT1_.num_named_barrier, 0
	.set _ZN7rocprim17ROCPRIM_400000_NS6detail17trampoline_kernelINS0_14default_configENS1_35adjacent_difference_config_selectorILb1EyEEZNS1_24adjacent_difference_implIS3_Lb1ELb0EPyS7_N6thrust23THRUST_200600_302600_NS5minusIyEEEE10hipError_tPvRmT2_T3_mT4_P12ihipStream_tbEUlT_E_NS1_11comp_targetILNS1_3genE8ELNS1_11target_archE1030ELNS1_3gpuE2ELNS1_3repE0EEENS1_30default_config_static_selectorELNS0_4arch9wavefront6targetE1EEEvT1_.private_seg_size, 0
	.set _ZN7rocprim17ROCPRIM_400000_NS6detail17trampoline_kernelINS0_14default_configENS1_35adjacent_difference_config_selectorILb1EyEEZNS1_24adjacent_difference_implIS3_Lb1ELb0EPyS7_N6thrust23THRUST_200600_302600_NS5minusIyEEEE10hipError_tPvRmT2_T3_mT4_P12ihipStream_tbEUlT_E_NS1_11comp_targetILNS1_3genE8ELNS1_11target_archE1030ELNS1_3gpuE2ELNS1_3repE0EEENS1_30default_config_static_selectorELNS0_4arch9wavefront6targetE1EEEvT1_.uses_vcc, 0
	.set _ZN7rocprim17ROCPRIM_400000_NS6detail17trampoline_kernelINS0_14default_configENS1_35adjacent_difference_config_selectorILb1EyEEZNS1_24adjacent_difference_implIS3_Lb1ELb0EPyS7_N6thrust23THRUST_200600_302600_NS5minusIyEEEE10hipError_tPvRmT2_T3_mT4_P12ihipStream_tbEUlT_E_NS1_11comp_targetILNS1_3genE8ELNS1_11target_archE1030ELNS1_3gpuE2ELNS1_3repE0EEENS1_30default_config_static_selectorELNS0_4arch9wavefront6targetE1EEEvT1_.uses_flat_scratch, 0
	.set _ZN7rocprim17ROCPRIM_400000_NS6detail17trampoline_kernelINS0_14default_configENS1_35adjacent_difference_config_selectorILb1EyEEZNS1_24adjacent_difference_implIS3_Lb1ELb0EPyS7_N6thrust23THRUST_200600_302600_NS5minusIyEEEE10hipError_tPvRmT2_T3_mT4_P12ihipStream_tbEUlT_E_NS1_11comp_targetILNS1_3genE8ELNS1_11target_archE1030ELNS1_3gpuE2ELNS1_3repE0EEENS1_30default_config_static_selectorELNS0_4arch9wavefront6targetE1EEEvT1_.has_dyn_sized_stack, 0
	.set _ZN7rocprim17ROCPRIM_400000_NS6detail17trampoline_kernelINS0_14default_configENS1_35adjacent_difference_config_selectorILb1EyEEZNS1_24adjacent_difference_implIS3_Lb1ELb0EPyS7_N6thrust23THRUST_200600_302600_NS5minusIyEEEE10hipError_tPvRmT2_T3_mT4_P12ihipStream_tbEUlT_E_NS1_11comp_targetILNS1_3genE8ELNS1_11target_archE1030ELNS1_3gpuE2ELNS1_3repE0EEENS1_30default_config_static_selectorELNS0_4arch9wavefront6targetE1EEEvT1_.has_recursion, 0
	.set _ZN7rocprim17ROCPRIM_400000_NS6detail17trampoline_kernelINS0_14default_configENS1_35adjacent_difference_config_selectorILb1EyEEZNS1_24adjacent_difference_implIS3_Lb1ELb0EPyS7_N6thrust23THRUST_200600_302600_NS5minusIyEEEE10hipError_tPvRmT2_T3_mT4_P12ihipStream_tbEUlT_E_NS1_11comp_targetILNS1_3genE8ELNS1_11target_archE1030ELNS1_3gpuE2ELNS1_3repE0EEENS1_30default_config_static_selectorELNS0_4arch9wavefront6targetE1EEEvT1_.has_indirect_call, 0
	.section	.AMDGPU.csdata,"",@progbits
; Kernel info:
; codeLenInByte = 0
; TotalNumSgprs: 4
; NumVgprs: 0
; ScratchSize: 0
; MemoryBound: 0
; FloatMode: 240
; IeeeMode: 1
; LDSByteSize: 0 bytes/workgroup (compile time only)
; SGPRBlocks: 0
; VGPRBlocks: 0
; NumSGPRsForWavesPerEU: 4
; NumVGPRsForWavesPerEU: 1
; Occupancy: 10
; WaveLimiterHint : 0
; COMPUTE_PGM_RSRC2:SCRATCH_EN: 0
; COMPUTE_PGM_RSRC2:USER_SGPR: 6
; COMPUTE_PGM_RSRC2:TRAP_HANDLER: 0
; COMPUTE_PGM_RSRC2:TGID_X_EN: 1
; COMPUTE_PGM_RSRC2:TGID_Y_EN: 0
; COMPUTE_PGM_RSRC2:TGID_Z_EN: 0
; COMPUTE_PGM_RSRC2:TIDIG_COMP_CNT: 0
	.section	.text._ZN7rocprim17ROCPRIM_400000_NS6detail17trampoline_kernelINS0_14default_configENS1_35adjacent_difference_config_selectorILb0EyEEZNS1_24adjacent_difference_implIS3_Lb0ELb0EPyS7_N6thrust23THRUST_200600_302600_NS4plusIyEEEE10hipError_tPvRmT2_T3_mT4_P12ihipStream_tbEUlT_E_NS1_11comp_targetILNS1_3genE0ELNS1_11target_archE4294967295ELNS1_3gpuE0ELNS1_3repE0EEENS1_30default_config_static_selectorELNS0_4arch9wavefront6targetE1EEEvT1_,"axG",@progbits,_ZN7rocprim17ROCPRIM_400000_NS6detail17trampoline_kernelINS0_14default_configENS1_35adjacent_difference_config_selectorILb0EyEEZNS1_24adjacent_difference_implIS3_Lb0ELb0EPyS7_N6thrust23THRUST_200600_302600_NS4plusIyEEEE10hipError_tPvRmT2_T3_mT4_P12ihipStream_tbEUlT_E_NS1_11comp_targetILNS1_3genE0ELNS1_11target_archE4294967295ELNS1_3gpuE0ELNS1_3repE0EEENS1_30default_config_static_selectorELNS0_4arch9wavefront6targetE1EEEvT1_,comdat
	.protected	_ZN7rocprim17ROCPRIM_400000_NS6detail17trampoline_kernelINS0_14default_configENS1_35adjacent_difference_config_selectorILb0EyEEZNS1_24adjacent_difference_implIS3_Lb0ELb0EPyS7_N6thrust23THRUST_200600_302600_NS4plusIyEEEE10hipError_tPvRmT2_T3_mT4_P12ihipStream_tbEUlT_E_NS1_11comp_targetILNS1_3genE0ELNS1_11target_archE4294967295ELNS1_3gpuE0ELNS1_3repE0EEENS1_30default_config_static_selectorELNS0_4arch9wavefront6targetE1EEEvT1_ ; -- Begin function _ZN7rocprim17ROCPRIM_400000_NS6detail17trampoline_kernelINS0_14default_configENS1_35adjacent_difference_config_selectorILb0EyEEZNS1_24adjacent_difference_implIS3_Lb0ELb0EPyS7_N6thrust23THRUST_200600_302600_NS4plusIyEEEE10hipError_tPvRmT2_T3_mT4_P12ihipStream_tbEUlT_E_NS1_11comp_targetILNS1_3genE0ELNS1_11target_archE4294967295ELNS1_3gpuE0ELNS1_3repE0EEENS1_30default_config_static_selectorELNS0_4arch9wavefront6targetE1EEEvT1_
	.globl	_ZN7rocprim17ROCPRIM_400000_NS6detail17trampoline_kernelINS0_14default_configENS1_35adjacent_difference_config_selectorILb0EyEEZNS1_24adjacent_difference_implIS3_Lb0ELb0EPyS7_N6thrust23THRUST_200600_302600_NS4plusIyEEEE10hipError_tPvRmT2_T3_mT4_P12ihipStream_tbEUlT_E_NS1_11comp_targetILNS1_3genE0ELNS1_11target_archE4294967295ELNS1_3gpuE0ELNS1_3repE0EEENS1_30default_config_static_selectorELNS0_4arch9wavefront6targetE1EEEvT1_
	.p2align	8
	.type	_ZN7rocprim17ROCPRIM_400000_NS6detail17trampoline_kernelINS0_14default_configENS1_35adjacent_difference_config_selectorILb0EyEEZNS1_24adjacent_difference_implIS3_Lb0ELb0EPyS7_N6thrust23THRUST_200600_302600_NS4plusIyEEEE10hipError_tPvRmT2_T3_mT4_P12ihipStream_tbEUlT_E_NS1_11comp_targetILNS1_3genE0ELNS1_11target_archE4294967295ELNS1_3gpuE0ELNS1_3repE0EEENS1_30default_config_static_selectorELNS0_4arch9wavefront6targetE1EEEvT1_,@function
_ZN7rocprim17ROCPRIM_400000_NS6detail17trampoline_kernelINS0_14default_configENS1_35adjacent_difference_config_selectorILb0EyEEZNS1_24adjacent_difference_implIS3_Lb0ELb0EPyS7_N6thrust23THRUST_200600_302600_NS4plusIyEEEE10hipError_tPvRmT2_T3_mT4_P12ihipStream_tbEUlT_E_NS1_11comp_targetILNS1_3genE0ELNS1_11target_archE4294967295ELNS1_3gpuE0ELNS1_3repE0EEENS1_30default_config_static_selectorELNS0_4arch9wavefront6targetE1EEEvT1_: ; @_ZN7rocprim17ROCPRIM_400000_NS6detail17trampoline_kernelINS0_14default_configENS1_35adjacent_difference_config_selectorILb0EyEEZNS1_24adjacent_difference_implIS3_Lb0ELb0EPyS7_N6thrust23THRUST_200600_302600_NS4plusIyEEEE10hipError_tPvRmT2_T3_mT4_P12ihipStream_tbEUlT_E_NS1_11comp_targetILNS1_3genE0ELNS1_11target_archE4294967295ELNS1_3gpuE0ELNS1_3repE0EEENS1_30default_config_static_selectorELNS0_4arch9wavefront6targetE1EEEvT1_
; %bb.0:
	.section	.rodata,"a",@progbits
	.p2align	6, 0x0
	.amdhsa_kernel _ZN7rocprim17ROCPRIM_400000_NS6detail17trampoline_kernelINS0_14default_configENS1_35adjacent_difference_config_selectorILb0EyEEZNS1_24adjacent_difference_implIS3_Lb0ELb0EPyS7_N6thrust23THRUST_200600_302600_NS4plusIyEEEE10hipError_tPvRmT2_T3_mT4_P12ihipStream_tbEUlT_E_NS1_11comp_targetILNS1_3genE0ELNS1_11target_archE4294967295ELNS1_3gpuE0ELNS1_3repE0EEENS1_30default_config_static_selectorELNS0_4arch9wavefront6targetE1EEEvT1_
		.amdhsa_group_segment_fixed_size 0
		.amdhsa_private_segment_fixed_size 0
		.amdhsa_kernarg_size 56
		.amdhsa_user_sgpr_count 6
		.amdhsa_user_sgpr_private_segment_buffer 1
		.amdhsa_user_sgpr_dispatch_ptr 0
		.amdhsa_user_sgpr_queue_ptr 0
		.amdhsa_user_sgpr_kernarg_segment_ptr 1
		.amdhsa_user_sgpr_dispatch_id 0
		.amdhsa_user_sgpr_flat_scratch_init 0
		.amdhsa_user_sgpr_private_segment_size 0
		.amdhsa_uses_dynamic_stack 0
		.amdhsa_system_sgpr_private_segment_wavefront_offset 0
		.amdhsa_system_sgpr_workgroup_id_x 1
		.amdhsa_system_sgpr_workgroup_id_y 0
		.amdhsa_system_sgpr_workgroup_id_z 0
		.amdhsa_system_sgpr_workgroup_info 0
		.amdhsa_system_vgpr_workitem_id 0
		.amdhsa_next_free_vgpr 1
		.amdhsa_next_free_sgpr 0
		.amdhsa_reserve_vcc 0
		.amdhsa_reserve_flat_scratch 0
		.amdhsa_float_round_mode_32 0
		.amdhsa_float_round_mode_16_64 0
		.amdhsa_float_denorm_mode_32 3
		.amdhsa_float_denorm_mode_16_64 3
		.amdhsa_dx10_clamp 1
		.amdhsa_ieee_mode 1
		.amdhsa_fp16_overflow 0
		.amdhsa_exception_fp_ieee_invalid_op 0
		.amdhsa_exception_fp_denorm_src 0
		.amdhsa_exception_fp_ieee_div_zero 0
		.amdhsa_exception_fp_ieee_overflow 0
		.amdhsa_exception_fp_ieee_underflow 0
		.amdhsa_exception_fp_ieee_inexact 0
		.amdhsa_exception_int_div_zero 0
	.end_amdhsa_kernel
	.section	.text._ZN7rocprim17ROCPRIM_400000_NS6detail17trampoline_kernelINS0_14default_configENS1_35adjacent_difference_config_selectorILb0EyEEZNS1_24adjacent_difference_implIS3_Lb0ELb0EPyS7_N6thrust23THRUST_200600_302600_NS4plusIyEEEE10hipError_tPvRmT2_T3_mT4_P12ihipStream_tbEUlT_E_NS1_11comp_targetILNS1_3genE0ELNS1_11target_archE4294967295ELNS1_3gpuE0ELNS1_3repE0EEENS1_30default_config_static_selectorELNS0_4arch9wavefront6targetE1EEEvT1_,"axG",@progbits,_ZN7rocprim17ROCPRIM_400000_NS6detail17trampoline_kernelINS0_14default_configENS1_35adjacent_difference_config_selectorILb0EyEEZNS1_24adjacent_difference_implIS3_Lb0ELb0EPyS7_N6thrust23THRUST_200600_302600_NS4plusIyEEEE10hipError_tPvRmT2_T3_mT4_P12ihipStream_tbEUlT_E_NS1_11comp_targetILNS1_3genE0ELNS1_11target_archE4294967295ELNS1_3gpuE0ELNS1_3repE0EEENS1_30default_config_static_selectorELNS0_4arch9wavefront6targetE1EEEvT1_,comdat
.Lfunc_end129:
	.size	_ZN7rocprim17ROCPRIM_400000_NS6detail17trampoline_kernelINS0_14default_configENS1_35adjacent_difference_config_selectorILb0EyEEZNS1_24adjacent_difference_implIS3_Lb0ELb0EPyS7_N6thrust23THRUST_200600_302600_NS4plusIyEEEE10hipError_tPvRmT2_T3_mT4_P12ihipStream_tbEUlT_E_NS1_11comp_targetILNS1_3genE0ELNS1_11target_archE4294967295ELNS1_3gpuE0ELNS1_3repE0EEENS1_30default_config_static_selectorELNS0_4arch9wavefront6targetE1EEEvT1_, .Lfunc_end129-_ZN7rocprim17ROCPRIM_400000_NS6detail17trampoline_kernelINS0_14default_configENS1_35adjacent_difference_config_selectorILb0EyEEZNS1_24adjacent_difference_implIS3_Lb0ELb0EPyS7_N6thrust23THRUST_200600_302600_NS4plusIyEEEE10hipError_tPvRmT2_T3_mT4_P12ihipStream_tbEUlT_E_NS1_11comp_targetILNS1_3genE0ELNS1_11target_archE4294967295ELNS1_3gpuE0ELNS1_3repE0EEENS1_30default_config_static_selectorELNS0_4arch9wavefront6targetE1EEEvT1_
                                        ; -- End function
	.set _ZN7rocprim17ROCPRIM_400000_NS6detail17trampoline_kernelINS0_14default_configENS1_35adjacent_difference_config_selectorILb0EyEEZNS1_24adjacent_difference_implIS3_Lb0ELb0EPyS7_N6thrust23THRUST_200600_302600_NS4plusIyEEEE10hipError_tPvRmT2_T3_mT4_P12ihipStream_tbEUlT_E_NS1_11comp_targetILNS1_3genE0ELNS1_11target_archE4294967295ELNS1_3gpuE0ELNS1_3repE0EEENS1_30default_config_static_selectorELNS0_4arch9wavefront6targetE1EEEvT1_.num_vgpr, 0
	.set _ZN7rocprim17ROCPRIM_400000_NS6detail17trampoline_kernelINS0_14default_configENS1_35adjacent_difference_config_selectorILb0EyEEZNS1_24adjacent_difference_implIS3_Lb0ELb0EPyS7_N6thrust23THRUST_200600_302600_NS4plusIyEEEE10hipError_tPvRmT2_T3_mT4_P12ihipStream_tbEUlT_E_NS1_11comp_targetILNS1_3genE0ELNS1_11target_archE4294967295ELNS1_3gpuE0ELNS1_3repE0EEENS1_30default_config_static_selectorELNS0_4arch9wavefront6targetE1EEEvT1_.num_agpr, 0
	.set _ZN7rocprim17ROCPRIM_400000_NS6detail17trampoline_kernelINS0_14default_configENS1_35adjacent_difference_config_selectorILb0EyEEZNS1_24adjacent_difference_implIS3_Lb0ELb0EPyS7_N6thrust23THRUST_200600_302600_NS4plusIyEEEE10hipError_tPvRmT2_T3_mT4_P12ihipStream_tbEUlT_E_NS1_11comp_targetILNS1_3genE0ELNS1_11target_archE4294967295ELNS1_3gpuE0ELNS1_3repE0EEENS1_30default_config_static_selectorELNS0_4arch9wavefront6targetE1EEEvT1_.numbered_sgpr, 0
	.set _ZN7rocprim17ROCPRIM_400000_NS6detail17trampoline_kernelINS0_14default_configENS1_35adjacent_difference_config_selectorILb0EyEEZNS1_24adjacent_difference_implIS3_Lb0ELb0EPyS7_N6thrust23THRUST_200600_302600_NS4plusIyEEEE10hipError_tPvRmT2_T3_mT4_P12ihipStream_tbEUlT_E_NS1_11comp_targetILNS1_3genE0ELNS1_11target_archE4294967295ELNS1_3gpuE0ELNS1_3repE0EEENS1_30default_config_static_selectorELNS0_4arch9wavefront6targetE1EEEvT1_.num_named_barrier, 0
	.set _ZN7rocprim17ROCPRIM_400000_NS6detail17trampoline_kernelINS0_14default_configENS1_35adjacent_difference_config_selectorILb0EyEEZNS1_24adjacent_difference_implIS3_Lb0ELb0EPyS7_N6thrust23THRUST_200600_302600_NS4plusIyEEEE10hipError_tPvRmT2_T3_mT4_P12ihipStream_tbEUlT_E_NS1_11comp_targetILNS1_3genE0ELNS1_11target_archE4294967295ELNS1_3gpuE0ELNS1_3repE0EEENS1_30default_config_static_selectorELNS0_4arch9wavefront6targetE1EEEvT1_.private_seg_size, 0
	.set _ZN7rocprim17ROCPRIM_400000_NS6detail17trampoline_kernelINS0_14default_configENS1_35adjacent_difference_config_selectorILb0EyEEZNS1_24adjacent_difference_implIS3_Lb0ELb0EPyS7_N6thrust23THRUST_200600_302600_NS4plusIyEEEE10hipError_tPvRmT2_T3_mT4_P12ihipStream_tbEUlT_E_NS1_11comp_targetILNS1_3genE0ELNS1_11target_archE4294967295ELNS1_3gpuE0ELNS1_3repE0EEENS1_30default_config_static_selectorELNS0_4arch9wavefront6targetE1EEEvT1_.uses_vcc, 0
	.set _ZN7rocprim17ROCPRIM_400000_NS6detail17trampoline_kernelINS0_14default_configENS1_35adjacent_difference_config_selectorILb0EyEEZNS1_24adjacent_difference_implIS3_Lb0ELb0EPyS7_N6thrust23THRUST_200600_302600_NS4plusIyEEEE10hipError_tPvRmT2_T3_mT4_P12ihipStream_tbEUlT_E_NS1_11comp_targetILNS1_3genE0ELNS1_11target_archE4294967295ELNS1_3gpuE0ELNS1_3repE0EEENS1_30default_config_static_selectorELNS0_4arch9wavefront6targetE1EEEvT1_.uses_flat_scratch, 0
	.set _ZN7rocprim17ROCPRIM_400000_NS6detail17trampoline_kernelINS0_14default_configENS1_35adjacent_difference_config_selectorILb0EyEEZNS1_24adjacent_difference_implIS3_Lb0ELb0EPyS7_N6thrust23THRUST_200600_302600_NS4plusIyEEEE10hipError_tPvRmT2_T3_mT4_P12ihipStream_tbEUlT_E_NS1_11comp_targetILNS1_3genE0ELNS1_11target_archE4294967295ELNS1_3gpuE0ELNS1_3repE0EEENS1_30default_config_static_selectorELNS0_4arch9wavefront6targetE1EEEvT1_.has_dyn_sized_stack, 0
	.set _ZN7rocprim17ROCPRIM_400000_NS6detail17trampoline_kernelINS0_14default_configENS1_35adjacent_difference_config_selectorILb0EyEEZNS1_24adjacent_difference_implIS3_Lb0ELb0EPyS7_N6thrust23THRUST_200600_302600_NS4plusIyEEEE10hipError_tPvRmT2_T3_mT4_P12ihipStream_tbEUlT_E_NS1_11comp_targetILNS1_3genE0ELNS1_11target_archE4294967295ELNS1_3gpuE0ELNS1_3repE0EEENS1_30default_config_static_selectorELNS0_4arch9wavefront6targetE1EEEvT1_.has_recursion, 0
	.set _ZN7rocprim17ROCPRIM_400000_NS6detail17trampoline_kernelINS0_14default_configENS1_35adjacent_difference_config_selectorILb0EyEEZNS1_24adjacent_difference_implIS3_Lb0ELb0EPyS7_N6thrust23THRUST_200600_302600_NS4plusIyEEEE10hipError_tPvRmT2_T3_mT4_P12ihipStream_tbEUlT_E_NS1_11comp_targetILNS1_3genE0ELNS1_11target_archE4294967295ELNS1_3gpuE0ELNS1_3repE0EEENS1_30default_config_static_selectorELNS0_4arch9wavefront6targetE1EEEvT1_.has_indirect_call, 0
	.section	.AMDGPU.csdata,"",@progbits
; Kernel info:
; codeLenInByte = 0
; TotalNumSgprs: 4
; NumVgprs: 0
; ScratchSize: 0
; MemoryBound: 0
; FloatMode: 240
; IeeeMode: 1
; LDSByteSize: 0 bytes/workgroup (compile time only)
; SGPRBlocks: 0
; VGPRBlocks: 0
; NumSGPRsForWavesPerEU: 4
; NumVGPRsForWavesPerEU: 1
; Occupancy: 10
; WaveLimiterHint : 0
; COMPUTE_PGM_RSRC2:SCRATCH_EN: 0
; COMPUTE_PGM_RSRC2:USER_SGPR: 6
; COMPUTE_PGM_RSRC2:TRAP_HANDLER: 0
; COMPUTE_PGM_RSRC2:TGID_X_EN: 1
; COMPUTE_PGM_RSRC2:TGID_Y_EN: 0
; COMPUTE_PGM_RSRC2:TGID_Z_EN: 0
; COMPUTE_PGM_RSRC2:TIDIG_COMP_CNT: 0
	.section	.text._ZN7rocprim17ROCPRIM_400000_NS6detail17trampoline_kernelINS0_14default_configENS1_35adjacent_difference_config_selectorILb0EyEEZNS1_24adjacent_difference_implIS3_Lb0ELb0EPyS7_N6thrust23THRUST_200600_302600_NS4plusIyEEEE10hipError_tPvRmT2_T3_mT4_P12ihipStream_tbEUlT_E_NS1_11comp_targetILNS1_3genE10ELNS1_11target_archE1201ELNS1_3gpuE5ELNS1_3repE0EEENS1_30default_config_static_selectorELNS0_4arch9wavefront6targetE1EEEvT1_,"axG",@progbits,_ZN7rocprim17ROCPRIM_400000_NS6detail17trampoline_kernelINS0_14default_configENS1_35adjacent_difference_config_selectorILb0EyEEZNS1_24adjacent_difference_implIS3_Lb0ELb0EPyS7_N6thrust23THRUST_200600_302600_NS4plusIyEEEE10hipError_tPvRmT2_T3_mT4_P12ihipStream_tbEUlT_E_NS1_11comp_targetILNS1_3genE10ELNS1_11target_archE1201ELNS1_3gpuE5ELNS1_3repE0EEENS1_30default_config_static_selectorELNS0_4arch9wavefront6targetE1EEEvT1_,comdat
	.protected	_ZN7rocprim17ROCPRIM_400000_NS6detail17trampoline_kernelINS0_14default_configENS1_35adjacent_difference_config_selectorILb0EyEEZNS1_24adjacent_difference_implIS3_Lb0ELb0EPyS7_N6thrust23THRUST_200600_302600_NS4plusIyEEEE10hipError_tPvRmT2_T3_mT4_P12ihipStream_tbEUlT_E_NS1_11comp_targetILNS1_3genE10ELNS1_11target_archE1201ELNS1_3gpuE5ELNS1_3repE0EEENS1_30default_config_static_selectorELNS0_4arch9wavefront6targetE1EEEvT1_ ; -- Begin function _ZN7rocprim17ROCPRIM_400000_NS6detail17trampoline_kernelINS0_14default_configENS1_35adjacent_difference_config_selectorILb0EyEEZNS1_24adjacent_difference_implIS3_Lb0ELb0EPyS7_N6thrust23THRUST_200600_302600_NS4plusIyEEEE10hipError_tPvRmT2_T3_mT4_P12ihipStream_tbEUlT_E_NS1_11comp_targetILNS1_3genE10ELNS1_11target_archE1201ELNS1_3gpuE5ELNS1_3repE0EEENS1_30default_config_static_selectorELNS0_4arch9wavefront6targetE1EEEvT1_
	.globl	_ZN7rocprim17ROCPRIM_400000_NS6detail17trampoline_kernelINS0_14default_configENS1_35adjacent_difference_config_selectorILb0EyEEZNS1_24adjacent_difference_implIS3_Lb0ELb0EPyS7_N6thrust23THRUST_200600_302600_NS4plusIyEEEE10hipError_tPvRmT2_T3_mT4_P12ihipStream_tbEUlT_E_NS1_11comp_targetILNS1_3genE10ELNS1_11target_archE1201ELNS1_3gpuE5ELNS1_3repE0EEENS1_30default_config_static_selectorELNS0_4arch9wavefront6targetE1EEEvT1_
	.p2align	8
	.type	_ZN7rocprim17ROCPRIM_400000_NS6detail17trampoline_kernelINS0_14default_configENS1_35adjacent_difference_config_selectorILb0EyEEZNS1_24adjacent_difference_implIS3_Lb0ELb0EPyS7_N6thrust23THRUST_200600_302600_NS4plusIyEEEE10hipError_tPvRmT2_T3_mT4_P12ihipStream_tbEUlT_E_NS1_11comp_targetILNS1_3genE10ELNS1_11target_archE1201ELNS1_3gpuE5ELNS1_3repE0EEENS1_30default_config_static_selectorELNS0_4arch9wavefront6targetE1EEEvT1_,@function
_ZN7rocprim17ROCPRIM_400000_NS6detail17trampoline_kernelINS0_14default_configENS1_35adjacent_difference_config_selectorILb0EyEEZNS1_24adjacent_difference_implIS3_Lb0ELb0EPyS7_N6thrust23THRUST_200600_302600_NS4plusIyEEEE10hipError_tPvRmT2_T3_mT4_P12ihipStream_tbEUlT_E_NS1_11comp_targetILNS1_3genE10ELNS1_11target_archE1201ELNS1_3gpuE5ELNS1_3repE0EEENS1_30default_config_static_selectorELNS0_4arch9wavefront6targetE1EEEvT1_: ; @_ZN7rocprim17ROCPRIM_400000_NS6detail17trampoline_kernelINS0_14default_configENS1_35adjacent_difference_config_selectorILb0EyEEZNS1_24adjacent_difference_implIS3_Lb0ELb0EPyS7_N6thrust23THRUST_200600_302600_NS4plusIyEEEE10hipError_tPvRmT2_T3_mT4_P12ihipStream_tbEUlT_E_NS1_11comp_targetILNS1_3genE10ELNS1_11target_archE1201ELNS1_3gpuE5ELNS1_3repE0EEENS1_30default_config_static_selectorELNS0_4arch9wavefront6targetE1EEEvT1_
; %bb.0:
	.section	.rodata,"a",@progbits
	.p2align	6, 0x0
	.amdhsa_kernel _ZN7rocprim17ROCPRIM_400000_NS6detail17trampoline_kernelINS0_14default_configENS1_35adjacent_difference_config_selectorILb0EyEEZNS1_24adjacent_difference_implIS3_Lb0ELb0EPyS7_N6thrust23THRUST_200600_302600_NS4plusIyEEEE10hipError_tPvRmT2_T3_mT4_P12ihipStream_tbEUlT_E_NS1_11comp_targetILNS1_3genE10ELNS1_11target_archE1201ELNS1_3gpuE5ELNS1_3repE0EEENS1_30default_config_static_selectorELNS0_4arch9wavefront6targetE1EEEvT1_
		.amdhsa_group_segment_fixed_size 0
		.amdhsa_private_segment_fixed_size 0
		.amdhsa_kernarg_size 56
		.amdhsa_user_sgpr_count 6
		.amdhsa_user_sgpr_private_segment_buffer 1
		.amdhsa_user_sgpr_dispatch_ptr 0
		.amdhsa_user_sgpr_queue_ptr 0
		.amdhsa_user_sgpr_kernarg_segment_ptr 1
		.amdhsa_user_sgpr_dispatch_id 0
		.amdhsa_user_sgpr_flat_scratch_init 0
		.amdhsa_user_sgpr_private_segment_size 0
		.amdhsa_uses_dynamic_stack 0
		.amdhsa_system_sgpr_private_segment_wavefront_offset 0
		.amdhsa_system_sgpr_workgroup_id_x 1
		.amdhsa_system_sgpr_workgroup_id_y 0
		.amdhsa_system_sgpr_workgroup_id_z 0
		.amdhsa_system_sgpr_workgroup_info 0
		.amdhsa_system_vgpr_workitem_id 0
		.amdhsa_next_free_vgpr 1
		.amdhsa_next_free_sgpr 0
		.amdhsa_reserve_vcc 0
		.amdhsa_reserve_flat_scratch 0
		.amdhsa_float_round_mode_32 0
		.amdhsa_float_round_mode_16_64 0
		.amdhsa_float_denorm_mode_32 3
		.amdhsa_float_denorm_mode_16_64 3
		.amdhsa_dx10_clamp 1
		.amdhsa_ieee_mode 1
		.amdhsa_fp16_overflow 0
		.amdhsa_exception_fp_ieee_invalid_op 0
		.amdhsa_exception_fp_denorm_src 0
		.amdhsa_exception_fp_ieee_div_zero 0
		.amdhsa_exception_fp_ieee_overflow 0
		.amdhsa_exception_fp_ieee_underflow 0
		.amdhsa_exception_fp_ieee_inexact 0
		.amdhsa_exception_int_div_zero 0
	.end_amdhsa_kernel
	.section	.text._ZN7rocprim17ROCPRIM_400000_NS6detail17trampoline_kernelINS0_14default_configENS1_35adjacent_difference_config_selectorILb0EyEEZNS1_24adjacent_difference_implIS3_Lb0ELb0EPyS7_N6thrust23THRUST_200600_302600_NS4plusIyEEEE10hipError_tPvRmT2_T3_mT4_P12ihipStream_tbEUlT_E_NS1_11comp_targetILNS1_3genE10ELNS1_11target_archE1201ELNS1_3gpuE5ELNS1_3repE0EEENS1_30default_config_static_selectorELNS0_4arch9wavefront6targetE1EEEvT1_,"axG",@progbits,_ZN7rocprim17ROCPRIM_400000_NS6detail17trampoline_kernelINS0_14default_configENS1_35adjacent_difference_config_selectorILb0EyEEZNS1_24adjacent_difference_implIS3_Lb0ELb0EPyS7_N6thrust23THRUST_200600_302600_NS4plusIyEEEE10hipError_tPvRmT2_T3_mT4_P12ihipStream_tbEUlT_E_NS1_11comp_targetILNS1_3genE10ELNS1_11target_archE1201ELNS1_3gpuE5ELNS1_3repE0EEENS1_30default_config_static_selectorELNS0_4arch9wavefront6targetE1EEEvT1_,comdat
.Lfunc_end130:
	.size	_ZN7rocprim17ROCPRIM_400000_NS6detail17trampoline_kernelINS0_14default_configENS1_35adjacent_difference_config_selectorILb0EyEEZNS1_24adjacent_difference_implIS3_Lb0ELb0EPyS7_N6thrust23THRUST_200600_302600_NS4plusIyEEEE10hipError_tPvRmT2_T3_mT4_P12ihipStream_tbEUlT_E_NS1_11comp_targetILNS1_3genE10ELNS1_11target_archE1201ELNS1_3gpuE5ELNS1_3repE0EEENS1_30default_config_static_selectorELNS0_4arch9wavefront6targetE1EEEvT1_, .Lfunc_end130-_ZN7rocprim17ROCPRIM_400000_NS6detail17trampoline_kernelINS0_14default_configENS1_35adjacent_difference_config_selectorILb0EyEEZNS1_24adjacent_difference_implIS3_Lb0ELb0EPyS7_N6thrust23THRUST_200600_302600_NS4plusIyEEEE10hipError_tPvRmT2_T3_mT4_P12ihipStream_tbEUlT_E_NS1_11comp_targetILNS1_3genE10ELNS1_11target_archE1201ELNS1_3gpuE5ELNS1_3repE0EEENS1_30default_config_static_selectorELNS0_4arch9wavefront6targetE1EEEvT1_
                                        ; -- End function
	.set _ZN7rocprim17ROCPRIM_400000_NS6detail17trampoline_kernelINS0_14default_configENS1_35adjacent_difference_config_selectorILb0EyEEZNS1_24adjacent_difference_implIS3_Lb0ELb0EPyS7_N6thrust23THRUST_200600_302600_NS4plusIyEEEE10hipError_tPvRmT2_T3_mT4_P12ihipStream_tbEUlT_E_NS1_11comp_targetILNS1_3genE10ELNS1_11target_archE1201ELNS1_3gpuE5ELNS1_3repE0EEENS1_30default_config_static_selectorELNS0_4arch9wavefront6targetE1EEEvT1_.num_vgpr, 0
	.set _ZN7rocprim17ROCPRIM_400000_NS6detail17trampoline_kernelINS0_14default_configENS1_35adjacent_difference_config_selectorILb0EyEEZNS1_24adjacent_difference_implIS3_Lb0ELb0EPyS7_N6thrust23THRUST_200600_302600_NS4plusIyEEEE10hipError_tPvRmT2_T3_mT4_P12ihipStream_tbEUlT_E_NS1_11comp_targetILNS1_3genE10ELNS1_11target_archE1201ELNS1_3gpuE5ELNS1_3repE0EEENS1_30default_config_static_selectorELNS0_4arch9wavefront6targetE1EEEvT1_.num_agpr, 0
	.set _ZN7rocprim17ROCPRIM_400000_NS6detail17trampoline_kernelINS0_14default_configENS1_35adjacent_difference_config_selectorILb0EyEEZNS1_24adjacent_difference_implIS3_Lb0ELb0EPyS7_N6thrust23THRUST_200600_302600_NS4plusIyEEEE10hipError_tPvRmT2_T3_mT4_P12ihipStream_tbEUlT_E_NS1_11comp_targetILNS1_3genE10ELNS1_11target_archE1201ELNS1_3gpuE5ELNS1_3repE0EEENS1_30default_config_static_selectorELNS0_4arch9wavefront6targetE1EEEvT1_.numbered_sgpr, 0
	.set _ZN7rocprim17ROCPRIM_400000_NS6detail17trampoline_kernelINS0_14default_configENS1_35adjacent_difference_config_selectorILb0EyEEZNS1_24adjacent_difference_implIS3_Lb0ELb0EPyS7_N6thrust23THRUST_200600_302600_NS4plusIyEEEE10hipError_tPvRmT2_T3_mT4_P12ihipStream_tbEUlT_E_NS1_11comp_targetILNS1_3genE10ELNS1_11target_archE1201ELNS1_3gpuE5ELNS1_3repE0EEENS1_30default_config_static_selectorELNS0_4arch9wavefront6targetE1EEEvT1_.num_named_barrier, 0
	.set _ZN7rocprim17ROCPRIM_400000_NS6detail17trampoline_kernelINS0_14default_configENS1_35adjacent_difference_config_selectorILb0EyEEZNS1_24adjacent_difference_implIS3_Lb0ELb0EPyS7_N6thrust23THRUST_200600_302600_NS4plusIyEEEE10hipError_tPvRmT2_T3_mT4_P12ihipStream_tbEUlT_E_NS1_11comp_targetILNS1_3genE10ELNS1_11target_archE1201ELNS1_3gpuE5ELNS1_3repE0EEENS1_30default_config_static_selectorELNS0_4arch9wavefront6targetE1EEEvT1_.private_seg_size, 0
	.set _ZN7rocprim17ROCPRIM_400000_NS6detail17trampoline_kernelINS0_14default_configENS1_35adjacent_difference_config_selectorILb0EyEEZNS1_24adjacent_difference_implIS3_Lb0ELb0EPyS7_N6thrust23THRUST_200600_302600_NS4plusIyEEEE10hipError_tPvRmT2_T3_mT4_P12ihipStream_tbEUlT_E_NS1_11comp_targetILNS1_3genE10ELNS1_11target_archE1201ELNS1_3gpuE5ELNS1_3repE0EEENS1_30default_config_static_selectorELNS0_4arch9wavefront6targetE1EEEvT1_.uses_vcc, 0
	.set _ZN7rocprim17ROCPRIM_400000_NS6detail17trampoline_kernelINS0_14default_configENS1_35adjacent_difference_config_selectorILb0EyEEZNS1_24adjacent_difference_implIS3_Lb0ELb0EPyS7_N6thrust23THRUST_200600_302600_NS4plusIyEEEE10hipError_tPvRmT2_T3_mT4_P12ihipStream_tbEUlT_E_NS1_11comp_targetILNS1_3genE10ELNS1_11target_archE1201ELNS1_3gpuE5ELNS1_3repE0EEENS1_30default_config_static_selectorELNS0_4arch9wavefront6targetE1EEEvT1_.uses_flat_scratch, 0
	.set _ZN7rocprim17ROCPRIM_400000_NS6detail17trampoline_kernelINS0_14default_configENS1_35adjacent_difference_config_selectorILb0EyEEZNS1_24adjacent_difference_implIS3_Lb0ELb0EPyS7_N6thrust23THRUST_200600_302600_NS4plusIyEEEE10hipError_tPvRmT2_T3_mT4_P12ihipStream_tbEUlT_E_NS1_11comp_targetILNS1_3genE10ELNS1_11target_archE1201ELNS1_3gpuE5ELNS1_3repE0EEENS1_30default_config_static_selectorELNS0_4arch9wavefront6targetE1EEEvT1_.has_dyn_sized_stack, 0
	.set _ZN7rocprim17ROCPRIM_400000_NS6detail17trampoline_kernelINS0_14default_configENS1_35adjacent_difference_config_selectorILb0EyEEZNS1_24adjacent_difference_implIS3_Lb0ELb0EPyS7_N6thrust23THRUST_200600_302600_NS4plusIyEEEE10hipError_tPvRmT2_T3_mT4_P12ihipStream_tbEUlT_E_NS1_11comp_targetILNS1_3genE10ELNS1_11target_archE1201ELNS1_3gpuE5ELNS1_3repE0EEENS1_30default_config_static_selectorELNS0_4arch9wavefront6targetE1EEEvT1_.has_recursion, 0
	.set _ZN7rocprim17ROCPRIM_400000_NS6detail17trampoline_kernelINS0_14default_configENS1_35adjacent_difference_config_selectorILb0EyEEZNS1_24adjacent_difference_implIS3_Lb0ELb0EPyS7_N6thrust23THRUST_200600_302600_NS4plusIyEEEE10hipError_tPvRmT2_T3_mT4_P12ihipStream_tbEUlT_E_NS1_11comp_targetILNS1_3genE10ELNS1_11target_archE1201ELNS1_3gpuE5ELNS1_3repE0EEENS1_30default_config_static_selectorELNS0_4arch9wavefront6targetE1EEEvT1_.has_indirect_call, 0
	.section	.AMDGPU.csdata,"",@progbits
; Kernel info:
; codeLenInByte = 0
; TotalNumSgprs: 4
; NumVgprs: 0
; ScratchSize: 0
; MemoryBound: 0
; FloatMode: 240
; IeeeMode: 1
; LDSByteSize: 0 bytes/workgroup (compile time only)
; SGPRBlocks: 0
; VGPRBlocks: 0
; NumSGPRsForWavesPerEU: 4
; NumVGPRsForWavesPerEU: 1
; Occupancy: 10
; WaveLimiterHint : 0
; COMPUTE_PGM_RSRC2:SCRATCH_EN: 0
; COMPUTE_PGM_RSRC2:USER_SGPR: 6
; COMPUTE_PGM_RSRC2:TRAP_HANDLER: 0
; COMPUTE_PGM_RSRC2:TGID_X_EN: 1
; COMPUTE_PGM_RSRC2:TGID_Y_EN: 0
; COMPUTE_PGM_RSRC2:TGID_Z_EN: 0
; COMPUTE_PGM_RSRC2:TIDIG_COMP_CNT: 0
	.section	.text._ZN7rocprim17ROCPRIM_400000_NS6detail17trampoline_kernelINS0_14default_configENS1_35adjacent_difference_config_selectorILb0EyEEZNS1_24adjacent_difference_implIS3_Lb0ELb0EPyS7_N6thrust23THRUST_200600_302600_NS4plusIyEEEE10hipError_tPvRmT2_T3_mT4_P12ihipStream_tbEUlT_E_NS1_11comp_targetILNS1_3genE5ELNS1_11target_archE942ELNS1_3gpuE9ELNS1_3repE0EEENS1_30default_config_static_selectorELNS0_4arch9wavefront6targetE1EEEvT1_,"axG",@progbits,_ZN7rocprim17ROCPRIM_400000_NS6detail17trampoline_kernelINS0_14default_configENS1_35adjacent_difference_config_selectorILb0EyEEZNS1_24adjacent_difference_implIS3_Lb0ELb0EPyS7_N6thrust23THRUST_200600_302600_NS4plusIyEEEE10hipError_tPvRmT2_T3_mT4_P12ihipStream_tbEUlT_E_NS1_11comp_targetILNS1_3genE5ELNS1_11target_archE942ELNS1_3gpuE9ELNS1_3repE0EEENS1_30default_config_static_selectorELNS0_4arch9wavefront6targetE1EEEvT1_,comdat
	.protected	_ZN7rocprim17ROCPRIM_400000_NS6detail17trampoline_kernelINS0_14default_configENS1_35adjacent_difference_config_selectorILb0EyEEZNS1_24adjacent_difference_implIS3_Lb0ELb0EPyS7_N6thrust23THRUST_200600_302600_NS4plusIyEEEE10hipError_tPvRmT2_T3_mT4_P12ihipStream_tbEUlT_E_NS1_11comp_targetILNS1_3genE5ELNS1_11target_archE942ELNS1_3gpuE9ELNS1_3repE0EEENS1_30default_config_static_selectorELNS0_4arch9wavefront6targetE1EEEvT1_ ; -- Begin function _ZN7rocprim17ROCPRIM_400000_NS6detail17trampoline_kernelINS0_14default_configENS1_35adjacent_difference_config_selectorILb0EyEEZNS1_24adjacent_difference_implIS3_Lb0ELb0EPyS7_N6thrust23THRUST_200600_302600_NS4plusIyEEEE10hipError_tPvRmT2_T3_mT4_P12ihipStream_tbEUlT_E_NS1_11comp_targetILNS1_3genE5ELNS1_11target_archE942ELNS1_3gpuE9ELNS1_3repE0EEENS1_30default_config_static_selectorELNS0_4arch9wavefront6targetE1EEEvT1_
	.globl	_ZN7rocprim17ROCPRIM_400000_NS6detail17trampoline_kernelINS0_14default_configENS1_35adjacent_difference_config_selectorILb0EyEEZNS1_24adjacent_difference_implIS3_Lb0ELb0EPyS7_N6thrust23THRUST_200600_302600_NS4plusIyEEEE10hipError_tPvRmT2_T3_mT4_P12ihipStream_tbEUlT_E_NS1_11comp_targetILNS1_3genE5ELNS1_11target_archE942ELNS1_3gpuE9ELNS1_3repE0EEENS1_30default_config_static_selectorELNS0_4arch9wavefront6targetE1EEEvT1_
	.p2align	8
	.type	_ZN7rocprim17ROCPRIM_400000_NS6detail17trampoline_kernelINS0_14default_configENS1_35adjacent_difference_config_selectorILb0EyEEZNS1_24adjacent_difference_implIS3_Lb0ELb0EPyS7_N6thrust23THRUST_200600_302600_NS4plusIyEEEE10hipError_tPvRmT2_T3_mT4_P12ihipStream_tbEUlT_E_NS1_11comp_targetILNS1_3genE5ELNS1_11target_archE942ELNS1_3gpuE9ELNS1_3repE0EEENS1_30default_config_static_selectorELNS0_4arch9wavefront6targetE1EEEvT1_,@function
_ZN7rocprim17ROCPRIM_400000_NS6detail17trampoline_kernelINS0_14default_configENS1_35adjacent_difference_config_selectorILb0EyEEZNS1_24adjacent_difference_implIS3_Lb0ELb0EPyS7_N6thrust23THRUST_200600_302600_NS4plusIyEEEE10hipError_tPvRmT2_T3_mT4_P12ihipStream_tbEUlT_E_NS1_11comp_targetILNS1_3genE5ELNS1_11target_archE942ELNS1_3gpuE9ELNS1_3repE0EEENS1_30default_config_static_selectorELNS0_4arch9wavefront6targetE1EEEvT1_: ; @_ZN7rocprim17ROCPRIM_400000_NS6detail17trampoline_kernelINS0_14default_configENS1_35adjacent_difference_config_selectorILb0EyEEZNS1_24adjacent_difference_implIS3_Lb0ELb0EPyS7_N6thrust23THRUST_200600_302600_NS4plusIyEEEE10hipError_tPvRmT2_T3_mT4_P12ihipStream_tbEUlT_E_NS1_11comp_targetILNS1_3genE5ELNS1_11target_archE942ELNS1_3gpuE9ELNS1_3repE0EEENS1_30default_config_static_selectorELNS0_4arch9wavefront6targetE1EEEvT1_
; %bb.0:
	.section	.rodata,"a",@progbits
	.p2align	6, 0x0
	.amdhsa_kernel _ZN7rocprim17ROCPRIM_400000_NS6detail17trampoline_kernelINS0_14default_configENS1_35adjacent_difference_config_selectorILb0EyEEZNS1_24adjacent_difference_implIS3_Lb0ELb0EPyS7_N6thrust23THRUST_200600_302600_NS4plusIyEEEE10hipError_tPvRmT2_T3_mT4_P12ihipStream_tbEUlT_E_NS1_11comp_targetILNS1_3genE5ELNS1_11target_archE942ELNS1_3gpuE9ELNS1_3repE0EEENS1_30default_config_static_selectorELNS0_4arch9wavefront6targetE1EEEvT1_
		.amdhsa_group_segment_fixed_size 0
		.amdhsa_private_segment_fixed_size 0
		.amdhsa_kernarg_size 56
		.amdhsa_user_sgpr_count 6
		.amdhsa_user_sgpr_private_segment_buffer 1
		.amdhsa_user_sgpr_dispatch_ptr 0
		.amdhsa_user_sgpr_queue_ptr 0
		.amdhsa_user_sgpr_kernarg_segment_ptr 1
		.amdhsa_user_sgpr_dispatch_id 0
		.amdhsa_user_sgpr_flat_scratch_init 0
		.amdhsa_user_sgpr_private_segment_size 0
		.amdhsa_uses_dynamic_stack 0
		.amdhsa_system_sgpr_private_segment_wavefront_offset 0
		.amdhsa_system_sgpr_workgroup_id_x 1
		.amdhsa_system_sgpr_workgroup_id_y 0
		.amdhsa_system_sgpr_workgroup_id_z 0
		.amdhsa_system_sgpr_workgroup_info 0
		.amdhsa_system_vgpr_workitem_id 0
		.amdhsa_next_free_vgpr 1
		.amdhsa_next_free_sgpr 0
		.amdhsa_reserve_vcc 0
		.amdhsa_reserve_flat_scratch 0
		.amdhsa_float_round_mode_32 0
		.amdhsa_float_round_mode_16_64 0
		.amdhsa_float_denorm_mode_32 3
		.amdhsa_float_denorm_mode_16_64 3
		.amdhsa_dx10_clamp 1
		.amdhsa_ieee_mode 1
		.amdhsa_fp16_overflow 0
		.amdhsa_exception_fp_ieee_invalid_op 0
		.amdhsa_exception_fp_denorm_src 0
		.amdhsa_exception_fp_ieee_div_zero 0
		.amdhsa_exception_fp_ieee_overflow 0
		.amdhsa_exception_fp_ieee_underflow 0
		.amdhsa_exception_fp_ieee_inexact 0
		.amdhsa_exception_int_div_zero 0
	.end_amdhsa_kernel
	.section	.text._ZN7rocprim17ROCPRIM_400000_NS6detail17trampoline_kernelINS0_14default_configENS1_35adjacent_difference_config_selectorILb0EyEEZNS1_24adjacent_difference_implIS3_Lb0ELb0EPyS7_N6thrust23THRUST_200600_302600_NS4plusIyEEEE10hipError_tPvRmT2_T3_mT4_P12ihipStream_tbEUlT_E_NS1_11comp_targetILNS1_3genE5ELNS1_11target_archE942ELNS1_3gpuE9ELNS1_3repE0EEENS1_30default_config_static_selectorELNS0_4arch9wavefront6targetE1EEEvT1_,"axG",@progbits,_ZN7rocprim17ROCPRIM_400000_NS6detail17trampoline_kernelINS0_14default_configENS1_35adjacent_difference_config_selectorILb0EyEEZNS1_24adjacent_difference_implIS3_Lb0ELb0EPyS7_N6thrust23THRUST_200600_302600_NS4plusIyEEEE10hipError_tPvRmT2_T3_mT4_P12ihipStream_tbEUlT_E_NS1_11comp_targetILNS1_3genE5ELNS1_11target_archE942ELNS1_3gpuE9ELNS1_3repE0EEENS1_30default_config_static_selectorELNS0_4arch9wavefront6targetE1EEEvT1_,comdat
.Lfunc_end131:
	.size	_ZN7rocprim17ROCPRIM_400000_NS6detail17trampoline_kernelINS0_14default_configENS1_35adjacent_difference_config_selectorILb0EyEEZNS1_24adjacent_difference_implIS3_Lb0ELb0EPyS7_N6thrust23THRUST_200600_302600_NS4plusIyEEEE10hipError_tPvRmT2_T3_mT4_P12ihipStream_tbEUlT_E_NS1_11comp_targetILNS1_3genE5ELNS1_11target_archE942ELNS1_3gpuE9ELNS1_3repE0EEENS1_30default_config_static_selectorELNS0_4arch9wavefront6targetE1EEEvT1_, .Lfunc_end131-_ZN7rocprim17ROCPRIM_400000_NS6detail17trampoline_kernelINS0_14default_configENS1_35adjacent_difference_config_selectorILb0EyEEZNS1_24adjacent_difference_implIS3_Lb0ELb0EPyS7_N6thrust23THRUST_200600_302600_NS4plusIyEEEE10hipError_tPvRmT2_T3_mT4_P12ihipStream_tbEUlT_E_NS1_11comp_targetILNS1_3genE5ELNS1_11target_archE942ELNS1_3gpuE9ELNS1_3repE0EEENS1_30default_config_static_selectorELNS0_4arch9wavefront6targetE1EEEvT1_
                                        ; -- End function
	.set _ZN7rocprim17ROCPRIM_400000_NS6detail17trampoline_kernelINS0_14default_configENS1_35adjacent_difference_config_selectorILb0EyEEZNS1_24adjacent_difference_implIS3_Lb0ELb0EPyS7_N6thrust23THRUST_200600_302600_NS4plusIyEEEE10hipError_tPvRmT2_T3_mT4_P12ihipStream_tbEUlT_E_NS1_11comp_targetILNS1_3genE5ELNS1_11target_archE942ELNS1_3gpuE9ELNS1_3repE0EEENS1_30default_config_static_selectorELNS0_4arch9wavefront6targetE1EEEvT1_.num_vgpr, 0
	.set _ZN7rocprim17ROCPRIM_400000_NS6detail17trampoline_kernelINS0_14default_configENS1_35adjacent_difference_config_selectorILb0EyEEZNS1_24adjacent_difference_implIS3_Lb0ELb0EPyS7_N6thrust23THRUST_200600_302600_NS4plusIyEEEE10hipError_tPvRmT2_T3_mT4_P12ihipStream_tbEUlT_E_NS1_11comp_targetILNS1_3genE5ELNS1_11target_archE942ELNS1_3gpuE9ELNS1_3repE0EEENS1_30default_config_static_selectorELNS0_4arch9wavefront6targetE1EEEvT1_.num_agpr, 0
	.set _ZN7rocprim17ROCPRIM_400000_NS6detail17trampoline_kernelINS0_14default_configENS1_35adjacent_difference_config_selectorILb0EyEEZNS1_24adjacent_difference_implIS3_Lb0ELb0EPyS7_N6thrust23THRUST_200600_302600_NS4plusIyEEEE10hipError_tPvRmT2_T3_mT4_P12ihipStream_tbEUlT_E_NS1_11comp_targetILNS1_3genE5ELNS1_11target_archE942ELNS1_3gpuE9ELNS1_3repE0EEENS1_30default_config_static_selectorELNS0_4arch9wavefront6targetE1EEEvT1_.numbered_sgpr, 0
	.set _ZN7rocprim17ROCPRIM_400000_NS6detail17trampoline_kernelINS0_14default_configENS1_35adjacent_difference_config_selectorILb0EyEEZNS1_24adjacent_difference_implIS3_Lb0ELb0EPyS7_N6thrust23THRUST_200600_302600_NS4plusIyEEEE10hipError_tPvRmT2_T3_mT4_P12ihipStream_tbEUlT_E_NS1_11comp_targetILNS1_3genE5ELNS1_11target_archE942ELNS1_3gpuE9ELNS1_3repE0EEENS1_30default_config_static_selectorELNS0_4arch9wavefront6targetE1EEEvT1_.num_named_barrier, 0
	.set _ZN7rocprim17ROCPRIM_400000_NS6detail17trampoline_kernelINS0_14default_configENS1_35adjacent_difference_config_selectorILb0EyEEZNS1_24adjacent_difference_implIS3_Lb0ELb0EPyS7_N6thrust23THRUST_200600_302600_NS4plusIyEEEE10hipError_tPvRmT2_T3_mT4_P12ihipStream_tbEUlT_E_NS1_11comp_targetILNS1_3genE5ELNS1_11target_archE942ELNS1_3gpuE9ELNS1_3repE0EEENS1_30default_config_static_selectorELNS0_4arch9wavefront6targetE1EEEvT1_.private_seg_size, 0
	.set _ZN7rocprim17ROCPRIM_400000_NS6detail17trampoline_kernelINS0_14default_configENS1_35adjacent_difference_config_selectorILb0EyEEZNS1_24adjacent_difference_implIS3_Lb0ELb0EPyS7_N6thrust23THRUST_200600_302600_NS4plusIyEEEE10hipError_tPvRmT2_T3_mT4_P12ihipStream_tbEUlT_E_NS1_11comp_targetILNS1_3genE5ELNS1_11target_archE942ELNS1_3gpuE9ELNS1_3repE0EEENS1_30default_config_static_selectorELNS0_4arch9wavefront6targetE1EEEvT1_.uses_vcc, 0
	.set _ZN7rocprim17ROCPRIM_400000_NS6detail17trampoline_kernelINS0_14default_configENS1_35adjacent_difference_config_selectorILb0EyEEZNS1_24adjacent_difference_implIS3_Lb0ELb0EPyS7_N6thrust23THRUST_200600_302600_NS4plusIyEEEE10hipError_tPvRmT2_T3_mT4_P12ihipStream_tbEUlT_E_NS1_11comp_targetILNS1_3genE5ELNS1_11target_archE942ELNS1_3gpuE9ELNS1_3repE0EEENS1_30default_config_static_selectorELNS0_4arch9wavefront6targetE1EEEvT1_.uses_flat_scratch, 0
	.set _ZN7rocprim17ROCPRIM_400000_NS6detail17trampoline_kernelINS0_14default_configENS1_35adjacent_difference_config_selectorILb0EyEEZNS1_24adjacent_difference_implIS3_Lb0ELb0EPyS7_N6thrust23THRUST_200600_302600_NS4plusIyEEEE10hipError_tPvRmT2_T3_mT4_P12ihipStream_tbEUlT_E_NS1_11comp_targetILNS1_3genE5ELNS1_11target_archE942ELNS1_3gpuE9ELNS1_3repE0EEENS1_30default_config_static_selectorELNS0_4arch9wavefront6targetE1EEEvT1_.has_dyn_sized_stack, 0
	.set _ZN7rocprim17ROCPRIM_400000_NS6detail17trampoline_kernelINS0_14default_configENS1_35adjacent_difference_config_selectorILb0EyEEZNS1_24adjacent_difference_implIS3_Lb0ELb0EPyS7_N6thrust23THRUST_200600_302600_NS4plusIyEEEE10hipError_tPvRmT2_T3_mT4_P12ihipStream_tbEUlT_E_NS1_11comp_targetILNS1_3genE5ELNS1_11target_archE942ELNS1_3gpuE9ELNS1_3repE0EEENS1_30default_config_static_selectorELNS0_4arch9wavefront6targetE1EEEvT1_.has_recursion, 0
	.set _ZN7rocprim17ROCPRIM_400000_NS6detail17trampoline_kernelINS0_14default_configENS1_35adjacent_difference_config_selectorILb0EyEEZNS1_24adjacent_difference_implIS3_Lb0ELb0EPyS7_N6thrust23THRUST_200600_302600_NS4plusIyEEEE10hipError_tPvRmT2_T3_mT4_P12ihipStream_tbEUlT_E_NS1_11comp_targetILNS1_3genE5ELNS1_11target_archE942ELNS1_3gpuE9ELNS1_3repE0EEENS1_30default_config_static_selectorELNS0_4arch9wavefront6targetE1EEEvT1_.has_indirect_call, 0
	.section	.AMDGPU.csdata,"",@progbits
; Kernel info:
; codeLenInByte = 0
; TotalNumSgprs: 4
; NumVgprs: 0
; ScratchSize: 0
; MemoryBound: 0
; FloatMode: 240
; IeeeMode: 1
; LDSByteSize: 0 bytes/workgroup (compile time only)
; SGPRBlocks: 0
; VGPRBlocks: 0
; NumSGPRsForWavesPerEU: 4
; NumVGPRsForWavesPerEU: 1
; Occupancy: 10
; WaveLimiterHint : 0
; COMPUTE_PGM_RSRC2:SCRATCH_EN: 0
; COMPUTE_PGM_RSRC2:USER_SGPR: 6
; COMPUTE_PGM_RSRC2:TRAP_HANDLER: 0
; COMPUTE_PGM_RSRC2:TGID_X_EN: 1
; COMPUTE_PGM_RSRC2:TGID_Y_EN: 0
; COMPUTE_PGM_RSRC2:TGID_Z_EN: 0
; COMPUTE_PGM_RSRC2:TIDIG_COMP_CNT: 0
	.section	.text._ZN7rocprim17ROCPRIM_400000_NS6detail17trampoline_kernelINS0_14default_configENS1_35adjacent_difference_config_selectorILb0EyEEZNS1_24adjacent_difference_implIS3_Lb0ELb0EPyS7_N6thrust23THRUST_200600_302600_NS4plusIyEEEE10hipError_tPvRmT2_T3_mT4_P12ihipStream_tbEUlT_E_NS1_11comp_targetILNS1_3genE4ELNS1_11target_archE910ELNS1_3gpuE8ELNS1_3repE0EEENS1_30default_config_static_selectorELNS0_4arch9wavefront6targetE1EEEvT1_,"axG",@progbits,_ZN7rocprim17ROCPRIM_400000_NS6detail17trampoline_kernelINS0_14default_configENS1_35adjacent_difference_config_selectorILb0EyEEZNS1_24adjacent_difference_implIS3_Lb0ELb0EPyS7_N6thrust23THRUST_200600_302600_NS4plusIyEEEE10hipError_tPvRmT2_T3_mT4_P12ihipStream_tbEUlT_E_NS1_11comp_targetILNS1_3genE4ELNS1_11target_archE910ELNS1_3gpuE8ELNS1_3repE0EEENS1_30default_config_static_selectorELNS0_4arch9wavefront6targetE1EEEvT1_,comdat
	.protected	_ZN7rocprim17ROCPRIM_400000_NS6detail17trampoline_kernelINS0_14default_configENS1_35adjacent_difference_config_selectorILb0EyEEZNS1_24adjacent_difference_implIS3_Lb0ELb0EPyS7_N6thrust23THRUST_200600_302600_NS4plusIyEEEE10hipError_tPvRmT2_T3_mT4_P12ihipStream_tbEUlT_E_NS1_11comp_targetILNS1_3genE4ELNS1_11target_archE910ELNS1_3gpuE8ELNS1_3repE0EEENS1_30default_config_static_selectorELNS0_4arch9wavefront6targetE1EEEvT1_ ; -- Begin function _ZN7rocprim17ROCPRIM_400000_NS6detail17trampoline_kernelINS0_14default_configENS1_35adjacent_difference_config_selectorILb0EyEEZNS1_24adjacent_difference_implIS3_Lb0ELb0EPyS7_N6thrust23THRUST_200600_302600_NS4plusIyEEEE10hipError_tPvRmT2_T3_mT4_P12ihipStream_tbEUlT_E_NS1_11comp_targetILNS1_3genE4ELNS1_11target_archE910ELNS1_3gpuE8ELNS1_3repE0EEENS1_30default_config_static_selectorELNS0_4arch9wavefront6targetE1EEEvT1_
	.globl	_ZN7rocprim17ROCPRIM_400000_NS6detail17trampoline_kernelINS0_14default_configENS1_35adjacent_difference_config_selectorILb0EyEEZNS1_24adjacent_difference_implIS3_Lb0ELb0EPyS7_N6thrust23THRUST_200600_302600_NS4plusIyEEEE10hipError_tPvRmT2_T3_mT4_P12ihipStream_tbEUlT_E_NS1_11comp_targetILNS1_3genE4ELNS1_11target_archE910ELNS1_3gpuE8ELNS1_3repE0EEENS1_30default_config_static_selectorELNS0_4arch9wavefront6targetE1EEEvT1_
	.p2align	8
	.type	_ZN7rocprim17ROCPRIM_400000_NS6detail17trampoline_kernelINS0_14default_configENS1_35adjacent_difference_config_selectorILb0EyEEZNS1_24adjacent_difference_implIS3_Lb0ELb0EPyS7_N6thrust23THRUST_200600_302600_NS4plusIyEEEE10hipError_tPvRmT2_T3_mT4_P12ihipStream_tbEUlT_E_NS1_11comp_targetILNS1_3genE4ELNS1_11target_archE910ELNS1_3gpuE8ELNS1_3repE0EEENS1_30default_config_static_selectorELNS0_4arch9wavefront6targetE1EEEvT1_,@function
_ZN7rocprim17ROCPRIM_400000_NS6detail17trampoline_kernelINS0_14default_configENS1_35adjacent_difference_config_selectorILb0EyEEZNS1_24adjacent_difference_implIS3_Lb0ELb0EPyS7_N6thrust23THRUST_200600_302600_NS4plusIyEEEE10hipError_tPvRmT2_T3_mT4_P12ihipStream_tbEUlT_E_NS1_11comp_targetILNS1_3genE4ELNS1_11target_archE910ELNS1_3gpuE8ELNS1_3repE0EEENS1_30default_config_static_selectorELNS0_4arch9wavefront6targetE1EEEvT1_: ; @_ZN7rocprim17ROCPRIM_400000_NS6detail17trampoline_kernelINS0_14default_configENS1_35adjacent_difference_config_selectorILb0EyEEZNS1_24adjacent_difference_implIS3_Lb0ELb0EPyS7_N6thrust23THRUST_200600_302600_NS4plusIyEEEE10hipError_tPvRmT2_T3_mT4_P12ihipStream_tbEUlT_E_NS1_11comp_targetILNS1_3genE4ELNS1_11target_archE910ELNS1_3gpuE8ELNS1_3repE0EEENS1_30default_config_static_selectorELNS0_4arch9wavefront6targetE1EEEvT1_
; %bb.0:
	.section	.rodata,"a",@progbits
	.p2align	6, 0x0
	.amdhsa_kernel _ZN7rocprim17ROCPRIM_400000_NS6detail17trampoline_kernelINS0_14default_configENS1_35adjacent_difference_config_selectorILb0EyEEZNS1_24adjacent_difference_implIS3_Lb0ELb0EPyS7_N6thrust23THRUST_200600_302600_NS4plusIyEEEE10hipError_tPvRmT2_T3_mT4_P12ihipStream_tbEUlT_E_NS1_11comp_targetILNS1_3genE4ELNS1_11target_archE910ELNS1_3gpuE8ELNS1_3repE0EEENS1_30default_config_static_selectorELNS0_4arch9wavefront6targetE1EEEvT1_
		.amdhsa_group_segment_fixed_size 0
		.amdhsa_private_segment_fixed_size 0
		.amdhsa_kernarg_size 56
		.amdhsa_user_sgpr_count 6
		.amdhsa_user_sgpr_private_segment_buffer 1
		.amdhsa_user_sgpr_dispatch_ptr 0
		.amdhsa_user_sgpr_queue_ptr 0
		.amdhsa_user_sgpr_kernarg_segment_ptr 1
		.amdhsa_user_sgpr_dispatch_id 0
		.amdhsa_user_sgpr_flat_scratch_init 0
		.amdhsa_user_sgpr_private_segment_size 0
		.amdhsa_uses_dynamic_stack 0
		.amdhsa_system_sgpr_private_segment_wavefront_offset 0
		.amdhsa_system_sgpr_workgroup_id_x 1
		.amdhsa_system_sgpr_workgroup_id_y 0
		.amdhsa_system_sgpr_workgroup_id_z 0
		.amdhsa_system_sgpr_workgroup_info 0
		.amdhsa_system_vgpr_workitem_id 0
		.amdhsa_next_free_vgpr 1
		.amdhsa_next_free_sgpr 0
		.amdhsa_reserve_vcc 0
		.amdhsa_reserve_flat_scratch 0
		.amdhsa_float_round_mode_32 0
		.amdhsa_float_round_mode_16_64 0
		.amdhsa_float_denorm_mode_32 3
		.amdhsa_float_denorm_mode_16_64 3
		.amdhsa_dx10_clamp 1
		.amdhsa_ieee_mode 1
		.amdhsa_fp16_overflow 0
		.amdhsa_exception_fp_ieee_invalid_op 0
		.amdhsa_exception_fp_denorm_src 0
		.amdhsa_exception_fp_ieee_div_zero 0
		.amdhsa_exception_fp_ieee_overflow 0
		.amdhsa_exception_fp_ieee_underflow 0
		.amdhsa_exception_fp_ieee_inexact 0
		.amdhsa_exception_int_div_zero 0
	.end_amdhsa_kernel
	.section	.text._ZN7rocprim17ROCPRIM_400000_NS6detail17trampoline_kernelINS0_14default_configENS1_35adjacent_difference_config_selectorILb0EyEEZNS1_24adjacent_difference_implIS3_Lb0ELb0EPyS7_N6thrust23THRUST_200600_302600_NS4plusIyEEEE10hipError_tPvRmT2_T3_mT4_P12ihipStream_tbEUlT_E_NS1_11comp_targetILNS1_3genE4ELNS1_11target_archE910ELNS1_3gpuE8ELNS1_3repE0EEENS1_30default_config_static_selectorELNS0_4arch9wavefront6targetE1EEEvT1_,"axG",@progbits,_ZN7rocprim17ROCPRIM_400000_NS6detail17trampoline_kernelINS0_14default_configENS1_35adjacent_difference_config_selectorILb0EyEEZNS1_24adjacent_difference_implIS3_Lb0ELb0EPyS7_N6thrust23THRUST_200600_302600_NS4plusIyEEEE10hipError_tPvRmT2_T3_mT4_P12ihipStream_tbEUlT_E_NS1_11comp_targetILNS1_3genE4ELNS1_11target_archE910ELNS1_3gpuE8ELNS1_3repE0EEENS1_30default_config_static_selectorELNS0_4arch9wavefront6targetE1EEEvT1_,comdat
.Lfunc_end132:
	.size	_ZN7rocprim17ROCPRIM_400000_NS6detail17trampoline_kernelINS0_14default_configENS1_35adjacent_difference_config_selectorILb0EyEEZNS1_24adjacent_difference_implIS3_Lb0ELb0EPyS7_N6thrust23THRUST_200600_302600_NS4plusIyEEEE10hipError_tPvRmT2_T3_mT4_P12ihipStream_tbEUlT_E_NS1_11comp_targetILNS1_3genE4ELNS1_11target_archE910ELNS1_3gpuE8ELNS1_3repE0EEENS1_30default_config_static_selectorELNS0_4arch9wavefront6targetE1EEEvT1_, .Lfunc_end132-_ZN7rocprim17ROCPRIM_400000_NS6detail17trampoline_kernelINS0_14default_configENS1_35adjacent_difference_config_selectorILb0EyEEZNS1_24adjacent_difference_implIS3_Lb0ELb0EPyS7_N6thrust23THRUST_200600_302600_NS4plusIyEEEE10hipError_tPvRmT2_T3_mT4_P12ihipStream_tbEUlT_E_NS1_11comp_targetILNS1_3genE4ELNS1_11target_archE910ELNS1_3gpuE8ELNS1_3repE0EEENS1_30default_config_static_selectorELNS0_4arch9wavefront6targetE1EEEvT1_
                                        ; -- End function
	.set _ZN7rocprim17ROCPRIM_400000_NS6detail17trampoline_kernelINS0_14default_configENS1_35adjacent_difference_config_selectorILb0EyEEZNS1_24adjacent_difference_implIS3_Lb0ELb0EPyS7_N6thrust23THRUST_200600_302600_NS4plusIyEEEE10hipError_tPvRmT2_T3_mT4_P12ihipStream_tbEUlT_E_NS1_11comp_targetILNS1_3genE4ELNS1_11target_archE910ELNS1_3gpuE8ELNS1_3repE0EEENS1_30default_config_static_selectorELNS0_4arch9wavefront6targetE1EEEvT1_.num_vgpr, 0
	.set _ZN7rocprim17ROCPRIM_400000_NS6detail17trampoline_kernelINS0_14default_configENS1_35adjacent_difference_config_selectorILb0EyEEZNS1_24adjacent_difference_implIS3_Lb0ELb0EPyS7_N6thrust23THRUST_200600_302600_NS4plusIyEEEE10hipError_tPvRmT2_T3_mT4_P12ihipStream_tbEUlT_E_NS1_11comp_targetILNS1_3genE4ELNS1_11target_archE910ELNS1_3gpuE8ELNS1_3repE0EEENS1_30default_config_static_selectorELNS0_4arch9wavefront6targetE1EEEvT1_.num_agpr, 0
	.set _ZN7rocprim17ROCPRIM_400000_NS6detail17trampoline_kernelINS0_14default_configENS1_35adjacent_difference_config_selectorILb0EyEEZNS1_24adjacent_difference_implIS3_Lb0ELb0EPyS7_N6thrust23THRUST_200600_302600_NS4plusIyEEEE10hipError_tPvRmT2_T3_mT4_P12ihipStream_tbEUlT_E_NS1_11comp_targetILNS1_3genE4ELNS1_11target_archE910ELNS1_3gpuE8ELNS1_3repE0EEENS1_30default_config_static_selectorELNS0_4arch9wavefront6targetE1EEEvT1_.numbered_sgpr, 0
	.set _ZN7rocprim17ROCPRIM_400000_NS6detail17trampoline_kernelINS0_14default_configENS1_35adjacent_difference_config_selectorILb0EyEEZNS1_24adjacent_difference_implIS3_Lb0ELb0EPyS7_N6thrust23THRUST_200600_302600_NS4plusIyEEEE10hipError_tPvRmT2_T3_mT4_P12ihipStream_tbEUlT_E_NS1_11comp_targetILNS1_3genE4ELNS1_11target_archE910ELNS1_3gpuE8ELNS1_3repE0EEENS1_30default_config_static_selectorELNS0_4arch9wavefront6targetE1EEEvT1_.num_named_barrier, 0
	.set _ZN7rocprim17ROCPRIM_400000_NS6detail17trampoline_kernelINS0_14default_configENS1_35adjacent_difference_config_selectorILb0EyEEZNS1_24adjacent_difference_implIS3_Lb0ELb0EPyS7_N6thrust23THRUST_200600_302600_NS4plusIyEEEE10hipError_tPvRmT2_T3_mT4_P12ihipStream_tbEUlT_E_NS1_11comp_targetILNS1_3genE4ELNS1_11target_archE910ELNS1_3gpuE8ELNS1_3repE0EEENS1_30default_config_static_selectorELNS0_4arch9wavefront6targetE1EEEvT1_.private_seg_size, 0
	.set _ZN7rocprim17ROCPRIM_400000_NS6detail17trampoline_kernelINS0_14default_configENS1_35adjacent_difference_config_selectorILb0EyEEZNS1_24adjacent_difference_implIS3_Lb0ELb0EPyS7_N6thrust23THRUST_200600_302600_NS4plusIyEEEE10hipError_tPvRmT2_T3_mT4_P12ihipStream_tbEUlT_E_NS1_11comp_targetILNS1_3genE4ELNS1_11target_archE910ELNS1_3gpuE8ELNS1_3repE0EEENS1_30default_config_static_selectorELNS0_4arch9wavefront6targetE1EEEvT1_.uses_vcc, 0
	.set _ZN7rocprim17ROCPRIM_400000_NS6detail17trampoline_kernelINS0_14default_configENS1_35adjacent_difference_config_selectorILb0EyEEZNS1_24adjacent_difference_implIS3_Lb0ELb0EPyS7_N6thrust23THRUST_200600_302600_NS4plusIyEEEE10hipError_tPvRmT2_T3_mT4_P12ihipStream_tbEUlT_E_NS1_11comp_targetILNS1_3genE4ELNS1_11target_archE910ELNS1_3gpuE8ELNS1_3repE0EEENS1_30default_config_static_selectorELNS0_4arch9wavefront6targetE1EEEvT1_.uses_flat_scratch, 0
	.set _ZN7rocprim17ROCPRIM_400000_NS6detail17trampoline_kernelINS0_14default_configENS1_35adjacent_difference_config_selectorILb0EyEEZNS1_24adjacent_difference_implIS3_Lb0ELb0EPyS7_N6thrust23THRUST_200600_302600_NS4plusIyEEEE10hipError_tPvRmT2_T3_mT4_P12ihipStream_tbEUlT_E_NS1_11comp_targetILNS1_3genE4ELNS1_11target_archE910ELNS1_3gpuE8ELNS1_3repE0EEENS1_30default_config_static_selectorELNS0_4arch9wavefront6targetE1EEEvT1_.has_dyn_sized_stack, 0
	.set _ZN7rocprim17ROCPRIM_400000_NS6detail17trampoline_kernelINS0_14default_configENS1_35adjacent_difference_config_selectorILb0EyEEZNS1_24adjacent_difference_implIS3_Lb0ELb0EPyS7_N6thrust23THRUST_200600_302600_NS4plusIyEEEE10hipError_tPvRmT2_T3_mT4_P12ihipStream_tbEUlT_E_NS1_11comp_targetILNS1_3genE4ELNS1_11target_archE910ELNS1_3gpuE8ELNS1_3repE0EEENS1_30default_config_static_selectorELNS0_4arch9wavefront6targetE1EEEvT1_.has_recursion, 0
	.set _ZN7rocprim17ROCPRIM_400000_NS6detail17trampoline_kernelINS0_14default_configENS1_35adjacent_difference_config_selectorILb0EyEEZNS1_24adjacent_difference_implIS3_Lb0ELb0EPyS7_N6thrust23THRUST_200600_302600_NS4plusIyEEEE10hipError_tPvRmT2_T3_mT4_P12ihipStream_tbEUlT_E_NS1_11comp_targetILNS1_3genE4ELNS1_11target_archE910ELNS1_3gpuE8ELNS1_3repE0EEENS1_30default_config_static_selectorELNS0_4arch9wavefront6targetE1EEEvT1_.has_indirect_call, 0
	.section	.AMDGPU.csdata,"",@progbits
; Kernel info:
; codeLenInByte = 0
; TotalNumSgprs: 4
; NumVgprs: 0
; ScratchSize: 0
; MemoryBound: 0
; FloatMode: 240
; IeeeMode: 1
; LDSByteSize: 0 bytes/workgroup (compile time only)
; SGPRBlocks: 0
; VGPRBlocks: 0
; NumSGPRsForWavesPerEU: 4
; NumVGPRsForWavesPerEU: 1
; Occupancy: 10
; WaveLimiterHint : 0
; COMPUTE_PGM_RSRC2:SCRATCH_EN: 0
; COMPUTE_PGM_RSRC2:USER_SGPR: 6
; COMPUTE_PGM_RSRC2:TRAP_HANDLER: 0
; COMPUTE_PGM_RSRC2:TGID_X_EN: 1
; COMPUTE_PGM_RSRC2:TGID_Y_EN: 0
; COMPUTE_PGM_RSRC2:TGID_Z_EN: 0
; COMPUTE_PGM_RSRC2:TIDIG_COMP_CNT: 0
	.section	.text._ZN7rocprim17ROCPRIM_400000_NS6detail17trampoline_kernelINS0_14default_configENS1_35adjacent_difference_config_selectorILb0EyEEZNS1_24adjacent_difference_implIS3_Lb0ELb0EPyS7_N6thrust23THRUST_200600_302600_NS4plusIyEEEE10hipError_tPvRmT2_T3_mT4_P12ihipStream_tbEUlT_E_NS1_11comp_targetILNS1_3genE3ELNS1_11target_archE908ELNS1_3gpuE7ELNS1_3repE0EEENS1_30default_config_static_selectorELNS0_4arch9wavefront6targetE1EEEvT1_,"axG",@progbits,_ZN7rocprim17ROCPRIM_400000_NS6detail17trampoline_kernelINS0_14default_configENS1_35adjacent_difference_config_selectorILb0EyEEZNS1_24adjacent_difference_implIS3_Lb0ELb0EPyS7_N6thrust23THRUST_200600_302600_NS4plusIyEEEE10hipError_tPvRmT2_T3_mT4_P12ihipStream_tbEUlT_E_NS1_11comp_targetILNS1_3genE3ELNS1_11target_archE908ELNS1_3gpuE7ELNS1_3repE0EEENS1_30default_config_static_selectorELNS0_4arch9wavefront6targetE1EEEvT1_,comdat
	.protected	_ZN7rocprim17ROCPRIM_400000_NS6detail17trampoline_kernelINS0_14default_configENS1_35adjacent_difference_config_selectorILb0EyEEZNS1_24adjacent_difference_implIS3_Lb0ELb0EPyS7_N6thrust23THRUST_200600_302600_NS4plusIyEEEE10hipError_tPvRmT2_T3_mT4_P12ihipStream_tbEUlT_E_NS1_11comp_targetILNS1_3genE3ELNS1_11target_archE908ELNS1_3gpuE7ELNS1_3repE0EEENS1_30default_config_static_selectorELNS0_4arch9wavefront6targetE1EEEvT1_ ; -- Begin function _ZN7rocprim17ROCPRIM_400000_NS6detail17trampoline_kernelINS0_14default_configENS1_35adjacent_difference_config_selectorILb0EyEEZNS1_24adjacent_difference_implIS3_Lb0ELb0EPyS7_N6thrust23THRUST_200600_302600_NS4plusIyEEEE10hipError_tPvRmT2_T3_mT4_P12ihipStream_tbEUlT_E_NS1_11comp_targetILNS1_3genE3ELNS1_11target_archE908ELNS1_3gpuE7ELNS1_3repE0EEENS1_30default_config_static_selectorELNS0_4arch9wavefront6targetE1EEEvT1_
	.globl	_ZN7rocprim17ROCPRIM_400000_NS6detail17trampoline_kernelINS0_14default_configENS1_35adjacent_difference_config_selectorILb0EyEEZNS1_24adjacent_difference_implIS3_Lb0ELb0EPyS7_N6thrust23THRUST_200600_302600_NS4plusIyEEEE10hipError_tPvRmT2_T3_mT4_P12ihipStream_tbEUlT_E_NS1_11comp_targetILNS1_3genE3ELNS1_11target_archE908ELNS1_3gpuE7ELNS1_3repE0EEENS1_30default_config_static_selectorELNS0_4arch9wavefront6targetE1EEEvT1_
	.p2align	8
	.type	_ZN7rocprim17ROCPRIM_400000_NS6detail17trampoline_kernelINS0_14default_configENS1_35adjacent_difference_config_selectorILb0EyEEZNS1_24adjacent_difference_implIS3_Lb0ELb0EPyS7_N6thrust23THRUST_200600_302600_NS4plusIyEEEE10hipError_tPvRmT2_T3_mT4_P12ihipStream_tbEUlT_E_NS1_11comp_targetILNS1_3genE3ELNS1_11target_archE908ELNS1_3gpuE7ELNS1_3repE0EEENS1_30default_config_static_selectorELNS0_4arch9wavefront6targetE1EEEvT1_,@function
_ZN7rocprim17ROCPRIM_400000_NS6detail17trampoline_kernelINS0_14default_configENS1_35adjacent_difference_config_selectorILb0EyEEZNS1_24adjacent_difference_implIS3_Lb0ELb0EPyS7_N6thrust23THRUST_200600_302600_NS4plusIyEEEE10hipError_tPvRmT2_T3_mT4_P12ihipStream_tbEUlT_E_NS1_11comp_targetILNS1_3genE3ELNS1_11target_archE908ELNS1_3gpuE7ELNS1_3repE0EEENS1_30default_config_static_selectorELNS0_4arch9wavefront6targetE1EEEvT1_: ; @_ZN7rocprim17ROCPRIM_400000_NS6detail17trampoline_kernelINS0_14default_configENS1_35adjacent_difference_config_selectorILb0EyEEZNS1_24adjacent_difference_implIS3_Lb0ELb0EPyS7_N6thrust23THRUST_200600_302600_NS4plusIyEEEE10hipError_tPvRmT2_T3_mT4_P12ihipStream_tbEUlT_E_NS1_11comp_targetILNS1_3genE3ELNS1_11target_archE908ELNS1_3gpuE7ELNS1_3repE0EEENS1_30default_config_static_selectorELNS0_4arch9wavefront6targetE1EEEvT1_
; %bb.0:
	.section	.rodata,"a",@progbits
	.p2align	6, 0x0
	.amdhsa_kernel _ZN7rocprim17ROCPRIM_400000_NS6detail17trampoline_kernelINS0_14default_configENS1_35adjacent_difference_config_selectorILb0EyEEZNS1_24adjacent_difference_implIS3_Lb0ELb0EPyS7_N6thrust23THRUST_200600_302600_NS4plusIyEEEE10hipError_tPvRmT2_T3_mT4_P12ihipStream_tbEUlT_E_NS1_11comp_targetILNS1_3genE3ELNS1_11target_archE908ELNS1_3gpuE7ELNS1_3repE0EEENS1_30default_config_static_selectorELNS0_4arch9wavefront6targetE1EEEvT1_
		.amdhsa_group_segment_fixed_size 0
		.amdhsa_private_segment_fixed_size 0
		.amdhsa_kernarg_size 56
		.amdhsa_user_sgpr_count 6
		.amdhsa_user_sgpr_private_segment_buffer 1
		.amdhsa_user_sgpr_dispatch_ptr 0
		.amdhsa_user_sgpr_queue_ptr 0
		.amdhsa_user_sgpr_kernarg_segment_ptr 1
		.amdhsa_user_sgpr_dispatch_id 0
		.amdhsa_user_sgpr_flat_scratch_init 0
		.amdhsa_user_sgpr_private_segment_size 0
		.amdhsa_uses_dynamic_stack 0
		.amdhsa_system_sgpr_private_segment_wavefront_offset 0
		.amdhsa_system_sgpr_workgroup_id_x 1
		.amdhsa_system_sgpr_workgroup_id_y 0
		.amdhsa_system_sgpr_workgroup_id_z 0
		.amdhsa_system_sgpr_workgroup_info 0
		.amdhsa_system_vgpr_workitem_id 0
		.amdhsa_next_free_vgpr 1
		.amdhsa_next_free_sgpr 0
		.amdhsa_reserve_vcc 0
		.amdhsa_reserve_flat_scratch 0
		.amdhsa_float_round_mode_32 0
		.amdhsa_float_round_mode_16_64 0
		.amdhsa_float_denorm_mode_32 3
		.amdhsa_float_denorm_mode_16_64 3
		.amdhsa_dx10_clamp 1
		.amdhsa_ieee_mode 1
		.amdhsa_fp16_overflow 0
		.amdhsa_exception_fp_ieee_invalid_op 0
		.amdhsa_exception_fp_denorm_src 0
		.amdhsa_exception_fp_ieee_div_zero 0
		.amdhsa_exception_fp_ieee_overflow 0
		.amdhsa_exception_fp_ieee_underflow 0
		.amdhsa_exception_fp_ieee_inexact 0
		.amdhsa_exception_int_div_zero 0
	.end_amdhsa_kernel
	.section	.text._ZN7rocprim17ROCPRIM_400000_NS6detail17trampoline_kernelINS0_14default_configENS1_35adjacent_difference_config_selectorILb0EyEEZNS1_24adjacent_difference_implIS3_Lb0ELb0EPyS7_N6thrust23THRUST_200600_302600_NS4plusIyEEEE10hipError_tPvRmT2_T3_mT4_P12ihipStream_tbEUlT_E_NS1_11comp_targetILNS1_3genE3ELNS1_11target_archE908ELNS1_3gpuE7ELNS1_3repE0EEENS1_30default_config_static_selectorELNS0_4arch9wavefront6targetE1EEEvT1_,"axG",@progbits,_ZN7rocprim17ROCPRIM_400000_NS6detail17trampoline_kernelINS0_14default_configENS1_35adjacent_difference_config_selectorILb0EyEEZNS1_24adjacent_difference_implIS3_Lb0ELb0EPyS7_N6thrust23THRUST_200600_302600_NS4plusIyEEEE10hipError_tPvRmT2_T3_mT4_P12ihipStream_tbEUlT_E_NS1_11comp_targetILNS1_3genE3ELNS1_11target_archE908ELNS1_3gpuE7ELNS1_3repE0EEENS1_30default_config_static_selectorELNS0_4arch9wavefront6targetE1EEEvT1_,comdat
.Lfunc_end133:
	.size	_ZN7rocprim17ROCPRIM_400000_NS6detail17trampoline_kernelINS0_14default_configENS1_35adjacent_difference_config_selectorILb0EyEEZNS1_24adjacent_difference_implIS3_Lb0ELb0EPyS7_N6thrust23THRUST_200600_302600_NS4plusIyEEEE10hipError_tPvRmT2_T3_mT4_P12ihipStream_tbEUlT_E_NS1_11comp_targetILNS1_3genE3ELNS1_11target_archE908ELNS1_3gpuE7ELNS1_3repE0EEENS1_30default_config_static_selectorELNS0_4arch9wavefront6targetE1EEEvT1_, .Lfunc_end133-_ZN7rocprim17ROCPRIM_400000_NS6detail17trampoline_kernelINS0_14default_configENS1_35adjacent_difference_config_selectorILb0EyEEZNS1_24adjacent_difference_implIS3_Lb0ELb0EPyS7_N6thrust23THRUST_200600_302600_NS4plusIyEEEE10hipError_tPvRmT2_T3_mT4_P12ihipStream_tbEUlT_E_NS1_11comp_targetILNS1_3genE3ELNS1_11target_archE908ELNS1_3gpuE7ELNS1_3repE0EEENS1_30default_config_static_selectorELNS0_4arch9wavefront6targetE1EEEvT1_
                                        ; -- End function
	.set _ZN7rocprim17ROCPRIM_400000_NS6detail17trampoline_kernelINS0_14default_configENS1_35adjacent_difference_config_selectorILb0EyEEZNS1_24adjacent_difference_implIS3_Lb0ELb0EPyS7_N6thrust23THRUST_200600_302600_NS4plusIyEEEE10hipError_tPvRmT2_T3_mT4_P12ihipStream_tbEUlT_E_NS1_11comp_targetILNS1_3genE3ELNS1_11target_archE908ELNS1_3gpuE7ELNS1_3repE0EEENS1_30default_config_static_selectorELNS0_4arch9wavefront6targetE1EEEvT1_.num_vgpr, 0
	.set _ZN7rocprim17ROCPRIM_400000_NS6detail17trampoline_kernelINS0_14default_configENS1_35adjacent_difference_config_selectorILb0EyEEZNS1_24adjacent_difference_implIS3_Lb0ELb0EPyS7_N6thrust23THRUST_200600_302600_NS4plusIyEEEE10hipError_tPvRmT2_T3_mT4_P12ihipStream_tbEUlT_E_NS1_11comp_targetILNS1_3genE3ELNS1_11target_archE908ELNS1_3gpuE7ELNS1_3repE0EEENS1_30default_config_static_selectorELNS0_4arch9wavefront6targetE1EEEvT1_.num_agpr, 0
	.set _ZN7rocprim17ROCPRIM_400000_NS6detail17trampoline_kernelINS0_14default_configENS1_35adjacent_difference_config_selectorILb0EyEEZNS1_24adjacent_difference_implIS3_Lb0ELb0EPyS7_N6thrust23THRUST_200600_302600_NS4plusIyEEEE10hipError_tPvRmT2_T3_mT4_P12ihipStream_tbEUlT_E_NS1_11comp_targetILNS1_3genE3ELNS1_11target_archE908ELNS1_3gpuE7ELNS1_3repE0EEENS1_30default_config_static_selectorELNS0_4arch9wavefront6targetE1EEEvT1_.numbered_sgpr, 0
	.set _ZN7rocprim17ROCPRIM_400000_NS6detail17trampoline_kernelINS0_14default_configENS1_35adjacent_difference_config_selectorILb0EyEEZNS1_24adjacent_difference_implIS3_Lb0ELb0EPyS7_N6thrust23THRUST_200600_302600_NS4plusIyEEEE10hipError_tPvRmT2_T3_mT4_P12ihipStream_tbEUlT_E_NS1_11comp_targetILNS1_3genE3ELNS1_11target_archE908ELNS1_3gpuE7ELNS1_3repE0EEENS1_30default_config_static_selectorELNS0_4arch9wavefront6targetE1EEEvT1_.num_named_barrier, 0
	.set _ZN7rocprim17ROCPRIM_400000_NS6detail17trampoline_kernelINS0_14default_configENS1_35adjacent_difference_config_selectorILb0EyEEZNS1_24adjacent_difference_implIS3_Lb0ELb0EPyS7_N6thrust23THRUST_200600_302600_NS4plusIyEEEE10hipError_tPvRmT2_T3_mT4_P12ihipStream_tbEUlT_E_NS1_11comp_targetILNS1_3genE3ELNS1_11target_archE908ELNS1_3gpuE7ELNS1_3repE0EEENS1_30default_config_static_selectorELNS0_4arch9wavefront6targetE1EEEvT1_.private_seg_size, 0
	.set _ZN7rocprim17ROCPRIM_400000_NS6detail17trampoline_kernelINS0_14default_configENS1_35adjacent_difference_config_selectorILb0EyEEZNS1_24adjacent_difference_implIS3_Lb0ELb0EPyS7_N6thrust23THRUST_200600_302600_NS4plusIyEEEE10hipError_tPvRmT2_T3_mT4_P12ihipStream_tbEUlT_E_NS1_11comp_targetILNS1_3genE3ELNS1_11target_archE908ELNS1_3gpuE7ELNS1_3repE0EEENS1_30default_config_static_selectorELNS0_4arch9wavefront6targetE1EEEvT1_.uses_vcc, 0
	.set _ZN7rocprim17ROCPRIM_400000_NS6detail17trampoline_kernelINS0_14default_configENS1_35adjacent_difference_config_selectorILb0EyEEZNS1_24adjacent_difference_implIS3_Lb0ELb0EPyS7_N6thrust23THRUST_200600_302600_NS4plusIyEEEE10hipError_tPvRmT2_T3_mT4_P12ihipStream_tbEUlT_E_NS1_11comp_targetILNS1_3genE3ELNS1_11target_archE908ELNS1_3gpuE7ELNS1_3repE0EEENS1_30default_config_static_selectorELNS0_4arch9wavefront6targetE1EEEvT1_.uses_flat_scratch, 0
	.set _ZN7rocprim17ROCPRIM_400000_NS6detail17trampoline_kernelINS0_14default_configENS1_35adjacent_difference_config_selectorILb0EyEEZNS1_24adjacent_difference_implIS3_Lb0ELb0EPyS7_N6thrust23THRUST_200600_302600_NS4plusIyEEEE10hipError_tPvRmT2_T3_mT4_P12ihipStream_tbEUlT_E_NS1_11comp_targetILNS1_3genE3ELNS1_11target_archE908ELNS1_3gpuE7ELNS1_3repE0EEENS1_30default_config_static_selectorELNS0_4arch9wavefront6targetE1EEEvT1_.has_dyn_sized_stack, 0
	.set _ZN7rocprim17ROCPRIM_400000_NS6detail17trampoline_kernelINS0_14default_configENS1_35adjacent_difference_config_selectorILb0EyEEZNS1_24adjacent_difference_implIS3_Lb0ELb0EPyS7_N6thrust23THRUST_200600_302600_NS4plusIyEEEE10hipError_tPvRmT2_T3_mT4_P12ihipStream_tbEUlT_E_NS1_11comp_targetILNS1_3genE3ELNS1_11target_archE908ELNS1_3gpuE7ELNS1_3repE0EEENS1_30default_config_static_selectorELNS0_4arch9wavefront6targetE1EEEvT1_.has_recursion, 0
	.set _ZN7rocprim17ROCPRIM_400000_NS6detail17trampoline_kernelINS0_14default_configENS1_35adjacent_difference_config_selectorILb0EyEEZNS1_24adjacent_difference_implIS3_Lb0ELb0EPyS7_N6thrust23THRUST_200600_302600_NS4plusIyEEEE10hipError_tPvRmT2_T3_mT4_P12ihipStream_tbEUlT_E_NS1_11comp_targetILNS1_3genE3ELNS1_11target_archE908ELNS1_3gpuE7ELNS1_3repE0EEENS1_30default_config_static_selectorELNS0_4arch9wavefront6targetE1EEEvT1_.has_indirect_call, 0
	.section	.AMDGPU.csdata,"",@progbits
; Kernel info:
; codeLenInByte = 0
; TotalNumSgprs: 4
; NumVgprs: 0
; ScratchSize: 0
; MemoryBound: 0
; FloatMode: 240
; IeeeMode: 1
; LDSByteSize: 0 bytes/workgroup (compile time only)
; SGPRBlocks: 0
; VGPRBlocks: 0
; NumSGPRsForWavesPerEU: 4
; NumVGPRsForWavesPerEU: 1
; Occupancy: 10
; WaveLimiterHint : 0
; COMPUTE_PGM_RSRC2:SCRATCH_EN: 0
; COMPUTE_PGM_RSRC2:USER_SGPR: 6
; COMPUTE_PGM_RSRC2:TRAP_HANDLER: 0
; COMPUTE_PGM_RSRC2:TGID_X_EN: 1
; COMPUTE_PGM_RSRC2:TGID_Y_EN: 0
; COMPUTE_PGM_RSRC2:TGID_Z_EN: 0
; COMPUTE_PGM_RSRC2:TIDIG_COMP_CNT: 0
	.section	.text._ZN7rocprim17ROCPRIM_400000_NS6detail17trampoline_kernelINS0_14default_configENS1_35adjacent_difference_config_selectorILb0EyEEZNS1_24adjacent_difference_implIS3_Lb0ELb0EPyS7_N6thrust23THRUST_200600_302600_NS4plusIyEEEE10hipError_tPvRmT2_T3_mT4_P12ihipStream_tbEUlT_E_NS1_11comp_targetILNS1_3genE2ELNS1_11target_archE906ELNS1_3gpuE6ELNS1_3repE0EEENS1_30default_config_static_selectorELNS0_4arch9wavefront6targetE1EEEvT1_,"axG",@progbits,_ZN7rocprim17ROCPRIM_400000_NS6detail17trampoline_kernelINS0_14default_configENS1_35adjacent_difference_config_selectorILb0EyEEZNS1_24adjacent_difference_implIS3_Lb0ELb0EPyS7_N6thrust23THRUST_200600_302600_NS4plusIyEEEE10hipError_tPvRmT2_T3_mT4_P12ihipStream_tbEUlT_E_NS1_11comp_targetILNS1_3genE2ELNS1_11target_archE906ELNS1_3gpuE6ELNS1_3repE0EEENS1_30default_config_static_selectorELNS0_4arch9wavefront6targetE1EEEvT1_,comdat
	.protected	_ZN7rocprim17ROCPRIM_400000_NS6detail17trampoline_kernelINS0_14default_configENS1_35adjacent_difference_config_selectorILb0EyEEZNS1_24adjacent_difference_implIS3_Lb0ELb0EPyS7_N6thrust23THRUST_200600_302600_NS4plusIyEEEE10hipError_tPvRmT2_T3_mT4_P12ihipStream_tbEUlT_E_NS1_11comp_targetILNS1_3genE2ELNS1_11target_archE906ELNS1_3gpuE6ELNS1_3repE0EEENS1_30default_config_static_selectorELNS0_4arch9wavefront6targetE1EEEvT1_ ; -- Begin function _ZN7rocprim17ROCPRIM_400000_NS6detail17trampoline_kernelINS0_14default_configENS1_35adjacent_difference_config_selectorILb0EyEEZNS1_24adjacent_difference_implIS3_Lb0ELb0EPyS7_N6thrust23THRUST_200600_302600_NS4plusIyEEEE10hipError_tPvRmT2_T3_mT4_P12ihipStream_tbEUlT_E_NS1_11comp_targetILNS1_3genE2ELNS1_11target_archE906ELNS1_3gpuE6ELNS1_3repE0EEENS1_30default_config_static_selectorELNS0_4arch9wavefront6targetE1EEEvT1_
	.globl	_ZN7rocprim17ROCPRIM_400000_NS6detail17trampoline_kernelINS0_14default_configENS1_35adjacent_difference_config_selectorILb0EyEEZNS1_24adjacent_difference_implIS3_Lb0ELb0EPyS7_N6thrust23THRUST_200600_302600_NS4plusIyEEEE10hipError_tPvRmT2_T3_mT4_P12ihipStream_tbEUlT_E_NS1_11comp_targetILNS1_3genE2ELNS1_11target_archE906ELNS1_3gpuE6ELNS1_3repE0EEENS1_30default_config_static_selectorELNS0_4arch9wavefront6targetE1EEEvT1_
	.p2align	8
	.type	_ZN7rocprim17ROCPRIM_400000_NS6detail17trampoline_kernelINS0_14default_configENS1_35adjacent_difference_config_selectorILb0EyEEZNS1_24adjacent_difference_implIS3_Lb0ELb0EPyS7_N6thrust23THRUST_200600_302600_NS4plusIyEEEE10hipError_tPvRmT2_T3_mT4_P12ihipStream_tbEUlT_E_NS1_11comp_targetILNS1_3genE2ELNS1_11target_archE906ELNS1_3gpuE6ELNS1_3repE0EEENS1_30default_config_static_selectorELNS0_4arch9wavefront6targetE1EEEvT1_,@function
_ZN7rocprim17ROCPRIM_400000_NS6detail17trampoline_kernelINS0_14default_configENS1_35adjacent_difference_config_selectorILb0EyEEZNS1_24adjacent_difference_implIS3_Lb0ELb0EPyS7_N6thrust23THRUST_200600_302600_NS4plusIyEEEE10hipError_tPvRmT2_T3_mT4_P12ihipStream_tbEUlT_E_NS1_11comp_targetILNS1_3genE2ELNS1_11target_archE906ELNS1_3gpuE6ELNS1_3repE0EEENS1_30default_config_static_selectorELNS0_4arch9wavefront6targetE1EEEvT1_: ; @_ZN7rocprim17ROCPRIM_400000_NS6detail17trampoline_kernelINS0_14default_configENS1_35adjacent_difference_config_selectorILb0EyEEZNS1_24adjacent_difference_implIS3_Lb0ELb0EPyS7_N6thrust23THRUST_200600_302600_NS4plusIyEEEE10hipError_tPvRmT2_T3_mT4_P12ihipStream_tbEUlT_E_NS1_11comp_targetILNS1_3genE2ELNS1_11target_archE906ELNS1_3gpuE6ELNS1_3repE0EEENS1_30default_config_static_selectorELNS0_4arch9wavefront6targetE1EEEvT1_
; %bb.0:
	s_load_dwordx8 s[8:15], s[4:5], 0x0
	s_load_dwordx2 s[0:1], s[4:5], 0x30
	s_mov_b32 s5, 0
	s_mov_b64 s[16:17], -1
	s_waitcnt lgkmcnt(0)
	s_lshl_b64 s[10:11], s[10:11], 3
	s_add_u32 s20, s8, s10
	s_addc_u32 s21, s9, s11
	s_lshl_b32 s4, s6, 8
	s_lshr_b64 s[2:3], s[14:15], 8
	s_and_b32 s8, s14, 0xff
	s_mov_b32 s9, s5
	s_cmp_lg_u64 s[8:9], 0
	s_cselect_b64 s[8:9], -1, 0
	v_cndmask_b32_e64 v1, 0, 1, s[8:9]
	v_readfirstlane_b32 s7, v1
	s_add_u32 s2, s2, s7
	s_addc_u32 s3, s3, 0
	s_add_u32 s8, s0, s6
	s_addc_u32 s9, s1, 0
	s_add_u32 s6, s2, -1
	s_addc_u32 s7, s3, -1
	v_mov_b32_e32 v1, s6
	v_mov_b32_e32 v2, s7
	v_cmp_ge_u64_e64 s[0:1], s[8:9], v[1:2]
	s_and_b64 vcc, exec, s[0:1]
	s_cbranch_vccz .LBB134_6
; %bb.1:
	s_lshl_b32 s15, s6, 8
	s_sub_i32 s15, s14, s15
	s_lshl_b64 s[16:17], s[4:5], 3
	s_add_u32 s16, s20, s16
	v_mov_b32_e32 v1, 0
	s_addc_u32 s17, s21, s17
	v_cmp_gt_u32_e32 vcc, s15, v0
	v_mov_b32_e32 v2, v1
	v_mov_b32_e32 v3, v1
	v_mov_b32_e32 v4, v1
	s_and_saveexec_b64 s[18:19], vcc
	s_cbranch_execz .LBB134_3
; %bb.2:
	v_lshlrev_b32_e32 v2, 3, v0
	global_load_dwordx2 v[2:3], v2, s[16:17]
	v_mov_b32_e32 v4, v1
	v_mov_b32_e32 v5, v1
	s_waitcnt vmcnt(0)
	v_mov_b32_e32 v1, v2
	v_mov_b32_e32 v2, v3
	v_mov_b32_e32 v3, v4
	v_mov_b32_e32 v4, v5
.LBB134_3:
	s_or_b64 exec, exec, s[18:19]
	v_or_b32_e32 v5, 0x80, v0
	v_cmp_gt_u32_e32 vcc, s15, v5
	s_and_saveexec_b64 s[18:19], vcc
	s_cbranch_execz .LBB134_5
; %bb.4:
	v_lshlrev_b32_e32 v3, 3, v0
	global_load_dwordx2 v[3:4], v3, s[16:17] offset:1024
.LBB134_5:
	s_or_b64 exec, exec, s[18:19]
	v_lshrrev_b32_e32 v6, 2, v0
	v_and_b32_e32 v6, 24, v6
	v_lshlrev_b32_e32 v7, 3, v0
	v_add_u32_e32 v6, v6, v7
	ds_write_b64 v6, v[1:2]
	v_lshrrev_b32_e32 v1, 2, v5
	v_and_b32_e32 v1, 56, v1
	v_add_u32_e32 v1, v1, v7
	s_mov_b64 s[16:17], 0
	s_waitcnt vmcnt(0)
	ds_write_b64 v1, v[3:4] offset:1024
	s_waitcnt lgkmcnt(0)
	s_barrier
.LBB134_6:
	s_and_b64 vcc, exec, s[16:17]
	v_lshlrev_b32_e32 v9, 3, v0
	v_lshrrev_b32_e32 v10, 2, v0
	s_cbranch_vccz .LBB134_8
; %bb.7:
	s_lshl_b64 s[16:17], s[4:5], 3
	s_add_u32 s16, s20, s16
	s_addc_u32 s17, s21, s17
	global_load_dwordx2 v[1:2], v9, s[16:17]
	global_load_dwordx2 v[3:4], v9, s[16:17] offset:1024
	v_or_b32_e32 v6, 0x80, v0
	v_and_b32_e32 v5, 24, v10
	v_lshrrev_b32_e32 v6, 2, v6
	v_add_u32_e32 v5, v5, v9
	v_and_b32_e32 v6, 56, v6
	v_add_u32_e32 v6, v6, v9
	s_waitcnt vmcnt(1)
	ds_write_b64 v5, v[1:2]
	s_waitcnt vmcnt(0)
	ds_write_b64 v6, v[3:4] offset:1024
	s_waitcnt lgkmcnt(0)
	s_barrier
.LBB134_8:
	v_lshrrev_b32_e32 v1, 1, v0
	v_and_b32_e32 v1, 56, v1
	v_lshl_add_u32 v11, v0, 4, v1
	ds_read2_b64 v[1:4], v11 offset1:1
	s_cmp_eq_u64 s[8:9], 0
	s_waitcnt lgkmcnt(0)
	s_barrier
	s_cbranch_scc1 .LBB134_13
; %bb.9:
	s_lshl_b64 s[16:17], s[4:5], 3
	s_add_u32 s5, s20, s16
	s_addc_u32 s15, s21, s17
	s_add_u32 s16, s5, -8
	s_addc_u32 s17, s15, -1
	s_load_dwordx2 s[16:17], s[16:17], 0x0
	s_cmp_eq_u64 s[8:9], s[6:7]
	s_cbranch_scc1 .LBB134_14
; %bb.10:
	v_add_co_u32_e32 v5, vcc, v3, v1
	v_addc_co_u32_e32 v6, vcc, v4, v2, vcc
	s_waitcnt lgkmcnt(0)
	v_mov_b32_e32 v7, s16
	v_cmp_ne_u32_e32 vcc, 0, v0
	v_mov_b32_e32 v8, s17
	ds_write_b64 v9, v[3:4]
	s_waitcnt lgkmcnt(0)
	s_barrier
	s_and_saveexec_b64 s[18:19], vcc
; %bb.11:
	v_add_u32_e32 v7, -8, v9
	ds_read_b64 v[7:8], v7
; %bb.12:
	s_or_b64 exec, exec, s[18:19]
	s_cbranch_execz .LBB134_15
	s_branch .LBB134_18
.LBB134_13:
	s_mov_b64 s[8:9], 0
                                        ; implicit-def: $vgpr7_vgpr8
                                        ; implicit-def: $vgpr5_vgpr6
	s_branch .LBB134_19
.LBB134_14:
                                        ; implicit-def: $vgpr5_vgpr6
                                        ; implicit-def: $vgpr7_vgpr8
.LBB134_15:
	s_lshl_b32 s5, s8, 8
	v_lshlrev_b32_e32 v12, 1, v0
	s_sub_i32 s5, s14, s5
	v_or_b32_e32 v5, 1, v12
	v_cmp_gt_u32_e32 vcc, s5, v5
	v_cndmask_b32_e32 v5, 0, v1, vcc
	v_cndmask_b32_e32 v6, 0, v2, vcc
	v_add_co_u32_e32 v5, vcc, v5, v3
	v_addc_co_u32_e32 v6, vcc, v6, v4, vcc
	s_waitcnt lgkmcnt(0)
	v_mov_b32_e32 v7, s16
	v_cmp_ne_u32_e32 vcc, 0, v0
	v_mov_b32_e32 v8, s17
	ds_write_b64 v9, v[3:4]
	s_waitcnt lgkmcnt(0)
	s_barrier
	s_and_saveexec_b64 s[8:9], vcc
; %bb.16:
	v_add_u32_e32 v7, -8, v9
	ds_read_b64 v[7:8], v7
; %bb.17:
	s_or_b64 exec, exec, s[8:9]
	v_cmp_gt_u32_e32 vcc, s5, v12
	s_waitcnt lgkmcnt(0)
	v_cndmask_b32_e32 v8, 0, v8, vcc
	v_cndmask_b32_e32 v7, 0, v7, vcc
.LBB134_18:
	s_waitcnt lgkmcnt(0)
	s_mov_b64 s[8:9], -1
	s_cbranch_execnz .LBB134_27
.LBB134_19:
	s_cmp_lg_u64 s[2:3], 1
	v_cmp_ne_u32_e32 vcc, 0, v0
	s_cbranch_scc0 .LBB134_23
; %bb.20:
	v_add_co_u32_e64 v5, s[2:3], v3, v1
	v_addc_co_u32_e64 v6, s[2:3], v4, v2, s[2:3]
	ds_write_b64 v9, v[3:4]
	s_waitcnt lgkmcnt(0)
	s_barrier
                                        ; implicit-def: $vgpr7_vgpr8
	s_and_saveexec_b64 s[2:3], vcc
; %bb.21:
	v_add_u32_e32 v7, -8, v9
	ds_read_b64 v[7:8], v7
	s_or_b64 s[8:9], s[8:9], exec
; %bb.22:
	s_or_b64 exec, exec, s[2:3]
	s_branch .LBB134_27
.LBB134_23:
                                        ; implicit-def: $vgpr5_vgpr6
                                        ; implicit-def: $vgpr7_vgpr8
	s_cbranch_execz .LBB134_27
; %bb.24:
	s_waitcnt lgkmcnt(0)
	v_lshlrev_b32_e32 v7, 1, v0
	v_or_b32_e32 v5, 1, v7
	v_cmp_gt_u32_e32 vcc, s14, v5
	v_cndmask_b32_e32 v5, 0, v1, vcc
	v_cndmask_b32_e32 v6, 0, v2, vcc
	v_add_co_u32_e32 v5, vcc, v5, v3
	v_addc_co_u32_e32 v6, vcc, v6, v4, vcc
	v_cmp_ne_u32_e32 vcc, 0, v0
	v_cmp_gt_u32_e64 s[2:3], s14, v7
	s_and_b64 s[16:17], vcc, s[2:3]
	ds_write_b64 v9, v[3:4]
	s_waitcnt lgkmcnt(0)
	s_barrier
                                        ; implicit-def: $vgpr7_vgpr8
	s_and_saveexec_b64 s[2:3], s[16:17]
; %bb.25:
	v_add_u32_e32 v3, -8, v9
	ds_read_b64 v[7:8], v3
	s_or_b64 s[8:9], s[8:9], exec
; %bb.26:
	s_or_b64 exec, exec, s[2:3]
.LBB134_27:
	s_and_saveexec_b64 s[2:3], s[8:9]
	s_cbranch_execz .LBB134_29
; %bb.28:
	s_waitcnt lgkmcnt(0)
	v_add_co_u32_e32 v1, vcc, v7, v1
	v_addc_co_u32_e32 v2, vcc, v8, v2, vcc
.LBB134_29:
	s_or_b64 exec, exec, s[2:3]
	s_add_u32 s7, s12, s10
	s_addc_u32 s8, s13, s11
	s_and_b64 vcc, exec, s[0:1]
	s_waitcnt lgkmcnt(0)
	s_barrier
	s_cbranch_vccz .LBB134_33
; %bb.30:
	v_mov_b32_e32 v3, v5
	v_mov_b32_e32 v4, v6
	v_or_b32_e32 v12, 0x80, v0
	ds_write2_b64 v11, v[1:2], v[3:4] offset1:1
	v_lshrrev_b32_e32 v3, 2, v12
	s_lshl_b32 s0, s6, 8
	s_mov_b32 s5, 0
	v_and_b32_e32 v3, 56, v3
	s_sub_i32 s2, s14, s0
	s_lshl_b64 s[0:1], s[4:5], 3
	v_add_u32_e32 v3, v3, v9
	s_add_u32 s0, s7, s0
	s_waitcnt lgkmcnt(0)
	s_barrier
	ds_read_b64 v[3:4], v3 offset:1024
	s_addc_u32 s1, s8, s1
	v_mov_b32_e32 v8, s1
	v_add_co_u32_e32 v7, vcc, s0, v9
	v_addc_co_u32_e32 v8, vcc, 0, v8, vcc
	v_cmp_gt_u32_e32 vcc, s2, v0
	s_and_saveexec_b64 s[0:1], vcc
	s_cbranch_execz .LBB134_32
; %bb.31:
	v_and_b32_e32 v13, 24, v10
	v_lshl_add_u32 v13, v0, 3, v13
	ds_read_b64 v[13:14], v13
	s_waitcnt lgkmcnt(0)
	global_store_dwordx2 v[7:8], v[13:14], off
.LBB134_32:
	s_or_b64 exec, exec, s[0:1]
	v_cmp_gt_u32_e64 s[0:1], s2, v12
	s_branch .LBB134_35
.LBB134_33:
	s_mov_b64 s[0:1], 0
                                        ; implicit-def: $vgpr3_vgpr4
                                        ; implicit-def: $vgpr7_vgpr8
	s_cbranch_execz .LBB134_35
; %bb.34:
	v_or_b32_e32 v0, 0x80, v0
	s_mov_b32 s5, 0
	ds_write2_b64 v11, v[1:2], v[5:6] offset1:1
	v_and_b32_e32 v1, 24, v10
	v_lshrrev_b32_e32 v0, 2, v0
	s_lshl_b64 s[2:3], s[4:5], 3
	v_add_u32_e32 v1, v1, v9
	v_and_b32_e32 v0, 56, v0
	s_add_u32 s2, s7, s2
	s_waitcnt vmcnt(0) lgkmcnt(0)
	s_barrier
	v_add_u32_e32 v2, v0, v9
	ds_read_b64 v[0:1], v1
	ds_read_b64 v[3:4], v2 offset:1024
	s_addc_u32 s3, s8, s3
	v_mov_b32_e32 v2, s3
	v_add_co_u32_e32 v7, vcc, s2, v9
	v_addc_co_u32_e32 v8, vcc, 0, v2, vcc
	s_or_b64 s[0:1], s[0:1], exec
	s_waitcnt lgkmcnt(1)
	global_store_dwordx2 v9, v[0:1], s[2:3]
.LBB134_35:
	s_and_saveexec_b64 s[2:3], s[0:1]
	s_cbranch_execnz .LBB134_37
; %bb.36:
	s_endpgm
.LBB134_37:
	s_waitcnt lgkmcnt(0)
	global_store_dwordx2 v[7:8], v[3:4], off offset:1024
	s_endpgm
	.section	.rodata,"a",@progbits
	.p2align	6, 0x0
	.amdhsa_kernel _ZN7rocprim17ROCPRIM_400000_NS6detail17trampoline_kernelINS0_14default_configENS1_35adjacent_difference_config_selectorILb0EyEEZNS1_24adjacent_difference_implIS3_Lb0ELb0EPyS7_N6thrust23THRUST_200600_302600_NS4plusIyEEEE10hipError_tPvRmT2_T3_mT4_P12ihipStream_tbEUlT_E_NS1_11comp_targetILNS1_3genE2ELNS1_11target_archE906ELNS1_3gpuE6ELNS1_3repE0EEENS1_30default_config_static_selectorELNS0_4arch9wavefront6targetE1EEEvT1_
		.amdhsa_group_segment_fixed_size 2112
		.amdhsa_private_segment_fixed_size 0
		.amdhsa_kernarg_size 56
		.amdhsa_user_sgpr_count 6
		.amdhsa_user_sgpr_private_segment_buffer 1
		.amdhsa_user_sgpr_dispatch_ptr 0
		.amdhsa_user_sgpr_queue_ptr 0
		.amdhsa_user_sgpr_kernarg_segment_ptr 1
		.amdhsa_user_sgpr_dispatch_id 0
		.amdhsa_user_sgpr_flat_scratch_init 0
		.amdhsa_user_sgpr_private_segment_size 0
		.amdhsa_uses_dynamic_stack 0
		.amdhsa_system_sgpr_private_segment_wavefront_offset 0
		.amdhsa_system_sgpr_workgroup_id_x 1
		.amdhsa_system_sgpr_workgroup_id_y 0
		.amdhsa_system_sgpr_workgroup_id_z 0
		.amdhsa_system_sgpr_workgroup_info 0
		.amdhsa_system_vgpr_workitem_id 0
		.amdhsa_next_free_vgpr 29
		.amdhsa_next_free_sgpr 61
		.amdhsa_reserve_vcc 1
		.amdhsa_reserve_flat_scratch 0
		.amdhsa_float_round_mode_32 0
		.amdhsa_float_round_mode_16_64 0
		.amdhsa_float_denorm_mode_32 3
		.amdhsa_float_denorm_mode_16_64 3
		.amdhsa_dx10_clamp 1
		.amdhsa_ieee_mode 1
		.amdhsa_fp16_overflow 0
		.amdhsa_exception_fp_ieee_invalid_op 0
		.amdhsa_exception_fp_denorm_src 0
		.amdhsa_exception_fp_ieee_div_zero 0
		.amdhsa_exception_fp_ieee_overflow 0
		.amdhsa_exception_fp_ieee_underflow 0
		.amdhsa_exception_fp_ieee_inexact 0
		.amdhsa_exception_int_div_zero 0
	.end_amdhsa_kernel
	.section	.text._ZN7rocprim17ROCPRIM_400000_NS6detail17trampoline_kernelINS0_14default_configENS1_35adjacent_difference_config_selectorILb0EyEEZNS1_24adjacent_difference_implIS3_Lb0ELb0EPyS7_N6thrust23THRUST_200600_302600_NS4plusIyEEEE10hipError_tPvRmT2_T3_mT4_P12ihipStream_tbEUlT_E_NS1_11comp_targetILNS1_3genE2ELNS1_11target_archE906ELNS1_3gpuE6ELNS1_3repE0EEENS1_30default_config_static_selectorELNS0_4arch9wavefront6targetE1EEEvT1_,"axG",@progbits,_ZN7rocprim17ROCPRIM_400000_NS6detail17trampoline_kernelINS0_14default_configENS1_35adjacent_difference_config_selectorILb0EyEEZNS1_24adjacent_difference_implIS3_Lb0ELb0EPyS7_N6thrust23THRUST_200600_302600_NS4plusIyEEEE10hipError_tPvRmT2_T3_mT4_P12ihipStream_tbEUlT_E_NS1_11comp_targetILNS1_3genE2ELNS1_11target_archE906ELNS1_3gpuE6ELNS1_3repE0EEENS1_30default_config_static_selectorELNS0_4arch9wavefront6targetE1EEEvT1_,comdat
.Lfunc_end134:
	.size	_ZN7rocprim17ROCPRIM_400000_NS6detail17trampoline_kernelINS0_14default_configENS1_35adjacent_difference_config_selectorILb0EyEEZNS1_24adjacent_difference_implIS3_Lb0ELb0EPyS7_N6thrust23THRUST_200600_302600_NS4plusIyEEEE10hipError_tPvRmT2_T3_mT4_P12ihipStream_tbEUlT_E_NS1_11comp_targetILNS1_3genE2ELNS1_11target_archE906ELNS1_3gpuE6ELNS1_3repE0EEENS1_30default_config_static_selectorELNS0_4arch9wavefront6targetE1EEEvT1_, .Lfunc_end134-_ZN7rocprim17ROCPRIM_400000_NS6detail17trampoline_kernelINS0_14default_configENS1_35adjacent_difference_config_selectorILb0EyEEZNS1_24adjacent_difference_implIS3_Lb0ELb0EPyS7_N6thrust23THRUST_200600_302600_NS4plusIyEEEE10hipError_tPvRmT2_T3_mT4_P12ihipStream_tbEUlT_E_NS1_11comp_targetILNS1_3genE2ELNS1_11target_archE906ELNS1_3gpuE6ELNS1_3repE0EEENS1_30default_config_static_selectorELNS0_4arch9wavefront6targetE1EEEvT1_
                                        ; -- End function
	.set _ZN7rocprim17ROCPRIM_400000_NS6detail17trampoline_kernelINS0_14default_configENS1_35adjacent_difference_config_selectorILb0EyEEZNS1_24adjacent_difference_implIS3_Lb0ELb0EPyS7_N6thrust23THRUST_200600_302600_NS4plusIyEEEE10hipError_tPvRmT2_T3_mT4_P12ihipStream_tbEUlT_E_NS1_11comp_targetILNS1_3genE2ELNS1_11target_archE906ELNS1_3gpuE6ELNS1_3repE0EEENS1_30default_config_static_selectorELNS0_4arch9wavefront6targetE1EEEvT1_.num_vgpr, 15
	.set _ZN7rocprim17ROCPRIM_400000_NS6detail17trampoline_kernelINS0_14default_configENS1_35adjacent_difference_config_selectorILb0EyEEZNS1_24adjacent_difference_implIS3_Lb0ELb0EPyS7_N6thrust23THRUST_200600_302600_NS4plusIyEEEE10hipError_tPvRmT2_T3_mT4_P12ihipStream_tbEUlT_E_NS1_11comp_targetILNS1_3genE2ELNS1_11target_archE906ELNS1_3gpuE6ELNS1_3repE0EEENS1_30default_config_static_selectorELNS0_4arch9wavefront6targetE1EEEvT1_.num_agpr, 0
	.set _ZN7rocprim17ROCPRIM_400000_NS6detail17trampoline_kernelINS0_14default_configENS1_35adjacent_difference_config_selectorILb0EyEEZNS1_24adjacent_difference_implIS3_Lb0ELb0EPyS7_N6thrust23THRUST_200600_302600_NS4plusIyEEEE10hipError_tPvRmT2_T3_mT4_P12ihipStream_tbEUlT_E_NS1_11comp_targetILNS1_3genE2ELNS1_11target_archE906ELNS1_3gpuE6ELNS1_3repE0EEENS1_30default_config_static_selectorELNS0_4arch9wavefront6targetE1EEEvT1_.numbered_sgpr, 22
	.set _ZN7rocprim17ROCPRIM_400000_NS6detail17trampoline_kernelINS0_14default_configENS1_35adjacent_difference_config_selectorILb0EyEEZNS1_24adjacent_difference_implIS3_Lb0ELb0EPyS7_N6thrust23THRUST_200600_302600_NS4plusIyEEEE10hipError_tPvRmT2_T3_mT4_P12ihipStream_tbEUlT_E_NS1_11comp_targetILNS1_3genE2ELNS1_11target_archE906ELNS1_3gpuE6ELNS1_3repE0EEENS1_30default_config_static_selectorELNS0_4arch9wavefront6targetE1EEEvT1_.num_named_barrier, 0
	.set _ZN7rocprim17ROCPRIM_400000_NS6detail17trampoline_kernelINS0_14default_configENS1_35adjacent_difference_config_selectorILb0EyEEZNS1_24adjacent_difference_implIS3_Lb0ELb0EPyS7_N6thrust23THRUST_200600_302600_NS4plusIyEEEE10hipError_tPvRmT2_T3_mT4_P12ihipStream_tbEUlT_E_NS1_11comp_targetILNS1_3genE2ELNS1_11target_archE906ELNS1_3gpuE6ELNS1_3repE0EEENS1_30default_config_static_selectorELNS0_4arch9wavefront6targetE1EEEvT1_.private_seg_size, 0
	.set _ZN7rocprim17ROCPRIM_400000_NS6detail17trampoline_kernelINS0_14default_configENS1_35adjacent_difference_config_selectorILb0EyEEZNS1_24adjacent_difference_implIS3_Lb0ELb0EPyS7_N6thrust23THRUST_200600_302600_NS4plusIyEEEE10hipError_tPvRmT2_T3_mT4_P12ihipStream_tbEUlT_E_NS1_11comp_targetILNS1_3genE2ELNS1_11target_archE906ELNS1_3gpuE6ELNS1_3repE0EEENS1_30default_config_static_selectorELNS0_4arch9wavefront6targetE1EEEvT1_.uses_vcc, 1
	.set _ZN7rocprim17ROCPRIM_400000_NS6detail17trampoline_kernelINS0_14default_configENS1_35adjacent_difference_config_selectorILb0EyEEZNS1_24adjacent_difference_implIS3_Lb0ELb0EPyS7_N6thrust23THRUST_200600_302600_NS4plusIyEEEE10hipError_tPvRmT2_T3_mT4_P12ihipStream_tbEUlT_E_NS1_11comp_targetILNS1_3genE2ELNS1_11target_archE906ELNS1_3gpuE6ELNS1_3repE0EEENS1_30default_config_static_selectorELNS0_4arch9wavefront6targetE1EEEvT1_.uses_flat_scratch, 0
	.set _ZN7rocprim17ROCPRIM_400000_NS6detail17trampoline_kernelINS0_14default_configENS1_35adjacent_difference_config_selectorILb0EyEEZNS1_24adjacent_difference_implIS3_Lb0ELb0EPyS7_N6thrust23THRUST_200600_302600_NS4plusIyEEEE10hipError_tPvRmT2_T3_mT4_P12ihipStream_tbEUlT_E_NS1_11comp_targetILNS1_3genE2ELNS1_11target_archE906ELNS1_3gpuE6ELNS1_3repE0EEENS1_30default_config_static_selectorELNS0_4arch9wavefront6targetE1EEEvT1_.has_dyn_sized_stack, 0
	.set _ZN7rocprim17ROCPRIM_400000_NS6detail17trampoline_kernelINS0_14default_configENS1_35adjacent_difference_config_selectorILb0EyEEZNS1_24adjacent_difference_implIS3_Lb0ELb0EPyS7_N6thrust23THRUST_200600_302600_NS4plusIyEEEE10hipError_tPvRmT2_T3_mT4_P12ihipStream_tbEUlT_E_NS1_11comp_targetILNS1_3genE2ELNS1_11target_archE906ELNS1_3gpuE6ELNS1_3repE0EEENS1_30default_config_static_selectorELNS0_4arch9wavefront6targetE1EEEvT1_.has_recursion, 0
	.set _ZN7rocprim17ROCPRIM_400000_NS6detail17trampoline_kernelINS0_14default_configENS1_35adjacent_difference_config_selectorILb0EyEEZNS1_24adjacent_difference_implIS3_Lb0ELb0EPyS7_N6thrust23THRUST_200600_302600_NS4plusIyEEEE10hipError_tPvRmT2_T3_mT4_P12ihipStream_tbEUlT_E_NS1_11comp_targetILNS1_3genE2ELNS1_11target_archE906ELNS1_3gpuE6ELNS1_3repE0EEENS1_30default_config_static_selectorELNS0_4arch9wavefront6targetE1EEEvT1_.has_indirect_call, 0
	.section	.AMDGPU.csdata,"",@progbits
; Kernel info:
; codeLenInByte = 1188
; TotalNumSgprs: 26
; NumVgprs: 15
; ScratchSize: 0
; MemoryBound: 0
; FloatMode: 240
; IeeeMode: 1
; LDSByteSize: 2112 bytes/workgroup (compile time only)
; SGPRBlocks: 8
; VGPRBlocks: 7
; NumSGPRsForWavesPerEU: 65
; NumVGPRsForWavesPerEU: 29
; Occupancy: 8
; WaveLimiterHint : 1
; COMPUTE_PGM_RSRC2:SCRATCH_EN: 0
; COMPUTE_PGM_RSRC2:USER_SGPR: 6
; COMPUTE_PGM_RSRC2:TRAP_HANDLER: 0
; COMPUTE_PGM_RSRC2:TGID_X_EN: 1
; COMPUTE_PGM_RSRC2:TGID_Y_EN: 0
; COMPUTE_PGM_RSRC2:TGID_Z_EN: 0
; COMPUTE_PGM_RSRC2:TIDIG_COMP_CNT: 0
	.section	.text._ZN7rocprim17ROCPRIM_400000_NS6detail17trampoline_kernelINS0_14default_configENS1_35adjacent_difference_config_selectorILb0EyEEZNS1_24adjacent_difference_implIS3_Lb0ELb0EPyS7_N6thrust23THRUST_200600_302600_NS4plusIyEEEE10hipError_tPvRmT2_T3_mT4_P12ihipStream_tbEUlT_E_NS1_11comp_targetILNS1_3genE9ELNS1_11target_archE1100ELNS1_3gpuE3ELNS1_3repE0EEENS1_30default_config_static_selectorELNS0_4arch9wavefront6targetE1EEEvT1_,"axG",@progbits,_ZN7rocprim17ROCPRIM_400000_NS6detail17trampoline_kernelINS0_14default_configENS1_35adjacent_difference_config_selectorILb0EyEEZNS1_24adjacent_difference_implIS3_Lb0ELb0EPyS7_N6thrust23THRUST_200600_302600_NS4plusIyEEEE10hipError_tPvRmT2_T3_mT4_P12ihipStream_tbEUlT_E_NS1_11comp_targetILNS1_3genE9ELNS1_11target_archE1100ELNS1_3gpuE3ELNS1_3repE0EEENS1_30default_config_static_selectorELNS0_4arch9wavefront6targetE1EEEvT1_,comdat
	.protected	_ZN7rocprim17ROCPRIM_400000_NS6detail17trampoline_kernelINS0_14default_configENS1_35adjacent_difference_config_selectorILb0EyEEZNS1_24adjacent_difference_implIS3_Lb0ELb0EPyS7_N6thrust23THRUST_200600_302600_NS4plusIyEEEE10hipError_tPvRmT2_T3_mT4_P12ihipStream_tbEUlT_E_NS1_11comp_targetILNS1_3genE9ELNS1_11target_archE1100ELNS1_3gpuE3ELNS1_3repE0EEENS1_30default_config_static_selectorELNS0_4arch9wavefront6targetE1EEEvT1_ ; -- Begin function _ZN7rocprim17ROCPRIM_400000_NS6detail17trampoline_kernelINS0_14default_configENS1_35adjacent_difference_config_selectorILb0EyEEZNS1_24adjacent_difference_implIS3_Lb0ELb0EPyS7_N6thrust23THRUST_200600_302600_NS4plusIyEEEE10hipError_tPvRmT2_T3_mT4_P12ihipStream_tbEUlT_E_NS1_11comp_targetILNS1_3genE9ELNS1_11target_archE1100ELNS1_3gpuE3ELNS1_3repE0EEENS1_30default_config_static_selectorELNS0_4arch9wavefront6targetE1EEEvT1_
	.globl	_ZN7rocprim17ROCPRIM_400000_NS6detail17trampoline_kernelINS0_14default_configENS1_35adjacent_difference_config_selectorILb0EyEEZNS1_24adjacent_difference_implIS3_Lb0ELb0EPyS7_N6thrust23THRUST_200600_302600_NS4plusIyEEEE10hipError_tPvRmT2_T3_mT4_P12ihipStream_tbEUlT_E_NS1_11comp_targetILNS1_3genE9ELNS1_11target_archE1100ELNS1_3gpuE3ELNS1_3repE0EEENS1_30default_config_static_selectorELNS0_4arch9wavefront6targetE1EEEvT1_
	.p2align	8
	.type	_ZN7rocprim17ROCPRIM_400000_NS6detail17trampoline_kernelINS0_14default_configENS1_35adjacent_difference_config_selectorILb0EyEEZNS1_24adjacent_difference_implIS3_Lb0ELb0EPyS7_N6thrust23THRUST_200600_302600_NS4plusIyEEEE10hipError_tPvRmT2_T3_mT4_P12ihipStream_tbEUlT_E_NS1_11comp_targetILNS1_3genE9ELNS1_11target_archE1100ELNS1_3gpuE3ELNS1_3repE0EEENS1_30default_config_static_selectorELNS0_4arch9wavefront6targetE1EEEvT1_,@function
_ZN7rocprim17ROCPRIM_400000_NS6detail17trampoline_kernelINS0_14default_configENS1_35adjacent_difference_config_selectorILb0EyEEZNS1_24adjacent_difference_implIS3_Lb0ELb0EPyS7_N6thrust23THRUST_200600_302600_NS4plusIyEEEE10hipError_tPvRmT2_T3_mT4_P12ihipStream_tbEUlT_E_NS1_11comp_targetILNS1_3genE9ELNS1_11target_archE1100ELNS1_3gpuE3ELNS1_3repE0EEENS1_30default_config_static_selectorELNS0_4arch9wavefront6targetE1EEEvT1_: ; @_ZN7rocprim17ROCPRIM_400000_NS6detail17trampoline_kernelINS0_14default_configENS1_35adjacent_difference_config_selectorILb0EyEEZNS1_24adjacent_difference_implIS3_Lb0ELb0EPyS7_N6thrust23THRUST_200600_302600_NS4plusIyEEEE10hipError_tPvRmT2_T3_mT4_P12ihipStream_tbEUlT_E_NS1_11comp_targetILNS1_3genE9ELNS1_11target_archE1100ELNS1_3gpuE3ELNS1_3repE0EEENS1_30default_config_static_selectorELNS0_4arch9wavefront6targetE1EEEvT1_
; %bb.0:
	.section	.rodata,"a",@progbits
	.p2align	6, 0x0
	.amdhsa_kernel _ZN7rocprim17ROCPRIM_400000_NS6detail17trampoline_kernelINS0_14default_configENS1_35adjacent_difference_config_selectorILb0EyEEZNS1_24adjacent_difference_implIS3_Lb0ELb0EPyS7_N6thrust23THRUST_200600_302600_NS4plusIyEEEE10hipError_tPvRmT2_T3_mT4_P12ihipStream_tbEUlT_E_NS1_11comp_targetILNS1_3genE9ELNS1_11target_archE1100ELNS1_3gpuE3ELNS1_3repE0EEENS1_30default_config_static_selectorELNS0_4arch9wavefront6targetE1EEEvT1_
		.amdhsa_group_segment_fixed_size 0
		.amdhsa_private_segment_fixed_size 0
		.amdhsa_kernarg_size 56
		.amdhsa_user_sgpr_count 6
		.amdhsa_user_sgpr_private_segment_buffer 1
		.amdhsa_user_sgpr_dispatch_ptr 0
		.amdhsa_user_sgpr_queue_ptr 0
		.amdhsa_user_sgpr_kernarg_segment_ptr 1
		.amdhsa_user_sgpr_dispatch_id 0
		.amdhsa_user_sgpr_flat_scratch_init 0
		.amdhsa_user_sgpr_private_segment_size 0
		.amdhsa_uses_dynamic_stack 0
		.amdhsa_system_sgpr_private_segment_wavefront_offset 0
		.amdhsa_system_sgpr_workgroup_id_x 1
		.amdhsa_system_sgpr_workgroup_id_y 0
		.amdhsa_system_sgpr_workgroup_id_z 0
		.amdhsa_system_sgpr_workgroup_info 0
		.amdhsa_system_vgpr_workitem_id 0
		.amdhsa_next_free_vgpr 1
		.amdhsa_next_free_sgpr 0
		.amdhsa_reserve_vcc 0
		.amdhsa_reserve_flat_scratch 0
		.amdhsa_float_round_mode_32 0
		.amdhsa_float_round_mode_16_64 0
		.amdhsa_float_denorm_mode_32 3
		.amdhsa_float_denorm_mode_16_64 3
		.amdhsa_dx10_clamp 1
		.amdhsa_ieee_mode 1
		.amdhsa_fp16_overflow 0
		.amdhsa_exception_fp_ieee_invalid_op 0
		.amdhsa_exception_fp_denorm_src 0
		.amdhsa_exception_fp_ieee_div_zero 0
		.amdhsa_exception_fp_ieee_overflow 0
		.amdhsa_exception_fp_ieee_underflow 0
		.amdhsa_exception_fp_ieee_inexact 0
		.amdhsa_exception_int_div_zero 0
	.end_amdhsa_kernel
	.section	.text._ZN7rocprim17ROCPRIM_400000_NS6detail17trampoline_kernelINS0_14default_configENS1_35adjacent_difference_config_selectorILb0EyEEZNS1_24adjacent_difference_implIS3_Lb0ELb0EPyS7_N6thrust23THRUST_200600_302600_NS4plusIyEEEE10hipError_tPvRmT2_T3_mT4_P12ihipStream_tbEUlT_E_NS1_11comp_targetILNS1_3genE9ELNS1_11target_archE1100ELNS1_3gpuE3ELNS1_3repE0EEENS1_30default_config_static_selectorELNS0_4arch9wavefront6targetE1EEEvT1_,"axG",@progbits,_ZN7rocprim17ROCPRIM_400000_NS6detail17trampoline_kernelINS0_14default_configENS1_35adjacent_difference_config_selectorILb0EyEEZNS1_24adjacent_difference_implIS3_Lb0ELb0EPyS7_N6thrust23THRUST_200600_302600_NS4plusIyEEEE10hipError_tPvRmT2_T3_mT4_P12ihipStream_tbEUlT_E_NS1_11comp_targetILNS1_3genE9ELNS1_11target_archE1100ELNS1_3gpuE3ELNS1_3repE0EEENS1_30default_config_static_selectorELNS0_4arch9wavefront6targetE1EEEvT1_,comdat
.Lfunc_end135:
	.size	_ZN7rocprim17ROCPRIM_400000_NS6detail17trampoline_kernelINS0_14default_configENS1_35adjacent_difference_config_selectorILb0EyEEZNS1_24adjacent_difference_implIS3_Lb0ELb0EPyS7_N6thrust23THRUST_200600_302600_NS4plusIyEEEE10hipError_tPvRmT2_T3_mT4_P12ihipStream_tbEUlT_E_NS1_11comp_targetILNS1_3genE9ELNS1_11target_archE1100ELNS1_3gpuE3ELNS1_3repE0EEENS1_30default_config_static_selectorELNS0_4arch9wavefront6targetE1EEEvT1_, .Lfunc_end135-_ZN7rocprim17ROCPRIM_400000_NS6detail17trampoline_kernelINS0_14default_configENS1_35adjacent_difference_config_selectorILb0EyEEZNS1_24adjacent_difference_implIS3_Lb0ELb0EPyS7_N6thrust23THRUST_200600_302600_NS4plusIyEEEE10hipError_tPvRmT2_T3_mT4_P12ihipStream_tbEUlT_E_NS1_11comp_targetILNS1_3genE9ELNS1_11target_archE1100ELNS1_3gpuE3ELNS1_3repE0EEENS1_30default_config_static_selectorELNS0_4arch9wavefront6targetE1EEEvT1_
                                        ; -- End function
	.set _ZN7rocprim17ROCPRIM_400000_NS6detail17trampoline_kernelINS0_14default_configENS1_35adjacent_difference_config_selectorILb0EyEEZNS1_24adjacent_difference_implIS3_Lb0ELb0EPyS7_N6thrust23THRUST_200600_302600_NS4plusIyEEEE10hipError_tPvRmT2_T3_mT4_P12ihipStream_tbEUlT_E_NS1_11comp_targetILNS1_3genE9ELNS1_11target_archE1100ELNS1_3gpuE3ELNS1_3repE0EEENS1_30default_config_static_selectorELNS0_4arch9wavefront6targetE1EEEvT1_.num_vgpr, 0
	.set _ZN7rocprim17ROCPRIM_400000_NS6detail17trampoline_kernelINS0_14default_configENS1_35adjacent_difference_config_selectorILb0EyEEZNS1_24adjacent_difference_implIS3_Lb0ELb0EPyS7_N6thrust23THRUST_200600_302600_NS4plusIyEEEE10hipError_tPvRmT2_T3_mT4_P12ihipStream_tbEUlT_E_NS1_11comp_targetILNS1_3genE9ELNS1_11target_archE1100ELNS1_3gpuE3ELNS1_3repE0EEENS1_30default_config_static_selectorELNS0_4arch9wavefront6targetE1EEEvT1_.num_agpr, 0
	.set _ZN7rocprim17ROCPRIM_400000_NS6detail17trampoline_kernelINS0_14default_configENS1_35adjacent_difference_config_selectorILb0EyEEZNS1_24adjacent_difference_implIS3_Lb0ELb0EPyS7_N6thrust23THRUST_200600_302600_NS4plusIyEEEE10hipError_tPvRmT2_T3_mT4_P12ihipStream_tbEUlT_E_NS1_11comp_targetILNS1_3genE9ELNS1_11target_archE1100ELNS1_3gpuE3ELNS1_3repE0EEENS1_30default_config_static_selectorELNS0_4arch9wavefront6targetE1EEEvT1_.numbered_sgpr, 0
	.set _ZN7rocprim17ROCPRIM_400000_NS6detail17trampoline_kernelINS0_14default_configENS1_35adjacent_difference_config_selectorILb0EyEEZNS1_24adjacent_difference_implIS3_Lb0ELb0EPyS7_N6thrust23THRUST_200600_302600_NS4plusIyEEEE10hipError_tPvRmT2_T3_mT4_P12ihipStream_tbEUlT_E_NS1_11comp_targetILNS1_3genE9ELNS1_11target_archE1100ELNS1_3gpuE3ELNS1_3repE0EEENS1_30default_config_static_selectorELNS0_4arch9wavefront6targetE1EEEvT1_.num_named_barrier, 0
	.set _ZN7rocprim17ROCPRIM_400000_NS6detail17trampoline_kernelINS0_14default_configENS1_35adjacent_difference_config_selectorILb0EyEEZNS1_24adjacent_difference_implIS3_Lb0ELb0EPyS7_N6thrust23THRUST_200600_302600_NS4plusIyEEEE10hipError_tPvRmT2_T3_mT4_P12ihipStream_tbEUlT_E_NS1_11comp_targetILNS1_3genE9ELNS1_11target_archE1100ELNS1_3gpuE3ELNS1_3repE0EEENS1_30default_config_static_selectorELNS0_4arch9wavefront6targetE1EEEvT1_.private_seg_size, 0
	.set _ZN7rocprim17ROCPRIM_400000_NS6detail17trampoline_kernelINS0_14default_configENS1_35adjacent_difference_config_selectorILb0EyEEZNS1_24adjacent_difference_implIS3_Lb0ELb0EPyS7_N6thrust23THRUST_200600_302600_NS4plusIyEEEE10hipError_tPvRmT2_T3_mT4_P12ihipStream_tbEUlT_E_NS1_11comp_targetILNS1_3genE9ELNS1_11target_archE1100ELNS1_3gpuE3ELNS1_3repE0EEENS1_30default_config_static_selectorELNS0_4arch9wavefront6targetE1EEEvT1_.uses_vcc, 0
	.set _ZN7rocprim17ROCPRIM_400000_NS6detail17trampoline_kernelINS0_14default_configENS1_35adjacent_difference_config_selectorILb0EyEEZNS1_24adjacent_difference_implIS3_Lb0ELb0EPyS7_N6thrust23THRUST_200600_302600_NS4plusIyEEEE10hipError_tPvRmT2_T3_mT4_P12ihipStream_tbEUlT_E_NS1_11comp_targetILNS1_3genE9ELNS1_11target_archE1100ELNS1_3gpuE3ELNS1_3repE0EEENS1_30default_config_static_selectorELNS0_4arch9wavefront6targetE1EEEvT1_.uses_flat_scratch, 0
	.set _ZN7rocprim17ROCPRIM_400000_NS6detail17trampoline_kernelINS0_14default_configENS1_35adjacent_difference_config_selectorILb0EyEEZNS1_24adjacent_difference_implIS3_Lb0ELb0EPyS7_N6thrust23THRUST_200600_302600_NS4plusIyEEEE10hipError_tPvRmT2_T3_mT4_P12ihipStream_tbEUlT_E_NS1_11comp_targetILNS1_3genE9ELNS1_11target_archE1100ELNS1_3gpuE3ELNS1_3repE0EEENS1_30default_config_static_selectorELNS0_4arch9wavefront6targetE1EEEvT1_.has_dyn_sized_stack, 0
	.set _ZN7rocprim17ROCPRIM_400000_NS6detail17trampoline_kernelINS0_14default_configENS1_35adjacent_difference_config_selectorILb0EyEEZNS1_24adjacent_difference_implIS3_Lb0ELb0EPyS7_N6thrust23THRUST_200600_302600_NS4plusIyEEEE10hipError_tPvRmT2_T3_mT4_P12ihipStream_tbEUlT_E_NS1_11comp_targetILNS1_3genE9ELNS1_11target_archE1100ELNS1_3gpuE3ELNS1_3repE0EEENS1_30default_config_static_selectorELNS0_4arch9wavefront6targetE1EEEvT1_.has_recursion, 0
	.set _ZN7rocprim17ROCPRIM_400000_NS6detail17trampoline_kernelINS0_14default_configENS1_35adjacent_difference_config_selectorILb0EyEEZNS1_24adjacent_difference_implIS3_Lb0ELb0EPyS7_N6thrust23THRUST_200600_302600_NS4plusIyEEEE10hipError_tPvRmT2_T3_mT4_P12ihipStream_tbEUlT_E_NS1_11comp_targetILNS1_3genE9ELNS1_11target_archE1100ELNS1_3gpuE3ELNS1_3repE0EEENS1_30default_config_static_selectorELNS0_4arch9wavefront6targetE1EEEvT1_.has_indirect_call, 0
	.section	.AMDGPU.csdata,"",@progbits
; Kernel info:
; codeLenInByte = 0
; TotalNumSgprs: 4
; NumVgprs: 0
; ScratchSize: 0
; MemoryBound: 0
; FloatMode: 240
; IeeeMode: 1
; LDSByteSize: 0 bytes/workgroup (compile time only)
; SGPRBlocks: 0
; VGPRBlocks: 0
; NumSGPRsForWavesPerEU: 4
; NumVGPRsForWavesPerEU: 1
; Occupancy: 10
; WaveLimiterHint : 0
; COMPUTE_PGM_RSRC2:SCRATCH_EN: 0
; COMPUTE_PGM_RSRC2:USER_SGPR: 6
; COMPUTE_PGM_RSRC2:TRAP_HANDLER: 0
; COMPUTE_PGM_RSRC2:TGID_X_EN: 1
; COMPUTE_PGM_RSRC2:TGID_Y_EN: 0
; COMPUTE_PGM_RSRC2:TGID_Z_EN: 0
; COMPUTE_PGM_RSRC2:TIDIG_COMP_CNT: 0
	.section	.text._ZN7rocprim17ROCPRIM_400000_NS6detail17trampoline_kernelINS0_14default_configENS1_35adjacent_difference_config_selectorILb0EyEEZNS1_24adjacent_difference_implIS3_Lb0ELb0EPyS7_N6thrust23THRUST_200600_302600_NS4plusIyEEEE10hipError_tPvRmT2_T3_mT4_P12ihipStream_tbEUlT_E_NS1_11comp_targetILNS1_3genE8ELNS1_11target_archE1030ELNS1_3gpuE2ELNS1_3repE0EEENS1_30default_config_static_selectorELNS0_4arch9wavefront6targetE1EEEvT1_,"axG",@progbits,_ZN7rocprim17ROCPRIM_400000_NS6detail17trampoline_kernelINS0_14default_configENS1_35adjacent_difference_config_selectorILb0EyEEZNS1_24adjacent_difference_implIS3_Lb0ELb0EPyS7_N6thrust23THRUST_200600_302600_NS4plusIyEEEE10hipError_tPvRmT2_T3_mT4_P12ihipStream_tbEUlT_E_NS1_11comp_targetILNS1_3genE8ELNS1_11target_archE1030ELNS1_3gpuE2ELNS1_3repE0EEENS1_30default_config_static_selectorELNS0_4arch9wavefront6targetE1EEEvT1_,comdat
	.protected	_ZN7rocprim17ROCPRIM_400000_NS6detail17trampoline_kernelINS0_14default_configENS1_35adjacent_difference_config_selectorILb0EyEEZNS1_24adjacent_difference_implIS3_Lb0ELb0EPyS7_N6thrust23THRUST_200600_302600_NS4plusIyEEEE10hipError_tPvRmT2_T3_mT4_P12ihipStream_tbEUlT_E_NS1_11comp_targetILNS1_3genE8ELNS1_11target_archE1030ELNS1_3gpuE2ELNS1_3repE0EEENS1_30default_config_static_selectorELNS0_4arch9wavefront6targetE1EEEvT1_ ; -- Begin function _ZN7rocprim17ROCPRIM_400000_NS6detail17trampoline_kernelINS0_14default_configENS1_35adjacent_difference_config_selectorILb0EyEEZNS1_24adjacent_difference_implIS3_Lb0ELb0EPyS7_N6thrust23THRUST_200600_302600_NS4plusIyEEEE10hipError_tPvRmT2_T3_mT4_P12ihipStream_tbEUlT_E_NS1_11comp_targetILNS1_3genE8ELNS1_11target_archE1030ELNS1_3gpuE2ELNS1_3repE0EEENS1_30default_config_static_selectorELNS0_4arch9wavefront6targetE1EEEvT1_
	.globl	_ZN7rocprim17ROCPRIM_400000_NS6detail17trampoline_kernelINS0_14default_configENS1_35adjacent_difference_config_selectorILb0EyEEZNS1_24adjacent_difference_implIS3_Lb0ELb0EPyS7_N6thrust23THRUST_200600_302600_NS4plusIyEEEE10hipError_tPvRmT2_T3_mT4_P12ihipStream_tbEUlT_E_NS1_11comp_targetILNS1_3genE8ELNS1_11target_archE1030ELNS1_3gpuE2ELNS1_3repE0EEENS1_30default_config_static_selectorELNS0_4arch9wavefront6targetE1EEEvT1_
	.p2align	8
	.type	_ZN7rocprim17ROCPRIM_400000_NS6detail17trampoline_kernelINS0_14default_configENS1_35adjacent_difference_config_selectorILb0EyEEZNS1_24adjacent_difference_implIS3_Lb0ELb0EPyS7_N6thrust23THRUST_200600_302600_NS4plusIyEEEE10hipError_tPvRmT2_T3_mT4_P12ihipStream_tbEUlT_E_NS1_11comp_targetILNS1_3genE8ELNS1_11target_archE1030ELNS1_3gpuE2ELNS1_3repE0EEENS1_30default_config_static_selectorELNS0_4arch9wavefront6targetE1EEEvT1_,@function
_ZN7rocprim17ROCPRIM_400000_NS6detail17trampoline_kernelINS0_14default_configENS1_35adjacent_difference_config_selectorILb0EyEEZNS1_24adjacent_difference_implIS3_Lb0ELb0EPyS7_N6thrust23THRUST_200600_302600_NS4plusIyEEEE10hipError_tPvRmT2_T3_mT4_P12ihipStream_tbEUlT_E_NS1_11comp_targetILNS1_3genE8ELNS1_11target_archE1030ELNS1_3gpuE2ELNS1_3repE0EEENS1_30default_config_static_selectorELNS0_4arch9wavefront6targetE1EEEvT1_: ; @_ZN7rocprim17ROCPRIM_400000_NS6detail17trampoline_kernelINS0_14default_configENS1_35adjacent_difference_config_selectorILb0EyEEZNS1_24adjacent_difference_implIS3_Lb0ELb0EPyS7_N6thrust23THRUST_200600_302600_NS4plusIyEEEE10hipError_tPvRmT2_T3_mT4_P12ihipStream_tbEUlT_E_NS1_11comp_targetILNS1_3genE8ELNS1_11target_archE1030ELNS1_3gpuE2ELNS1_3repE0EEENS1_30default_config_static_selectorELNS0_4arch9wavefront6targetE1EEEvT1_
; %bb.0:
	.section	.rodata,"a",@progbits
	.p2align	6, 0x0
	.amdhsa_kernel _ZN7rocprim17ROCPRIM_400000_NS6detail17trampoline_kernelINS0_14default_configENS1_35adjacent_difference_config_selectorILb0EyEEZNS1_24adjacent_difference_implIS3_Lb0ELb0EPyS7_N6thrust23THRUST_200600_302600_NS4plusIyEEEE10hipError_tPvRmT2_T3_mT4_P12ihipStream_tbEUlT_E_NS1_11comp_targetILNS1_3genE8ELNS1_11target_archE1030ELNS1_3gpuE2ELNS1_3repE0EEENS1_30default_config_static_selectorELNS0_4arch9wavefront6targetE1EEEvT1_
		.amdhsa_group_segment_fixed_size 0
		.amdhsa_private_segment_fixed_size 0
		.amdhsa_kernarg_size 56
		.amdhsa_user_sgpr_count 6
		.amdhsa_user_sgpr_private_segment_buffer 1
		.amdhsa_user_sgpr_dispatch_ptr 0
		.amdhsa_user_sgpr_queue_ptr 0
		.amdhsa_user_sgpr_kernarg_segment_ptr 1
		.amdhsa_user_sgpr_dispatch_id 0
		.amdhsa_user_sgpr_flat_scratch_init 0
		.amdhsa_user_sgpr_private_segment_size 0
		.amdhsa_uses_dynamic_stack 0
		.amdhsa_system_sgpr_private_segment_wavefront_offset 0
		.amdhsa_system_sgpr_workgroup_id_x 1
		.amdhsa_system_sgpr_workgroup_id_y 0
		.amdhsa_system_sgpr_workgroup_id_z 0
		.amdhsa_system_sgpr_workgroup_info 0
		.amdhsa_system_vgpr_workitem_id 0
		.amdhsa_next_free_vgpr 1
		.amdhsa_next_free_sgpr 0
		.amdhsa_reserve_vcc 0
		.amdhsa_reserve_flat_scratch 0
		.amdhsa_float_round_mode_32 0
		.amdhsa_float_round_mode_16_64 0
		.amdhsa_float_denorm_mode_32 3
		.amdhsa_float_denorm_mode_16_64 3
		.amdhsa_dx10_clamp 1
		.amdhsa_ieee_mode 1
		.amdhsa_fp16_overflow 0
		.amdhsa_exception_fp_ieee_invalid_op 0
		.amdhsa_exception_fp_denorm_src 0
		.amdhsa_exception_fp_ieee_div_zero 0
		.amdhsa_exception_fp_ieee_overflow 0
		.amdhsa_exception_fp_ieee_underflow 0
		.amdhsa_exception_fp_ieee_inexact 0
		.amdhsa_exception_int_div_zero 0
	.end_amdhsa_kernel
	.section	.text._ZN7rocprim17ROCPRIM_400000_NS6detail17trampoline_kernelINS0_14default_configENS1_35adjacent_difference_config_selectorILb0EyEEZNS1_24adjacent_difference_implIS3_Lb0ELb0EPyS7_N6thrust23THRUST_200600_302600_NS4plusIyEEEE10hipError_tPvRmT2_T3_mT4_P12ihipStream_tbEUlT_E_NS1_11comp_targetILNS1_3genE8ELNS1_11target_archE1030ELNS1_3gpuE2ELNS1_3repE0EEENS1_30default_config_static_selectorELNS0_4arch9wavefront6targetE1EEEvT1_,"axG",@progbits,_ZN7rocprim17ROCPRIM_400000_NS6detail17trampoline_kernelINS0_14default_configENS1_35adjacent_difference_config_selectorILb0EyEEZNS1_24adjacent_difference_implIS3_Lb0ELb0EPyS7_N6thrust23THRUST_200600_302600_NS4plusIyEEEE10hipError_tPvRmT2_T3_mT4_P12ihipStream_tbEUlT_E_NS1_11comp_targetILNS1_3genE8ELNS1_11target_archE1030ELNS1_3gpuE2ELNS1_3repE0EEENS1_30default_config_static_selectorELNS0_4arch9wavefront6targetE1EEEvT1_,comdat
.Lfunc_end136:
	.size	_ZN7rocprim17ROCPRIM_400000_NS6detail17trampoline_kernelINS0_14default_configENS1_35adjacent_difference_config_selectorILb0EyEEZNS1_24adjacent_difference_implIS3_Lb0ELb0EPyS7_N6thrust23THRUST_200600_302600_NS4plusIyEEEE10hipError_tPvRmT2_T3_mT4_P12ihipStream_tbEUlT_E_NS1_11comp_targetILNS1_3genE8ELNS1_11target_archE1030ELNS1_3gpuE2ELNS1_3repE0EEENS1_30default_config_static_selectorELNS0_4arch9wavefront6targetE1EEEvT1_, .Lfunc_end136-_ZN7rocprim17ROCPRIM_400000_NS6detail17trampoline_kernelINS0_14default_configENS1_35adjacent_difference_config_selectorILb0EyEEZNS1_24adjacent_difference_implIS3_Lb0ELb0EPyS7_N6thrust23THRUST_200600_302600_NS4plusIyEEEE10hipError_tPvRmT2_T3_mT4_P12ihipStream_tbEUlT_E_NS1_11comp_targetILNS1_3genE8ELNS1_11target_archE1030ELNS1_3gpuE2ELNS1_3repE0EEENS1_30default_config_static_selectorELNS0_4arch9wavefront6targetE1EEEvT1_
                                        ; -- End function
	.set _ZN7rocprim17ROCPRIM_400000_NS6detail17trampoline_kernelINS0_14default_configENS1_35adjacent_difference_config_selectorILb0EyEEZNS1_24adjacent_difference_implIS3_Lb0ELb0EPyS7_N6thrust23THRUST_200600_302600_NS4plusIyEEEE10hipError_tPvRmT2_T3_mT4_P12ihipStream_tbEUlT_E_NS1_11comp_targetILNS1_3genE8ELNS1_11target_archE1030ELNS1_3gpuE2ELNS1_3repE0EEENS1_30default_config_static_selectorELNS0_4arch9wavefront6targetE1EEEvT1_.num_vgpr, 0
	.set _ZN7rocprim17ROCPRIM_400000_NS6detail17trampoline_kernelINS0_14default_configENS1_35adjacent_difference_config_selectorILb0EyEEZNS1_24adjacent_difference_implIS3_Lb0ELb0EPyS7_N6thrust23THRUST_200600_302600_NS4plusIyEEEE10hipError_tPvRmT2_T3_mT4_P12ihipStream_tbEUlT_E_NS1_11comp_targetILNS1_3genE8ELNS1_11target_archE1030ELNS1_3gpuE2ELNS1_3repE0EEENS1_30default_config_static_selectorELNS0_4arch9wavefront6targetE1EEEvT1_.num_agpr, 0
	.set _ZN7rocprim17ROCPRIM_400000_NS6detail17trampoline_kernelINS0_14default_configENS1_35adjacent_difference_config_selectorILb0EyEEZNS1_24adjacent_difference_implIS3_Lb0ELb0EPyS7_N6thrust23THRUST_200600_302600_NS4plusIyEEEE10hipError_tPvRmT2_T3_mT4_P12ihipStream_tbEUlT_E_NS1_11comp_targetILNS1_3genE8ELNS1_11target_archE1030ELNS1_3gpuE2ELNS1_3repE0EEENS1_30default_config_static_selectorELNS0_4arch9wavefront6targetE1EEEvT1_.numbered_sgpr, 0
	.set _ZN7rocprim17ROCPRIM_400000_NS6detail17trampoline_kernelINS0_14default_configENS1_35adjacent_difference_config_selectorILb0EyEEZNS1_24adjacent_difference_implIS3_Lb0ELb0EPyS7_N6thrust23THRUST_200600_302600_NS4plusIyEEEE10hipError_tPvRmT2_T3_mT4_P12ihipStream_tbEUlT_E_NS1_11comp_targetILNS1_3genE8ELNS1_11target_archE1030ELNS1_3gpuE2ELNS1_3repE0EEENS1_30default_config_static_selectorELNS0_4arch9wavefront6targetE1EEEvT1_.num_named_barrier, 0
	.set _ZN7rocprim17ROCPRIM_400000_NS6detail17trampoline_kernelINS0_14default_configENS1_35adjacent_difference_config_selectorILb0EyEEZNS1_24adjacent_difference_implIS3_Lb0ELb0EPyS7_N6thrust23THRUST_200600_302600_NS4plusIyEEEE10hipError_tPvRmT2_T3_mT4_P12ihipStream_tbEUlT_E_NS1_11comp_targetILNS1_3genE8ELNS1_11target_archE1030ELNS1_3gpuE2ELNS1_3repE0EEENS1_30default_config_static_selectorELNS0_4arch9wavefront6targetE1EEEvT1_.private_seg_size, 0
	.set _ZN7rocprim17ROCPRIM_400000_NS6detail17trampoline_kernelINS0_14default_configENS1_35adjacent_difference_config_selectorILb0EyEEZNS1_24adjacent_difference_implIS3_Lb0ELb0EPyS7_N6thrust23THRUST_200600_302600_NS4plusIyEEEE10hipError_tPvRmT2_T3_mT4_P12ihipStream_tbEUlT_E_NS1_11comp_targetILNS1_3genE8ELNS1_11target_archE1030ELNS1_3gpuE2ELNS1_3repE0EEENS1_30default_config_static_selectorELNS0_4arch9wavefront6targetE1EEEvT1_.uses_vcc, 0
	.set _ZN7rocprim17ROCPRIM_400000_NS6detail17trampoline_kernelINS0_14default_configENS1_35adjacent_difference_config_selectorILb0EyEEZNS1_24adjacent_difference_implIS3_Lb0ELb0EPyS7_N6thrust23THRUST_200600_302600_NS4plusIyEEEE10hipError_tPvRmT2_T3_mT4_P12ihipStream_tbEUlT_E_NS1_11comp_targetILNS1_3genE8ELNS1_11target_archE1030ELNS1_3gpuE2ELNS1_3repE0EEENS1_30default_config_static_selectorELNS0_4arch9wavefront6targetE1EEEvT1_.uses_flat_scratch, 0
	.set _ZN7rocprim17ROCPRIM_400000_NS6detail17trampoline_kernelINS0_14default_configENS1_35adjacent_difference_config_selectorILb0EyEEZNS1_24adjacent_difference_implIS3_Lb0ELb0EPyS7_N6thrust23THRUST_200600_302600_NS4plusIyEEEE10hipError_tPvRmT2_T3_mT4_P12ihipStream_tbEUlT_E_NS1_11comp_targetILNS1_3genE8ELNS1_11target_archE1030ELNS1_3gpuE2ELNS1_3repE0EEENS1_30default_config_static_selectorELNS0_4arch9wavefront6targetE1EEEvT1_.has_dyn_sized_stack, 0
	.set _ZN7rocprim17ROCPRIM_400000_NS6detail17trampoline_kernelINS0_14default_configENS1_35adjacent_difference_config_selectorILb0EyEEZNS1_24adjacent_difference_implIS3_Lb0ELb0EPyS7_N6thrust23THRUST_200600_302600_NS4plusIyEEEE10hipError_tPvRmT2_T3_mT4_P12ihipStream_tbEUlT_E_NS1_11comp_targetILNS1_3genE8ELNS1_11target_archE1030ELNS1_3gpuE2ELNS1_3repE0EEENS1_30default_config_static_selectorELNS0_4arch9wavefront6targetE1EEEvT1_.has_recursion, 0
	.set _ZN7rocprim17ROCPRIM_400000_NS6detail17trampoline_kernelINS0_14default_configENS1_35adjacent_difference_config_selectorILb0EyEEZNS1_24adjacent_difference_implIS3_Lb0ELb0EPyS7_N6thrust23THRUST_200600_302600_NS4plusIyEEEE10hipError_tPvRmT2_T3_mT4_P12ihipStream_tbEUlT_E_NS1_11comp_targetILNS1_3genE8ELNS1_11target_archE1030ELNS1_3gpuE2ELNS1_3repE0EEENS1_30default_config_static_selectorELNS0_4arch9wavefront6targetE1EEEvT1_.has_indirect_call, 0
	.section	.AMDGPU.csdata,"",@progbits
; Kernel info:
; codeLenInByte = 0
; TotalNumSgprs: 4
; NumVgprs: 0
; ScratchSize: 0
; MemoryBound: 0
; FloatMode: 240
; IeeeMode: 1
; LDSByteSize: 0 bytes/workgroup (compile time only)
; SGPRBlocks: 0
; VGPRBlocks: 0
; NumSGPRsForWavesPerEU: 4
; NumVGPRsForWavesPerEU: 1
; Occupancy: 10
; WaveLimiterHint : 0
; COMPUTE_PGM_RSRC2:SCRATCH_EN: 0
; COMPUTE_PGM_RSRC2:USER_SGPR: 6
; COMPUTE_PGM_RSRC2:TRAP_HANDLER: 0
; COMPUTE_PGM_RSRC2:TGID_X_EN: 1
; COMPUTE_PGM_RSRC2:TGID_Y_EN: 0
; COMPUTE_PGM_RSRC2:TGID_Z_EN: 0
; COMPUTE_PGM_RSRC2:TIDIG_COMP_CNT: 0
	.section	.text._ZN7rocprim17ROCPRIM_400000_NS6detail17trampoline_kernelINS0_14default_configENS1_25transform_config_selectorIyLb0EEEZNS1_14transform_implILb0ES3_S5_NS0_18transform_iteratorINS0_17counting_iteratorImlEEZNS1_24adjacent_difference_implIS3_Lb1ELb0EPySB_N6thrust23THRUST_200600_302600_NS4plusIyEEEE10hipError_tPvRmT2_T3_mT4_P12ihipStream_tbEUlmE_yEESB_NS0_8identityIvEEEESG_SJ_SK_mSL_SN_bEUlT_E_NS1_11comp_targetILNS1_3genE0ELNS1_11target_archE4294967295ELNS1_3gpuE0ELNS1_3repE0EEENS1_30default_config_static_selectorELNS0_4arch9wavefront6targetE1EEEvT1_,"axG",@progbits,_ZN7rocprim17ROCPRIM_400000_NS6detail17trampoline_kernelINS0_14default_configENS1_25transform_config_selectorIyLb0EEEZNS1_14transform_implILb0ES3_S5_NS0_18transform_iteratorINS0_17counting_iteratorImlEEZNS1_24adjacent_difference_implIS3_Lb1ELb0EPySB_N6thrust23THRUST_200600_302600_NS4plusIyEEEE10hipError_tPvRmT2_T3_mT4_P12ihipStream_tbEUlmE_yEESB_NS0_8identityIvEEEESG_SJ_SK_mSL_SN_bEUlT_E_NS1_11comp_targetILNS1_3genE0ELNS1_11target_archE4294967295ELNS1_3gpuE0ELNS1_3repE0EEENS1_30default_config_static_selectorELNS0_4arch9wavefront6targetE1EEEvT1_,comdat
	.protected	_ZN7rocprim17ROCPRIM_400000_NS6detail17trampoline_kernelINS0_14default_configENS1_25transform_config_selectorIyLb0EEEZNS1_14transform_implILb0ES3_S5_NS0_18transform_iteratorINS0_17counting_iteratorImlEEZNS1_24adjacent_difference_implIS3_Lb1ELb0EPySB_N6thrust23THRUST_200600_302600_NS4plusIyEEEE10hipError_tPvRmT2_T3_mT4_P12ihipStream_tbEUlmE_yEESB_NS0_8identityIvEEEESG_SJ_SK_mSL_SN_bEUlT_E_NS1_11comp_targetILNS1_3genE0ELNS1_11target_archE4294967295ELNS1_3gpuE0ELNS1_3repE0EEENS1_30default_config_static_selectorELNS0_4arch9wavefront6targetE1EEEvT1_ ; -- Begin function _ZN7rocprim17ROCPRIM_400000_NS6detail17trampoline_kernelINS0_14default_configENS1_25transform_config_selectorIyLb0EEEZNS1_14transform_implILb0ES3_S5_NS0_18transform_iteratorINS0_17counting_iteratorImlEEZNS1_24adjacent_difference_implIS3_Lb1ELb0EPySB_N6thrust23THRUST_200600_302600_NS4plusIyEEEE10hipError_tPvRmT2_T3_mT4_P12ihipStream_tbEUlmE_yEESB_NS0_8identityIvEEEESG_SJ_SK_mSL_SN_bEUlT_E_NS1_11comp_targetILNS1_3genE0ELNS1_11target_archE4294967295ELNS1_3gpuE0ELNS1_3repE0EEENS1_30default_config_static_selectorELNS0_4arch9wavefront6targetE1EEEvT1_
	.globl	_ZN7rocprim17ROCPRIM_400000_NS6detail17trampoline_kernelINS0_14default_configENS1_25transform_config_selectorIyLb0EEEZNS1_14transform_implILb0ES3_S5_NS0_18transform_iteratorINS0_17counting_iteratorImlEEZNS1_24adjacent_difference_implIS3_Lb1ELb0EPySB_N6thrust23THRUST_200600_302600_NS4plusIyEEEE10hipError_tPvRmT2_T3_mT4_P12ihipStream_tbEUlmE_yEESB_NS0_8identityIvEEEESG_SJ_SK_mSL_SN_bEUlT_E_NS1_11comp_targetILNS1_3genE0ELNS1_11target_archE4294967295ELNS1_3gpuE0ELNS1_3repE0EEENS1_30default_config_static_selectorELNS0_4arch9wavefront6targetE1EEEvT1_
	.p2align	8
	.type	_ZN7rocprim17ROCPRIM_400000_NS6detail17trampoline_kernelINS0_14default_configENS1_25transform_config_selectorIyLb0EEEZNS1_14transform_implILb0ES3_S5_NS0_18transform_iteratorINS0_17counting_iteratorImlEEZNS1_24adjacent_difference_implIS3_Lb1ELb0EPySB_N6thrust23THRUST_200600_302600_NS4plusIyEEEE10hipError_tPvRmT2_T3_mT4_P12ihipStream_tbEUlmE_yEESB_NS0_8identityIvEEEESG_SJ_SK_mSL_SN_bEUlT_E_NS1_11comp_targetILNS1_3genE0ELNS1_11target_archE4294967295ELNS1_3gpuE0ELNS1_3repE0EEENS1_30default_config_static_selectorELNS0_4arch9wavefront6targetE1EEEvT1_,@function
_ZN7rocprim17ROCPRIM_400000_NS6detail17trampoline_kernelINS0_14default_configENS1_25transform_config_selectorIyLb0EEEZNS1_14transform_implILb0ES3_S5_NS0_18transform_iteratorINS0_17counting_iteratorImlEEZNS1_24adjacent_difference_implIS3_Lb1ELb0EPySB_N6thrust23THRUST_200600_302600_NS4plusIyEEEE10hipError_tPvRmT2_T3_mT4_P12ihipStream_tbEUlmE_yEESB_NS0_8identityIvEEEESG_SJ_SK_mSL_SN_bEUlT_E_NS1_11comp_targetILNS1_3genE0ELNS1_11target_archE4294967295ELNS1_3gpuE0ELNS1_3repE0EEENS1_30default_config_static_selectorELNS0_4arch9wavefront6targetE1EEEvT1_: ; @_ZN7rocprim17ROCPRIM_400000_NS6detail17trampoline_kernelINS0_14default_configENS1_25transform_config_selectorIyLb0EEEZNS1_14transform_implILb0ES3_S5_NS0_18transform_iteratorINS0_17counting_iteratorImlEEZNS1_24adjacent_difference_implIS3_Lb1ELb0EPySB_N6thrust23THRUST_200600_302600_NS4plusIyEEEE10hipError_tPvRmT2_T3_mT4_P12ihipStream_tbEUlmE_yEESB_NS0_8identityIvEEEESG_SJ_SK_mSL_SN_bEUlT_E_NS1_11comp_targetILNS1_3genE0ELNS1_11target_archE4294967295ELNS1_3gpuE0ELNS1_3repE0EEENS1_30default_config_static_selectorELNS0_4arch9wavefront6targetE1EEEvT1_
; %bb.0:
	.section	.rodata,"a",@progbits
	.p2align	6, 0x0
	.amdhsa_kernel _ZN7rocprim17ROCPRIM_400000_NS6detail17trampoline_kernelINS0_14default_configENS1_25transform_config_selectorIyLb0EEEZNS1_14transform_implILb0ES3_S5_NS0_18transform_iteratorINS0_17counting_iteratorImlEEZNS1_24adjacent_difference_implIS3_Lb1ELb0EPySB_N6thrust23THRUST_200600_302600_NS4plusIyEEEE10hipError_tPvRmT2_T3_mT4_P12ihipStream_tbEUlmE_yEESB_NS0_8identityIvEEEESG_SJ_SK_mSL_SN_bEUlT_E_NS1_11comp_targetILNS1_3genE0ELNS1_11target_archE4294967295ELNS1_3gpuE0ELNS1_3repE0EEENS1_30default_config_static_selectorELNS0_4arch9wavefront6targetE1EEEvT1_
		.amdhsa_group_segment_fixed_size 0
		.amdhsa_private_segment_fixed_size 0
		.amdhsa_kernarg_size 56
		.amdhsa_user_sgpr_count 6
		.amdhsa_user_sgpr_private_segment_buffer 1
		.amdhsa_user_sgpr_dispatch_ptr 0
		.amdhsa_user_sgpr_queue_ptr 0
		.amdhsa_user_sgpr_kernarg_segment_ptr 1
		.amdhsa_user_sgpr_dispatch_id 0
		.amdhsa_user_sgpr_flat_scratch_init 0
		.amdhsa_user_sgpr_private_segment_size 0
		.amdhsa_uses_dynamic_stack 0
		.amdhsa_system_sgpr_private_segment_wavefront_offset 0
		.amdhsa_system_sgpr_workgroup_id_x 1
		.amdhsa_system_sgpr_workgroup_id_y 0
		.amdhsa_system_sgpr_workgroup_id_z 0
		.amdhsa_system_sgpr_workgroup_info 0
		.amdhsa_system_vgpr_workitem_id 0
		.amdhsa_next_free_vgpr 1
		.amdhsa_next_free_sgpr 0
		.amdhsa_reserve_vcc 0
		.amdhsa_reserve_flat_scratch 0
		.amdhsa_float_round_mode_32 0
		.amdhsa_float_round_mode_16_64 0
		.amdhsa_float_denorm_mode_32 3
		.amdhsa_float_denorm_mode_16_64 3
		.amdhsa_dx10_clamp 1
		.amdhsa_ieee_mode 1
		.amdhsa_fp16_overflow 0
		.amdhsa_exception_fp_ieee_invalid_op 0
		.amdhsa_exception_fp_denorm_src 0
		.amdhsa_exception_fp_ieee_div_zero 0
		.amdhsa_exception_fp_ieee_overflow 0
		.amdhsa_exception_fp_ieee_underflow 0
		.amdhsa_exception_fp_ieee_inexact 0
		.amdhsa_exception_int_div_zero 0
	.end_amdhsa_kernel
	.section	.text._ZN7rocprim17ROCPRIM_400000_NS6detail17trampoline_kernelINS0_14default_configENS1_25transform_config_selectorIyLb0EEEZNS1_14transform_implILb0ES3_S5_NS0_18transform_iteratorINS0_17counting_iteratorImlEEZNS1_24adjacent_difference_implIS3_Lb1ELb0EPySB_N6thrust23THRUST_200600_302600_NS4plusIyEEEE10hipError_tPvRmT2_T3_mT4_P12ihipStream_tbEUlmE_yEESB_NS0_8identityIvEEEESG_SJ_SK_mSL_SN_bEUlT_E_NS1_11comp_targetILNS1_3genE0ELNS1_11target_archE4294967295ELNS1_3gpuE0ELNS1_3repE0EEENS1_30default_config_static_selectorELNS0_4arch9wavefront6targetE1EEEvT1_,"axG",@progbits,_ZN7rocprim17ROCPRIM_400000_NS6detail17trampoline_kernelINS0_14default_configENS1_25transform_config_selectorIyLb0EEEZNS1_14transform_implILb0ES3_S5_NS0_18transform_iteratorINS0_17counting_iteratorImlEEZNS1_24adjacent_difference_implIS3_Lb1ELb0EPySB_N6thrust23THRUST_200600_302600_NS4plusIyEEEE10hipError_tPvRmT2_T3_mT4_P12ihipStream_tbEUlmE_yEESB_NS0_8identityIvEEEESG_SJ_SK_mSL_SN_bEUlT_E_NS1_11comp_targetILNS1_3genE0ELNS1_11target_archE4294967295ELNS1_3gpuE0ELNS1_3repE0EEENS1_30default_config_static_selectorELNS0_4arch9wavefront6targetE1EEEvT1_,comdat
.Lfunc_end137:
	.size	_ZN7rocprim17ROCPRIM_400000_NS6detail17trampoline_kernelINS0_14default_configENS1_25transform_config_selectorIyLb0EEEZNS1_14transform_implILb0ES3_S5_NS0_18transform_iteratorINS0_17counting_iteratorImlEEZNS1_24adjacent_difference_implIS3_Lb1ELb0EPySB_N6thrust23THRUST_200600_302600_NS4plusIyEEEE10hipError_tPvRmT2_T3_mT4_P12ihipStream_tbEUlmE_yEESB_NS0_8identityIvEEEESG_SJ_SK_mSL_SN_bEUlT_E_NS1_11comp_targetILNS1_3genE0ELNS1_11target_archE4294967295ELNS1_3gpuE0ELNS1_3repE0EEENS1_30default_config_static_selectorELNS0_4arch9wavefront6targetE1EEEvT1_, .Lfunc_end137-_ZN7rocprim17ROCPRIM_400000_NS6detail17trampoline_kernelINS0_14default_configENS1_25transform_config_selectorIyLb0EEEZNS1_14transform_implILb0ES3_S5_NS0_18transform_iteratorINS0_17counting_iteratorImlEEZNS1_24adjacent_difference_implIS3_Lb1ELb0EPySB_N6thrust23THRUST_200600_302600_NS4plusIyEEEE10hipError_tPvRmT2_T3_mT4_P12ihipStream_tbEUlmE_yEESB_NS0_8identityIvEEEESG_SJ_SK_mSL_SN_bEUlT_E_NS1_11comp_targetILNS1_3genE0ELNS1_11target_archE4294967295ELNS1_3gpuE0ELNS1_3repE0EEENS1_30default_config_static_selectorELNS0_4arch9wavefront6targetE1EEEvT1_
                                        ; -- End function
	.set _ZN7rocprim17ROCPRIM_400000_NS6detail17trampoline_kernelINS0_14default_configENS1_25transform_config_selectorIyLb0EEEZNS1_14transform_implILb0ES3_S5_NS0_18transform_iteratorINS0_17counting_iteratorImlEEZNS1_24adjacent_difference_implIS3_Lb1ELb0EPySB_N6thrust23THRUST_200600_302600_NS4plusIyEEEE10hipError_tPvRmT2_T3_mT4_P12ihipStream_tbEUlmE_yEESB_NS0_8identityIvEEEESG_SJ_SK_mSL_SN_bEUlT_E_NS1_11comp_targetILNS1_3genE0ELNS1_11target_archE4294967295ELNS1_3gpuE0ELNS1_3repE0EEENS1_30default_config_static_selectorELNS0_4arch9wavefront6targetE1EEEvT1_.num_vgpr, 0
	.set _ZN7rocprim17ROCPRIM_400000_NS6detail17trampoline_kernelINS0_14default_configENS1_25transform_config_selectorIyLb0EEEZNS1_14transform_implILb0ES3_S5_NS0_18transform_iteratorINS0_17counting_iteratorImlEEZNS1_24adjacent_difference_implIS3_Lb1ELb0EPySB_N6thrust23THRUST_200600_302600_NS4plusIyEEEE10hipError_tPvRmT2_T3_mT4_P12ihipStream_tbEUlmE_yEESB_NS0_8identityIvEEEESG_SJ_SK_mSL_SN_bEUlT_E_NS1_11comp_targetILNS1_3genE0ELNS1_11target_archE4294967295ELNS1_3gpuE0ELNS1_3repE0EEENS1_30default_config_static_selectorELNS0_4arch9wavefront6targetE1EEEvT1_.num_agpr, 0
	.set _ZN7rocprim17ROCPRIM_400000_NS6detail17trampoline_kernelINS0_14default_configENS1_25transform_config_selectorIyLb0EEEZNS1_14transform_implILb0ES3_S5_NS0_18transform_iteratorINS0_17counting_iteratorImlEEZNS1_24adjacent_difference_implIS3_Lb1ELb0EPySB_N6thrust23THRUST_200600_302600_NS4plusIyEEEE10hipError_tPvRmT2_T3_mT4_P12ihipStream_tbEUlmE_yEESB_NS0_8identityIvEEEESG_SJ_SK_mSL_SN_bEUlT_E_NS1_11comp_targetILNS1_3genE0ELNS1_11target_archE4294967295ELNS1_3gpuE0ELNS1_3repE0EEENS1_30default_config_static_selectorELNS0_4arch9wavefront6targetE1EEEvT1_.numbered_sgpr, 0
	.set _ZN7rocprim17ROCPRIM_400000_NS6detail17trampoline_kernelINS0_14default_configENS1_25transform_config_selectorIyLb0EEEZNS1_14transform_implILb0ES3_S5_NS0_18transform_iteratorINS0_17counting_iteratorImlEEZNS1_24adjacent_difference_implIS3_Lb1ELb0EPySB_N6thrust23THRUST_200600_302600_NS4plusIyEEEE10hipError_tPvRmT2_T3_mT4_P12ihipStream_tbEUlmE_yEESB_NS0_8identityIvEEEESG_SJ_SK_mSL_SN_bEUlT_E_NS1_11comp_targetILNS1_3genE0ELNS1_11target_archE4294967295ELNS1_3gpuE0ELNS1_3repE0EEENS1_30default_config_static_selectorELNS0_4arch9wavefront6targetE1EEEvT1_.num_named_barrier, 0
	.set _ZN7rocprim17ROCPRIM_400000_NS6detail17trampoline_kernelINS0_14default_configENS1_25transform_config_selectorIyLb0EEEZNS1_14transform_implILb0ES3_S5_NS0_18transform_iteratorINS0_17counting_iteratorImlEEZNS1_24adjacent_difference_implIS3_Lb1ELb0EPySB_N6thrust23THRUST_200600_302600_NS4plusIyEEEE10hipError_tPvRmT2_T3_mT4_P12ihipStream_tbEUlmE_yEESB_NS0_8identityIvEEEESG_SJ_SK_mSL_SN_bEUlT_E_NS1_11comp_targetILNS1_3genE0ELNS1_11target_archE4294967295ELNS1_3gpuE0ELNS1_3repE0EEENS1_30default_config_static_selectorELNS0_4arch9wavefront6targetE1EEEvT1_.private_seg_size, 0
	.set _ZN7rocprim17ROCPRIM_400000_NS6detail17trampoline_kernelINS0_14default_configENS1_25transform_config_selectorIyLb0EEEZNS1_14transform_implILb0ES3_S5_NS0_18transform_iteratorINS0_17counting_iteratorImlEEZNS1_24adjacent_difference_implIS3_Lb1ELb0EPySB_N6thrust23THRUST_200600_302600_NS4plusIyEEEE10hipError_tPvRmT2_T3_mT4_P12ihipStream_tbEUlmE_yEESB_NS0_8identityIvEEEESG_SJ_SK_mSL_SN_bEUlT_E_NS1_11comp_targetILNS1_3genE0ELNS1_11target_archE4294967295ELNS1_3gpuE0ELNS1_3repE0EEENS1_30default_config_static_selectorELNS0_4arch9wavefront6targetE1EEEvT1_.uses_vcc, 0
	.set _ZN7rocprim17ROCPRIM_400000_NS6detail17trampoline_kernelINS0_14default_configENS1_25transform_config_selectorIyLb0EEEZNS1_14transform_implILb0ES3_S5_NS0_18transform_iteratorINS0_17counting_iteratorImlEEZNS1_24adjacent_difference_implIS3_Lb1ELb0EPySB_N6thrust23THRUST_200600_302600_NS4plusIyEEEE10hipError_tPvRmT2_T3_mT4_P12ihipStream_tbEUlmE_yEESB_NS0_8identityIvEEEESG_SJ_SK_mSL_SN_bEUlT_E_NS1_11comp_targetILNS1_3genE0ELNS1_11target_archE4294967295ELNS1_3gpuE0ELNS1_3repE0EEENS1_30default_config_static_selectorELNS0_4arch9wavefront6targetE1EEEvT1_.uses_flat_scratch, 0
	.set _ZN7rocprim17ROCPRIM_400000_NS6detail17trampoline_kernelINS0_14default_configENS1_25transform_config_selectorIyLb0EEEZNS1_14transform_implILb0ES3_S5_NS0_18transform_iteratorINS0_17counting_iteratorImlEEZNS1_24adjacent_difference_implIS3_Lb1ELb0EPySB_N6thrust23THRUST_200600_302600_NS4plusIyEEEE10hipError_tPvRmT2_T3_mT4_P12ihipStream_tbEUlmE_yEESB_NS0_8identityIvEEEESG_SJ_SK_mSL_SN_bEUlT_E_NS1_11comp_targetILNS1_3genE0ELNS1_11target_archE4294967295ELNS1_3gpuE0ELNS1_3repE0EEENS1_30default_config_static_selectorELNS0_4arch9wavefront6targetE1EEEvT1_.has_dyn_sized_stack, 0
	.set _ZN7rocprim17ROCPRIM_400000_NS6detail17trampoline_kernelINS0_14default_configENS1_25transform_config_selectorIyLb0EEEZNS1_14transform_implILb0ES3_S5_NS0_18transform_iteratorINS0_17counting_iteratorImlEEZNS1_24adjacent_difference_implIS3_Lb1ELb0EPySB_N6thrust23THRUST_200600_302600_NS4plusIyEEEE10hipError_tPvRmT2_T3_mT4_P12ihipStream_tbEUlmE_yEESB_NS0_8identityIvEEEESG_SJ_SK_mSL_SN_bEUlT_E_NS1_11comp_targetILNS1_3genE0ELNS1_11target_archE4294967295ELNS1_3gpuE0ELNS1_3repE0EEENS1_30default_config_static_selectorELNS0_4arch9wavefront6targetE1EEEvT1_.has_recursion, 0
	.set _ZN7rocprim17ROCPRIM_400000_NS6detail17trampoline_kernelINS0_14default_configENS1_25transform_config_selectorIyLb0EEEZNS1_14transform_implILb0ES3_S5_NS0_18transform_iteratorINS0_17counting_iteratorImlEEZNS1_24adjacent_difference_implIS3_Lb1ELb0EPySB_N6thrust23THRUST_200600_302600_NS4plusIyEEEE10hipError_tPvRmT2_T3_mT4_P12ihipStream_tbEUlmE_yEESB_NS0_8identityIvEEEESG_SJ_SK_mSL_SN_bEUlT_E_NS1_11comp_targetILNS1_3genE0ELNS1_11target_archE4294967295ELNS1_3gpuE0ELNS1_3repE0EEENS1_30default_config_static_selectorELNS0_4arch9wavefront6targetE1EEEvT1_.has_indirect_call, 0
	.section	.AMDGPU.csdata,"",@progbits
; Kernel info:
; codeLenInByte = 0
; TotalNumSgprs: 4
; NumVgprs: 0
; ScratchSize: 0
; MemoryBound: 0
; FloatMode: 240
; IeeeMode: 1
; LDSByteSize: 0 bytes/workgroup (compile time only)
; SGPRBlocks: 0
; VGPRBlocks: 0
; NumSGPRsForWavesPerEU: 4
; NumVGPRsForWavesPerEU: 1
; Occupancy: 10
; WaveLimiterHint : 0
; COMPUTE_PGM_RSRC2:SCRATCH_EN: 0
; COMPUTE_PGM_RSRC2:USER_SGPR: 6
; COMPUTE_PGM_RSRC2:TRAP_HANDLER: 0
; COMPUTE_PGM_RSRC2:TGID_X_EN: 1
; COMPUTE_PGM_RSRC2:TGID_Y_EN: 0
; COMPUTE_PGM_RSRC2:TGID_Z_EN: 0
; COMPUTE_PGM_RSRC2:TIDIG_COMP_CNT: 0
	.section	.text._ZN7rocprim17ROCPRIM_400000_NS6detail17trampoline_kernelINS0_14default_configENS1_25transform_config_selectorIyLb0EEEZNS1_14transform_implILb0ES3_S5_NS0_18transform_iteratorINS0_17counting_iteratorImlEEZNS1_24adjacent_difference_implIS3_Lb1ELb0EPySB_N6thrust23THRUST_200600_302600_NS4plusIyEEEE10hipError_tPvRmT2_T3_mT4_P12ihipStream_tbEUlmE_yEESB_NS0_8identityIvEEEESG_SJ_SK_mSL_SN_bEUlT_E_NS1_11comp_targetILNS1_3genE5ELNS1_11target_archE942ELNS1_3gpuE9ELNS1_3repE0EEENS1_30default_config_static_selectorELNS0_4arch9wavefront6targetE1EEEvT1_,"axG",@progbits,_ZN7rocprim17ROCPRIM_400000_NS6detail17trampoline_kernelINS0_14default_configENS1_25transform_config_selectorIyLb0EEEZNS1_14transform_implILb0ES3_S5_NS0_18transform_iteratorINS0_17counting_iteratorImlEEZNS1_24adjacent_difference_implIS3_Lb1ELb0EPySB_N6thrust23THRUST_200600_302600_NS4plusIyEEEE10hipError_tPvRmT2_T3_mT4_P12ihipStream_tbEUlmE_yEESB_NS0_8identityIvEEEESG_SJ_SK_mSL_SN_bEUlT_E_NS1_11comp_targetILNS1_3genE5ELNS1_11target_archE942ELNS1_3gpuE9ELNS1_3repE0EEENS1_30default_config_static_selectorELNS0_4arch9wavefront6targetE1EEEvT1_,comdat
	.protected	_ZN7rocprim17ROCPRIM_400000_NS6detail17trampoline_kernelINS0_14default_configENS1_25transform_config_selectorIyLb0EEEZNS1_14transform_implILb0ES3_S5_NS0_18transform_iteratorINS0_17counting_iteratorImlEEZNS1_24adjacent_difference_implIS3_Lb1ELb0EPySB_N6thrust23THRUST_200600_302600_NS4plusIyEEEE10hipError_tPvRmT2_T3_mT4_P12ihipStream_tbEUlmE_yEESB_NS0_8identityIvEEEESG_SJ_SK_mSL_SN_bEUlT_E_NS1_11comp_targetILNS1_3genE5ELNS1_11target_archE942ELNS1_3gpuE9ELNS1_3repE0EEENS1_30default_config_static_selectorELNS0_4arch9wavefront6targetE1EEEvT1_ ; -- Begin function _ZN7rocprim17ROCPRIM_400000_NS6detail17trampoline_kernelINS0_14default_configENS1_25transform_config_selectorIyLb0EEEZNS1_14transform_implILb0ES3_S5_NS0_18transform_iteratorINS0_17counting_iteratorImlEEZNS1_24adjacent_difference_implIS3_Lb1ELb0EPySB_N6thrust23THRUST_200600_302600_NS4plusIyEEEE10hipError_tPvRmT2_T3_mT4_P12ihipStream_tbEUlmE_yEESB_NS0_8identityIvEEEESG_SJ_SK_mSL_SN_bEUlT_E_NS1_11comp_targetILNS1_3genE5ELNS1_11target_archE942ELNS1_3gpuE9ELNS1_3repE0EEENS1_30default_config_static_selectorELNS0_4arch9wavefront6targetE1EEEvT1_
	.globl	_ZN7rocprim17ROCPRIM_400000_NS6detail17trampoline_kernelINS0_14default_configENS1_25transform_config_selectorIyLb0EEEZNS1_14transform_implILb0ES3_S5_NS0_18transform_iteratorINS0_17counting_iteratorImlEEZNS1_24adjacent_difference_implIS3_Lb1ELb0EPySB_N6thrust23THRUST_200600_302600_NS4plusIyEEEE10hipError_tPvRmT2_T3_mT4_P12ihipStream_tbEUlmE_yEESB_NS0_8identityIvEEEESG_SJ_SK_mSL_SN_bEUlT_E_NS1_11comp_targetILNS1_3genE5ELNS1_11target_archE942ELNS1_3gpuE9ELNS1_3repE0EEENS1_30default_config_static_selectorELNS0_4arch9wavefront6targetE1EEEvT1_
	.p2align	8
	.type	_ZN7rocprim17ROCPRIM_400000_NS6detail17trampoline_kernelINS0_14default_configENS1_25transform_config_selectorIyLb0EEEZNS1_14transform_implILb0ES3_S5_NS0_18transform_iteratorINS0_17counting_iteratorImlEEZNS1_24adjacent_difference_implIS3_Lb1ELb0EPySB_N6thrust23THRUST_200600_302600_NS4plusIyEEEE10hipError_tPvRmT2_T3_mT4_P12ihipStream_tbEUlmE_yEESB_NS0_8identityIvEEEESG_SJ_SK_mSL_SN_bEUlT_E_NS1_11comp_targetILNS1_3genE5ELNS1_11target_archE942ELNS1_3gpuE9ELNS1_3repE0EEENS1_30default_config_static_selectorELNS0_4arch9wavefront6targetE1EEEvT1_,@function
_ZN7rocprim17ROCPRIM_400000_NS6detail17trampoline_kernelINS0_14default_configENS1_25transform_config_selectorIyLb0EEEZNS1_14transform_implILb0ES3_S5_NS0_18transform_iteratorINS0_17counting_iteratorImlEEZNS1_24adjacent_difference_implIS3_Lb1ELb0EPySB_N6thrust23THRUST_200600_302600_NS4plusIyEEEE10hipError_tPvRmT2_T3_mT4_P12ihipStream_tbEUlmE_yEESB_NS0_8identityIvEEEESG_SJ_SK_mSL_SN_bEUlT_E_NS1_11comp_targetILNS1_3genE5ELNS1_11target_archE942ELNS1_3gpuE9ELNS1_3repE0EEENS1_30default_config_static_selectorELNS0_4arch9wavefront6targetE1EEEvT1_: ; @_ZN7rocprim17ROCPRIM_400000_NS6detail17trampoline_kernelINS0_14default_configENS1_25transform_config_selectorIyLb0EEEZNS1_14transform_implILb0ES3_S5_NS0_18transform_iteratorINS0_17counting_iteratorImlEEZNS1_24adjacent_difference_implIS3_Lb1ELb0EPySB_N6thrust23THRUST_200600_302600_NS4plusIyEEEE10hipError_tPvRmT2_T3_mT4_P12ihipStream_tbEUlmE_yEESB_NS0_8identityIvEEEESG_SJ_SK_mSL_SN_bEUlT_E_NS1_11comp_targetILNS1_3genE5ELNS1_11target_archE942ELNS1_3gpuE9ELNS1_3repE0EEENS1_30default_config_static_selectorELNS0_4arch9wavefront6targetE1EEEvT1_
; %bb.0:
	.section	.rodata,"a",@progbits
	.p2align	6, 0x0
	.amdhsa_kernel _ZN7rocprim17ROCPRIM_400000_NS6detail17trampoline_kernelINS0_14default_configENS1_25transform_config_selectorIyLb0EEEZNS1_14transform_implILb0ES3_S5_NS0_18transform_iteratorINS0_17counting_iteratorImlEEZNS1_24adjacent_difference_implIS3_Lb1ELb0EPySB_N6thrust23THRUST_200600_302600_NS4plusIyEEEE10hipError_tPvRmT2_T3_mT4_P12ihipStream_tbEUlmE_yEESB_NS0_8identityIvEEEESG_SJ_SK_mSL_SN_bEUlT_E_NS1_11comp_targetILNS1_3genE5ELNS1_11target_archE942ELNS1_3gpuE9ELNS1_3repE0EEENS1_30default_config_static_selectorELNS0_4arch9wavefront6targetE1EEEvT1_
		.amdhsa_group_segment_fixed_size 0
		.amdhsa_private_segment_fixed_size 0
		.amdhsa_kernarg_size 56
		.amdhsa_user_sgpr_count 6
		.amdhsa_user_sgpr_private_segment_buffer 1
		.amdhsa_user_sgpr_dispatch_ptr 0
		.amdhsa_user_sgpr_queue_ptr 0
		.amdhsa_user_sgpr_kernarg_segment_ptr 1
		.amdhsa_user_sgpr_dispatch_id 0
		.amdhsa_user_sgpr_flat_scratch_init 0
		.amdhsa_user_sgpr_private_segment_size 0
		.amdhsa_uses_dynamic_stack 0
		.amdhsa_system_sgpr_private_segment_wavefront_offset 0
		.amdhsa_system_sgpr_workgroup_id_x 1
		.amdhsa_system_sgpr_workgroup_id_y 0
		.amdhsa_system_sgpr_workgroup_id_z 0
		.amdhsa_system_sgpr_workgroup_info 0
		.amdhsa_system_vgpr_workitem_id 0
		.amdhsa_next_free_vgpr 1
		.amdhsa_next_free_sgpr 0
		.amdhsa_reserve_vcc 0
		.amdhsa_reserve_flat_scratch 0
		.amdhsa_float_round_mode_32 0
		.amdhsa_float_round_mode_16_64 0
		.amdhsa_float_denorm_mode_32 3
		.amdhsa_float_denorm_mode_16_64 3
		.amdhsa_dx10_clamp 1
		.amdhsa_ieee_mode 1
		.amdhsa_fp16_overflow 0
		.amdhsa_exception_fp_ieee_invalid_op 0
		.amdhsa_exception_fp_denorm_src 0
		.amdhsa_exception_fp_ieee_div_zero 0
		.amdhsa_exception_fp_ieee_overflow 0
		.amdhsa_exception_fp_ieee_underflow 0
		.amdhsa_exception_fp_ieee_inexact 0
		.amdhsa_exception_int_div_zero 0
	.end_amdhsa_kernel
	.section	.text._ZN7rocprim17ROCPRIM_400000_NS6detail17trampoline_kernelINS0_14default_configENS1_25transform_config_selectorIyLb0EEEZNS1_14transform_implILb0ES3_S5_NS0_18transform_iteratorINS0_17counting_iteratorImlEEZNS1_24adjacent_difference_implIS3_Lb1ELb0EPySB_N6thrust23THRUST_200600_302600_NS4plusIyEEEE10hipError_tPvRmT2_T3_mT4_P12ihipStream_tbEUlmE_yEESB_NS0_8identityIvEEEESG_SJ_SK_mSL_SN_bEUlT_E_NS1_11comp_targetILNS1_3genE5ELNS1_11target_archE942ELNS1_3gpuE9ELNS1_3repE0EEENS1_30default_config_static_selectorELNS0_4arch9wavefront6targetE1EEEvT1_,"axG",@progbits,_ZN7rocprim17ROCPRIM_400000_NS6detail17trampoline_kernelINS0_14default_configENS1_25transform_config_selectorIyLb0EEEZNS1_14transform_implILb0ES3_S5_NS0_18transform_iteratorINS0_17counting_iteratorImlEEZNS1_24adjacent_difference_implIS3_Lb1ELb0EPySB_N6thrust23THRUST_200600_302600_NS4plusIyEEEE10hipError_tPvRmT2_T3_mT4_P12ihipStream_tbEUlmE_yEESB_NS0_8identityIvEEEESG_SJ_SK_mSL_SN_bEUlT_E_NS1_11comp_targetILNS1_3genE5ELNS1_11target_archE942ELNS1_3gpuE9ELNS1_3repE0EEENS1_30default_config_static_selectorELNS0_4arch9wavefront6targetE1EEEvT1_,comdat
.Lfunc_end138:
	.size	_ZN7rocprim17ROCPRIM_400000_NS6detail17trampoline_kernelINS0_14default_configENS1_25transform_config_selectorIyLb0EEEZNS1_14transform_implILb0ES3_S5_NS0_18transform_iteratorINS0_17counting_iteratorImlEEZNS1_24adjacent_difference_implIS3_Lb1ELb0EPySB_N6thrust23THRUST_200600_302600_NS4plusIyEEEE10hipError_tPvRmT2_T3_mT4_P12ihipStream_tbEUlmE_yEESB_NS0_8identityIvEEEESG_SJ_SK_mSL_SN_bEUlT_E_NS1_11comp_targetILNS1_3genE5ELNS1_11target_archE942ELNS1_3gpuE9ELNS1_3repE0EEENS1_30default_config_static_selectorELNS0_4arch9wavefront6targetE1EEEvT1_, .Lfunc_end138-_ZN7rocprim17ROCPRIM_400000_NS6detail17trampoline_kernelINS0_14default_configENS1_25transform_config_selectorIyLb0EEEZNS1_14transform_implILb0ES3_S5_NS0_18transform_iteratorINS0_17counting_iteratorImlEEZNS1_24adjacent_difference_implIS3_Lb1ELb0EPySB_N6thrust23THRUST_200600_302600_NS4plusIyEEEE10hipError_tPvRmT2_T3_mT4_P12ihipStream_tbEUlmE_yEESB_NS0_8identityIvEEEESG_SJ_SK_mSL_SN_bEUlT_E_NS1_11comp_targetILNS1_3genE5ELNS1_11target_archE942ELNS1_3gpuE9ELNS1_3repE0EEENS1_30default_config_static_selectorELNS0_4arch9wavefront6targetE1EEEvT1_
                                        ; -- End function
	.set _ZN7rocprim17ROCPRIM_400000_NS6detail17trampoline_kernelINS0_14default_configENS1_25transform_config_selectorIyLb0EEEZNS1_14transform_implILb0ES3_S5_NS0_18transform_iteratorINS0_17counting_iteratorImlEEZNS1_24adjacent_difference_implIS3_Lb1ELb0EPySB_N6thrust23THRUST_200600_302600_NS4plusIyEEEE10hipError_tPvRmT2_T3_mT4_P12ihipStream_tbEUlmE_yEESB_NS0_8identityIvEEEESG_SJ_SK_mSL_SN_bEUlT_E_NS1_11comp_targetILNS1_3genE5ELNS1_11target_archE942ELNS1_3gpuE9ELNS1_3repE0EEENS1_30default_config_static_selectorELNS0_4arch9wavefront6targetE1EEEvT1_.num_vgpr, 0
	.set _ZN7rocprim17ROCPRIM_400000_NS6detail17trampoline_kernelINS0_14default_configENS1_25transform_config_selectorIyLb0EEEZNS1_14transform_implILb0ES3_S5_NS0_18transform_iteratorINS0_17counting_iteratorImlEEZNS1_24adjacent_difference_implIS3_Lb1ELb0EPySB_N6thrust23THRUST_200600_302600_NS4plusIyEEEE10hipError_tPvRmT2_T3_mT4_P12ihipStream_tbEUlmE_yEESB_NS0_8identityIvEEEESG_SJ_SK_mSL_SN_bEUlT_E_NS1_11comp_targetILNS1_3genE5ELNS1_11target_archE942ELNS1_3gpuE9ELNS1_3repE0EEENS1_30default_config_static_selectorELNS0_4arch9wavefront6targetE1EEEvT1_.num_agpr, 0
	.set _ZN7rocprim17ROCPRIM_400000_NS6detail17trampoline_kernelINS0_14default_configENS1_25transform_config_selectorIyLb0EEEZNS1_14transform_implILb0ES3_S5_NS0_18transform_iteratorINS0_17counting_iteratorImlEEZNS1_24adjacent_difference_implIS3_Lb1ELb0EPySB_N6thrust23THRUST_200600_302600_NS4plusIyEEEE10hipError_tPvRmT2_T3_mT4_P12ihipStream_tbEUlmE_yEESB_NS0_8identityIvEEEESG_SJ_SK_mSL_SN_bEUlT_E_NS1_11comp_targetILNS1_3genE5ELNS1_11target_archE942ELNS1_3gpuE9ELNS1_3repE0EEENS1_30default_config_static_selectorELNS0_4arch9wavefront6targetE1EEEvT1_.numbered_sgpr, 0
	.set _ZN7rocprim17ROCPRIM_400000_NS6detail17trampoline_kernelINS0_14default_configENS1_25transform_config_selectorIyLb0EEEZNS1_14transform_implILb0ES3_S5_NS0_18transform_iteratorINS0_17counting_iteratorImlEEZNS1_24adjacent_difference_implIS3_Lb1ELb0EPySB_N6thrust23THRUST_200600_302600_NS4plusIyEEEE10hipError_tPvRmT2_T3_mT4_P12ihipStream_tbEUlmE_yEESB_NS0_8identityIvEEEESG_SJ_SK_mSL_SN_bEUlT_E_NS1_11comp_targetILNS1_3genE5ELNS1_11target_archE942ELNS1_3gpuE9ELNS1_3repE0EEENS1_30default_config_static_selectorELNS0_4arch9wavefront6targetE1EEEvT1_.num_named_barrier, 0
	.set _ZN7rocprim17ROCPRIM_400000_NS6detail17trampoline_kernelINS0_14default_configENS1_25transform_config_selectorIyLb0EEEZNS1_14transform_implILb0ES3_S5_NS0_18transform_iteratorINS0_17counting_iteratorImlEEZNS1_24adjacent_difference_implIS3_Lb1ELb0EPySB_N6thrust23THRUST_200600_302600_NS4plusIyEEEE10hipError_tPvRmT2_T3_mT4_P12ihipStream_tbEUlmE_yEESB_NS0_8identityIvEEEESG_SJ_SK_mSL_SN_bEUlT_E_NS1_11comp_targetILNS1_3genE5ELNS1_11target_archE942ELNS1_3gpuE9ELNS1_3repE0EEENS1_30default_config_static_selectorELNS0_4arch9wavefront6targetE1EEEvT1_.private_seg_size, 0
	.set _ZN7rocprim17ROCPRIM_400000_NS6detail17trampoline_kernelINS0_14default_configENS1_25transform_config_selectorIyLb0EEEZNS1_14transform_implILb0ES3_S5_NS0_18transform_iteratorINS0_17counting_iteratorImlEEZNS1_24adjacent_difference_implIS3_Lb1ELb0EPySB_N6thrust23THRUST_200600_302600_NS4plusIyEEEE10hipError_tPvRmT2_T3_mT4_P12ihipStream_tbEUlmE_yEESB_NS0_8identityIvEEEESG_SJ_SK_mSL_SN_bEUlT_E_NS1_11comp_targetILNS1_3genE5ELNS1_11target_archE942ELNS1_3gpuE9ELNS1_3repE0EEENS1_30default_config_static_selectorELNS0_4arch9wavefront6targetE1EEEvT1_.uses_vcc, 0
	.set _ZN7rocprim17ROCPRIM_400000_NS6detail17trampoline_kernelINS0_14default_configENS1_25transform_config_selectorIyLb0EEEZNS1_14transform_implILb0ES3_S5_NS0_18transform_iteratorINS0_17counting_iteratorImlEEZNS1_24adjacent_difference_implIS3_Lb1ELb0EPySB_N6thrust23THRUST_200600_302600_NS4plusIyEEEE10hipError_tPvRmT2_T3_mT4_P12ihipStream_tbEUlmE_yEESB_NS0_8identityIvEEEESG_SJ_SK_mSL_SN_bEUlT_E_NS1_11comp_targetILNS1_3genE5ELNS1_11target_archE942ELNS1_3gpuE9ELNS1_3repE0EEENS1_30default_config_static_selectorELNS0_4arch9wavefront6targetE1EEEvT1_.uses_flat_scratch, 0
	.set _ZN7rocprim17ROCPRIM_400000_NS6detail17trampoline_kernelINS0_14default_configENS1_25transform_config_selectorIyLb0EEEZNS1_14transform_implILb0ES3_S5_NS0_18transform_iteratorINS0_17counting_iteratorImlEEZNS1_24adjacent_difference_implIS3_Lb1ELb0EPySB_N6thrust23THRUST_200600_302600_NS4plusIyEEEE10hipError_tPvRmT2_T3_mT4_P12ihipStream_tbEUlmE_yEESB_NS0_8identityIvEEEESG_SJ_SK_mSL_SN_bEUlT_E_NS1_11comp_targetILNS1_3genE5ELNS1_11target_archE942ELNS1_3gpuE9ELNS1_3repE0EEENS1_30default_config_static_selectorELNS0_4arch9wavefront6targetE1EEEvT1_.has_dyn_sized_stack, 0
	.set _ZN7rocprim17ROCPRIM_400000_NS6detail17trampoline_kernelINS0_14default_configENS1_25transform_config_selectorIyLb0EEEZNS1_14transform_implILb0ES3_S5_NS0_18transform_iteratorINS0_17counting_iteratorImlEEZNS1_24adjacent_difference_implIS3_Lb1ELb0EPySB_N6thrust23THRUST_200600_302600_NS4plusIyEEEE10hipError_tPvRmT2_T3_mT4_P12ihipStream_tbEUlmE_yEESB_NS0_8identityIvEEEESG_SJ_SK_mSL_SN_bEUlT_E_NS1_11comp_targetILNS1_3genE5ELNS1_11target_archE942ELNS1_3gpuE9ELNS1_3repE0EEENS1_30default_config_static_selectorELNS0_4arch9wavefront6targetE1EEEvT1_.has_recursion, 0
	.set _ZN7rocprim17ROCPRIM_400000_NS6detail17trampoline_kernelINS0_14default_configENS1_25transform_config_selectorIyLb0EEEZNS1_14transform_implILb0ES3_S5_NS0_18transform_iteratorINS0_17counting_iteratorImlEEZNS1_24adjacent_difference_implIS3_Lb1ELb0EPySB_N6thrust23THRUST_200600_302600_NS4plusIyEEEE10hipError_tPvRmT2_T3_mT4_P12ihipStream_tbEUlmE_yEESB_NS0_8identityIvEEEESG_SJ_SK_mSL_SN_bEUlT_E_NS1_11comp_targetILNS1_3genE5ELNS1_11target_archE942ELNS1_3gpuE9ELNS1_3repE0EEENS1_30default_config_static_selectorELNS0_4arch9wavefront6targetE1EEEvT1_.has_indirect_call, 0
	.section	.AMDGPU.csdata,"",@progbits
; Kernel info:
; codeLenInByte = 0
; TotalNumSgprs: 4
; NumVgprs: 0
; ScratchSize: 0
; MemoryBound: 0
; FloatMode: 240
; IeeeMode: 1
; LDSByteSize: 0 bytes/workgroup (compile time only)
; SGPRBlocks: 0
; VGPRBlocks: 0
; NumSGPRsForWavesPerEU: 4
; NumVGPRsForWavesPerEU: 1
; Occupancy: 10
; WaveLimiterHint : 0
; COMPUTE_PGM_RSRC2:SCRATCH_EN: 0
; COMPUTE_PGM_RSRC2:USER_SGPR: 6
; COMPUTE_PGM_RSRC2:TRAP_HANDLER: 0
; COMPUTE_PGM_RSRC2:TGID_X_EN: 1
; COMPUTE_PGM_RSRC2:TGID_Y_EN: 0
; COMPUTE_PGM_RSRC2:TGID_Z_EN: 0
; COMPUTE_PGM_RSRC2:TIDIG_COMP_CNT: 0
	.section	.text._ZN7rocprim17ROCPRIM_400000_NS6detail17trampoline_kernelINS0_14default_configENS1_25transform_config_selectorIyLb0EEEZNS1_14transform_implILb0ES3_S5_NS0_18transform_iteratorINS0_17counting_iteratorImlEEZNS1_24adjacent_difference_implIS3_Lb1ELb0EPySB_N6thrust23THRUST_200600_302600_NS4plusIyEEEE10hipError_tPvRmT2_T3_mT4_P12ihipStream_tbEUlmE_yEESB_NS0_8identityIvEEEESG_SJ_SK_mSL_SN_bEUlT_E_NS1_11comp_targetILNS1_3genE4ELNS1_11target_archE910ELNS1_3gpuE8ELNS1_3repE0EEENS1_30default_config_static_selectorELNS0_4arch9wavefront6targetE1EEEvT1_,"axG",@progbits,_ZN7rocprim17ROCPRIM_400000_NS6detail17trampoline_kernelINS0_14default_configENS1_25transform_config_selectorIyLb0EEEZNS1_14transform_implILb0ES3_S5_NS0_18transform_iteratorINS0_17counting_iteratorImlEEZNS1_24adjacent_difference_implIS3_Lb1ELb0EPySB_N6thrust23THRUST_200600_302600_NS4plusIyEEEE10hipError_tPvRmT2_T3_mT4_P12ihipStream_tbEUlmE_yEESB_NS0_8identityIvEEEESG_SJ_SK_mSL_SN_bEUlT_E_NS1_11comp_targetILNS1_3genE4ELNS1_11target_archE910ELNS1_3gpuE8ELNS1_3repE0EEENS1_30default_config_static_selectorELNS0_4arch9wavefront6targetE1EEEvT1_,comdat
	.protected	_ZN7rocprim17ROCPRIM_400000_NS6detail17trampoline_kernelINS0_14default_configENS1_25transform_config_selectorIyLb0EEEZNS1_14transform_implILb0ES3_S5_NS0_18transform_iteratorINS0_17counting_iteratorImlEEZNS1_24adjacent_difference_implIS3_Lb1ELb0EPySB_N6thrust23THRUST_200600_302600_NS4plusIyEEEE10hipError_tPvRmT2_T3_mT4_P12ihipStream_tbEUlmE_yEESB_NS0_8identityIvEEEESG_SJ_SK_mSL_SN_bEUlT_E_NS1_11comp_targetILNS1_3genE4ELNS1_11target_archE910ELNS1_3gpuE8ELNS1_3repE0EEENS1_30default_config_static_selectorELNS0_4arch9wavefront6targetE1EEEvT1_ ; -- Begin function _ZN7rocprim17ROCPRIM_400000_NS6detail17trampoline_kernelINS0_14default_configENS1_25transform_config_selectorIyLb0EEEZNS1_14transform_implILb0ES3_S5_NS0_18transform_iteratorINS0_17counting_iteratorImlEEZNS1_24adjacent_difference_implIS3_Lb1ELb0EPySB_N6thrust23THRUST_200600_302600_NS4plusIyEEEE10hipError_tPvRmT2_T3_mT4_P12ihipStream_tbEUlmE_yEESB_NS0_8identityIvEEEESG_SJ_SK_mSL_SN_bEUlT_E_NS1_11comp_targetILNS1_3genE4ELNS1_11target_archE910ELNS1_3gpuE8ELNS1_3repE0EEENS1_30default_config_static_selectorELNS0_4arch9wavefront6targetE1EEEvT1_
	.globl	_ZN7rocprim17ROCPRIM_400000_NS6detail17trampoline_kernelINS0_14default_configENS1_25transform_config_selectorIyLb0EEEZNS1_14transform_implILb0ES3_S5_NS0_18transform_iteratorINS0_17counting_iteratorImlEEZNS1_24adjacent_difference_implIS3_Lb1ELb0EPySB_N6thrust23THRUST_200600_302600_NS4plusIyEEEE10hipError_tPvRmT2_T3_mT4_P12ihipStream_tbEUlmE_yEESB_NS0_8identityIvEEEESG_SJ_SK_mSL_SN_bEUlT_E_NS1_11comp_targetILNS1_3genE4ELNS1_11target_archE910ELNS1_3gpuE8ELNS1_3repE0EEENS1_30default_config_static_selectorELNS0_4arch9wavefront6targetE1EEEvT1_
	.p2align	8
	.type	_ZN7rocprim17ROCPRIM_400000_NS6detail17trampoline_kernelINS0_14default_configENS1_25transform_config_selectorIyLb0EEEZNS1_14transform_implILb0ES3_S5_NS0_18transform_iteratorINS0_17counting_iteratorImlEEZNS1_24adjacent_difference_implIS3_Lb1ELb0EPySB_N6thrust23THRUST_200600_302600_NS4plusIyEEEE10hipError_tPvRmT2_T3_mT4_P12ihipStream_tbEUlmE_yEESB_NS0_8identityIvEEEESG_SJ_SK_mSL_SN_bEUlT_E_NS1_11comp_targetILNS1_3genE4ELNS1_11target_archE910ELNS1_3gpuE8ELNS1_3repE0EEENS1_30default_config_static_selectorELNS0_4arch9wavefront6targetE1EEEvT1_,@function
_ZN7rocprim17ROCPRIM_400000_NS6detail17trampoline_kernelINS0_14default_configENS1_25transform_config_selectorIyLb0EEEZNS1_14transform_implILb0ES3_S5_NS0_18transform_iteratorINS0_17counting_iteratorImlEEZNS1_24adjacent_difference_implIS3_Lb1ELb0EPySB_N6thrust23THRUST_200600_302600_NS4plusIyEEEE10hipError_tPvRmT2_T3_mT4_P12ihipStream_tbEUlmE_yEESB_NS0_8identityIvEEEESG_SJ_SK_mSL_SN_bEUlT_E_NS1_11comp_targetILNS1_3genE4ELNS1_11target_archE910ELNS1_3gpuE8ELNS1_3repE0EEENS1_30default_config_static_selectorELNS0_4arch9wavefront6targetE1EEEvT1_: ; @_ZN7rocprim17ROCPRIM_400000_NS6detail17trampoline_kernelINS0_14default_configENS1_25transform_config_selectorIyLb0EEEZNS1_14transform_implILb0ES3_S5_NS0_18transform_iteratorINS0_17counting_iteratorImlEEZNS1_24adjacent_difference_implIS3_Lb1ELb0EPySB_N6thrust23THRUST_200600_302600_NS4plusIyEEEE10hipError_tPvRmT2_T3_mT4_P12ihipStream_tbEUlmE_yEESB_NS0_8identityIvEEEESG_SJ_SK_mSL_SN_bEUlT_E_NS1_11comp_targetILNS1_3genE4ELNS1_11target_archE910ELNS1_3gpuE8ELNS1_3repE0EEENS1_30default_config_static_selectorELNS0_4arch9wavefront6targetE1EEEvT1_
; %bb.0:
	.section	.rodata,"a",@progbits
	.p2align	6, 0x0
	.amdhsa_kernel _ZN7rocprim17ROCPRIM_400000_NS6detail17trampoline_kernelINS0_14default_configENS1_25transform_config_selectorIyLb0EEEZNS1_14transform_implILb0ES3_S5_NS0_18transform_iteratorINS0_17counting_iteratorImlEEZNS1_24adjacent_difference_implIS3_Lb1ELb0EPySB_N6thrust23THRUST_200600_302600_NS4plusIyEEEE10hipError_tPvRmT2_T3_mT4_P12ihipStream_tbEUlmE_yEESB_NS0_8identityIvEEEESG_SJ_SK_mSL_SN_bEUlT_E_NS1_11comp_targetILNS1_3genE4ELNS1_11target_archE910ELNS1_3gpuE8ELNS1_3repE0EEENS1_30default_config_static_selectorELNS0_4arch9wavefront6targetE1EEEvT1_
		.amdhsa_group_segment_fixed_size 0
		.amdhsa_private_segment_fixed_size 0
		.amdhsa_kernarg_size 56
		.amdhsa_user_sgpr_count 6
		.amdhsa_user_sgpr_private_segment_buffer 1
		.amdhsa_user_sgpr_dispatch_ptr 0
		.amdhsa_user_sgpr_queue_ptr 0
		.amdhsa_user_sgpr_kernarg_segment_ptr 1
		.amdhsa_user_sgpr_dispatch_id 0
		.amdhsa_user_sgpr_flat_scratch_init 0
		.amdhsa_user_sgpr_private_segment_size 0
		.amdhsa_uses_dynamic_stack 0
		.amdhsa_system_sgpr_private_segment_wavefront_offset 0
		.amdhsa_system_sgpr_workgroup_id_x 1
		.amdhsa_system_sgpr_workgroup_id_y 0
		.amdhsa_system_sgpr_workgroup_id_z 0
		.amdhsa_system_sgpr_workgroup_info 0
		.amdhsa_system_vgpr_workitem_id 0
		.amdhsa_next_free_vgpr 1
		.amdhsa_next_free_sgpr 0
		.amdhsa_reserve_vcc 0
		.amdhsa_reserve_flat_scratch 0
		.amdhsa_float_round_mode_32 0
		.amdhsa_float_round_mode_16_64 0
		.amdhsa_float_denorm_mode_32 3
		.amdhsa_float_denorm_mode_16_64 3
		.amdhsa_dx10_clamp 1
		.amdhsa_ieee_mode 1
		.amdhsa_fp16_overflow 0
		.amdhsa_exception_fp_ieee_invalid_op 0
		.amdhsa_exception_fp_denorm_src 0
		.amdhsa_exception_fp_ieee_div_zero 0
		.amdhsa_exception_fp_ieee_overflow 0
		.amdhsa_exception_fp_ieee_underflow 0
		.amdhsa_exception_fp_ieee_inexact 0
		.amdhsa_exception_int_div_zero 0
	.end_amdhsa_kernel
	.section	.text._ZN7rocprim17ROCPRIM_400000_NS6detail17trampoline_kernelINS0_14default_configENS1_25transform_config_selectorIyLb0EEEZNS1_14transform_implILb0ES3_S5_NS0_18transform_iteratorINS0_17counting_iteratorImlEEZNS1_24adjacent_difference_implIS3_Lb1ELb0EPySB_N6thrust23THRUST_200600_302600_NS4plusIyEEEE10hipError_tPvRmT2_T3_mT4_P12ihipStream_tbEUlmE_yEESB_NS0_8identityIvEEEESG_SJ_SK_mSL_SN_bEUlT_E_NS1_11comp_targetILNS1_3genE4ELNS1_11target_archE910ELNS1_3gpuE8ELNS1_3repE0EEENS1_30default_config_static_selectorELNS0_4arch9wavefront6targetE1EEEvT1_,"axG",@progbits,_ZN7rocprim17ROCPRIM_400000_NS6detail17trampoline_kernelINS0_14default_configENS1_25transform_config_selectorIyLb0EEEZNS1_14transform_implILb0ES3_S5_NS0_18transform_iteratorINS0_17counting_iteratorImlEEZNS1_24adjacent_difference_implIS3_Lb1ELb0EPySB_N6thrust23THRUST_200600_302600_NS4plusIyEEEE10hipError_tPvRmT2_T3_mT4_P12ihipStream_tbEUlmE_yEESB_NS0_8identityIvEEEESG_SJ_SK_mSL_SN_bEUlT_E_NS1_11comp_targetILNS1_3genE4ELNS1_11target_archE910ELNS1_3gpuE8ELNS1_3repE0EEENS1_30default_config_static_selectorELNS0_4arch9wavefront6targetE1EEEvT1_,comdat
.Lfunc_end139:
	.size	_ZN7rocprim17ROCPRIM_400000_NS6detail17trampoline_kernelINS0_14default_configENS1_25transform_config_selectorIyLb0EEEZNS1_14transform_implILb0ES3_S5_NS0_18transform_iteratorINS0_17counting_iteratorImlEEZNS1_24adjacent_difference_implIS3_Lb1ELb0EPySB_N6thrust23THRUST_200600_302600_NS4plusIyEEEE10hipError_tPvRmT2_T3_mT4_P12ihipStream_tbEUlmE_yEESB_NS0_8identityIvEEEESG_SJ_SK_mSL_SN_bEUlT_E_NS1_11comp_targetILNS1_3genE4ELNS1_11target_archE910ELNS1_3gpuE8ELNS1_3repE0EEENS1_30default_config_static_selectorELNS0_4arch9wavefront6targetE1EEEvT1_, .Lfunc_end139-_ZN7rocprim17ROCPRIM_400000_NS6detail17trampoline_kernelINS0_14default_configENS1_25transform_config_selectorIyLb0EEEZNS1_14transform_implILb0ES3_S5_NS0_18transform_iteratorINS0_17counting_iteratorImlEEZNS1_24adjacent_difference_implIS3_Lb1ELb0EPySB_N6thrust23THRUST_200600_302600_NS4plusIyEEEE10hipError_tPvRmT2_T3_mT4_P12ihipStream_tbEUlmE_yEESB_NS0_8identityIvEEEESG_SJ_SK_mSL_SN_bEUlT_E_NS1_11comp_targetILNS1_3genE4ELNS1_11target_archE910ELNS1_3gpuE8ELNS1_3repE0EEENS1_30default_config_static_selectorELNS0_4arch9wavefront6targetE1EEEvT1_
                                        ; -- End function
	.set _ZN7rocprim17ROCPRIM_400000_NS6detail17trampoline_kernelINS0_14default_configENS1_25transform_config_selectorIyLb0EEEZNS1_14transform_implILb0ES3_S5_NS0_18transform_iteratorINS0_17counting_iteratorImlEEZNS1_24adjacent_difference_implIS3_Lb1ELb0EPySB_N6thrust23THRUST_200600_302600_NS4plusIyEEEE10hipError_tPvRmT2_T3_mT4_P12ihipStream_tbEUlmE_yEESB_NS0_8identityIvEEEESG_SJ_SK_mSL_SN_bEUlT_E_NS1_11comp_targetILNS1_3genE4ELNS1_11target_archE910ELNS1_3gpuE8ELNS1_3repE0EEENS1_30default_config_static_selectorELNS0_4arch9wavefront6targetE1EEEvT1_.num_vgpr, 0
	.set _ZN7rocprim17ROCPRIM_400000_NS6detail17trampoline_kernelINS0_14default_configENS1_25transform_config_selectorIyLb0EEEZNS1_14transform_implILb0ES3_S5_NS0_18transform_iteratorINS0_17counting_iteratorImlEEZNS1_24adjacent_difference_implIS3_Lb1ELb0EPySB_N6thrust23THRUST_200600_302600_NS4plusIyEEEE10hipError_tPvRmT2_T3_mT4_P12ihipStream_tbEUlmE_yEESB_NS0_8identityIvEEEESG_SJ_SK_mSL_SN_bEUlT_E_NS1_11comp_targetILNS1_3genE4ELNS1_11target_archE910ELNS1_3gpuE8ELNS1_3repE0EEENS1_30default_config_static_selectorELNS0_4arch9wavefront6targetE1EEEvT1_.num_agpr, 0
	.set _ZN7rocprim17ROCPRIM_400000_NS6detail17trampoline_kernelINS0_14default_configENS1_25transform_config_selectorIyLb0EEEZNS1_14transform_implILb0ES3_S5_NS0_18transform_iteratorINS0_17counting_iteratorImlEEZNS1_24adjacent_difference_implIS3_Lb1ELb0EPySB_N6thrust23THRUST_200600_302600_NS4plusIyEEEE10hipError_tPvRmT2_T3_mT4_P12ihipStream_tbEUlmE_yEESB_NS0_8identityIvEEEESG_SJ_SK_mSL_SN_bEUlT_E_NS1_11comp_targetILNS1_3genE4ELNS1_11target_archE910ELNS1_3gpuE8ELNS1_3repE0EEENS1_30default_config_static_selectorELNS0_4arch9wavefront6targetE1EEEvT1_.numbered_sgpr, 0
	.set _ZN7rocprim17ROCPRIM_400000_NS6detail17trampoline_kernelINS0_14default_configENS1_25transform_config_selectorIyLb0EEEZNS1_14transform_implILb0ES3_S5_NS0_18transform_iteratorINS0_17counting_iteratorImlEEZNS1_24adjacent_difference_implIS3_Lb1ELb0EPySB_N6thrust23THRUST_200600_302600_NS4plusIyEEEE10hipError_tPvRmT2_T3_mT4_P12ihipStream_tbEUlmE_yEESB_NS0_8identityIvEEEESG_SJ_SK_mSL_SN_bEUlT_E_NS1_11comp_targetILNS1_3genE4ELNS1_11target_archE910ELNS1_3gpuE8ELNS1_3repE0EEENS1_30default_config_static_selectorELNS0_4arch9wavefront6targetE1EEEvT1_.num_named_barrier, 0
	.set _ZN7rocprim17ROCPRIM_400000_NS6detail17trampoline_kernelINS0_14default_configENS1_25transform_config_selectorIyLb0EEEZNS1_14transform_implILb0ES3_S5_NS0_18transform_iteratorINS0_17counting_iteratorImlEEZNS1_24adjacent_difference_implIS3_Lb1ELb0EPySB_N6thrust23THRUST_200600_302600_NS4plusIyEEEE10hipError_tPvRmT2_T3_mT4_P12ihipStream_tbEUlmE_yEESB_NS0_8identityIvEEEESG_SJ_SK_mSL_SN_bEUlT_E_NS1_11comp_targetILNS1_3genE4ELNS1_11target_archE910ELNS1_3gpuE8ELNS1_3repE0EEENS1_30default_config_static_selectorELNS0_4arch9wavefront6targetE1EEEvT1_.private_seg_size, 0
	.set _ZN7rocprim17ROCPRIM_400000_NS6detail17trampoline_kernelINS0_14default_configENS1_25transform_config_selectorIyLb0EEEZNS1_14transform_implILb0ES3_S5_NS0_18transform_iteratorINS0_17counting_iteratorImlEEZNS1_24adjacent_difference_implIS3_Lb1ELb0EPySB_N6thrust23THRUST_200600_302600_NS4plusIyEEEE10hipError_tPvRmT2_T3_mT4_P12ihipStream_tbEUlmE_yEESB_NS0_8identityIvEEEESG_SJ_SK_mSL_SN_bEUlT_E_NS1_11comp_targetILNS1_3genE4ELNS1_11target_archE910ELNS1_3gpuE8ELNS1_3repE0EEENS1_30default_config_static_selectorELNS0_4arch9wavefront6targetE1EEEvT1_.uses_vcc, 0
	.set _ZN7rocprim17ROCPRIM_400000_NS6detail17trampoline_kernelINS0_14default_configENS1_25transform_config_selectorIyLb0EEEZNS1_14transform_implILb0ES3_S5_NS0_18transform_iteratorINS0_17counting_iteratorImlEEZNS1_24adjacent_difference_implIS3_Lb1ELb0EPySB_N6thrust23THRUST_200600_302600_NS4plusIyEEEE10hipError_tPvRmT2_T3_mT4_P12ihipStream_tbEUlmE_yEESB_NS0_8identityIvEEEESG_SJ_SK_mSL_SN_bEUlT_E_NS1_11comp_targetILNS1_3genE4ELNS1_11target_archE910ELNS1_3gpuE8ELNS1_3repE0EEENS1_30default_config_static_selectorELNS0_4arch9wavefront6targetE1EEEvT1_.uses_flat_scratch, 0
	.set _ZN7rocprim17ROCPRIM_400000_NS6detail17trampoline_kernelINS0_14default_configENS1_25transform_config_selectorIyLb0EEEZNS1_14transform_implILb0ES3_S5_NS0_18transform_iteratorINS0_17counting_iteratorImlEEZNS1_24adjacent_difference_implIS3_Lb1ELb0EPySB_N6thrust23THRUST_200600_302600_NS4plusIyEEEE10hipError_tPvRmT2_T3_mT4_P12ihipStream_tbEUlmE_yEESB_NS0_8identityIvEEEESG_SJ_SK_mSL_SN_bEUlT_E_NS1_11comp_targetILNS1_3genE4ELNS1_11target_archE910ELNS1_3gpuE8ELNS1_3repE0EEENS1_30default_config_static_selectorELNS0_4arch9wavefront6targetE1EEEvT1_.has_dyn_sized_stack, 0
	.set _ZN7rocprim17ROCPRIM_400000_NS6detail17trampoline_kernelINS0_14default_configENS1_25transform_config_selectorIyLb0EEEZNS1_14transform_implILb0ES3_S5_NS0_18transform_iteratorINS0_17counting_iteratorImlEEZNS1_24adjacent_difference_implIS3_Lb1ELb0EPySB_N6thrust23THRUST_200600_302600_NS4plusIyEEEE10hipError_tPvRmT2_T3_mT4_P12ihipStream_tbEUlmE_yEESB_NS0_8identityIvEEEESG_SJ_SK_mSL_SN_bEUlT_E_NS1_11comp_targetILNS1_3genE4ELNS1_11target_archE910ELNS1_3gpuE8ELNS1_3repE0EEENS1_30default_config_static_selectorELNS0_4arch9wavefront6targetE1EEEvT1_.has_recursion, 0
	.set _ZN7rocprim17ROCPRIM_400000_NS6detail17trampoline_kernelINS0_14default_configENS1_25transform_config_selectorIyLb0EEEZNS1_14transform_implILb0ES3_S5_NS0_18transform_iteratorINS0_17counting_iteratorImlEEZNS1_24adjacent_difference_implIS3_Lb1ELb0EPySB_N6thrust23THRUST_200600_302600_NS4plusIyEEEE10hipError_tPvRmT2_T3_mT4_P12ihipStream_tbEUlmE_yEESB_NS0_8identityIvEEEESG_SJ_SK_mSL_SN_bEUlT_E_NS1_11comp_targetILNS1_3genE4ELNS1_11target_archE910ELNS1_3gpuE8ELNS1_3repE0EEENS1_30default_config_static_selectorELNS0_4arch9wavefront6targetE1EEEvT1_.has_indirect_call, 0
	.section	.AMDGPU.csdata,"",@progbits
; Kernel info:
; codeLenInByte = 0
; TotalNumSgprs: 4
; NumVgprs: 0
; ScratchSize: 0
; MemoryBound: 0
; FloatMode: 240
; IeeeMode: 1
; LDSByteSize: 0 bytes/workgroup (compile time only)
; SGPRBlocks: 0
; VGPRBlocks: 0
; NumSGPRsForWavesPerEU: 4
; NumVGPRsForWavesPerEU: 1
; Occupancy: 10
; WaveLimiterHint : 0
; COMPUTE_PGM_RSRC2:SCRATCH_EN: 0
; COMPUTE_PGM_RSRC2:USER_SGPR: 6
; COMPUTE_PGM_RSRC2:TRAP_HANDLER: 0
; COMPUTE_PGM_RSRC2:TGID_X_EN: 1
; COMPUTE_PGM_RSRC2:TGID_Y_EN: 0
; COMPUTE_PGM_RSRC2:TGID_Z_EN: 0
; COMPUTE_PGM_RSRC2:TIDIG_COMP_CNT: 0
	.section	.text._ZN7rocprim17ROCPRIM_400000_NS6detail17trampoline_kernelINS0_14default_configENS1_25transform_config_selectorIyLb0EEEZNS1_14transform_implILb0ES3_S5_NS0_18transform_iteratorINS0_17counting_iteratorImlEEZNS1_24adjacent_difference_implIS3_Lb1ELb0EPySB_N6thrust23THRUST_200600_302600_NS4plusIyEEEE10hipError_tPvRmT2_T3_mT4_P12ihipStream_tbEUlmE_yEESB_NS0_8identityIvEEEESG_SJ_SK_mSL_SN_bEUlT_E_NS1_11comp_targetILNS1_3genE3ELNS1_11target_archE908ELNS1_3gpuE7ELNS1_3repE0EEENS1_30default_config_static_selectorELNS0_4arch9wavefront6targetE1EEEvT1_,"axG",@progbits,_ZN7rocprim17ROCPRIM_400000_NS6detail17trampoline_kernelINS0_14default_configENS1_25transform_config_selectorIyLb0EEEZNS1_14transform_implILb0ES3_S5_NS0_18transform_iteratorINS0_17counting_iteratorImlEEZNS1_24adjacent_difference_implIS3_Lb1ELb0EPySB_N6thrust23THRUST_200600_302600_NS4plusIyEEEE10hipError_tPvRmT2_T3_mT4_P12ihipStream_tbEUlmE_yEESB_NS0_8identityIvEEEESG_SJ_SK_mSL_SN_bEUlT_E_NS1_11comp_targetILNS1_3genE3ELNS1_11target_archE908ELNS1_3gpuE7ELNS1_3repE0EEENS1_30default_config_static_selectorELNS0_4arch9wavefront6targetE1EEEvT1_,comdat
	.protected	_ZN7rocprim17ROCPRIM_400000_NS6detail17trampoline_kernelINS0_14default_configENS1_25transform_config_selectorIyLb0EEEZNS1_14transform_implILb0ES3_S5_NS0_18transform_iteratorINS0_17counting_iteratorImlEEZNS1_24adjacent_difference_implIS3_Lb1ELb0EPySB_N6thrust23THRUST_200600_302600_NS4plusIyEEEE10hipError_tPvRmT2_T3_mT4_P12ihipStream_tbEUlmE_yEESB_NS0_8identityIvEEEESG_SJ_SK_mSL_SN_bEUlT_E_NS1_11comp_targetILNS1_3genE3ELNS1_11target_archE908ELNS1_3gpuE7ELNS1_3repE0EEENS1_30default_config_static_selectorELNS0_4arch9wavefront6targetE1EEEvT1_ ; -- Begin function _ZN7rocprim17ROCPRIM_400000_NS6detail17trampoline_kernelINS0_14default_configENS1_25transform_config_selectorIyLb0EEEZNS1_14transform_implILb0ES3_S5_NS0_18transform_iteratorINS0_17counting_iteratorImlEEZNS1_24adjacent_difference_implIS3_Lb1ELb0EPySB_N6thrust23THRUST_200600_302600_NS4plusIyEEEE10hipError_tPvRmT2_T3_mT4_P12ihipStream_tbEUlmE_yEESB_NS0_8identityIvEEEESG_SJ_SK_mSL_SN_bEUlT_E_NS1_11comp_targetILNS1_3genE3ELNS1_11target_archE908ELNS1_3gpuE7ELNS1_3repE0EEENS1_30default_config_static_selectorELNS0_4arch9wavefront6targetE1EEEvT1_
	.globl	_ZN7rocprim17ROCPRIM_400000_NS6detail17trampoline_kernelINS0_14default_configENS1_25transform_config_selectorIyLb0EEEZNS1_14transform_implILb0ES3_S5_NS0_18transform_iteratorINS0_17counting_iteratorImlEEZNS1_24adjacent_difference_implIS3_Lb1ELb0EPySB_N6thrust23THRUST_200600_302600_NS4plusIyEEEE10hipError_tPvRmT2_T3_mT4_P12ihipStream_tbEUlmE_yEESB_NS0_8identityIvEEEESG_SJ_SK_mSL_SN_bEUlT_E_NS1_11comp_targetILNS1_3genE3ELNS1_11target_archE908ELNS1_3gpuE7ELNS1_3repE0EEENS1_30default_config_static_selectorELNS0_4arch9wavefront6targetE1EEEvT1_
	.p2align	8
	.type	_ZN7rocprim17ROCPRIM_400000_NS6detail17trampoline_kernelINS0_14default_configENS1_25transform_config_selectorIyLb0EEEZNS1_14transform_implILb0ES3_S5_NS0_18transform_iteratorINS0_17counting_iteratorImlEEZNS1_24adjacent_difference_implIS3_Lb1ELb0EPySB_N6thrust23THRUST_200600_302600_NS4plusIyEEEE10hipError_tPvRmT2_T3_mT4_P12ihipStream_tbEUlmE_yEESB_NS0_8identityIvEEEESG_SJ_SK_mSL_SN_bEUlT_E_NS1_11comp_targetILNS1_3genE3ELNS1_11target_archE908ELNS1_3gpuE7ELNS1_3repE0EEENS1_30default_config_static_selectorELNS0_4arch9wavefront6targetE1EEEvT1_,@function
_ZN7rocprim17ROCPRIM_400000_NS6detail17trampoline_kernelINS0_14default_configENS1_25transform_config_selectorIyLb0EEEZNS1_14transform_implILb0ES3_S5_NS0_18transform_iteratorINS0_17counting_iteratorImlEEZNS1_24adjacent_difference_implIS3_Lb1ELb0EPySB_N6thrust23THRUST_200600_302600_NS4plusIyEEEE10hipError_tPvRmT2_T3_mT4_P12ihipStream_tbEUlmE_yEESB_NS0_8identityIvEEEESG_SJ_SK_mSL_SN_bEUlT_E_NS1_11comp_targetILNS1_3genE3ELNS1_11target_archE908ELNS1_3gpuE7ELNS1_3repE0EEENS1_30default_config_static_selectorELNS0_4arch9wavefront6targetE1EEEvT1_: ; @_ZN7rocprim17ROCPRIM_400000_NS6detail17trampoline_kernelINS0_14default_configENS1_25transform_config_selectorIyLb0EEEZNS1_14transform_implILb0ES3_S5_NS0_18transform_iteratorINS0_17counting_iteratorImlEEZNS1_24adjacent_difference_implIS3_Lb1ELb0EPySB_N6thrust23THRUST_200600_302600_NS4plusIyEEEE10hipError_tPvRmT2_T3_mT4_P12ihipStream_tbEUlmE_yEESB_NS0_8identityIvEEEESG_SJ_SK_mSL_SN_bEUlT_E_NS1_11comp_targetILNS1_3genE3ELNS1_11target_archE908ELNS1_3gpuE7ELNS1_3repE0EEENS1_30default_config_static_selectorELNS0_4arch9wavefront6targetE1EEEvT1_
; %bb.0:
	.section	.rodata,"a",@progbits
	.p2align	6, 0x0
	.amdhsa_kernel _ZN7rocprim17ROCPRIM_400000_NS6detail17trampoline_kernelINS0_14default_configENS1_25transform_config_selectorIyLb0EEEZNS1_14transform_implILb0ES3_S5_NS0_18transform_iteratorINS0_17counting_iteratorImlEEZNS1_24adjacent_difference_implIS3_Lb1ELb0EPySB_N6thrust23THRUST_200600_302600_NS4plusIyEEEE10hipError_tPvRmT2_T3_mT4_P12ihipStream_tbEUlmE_yEESB_NS0_8identityIvEEEESG_SJ_SK_mSL_SN_bEUlT_E_NS1_11comp_targetILNS1_3genE3ELNS1_11target_archE908ELNS1_3gpuE7ELNS1_3repE0EEENS1_30default_config_static_selectorELNS0_4arch9wavefront6targetE1EEEvT1_
		.amdhsa_group_segment_fixed_size 0
		.amdhsa_private_segment_fixed_size 0
		.amdhsa_kernarg_size 56
		.amdhsa_user_sgpr_count 6
		.amdhsa_user_sgpr_private_segment_buffer 1
		.amdhsa_user_sgpr_dispatch_ptr 0
		.amdhsa_user_sgpr_queue_ptr 0
		.amdhsa_user_sgpr_kernarg_segment_ptr 1
		.amdhsa_user_sgpr_dispatch_id 0
		.amdhsa_user_sgpr_flat_scratch_init 0
		.amdhsa_user_sgpr_private_segment_size 0
		.amdhsa_uses_dynamic_stack 0
		.amdhsa_system_sgpr_private_segment_wavefront_offset 0
		.amdhsa_system_sgpr_workgroup_id_x 1
		.amdhsa_system_sgpr_workgroup_id_y 0
		.amdhsa_system_sgpr_workgroup_id_z 0
		.amdhsa_system_sgpr_workgroup_info 0
		.amdhsa_system_vgpr_workitem_id 0
		.amdhsa_next_free_vgpr 1
		.amdhsa_next_free_sgpr 0
		.amdhsa_reserve_vcc 0
		.amdhsa_reserve_flat_scratch 0
		.amdhsa_float_round_mode_32 0
		.amdhsa_float_round_mode_16_64 0
		.amdhsa_float_denorm_mode_32 3
		.amdhsa_float_denorm_mode_16_64 3
		.amdhsa_dx10_clamp 1
		.amdhsa_ieee_mode 1
		.amdhsa_fp16_overflow 0
		.amdhsa_exception_fp_ieee_invalid_op 0
		.amdhsa_exception_fp_denorm_src 0
		.amdhsa_exception_fp_ieee_div_zero 0
		.amdhsa_exception_fp_ieee_overflow 0
		.amdhsa_exception_fp_ieee_underflow 0
		.amdhsa_exception_fp_ieee_inexact 0
		.amdhsa_exception_int_div_zero 0
	.end_amdhsa_kernel
	.section	.text._ZN7rocprim17ROCPRIM_400000_NS6detail17trampoline_kernelINS0_14default_configENS1_25transform_config_selectorIyLb0EEEZNS1_14transform_implILb0ES3_S5_NS0_18transform_iteratorINS0_17counting_iteratorImlEEZNS1_24adjacent_difference_implIS3_Lb1ELb0EPySB_N6thrust23THRUST_200600_302600_NS4plusIyEEEE10hipError_tPvRmT2_T3_mT4_P12ihipStream_tbEUlmE_yEESB_NS0_8identityIvEEEESG_SJ_SK_mSL_SN_bEUlT_E_NS1_11comp_targetILNS1_3genE3ELNS1_11target_archE908ELNS1_3gpuE7ELNS1_3repE0EEENS1_30default_config_static_selectorELNS0_4arch9wavefront6targetE1EEEvT1_,"axG",@progbits,_ZN7rocprim17ROCPRIM_400000_NS6detail17trampoline_kernelINS0_14default_configENS1_25transform_config_selectorIyLb0EEEZNS1_14transform_implILb0ES3_S5_NS0_18transform_iteratorINS0_17counting_iteratorImlEEZNS1_24adjacent_difference_implIS3_Lb1ELb0EPySB_N6thrust23THRUST_200600_302600_NS4plusIyEEEE10hipError_tPvRmT2_T3_mT4_P12ihipStream_tbEUlmE_yEESB_NS0_8identityIvEEEESG_SJ_SK_mSL_SN_bEUlT_E_NS1_11comp_targetILNS1_3genE3ELNS1_11target_archE908ELNS1_3gpuE7ELNS1_3repE0EEENS1_30default_config_static_selectorELNS0_4arch9wavefront6targetE1EEEvT1_,comdat
.Lfunc_end140:
	.size	_ZN7rocprim17ROCPRIM_400000_NS6detail17trampoline_kernelINS0_14default_configENS1_25transform_config_selectorIyLb0EEEZNS1_14transform_implILb0ES3_S5_NS0_18transform_iteratorINS0_17counting_iteratorImlEEZNS1_24adjacent_difference_implIS3_Lb1ELb0EPySB_N6thrust23THRUST_200600_302600_NS4plusIyEEEE10hipError_tPvRmT2_T3_mT4_P12ihipStream_tbEUlmE_yEESB_NS0_8identityIvEEEESG_SJ_SK_mSL_SN_bEUlT_E_NS1_11comp_targetILNS1_3genE3ELNS1_11target_archE908ELNS1_3gpuE7ELNS1_3repE0EEENS1_30default_config_static_selectorELNS0_4arch9wavefront6targetE1EEEvT1_, .Lfunc_end140-_ZN7rocprim17ROCPRIM_400000_NS6detail17trampoline_kernelINS0_14default_configENS1_25transform_config_selectorIyLb0EEEZNS1_14transform_implILb0ES3_S5_NS0_18transform_iteratorINS0_17counting_iteratorImlEEZNS1_24adjacent_difference_implIS3_Lb1ELb0EPySB_N6thrust23THRUST_200600_302600_NS4plusIyEEEE10hipError_tPvRmT2_T3_mT4_P12ihipStream_tbEUlmE_yEESB_NS0_8identityIvEEEESG_SJ_SK_mSL_SN_bEUlT_E_NS1_11comp_targetILNS1_3genE3ELNS1_11target_archE908ELNS1_3gpuE7ELNS1_3repE0EEENS1_30default_config_static_selectorELNS0_4arch9wavefront6targetE1EEEvT1_
                                        ; -- End function
	.set _ZN7rocprim17ROCPRIM_400000_NS6detail17trampoline_kernelINS0_14default_configENS1_25transform_config_selectorIyLb0EEEZNS1_14transform_implILb0ES3_S5_NS0_18transform_iteratorINS0_17counting_iteratorImlEEZNS1_24adjacent_difference_implIS3_Lb1ELb0EPySB_N6thrust23THRUST_200600_302600_NS4plusIyEEEE10hipError_tPvRmT2_T3_mT4_P12ihipStream_tbEUlmE_yEESB_NS0_8identityIvEEEESG_SJ_SK_mSL_SN_bEUlT_E_NS1_11comp_targetILNS1_3genE3ELNS1_11target_archE908ELNS1_3gpuE7ELNS1_3repE0EEENS1_30default_config_static_selectorELNS0_4arch9wavefront6targetE1EEEvT1_.num_vgpr, 0
	.set _ZN7rocprim17ROCPRIM_400000_NS6detail17trampoline_kernelINS0_14default_configENS1_25transform_config_selectorIyLb0EEEZNS1_14transform_implILb0ES3_S5_NS0_18transform_iteratorINS0_17counting_iteratorImlEEZNS1_24adjacent_difference_implIS3_Lb1ELb0EPySB_N6thrust23THRUST_200600_302600_NS4plusIyEEEE10hipError_tPvRmT2_T3_mT4_P12ihipStream_tbEUlmE_yEESB_NS0_8identityIvEEEESG_SJ_SK_mSL_SN_bEUlT_E_NS1_11comp_targetILNS1_3genE3ELNS1_11target_archE908ELNS1_3gpuE7ELNS1_3repE0EEENS1_30default_config_static_selectorELNS0_4arch9wavefront6targetE1EEEvT1_.num_agpr, 0
	.set _ZN7rocprim17ROCPRIM_400000_NS6detail17trampoline_kernelINS0_14default_configENS1_25transform_config_selectorIyLb0EEEZNS1_14transform_implILb0ES3_S5_NS0_18transform_iteratorINS0_17counting_iteratorImlEEZNS1_24adjacent_difference_implIS3_Lb1ELb0EPySB_N6thrust23THRUST_200600_302600_NS4plusIyEEEE10hipError_tPvRmT2_T3_mT4_P12ihipStream_tbEUlmE_yEESB_NS0_8identityIvEEEESG_SJ_SK_mSL_SN_bEUlT_E_NS1_11comp_targetILNS1_3genE3ELNS1_11target_archE908ELNS1_3gpuE7ELNS1_3repE0EEENS1_30default_config_static_selectorELNS0_4arch9wavefront6targetE1EEEvT1_.numbered_sgpr, 0
	.set _ZN7rocprim17ROCPRIM_400000_NS6detail17trampoline_kernelINS0_14default_configENS1_25transform_config_selectorIyLb0EEEZNS1_14transform_implILb0ES3_S5_NS0_18transform_iteratorINS0_17counting_iteratorImlEEZNS1_24adjacent_difference_implIS3_Lb1ELb0EPySB_N6thrust23THRUST_200600_302600_NS4plusIyEEEE10hipError_tPvRmT2_T3_mT4_P12ihipStream_tbEUlmE_yEESB_NS0_8identityIvEEEESG_SJ_SK_mSL_SN_bEUlT_E_NS1_11comp_targetILNS1_3genE3ELNS1_11target_archE908ELNS1_3gpuE7ELNS1_3repE0EEENS1_30default_config_static_selectorELNS0_4arch9wavefront6targetE1EEEvT1_.num_named_barrier, 0
	.set _ZN7rocprim17ROCPRIM_400000_NS6detail17trampoline_kernelINS0_14default_configENS1_25transform_config_selectorIyLb0EEEZNS1_14transform_implILb0ES3_S5_NS0_18transform_iteratorINS0_17counting_iteratorImlEEZNS1_24adjacent_difference_implIS3_Lb1ELb0EPySB_N6thrust23THRUST_200600_302600_NS4plusIyEEEE10hipError_tPvRmT2_T3_mT4_P12ihipStream_tbEUlmE_yEESB_NS0_8identityIvEEEESG_SJ_SK_mSL_SN_bEUlT_E_NS1_11comp_targetILNS1_3genE3ELNS1_11target_archE908ELNS1_3gpuE7ELNS1_3repE0EEENS1_30default_config_static_selectorELNS0_4arch9wavefront6targetE1EEEvT1_.private_seg_size, 0
	.set _ZN7rocprim17ROCPRIM_400000_NS6detail17trampoline_kernelINS0_14default_configENS1_25transform_config_selectorIyLb0EEEZNS1_14transform_implILb0ES3_S5_NS0_18transform_iteratorINS0_17counting_iteratorImlEEZNS1_24adjacent_difference_implIS3_Lb1ELb0EPySB_N6thrust23THRUST_200600_302600_NS4plusIyEEEE10hipError_tPvRmT2_T3_mT4_P12ihipStream_tbEUlmE_yEESB_NS0_8identityIvEEEESG_SJ_SK_mSL_SN_bEUlT_E_NS1_11comp_targetILNS1_3genE3ELNS1_11target_archE908ELNS1_3gpuE7ELNS1_3repE0EEENS1_30default_config_static_selectorELNS0_4arch9wavefront6targetE1EEEvT1_.uses_vcc, 0
	.set _ZN7rocprim17ROCPRIM_400000_NS6detail17trampoline_kernelINS0_14default_configENS1_25transform_config_selectorIyLb0EEEZNS1_14transform_implILb0ES3_S5_NS0_18transform_iteratorINS0_17counting_iteratorImlEEZNS1_24adjacent_difference_implIS3_Lb1ELb0EPySB_N6thrust23THRUST_200600_302600_NS4plusIyEEEE10hipError_tPvRmT2_T3_mT4_P12ihipStream_tbEUlmE_yEESB_NS0_8identityIvEEEESG_SJ_SK_mSL_SN_bEUlT_E_NS1_11comp_targetILNS1_3genE3ELNS1_11target_archE908ELNS1_3gpuE7ELNS1_3repE0EEENS1_30default_config_static_selectorELNS0_4arch9wavefront6targetE1EEEvT1_.uses_flat_scratch, 0
	.set _ZN7rocprim17ROCPRIM_400000_NS6detail17trampoline_kernelINS0_14default_configENS1_25transform_config_selectorIyLb0EEEZNS1_14transform_implILb0ES3_S5_NS0_18transform_iteratorINS0_17counting_iteratorImlEEZNS1_24adjacent_difference_implIS3_Lb1ELb0EPySB_N6thrust23THRUST_200600_302600_NS4plusIyEEEE10hipError_tPvRmT2_T3_mT4_P12ihipStream_tbEUlmE_yEESB_NS0_8identityIvEEEESG_SJ_SK_mSL_SN_bEUlT_E_NS1_11comp_targetILNS1_3genE3ELNS1_11target_archE908ELNS1_3gpuE7ELNS1_3repE0EEENS1_30default_config_static_selectorELNS0_4arch9wavefront6targetE1EEEvT1_.has_dyn_sized_stack, 0
	.set _ZN7rocprim17ROCPRIM_400000_NS6detail17trampoline_kernelINS0_14default_configENS1_25transform_config_selectorIyLb0EEEZNS1_14transform_implILb0ES3_S5_NS0_18transform_iteratorINS0_17counting_iteratorImlEEZNS1_24adjacent_difference_implIS3_Lb1ELb0EPySB_N6thrust23THRUST_200600_302600_NS4plusIyEEEE10hipError_tPvRmT2_T3_mT4_P12ihipStream_tbEUlmE_yEESB_NS0_8identityIvEEEESG_SJ_SK_mSL_SN_bEUlT_E_NS1_11comp_targetILNS1_3genE3ELNS1_11target_archE908ELNS1_3gpuE7ELNS1_3repE0EEENS1_30default_config_static_selectorELNS0_4arch9wavefront6targetE1EEEvT1_.has_recursion, 0
	.set _ZN7rocprim17ROCPRIM_400000_NS6detail17trampoline_kernelINS0_14default_configENS1_25transform_config_selectorIyLb0EEEZNS1_14transform_implILb0ES3_S5_NS0_18transform_iteratorINS0_17counting_iteratorImlEEZNS1_24adjacent_difference_implIS3_Lb1ELb0EPySB_N6thrust23THRUST_200600_302600_NS4plusIyEEEE10hipError_tPvRmT2_T3_mT4_P12ihipStream_tbEUlmE_yEESB_NS0_8identityIvEEEESG_SJ_SK_mSL_SN_bEUlT_E_NS1_11comp_targetILNS1_3genE3ELNS1_11target_archE908ELNS1_3gpuE7ELNS1_3repE0EEENS1_30default_config_static_selectorELNS0_4arch9wavefront6targetE1EEEvT1_.has_indirect_call, 0
	.section	.AMDGPU.csdata,"",@progbits
; Kernel info:
; codeLenInByte = 0
; TotalNumSgprs: 4
; NumVgprs: 0
; ScratchSize: 0
; MemoryBound: 0
; FloatMode: 240
; IeeeMode: 1
; LDSByteSize: 0 bytes/workgroup (compile time only)
; SGPRBlocks: 0
; VGPRBlocks: 0
; NumSGPRsForWavesPerEU: 4
; NumVGPRsForWavesPerEU: 1
; Occupancy: 10
; WaveLimiterHint : 0
; COMPUTE_PGM_RSRC2:SCRATCH_EN: 0
; COMPUTE_PGM_RSRC2:USER_SGPR: 6
; COMPUTE_PGM_RSRC2:TRAP_HANDLER: 0
; COMPUTE_PGM_RSRC2:TGID_X_EN: 1
; COMPUTE_PGM_RSRC2:TGID_Y_EN: 0
; COMPUTE_PGM_RSRC2:TGID_Z_EN: 0
; COMPUTE_PGM_RSRC2:TIDIG_COMP_CNT: 0
	.section	.text._ZN7rocprim17ROCPRIM_400000_NS6detail17trampoline_kernelINS0_14default_configENS1_25transform_config_selectorIyLb0EEEZNS1_14transform_implILb0ES3_S5_NS0_18transform_iteratorINS0_17counting_iteratorImlEEZNS1_24adjacent_difference_implIS3_Lb1ELb0EPySB_N6thrust23THRUST_200600_302600_NS4plusIyEEEE10hipError_tPvRmT2_T3_mT4_P12ihipStream_tbEUlmE_yEESB_NS0_8identityIvEEEESG_SJ_SK_mSL_SN_bEUlT_E_NS1_11comp_targetILNS1_3genE2ELNS1_11target_archE906ELNS1_3gpuE6ELNS1_3repE0EEENS1_30default_config_static_selectorELNS0_4arch9wavefront6targetE1EEEvT1_,"axG",@progbits,_ZN7rocprim17ROCPRIM_400000_NS6detail17trampoline_kernelINS0_14default_configENS1_25transform_config_selectorIyLb0EEEZNS1_14transform_implILb0ES3_S5_NS0_18transform_iteratorINS0_17counting_iteratorImlEEZNS1_24adjacent_difference_implIS3_Lb1ELb0EPySB_N6thrust23THRUST_200600_302600_NS4plusIyEEEE10hipError_tPvRmT2_T3_mT4_P12ihipStream_tbEUlmE_yEESB_NS0_8identityIvEEEESG_SJ_SK_mSL_SN_bEUlT_E_NS1_11comp_targetILNS1_3genE2ELNS1_11target_archE906ELNS1_3gpuE6ELNS1_3repE0EEENS1_30default_config_static_selectorELNS0_4arch9wavefront6targetE1EEEvT1_,comdat
	.protected	_ZN7rocprim17ROCPRIM_400000_NS6detail17trampoline_kernelINS0_14default_configENS1_25transform_config_selectorIyLb0EEEZNS1_14transform_implILb0ES3_S5_NS0_18transform_iteratorINS0_17counting_iteratorImlEEZNS1_24adjacent_difference_implIS3_Lb1ELb0EPySB_N6thrust23THRUST_200600_302600_NS4plusIyEEEE10hipError_tPvRmT2_T3_mT4_P12ihipStream_tbEUlmE_yEESB_NS0_8identityIvEEEESG_SJ_SK_mSL_SN_bEUlT_E_NS1_11comp_targetILNS1_3genE2ELNS1_11target_archE906ELNS1_3gpuE6ELNS1_3repE0EEENS1_30default_config_static_selectorELNS0_4arch9wavefront6targetE1EEEvT1_ ; -- Begin function _ZN7rocprim17ROCPRIM_400000_NS6detail17trampoline_kernelINS0_14default_configENS1_25transform_config_selectorIyLb0EEEZNS1_14transform_implILb0ES3_S5_NS0_18transform_iteratorINS0_17counting_iteratorImlEEZNS1_24adjacent_difference_implIS3_Lb1ELb0EPySB_N6thrust23THRUST_200600_302600_NS4plusIyEEEE10hipError_tPvRmT2_T3_mT4_P12ihipStream_tbEUlmE_yEESB_NS0_8identityIvEEEESG_SJ_SK_mSL_SN_bEUlT_E_NS1_11comp_targetILNS1_3genE2ELNS1_11target_archE906ELNS1_3gpuE6ELNS1_3repE0EEENS1_30default_config_static_selectorELNS0_4arch9wavefront6targetE1EEEvT1_
	.globl	_ZN7rocprim17ROCPRIM_400000_NS6detail17trampoline_kernelINS0_14default_configENS1_25transform_config_selectorIyLb0EEEZNS1_14transform_implILb0ES3_S5_NS0_18transform_iteratorINS0_17counting_iteratorImlEEZNS1_24adjacent_difference_implIS3_Lb1ELb0EPySB_N6thrust23THRUST_200600_302600_NS4plusIyEEEE10hipError_tPvRmT2_T3_mT4_P12ihipStream_tbEUlmE_yEESB_NS0_8identityIvEEEESG_SJ_SK_mSL_SN_bEUlT_E_NS1_11comp_targetILNS1_3genE2ELNS1_11target_archE906ELNS1_3gpuE6ELNS1_3repE0EEENS1_30default_config_static_selectorELNS0_4arch9wavefront6targetE1EEEvT1_
	.p2align	8
	.type	_ZN7rocprim17ROCPRIM_400000_NS6detail17trampoline_kernelINS0_14default_configENS1_25transform_config_selectorIyLb0EEEZNS1_14transform_implILb0ES3_S5_NS0_18transform_iteratorINS0_17counting_iteratorImlEEZNS1_24adjacent_difference_implIS3_Lb1ELb0EPySB_N6thrust23THRUST_200600_302600_NS4plusIyEEEE10hipError_tPvRmT2_T3_mT4_P12ihipStream_tbEUlmE_yEESB_NS0_8identityIvEEEESG_SJ_SK_mSL_SN_bEUlT_E_NS1_11comp_targetILNS1_3genE2ELNS1_11target_archE906ELNS1_3gpuE6ELNS1_3repE0EEENS1_30default_config_static_selectorELNS0_4arch9wavefront6targetE1EEEvT1_,@function
_ZN7rocprim17ROCPRIM_400000_NS6detail17trampoline_kernelINS0_14default_configENS1_25transform_config_selectorIyLb0EEEZNS1_14transform_implILb0ES3_S5_NS0_18transform_iteratorINS0_17counting_iteratorImlEEZNS1_24adjacent_difference_implIS3_Lb1ELb0EPySB_N6thrust23THRUST_200600_302600_NS4plusIyEEEE10hipError_tPvRmT2_T3_mT4_P12ihipStream_tbEUlmE_yEESB_NS0_8identityIvEEEESG_SJ_SK_mSL_SN_bEUlT_E_NS1_11comp_targetILNS1_3genE2ELNS1_11target_archE906ELNS1_3gpuE6ELNS1_3repE0EEENS1_30default_config_static_selectorELNS0_4arch9wavefront6targetE1EEEvT1_: ; @_ZN7rocprim17ROCPRIM_400000_NS6detail17trampoline_kernelINS0_14default_configENS1_25transform_config_selectorIyLb0EEEZNS1_14transform_implILb0ES3_S5_NS0_18transform_iteratorINS0_17counting_iteratorImlEEZNS1_24adjacent_difference_implIS3_Lb1ELb0EPySB_N6thrust23THRUST_200600_302600_NS4plusIyEEEE10hipError_tPvRmT2_T3_mT4_P12ihipStream_tbEUlmE_yEESB_NS0_8identityIvEEEESG_SJ_SK_mSL_SN_bEUlT_E_NS1_11comp_targetILNS1_3genE2ELNS1_11target_archE906ELNS1_3gpuE6ELNS1_3repE0EEENS1_30default_config_static_selectorELNS0_4arch9wavefront6targetE1EEEvT1_
; %bb.0:
	s_load_dword s1, s[4:5], 0x38
	s_load_dword s7, s[4:5], 0x20
	s_lshl_b32 s0, s6, 9
	s_waitcnt lgkmcnt(0)
	s_add_i32 s1, s1, -1
	s_cmp_lg_u32 s6, s1
	s_cselect_b64 s[2:3], -1, 0
	s_sub_i32 s1, s7, s0
	v_cmp_gt_u32_e32 vcc, s1, v0
	s_or_b64 s[2:3], s[2:3], vcc
	s_and_saveexec_b64 s[6:7], s[2:3]
	s_cbranch_execz .LBB141_2
; %bb.1:
	s_load_dwordx2 s[2:3], s[4:5], 0x18
	s_load_dwordx2 s[6:7], s[4:5], 0x28
	s_load_dwordx4 s[8:11], s[4:5], 0x0
	s_load_dword s1, s[4:5], 0x10
	s_waitcnt lgkmcnt(0)
	s_lshl_b64 s[4:5], s[2:3], 3
	s_add_u32 s4, s6, s4
	s_addc_u32 s5, s7, s5
	s_add_u32 s2, s8, s2
	s_addc_u32 s3, s9, s3
	;; [unrolled: 2-line block ×3, first 2 shown]
	v_mov_b32_e32 v1, s3
	v_add_co_u32_e32 v2, vcc, s2, v0
	v_addc_co_u32_e32 v3, vcc, 0, v1, vcc
	v_mad_u64_u32 v[1:2], s[2:3], v2, s1, 0
	v_mad_u64_u32 v[2:3], s[2:3], v3, s1, v[2:3]
	v_mov_b32_e32 v3, s11
	s_mov_b32 s1, 0
	v_lshlrev_b64 v[1:2], 3, v[1:2]
	s_lshl_b64 s[0:1], s[0:1], 3
	v_add_co_u32_e32 v1, vcc, s10, v1
	v_addc_co_u32_e32 v2, vcc, v3, v2, vcc
	global_load_dwordx2 v[2:3], v[1:2], off
	v_mov_b32_e32 v1, 0
	s_add_u32 s0, s4, s0
	v_lshlrev_b64 v[0:1], 3, v[0:1]
	s_addc_u32 s1, s5, s1
	v_mov_b32_e32 v4, s1
	v_add_co_u32_e32 v0, vcc, s0, v0
	v_addc_co_u32_e32 v1, vcc, v4, v1, vcc
	s_waitcnt vmcnt(0)
	global_store_dwordx2 v[0:1], v[2:3], off
.LBB141_2:
	s_endpgm
	.section	.rodata,"a",@progbits
	.p2align	6, 0x0
	.amdhsa_kernel _ZN7rocprim17ROCPRIM_400000_NS6detail17trampoline_kernelINS0_14default_configENS1_25transform_config_selectorIyLb0EEEZNS1_14transform_implILb0ES3_S5_NS0_18transform_iteratorINS0_17counting_iteratorImlEEZNS1_24adjacent_difference_implIS3_Lb1ELb0EPySB_N6thrust23THRUST_200600_302600_NS4plusIyEEEE10hipError_tPvRmT2_T3_mT4_P12ihipStream_tbEUlmE_yEESB_NS0_8identityIvEEEESG_SJ_SK_mSL_SN_bEUlT_E_NS1_11comp_targetILNS1_3genE2ELNS1_11target_archE906ELNS1_3gpuE6ELNS1_3repE0EEENS1_30default_config_static_selectorELNS0_4arch9wavefront6targetE1EEEvT1_
		.amdhsa_group_segment_fixed_size 0
		.amdhsa_private_segment_fixed_size 0
		.amdhsa_kernarg_size 312
		.amdhsa_user_sgpr_count 6
		.amdhsa_user_sgpr_private_segment_buffer 1
		.amdhsa_user_sgpr_dispatch_ptr 0
		.amdhsa_user_sgpr_queue_ptr 0
		.amdhsa_user_sgpr_kernarg_segment_ptr 1
		.amdhsa_user_sgpr_dispatch_id 0
		.amdhsa_user_sgpr_flat_scratch_init 0
		.amdhsa_user_sgpr_private_segment_size 0
		.amdhsa_uses_dynamic_stack 0
		.amdhsa_system_sgpr_private_segment_wavefront_offset 0
		.amdhsa_system_sgpr_workgroup_id_x 1
		.amdhsa_system_sgpr_workgroup_id_y 0
		.amdhsa_system_sgpr_workgroup_id_z 0
		.amdhsa_system_sgpr_workgroup_info 0
		.amdhsa_system_vgpr_workitem_id 0
		.amdhsa_next_free_vgpr 5
		.amdhsa_next_free_sgpr 12
		.amdhsa_reserve_vcc 1
		.amdhsa_reserve_flat_scratch 0
		.amdhsa_float_round_mode_32 0
		.amdhsa_float_round_mode_16_64 0
		.amdhsa_float_denorm_mode_32 3
		.amdhsa_float_denorm_mode_16_64 3
		.amdhsa_dx10_clamp 1
		.amdhsa_ieee_mode 1
		.amdhsa_fp16_overflow 0
		.amdhsa_exception_fp_ieee_invalid_op 0
		.amdhsa_exception_fp_denorm_src 0
		.amdhsa_exception_fp_ieee_div_zero 0
		.amdhsa_exception_fp_ieee_overflow 0
		.amdhsa_exception_fp_ieee_underflow 0
		.amdhsa_exception_fp_ieee_inexact 0
		.amdhsa_exception_int_div_zero 0
	.end_amdhsa_kernel
	.section	.text._ZN7rocprim17ROCPRIM_400000_NS6detail17trampoline_kernelINS0_14default_configENS1_25transform_config_selectorIyLb0EEEZNS1_14transform_implILb0ES3_S5_NS0_18transform_iteratorINS0_17counting_iteratorImlEEZNS1_24adjacent_difference_implIS3_Lb1ELb0EPySB_N6thrust23THRUST_200600_302600_NS4plusIyEEEE10hipError_tPvRmT2_T3_mT4_P12ihipStream_tbEUlmE_yEESB_NS0_8identityIvEEEESG_SJ_SK_mSL_SN_bEUlT_E_NS1_11comp_targetILNS1_3genE2ELNS1_11target_archE906ELNS1_3gpuE6ELNS1_3repE0EEENS1_30default_config_static_selectorELNS0_4arch9wavefront6targetE1EEEvT1_,"axG",@progbits,_ZN7rocprim17ROCPRIM_400000_NS6detail17trampoline_kernelINS0_14default_configENS1_25transform_config_selectorIyLb0EEEZNS1_14transform_implILb0ES3_S5_NS0_18transform_iteratorINS0_17counting_iteratorImlEEZNS1_24adjacent_difference_implIS3_Lb1ELb0EPySB_N6thrust23THRUST_200600_302600_NS4plusIyEEEE10hipError_tPvRmT2_T3_mT4_P12ihipStream_tbEUlmE_yEESB_NS0_8identityIvEEEESG_SJ_SK_mSL_SN_bEUlT_E_NS1_11comp_targetILNS1_3genE2ELNS1_11target_archE906ELNS1_3gpuE6ELNS1_3repE0EEENS1_30default_config_static_selectorELNS0_4arch9wavefront6targetE1EEEvT1_,comdat
.Lfunc_end141:
	.size	_ZN7rocprim17ROCPRIM_400000_NS6detail17trampoline_kernelINS0_14default_configENS1_25transform_config_selectorIyLb0EEEZNS1_14transform_implILb0ES3_S5_NS0_18transform_iteratorINS0_17counting_iteratorImlEEZNS1_24adjacent_difference_implIS3_Lb1ELb0EPySB_N6thrust23THRUST_200600_302600_NS4plusIyEEEE10hipError_tPvRmT2_T3_mT4_P12ihipStream_tbEUlmE_yEESB_NS0_8identityIvEEEESG_SJ_SK_mSL_SN_bEUlT_E_NS1_11comp_targetILNS1_3genE2ELNS1_11target_archE906ELNS1_3gpuE6ELNS1_3repE0EEENS1_30default_config_static_selectorELNS0_4arch9wavefront6targetE1EEEvT1_, .Lfunc_end141-_ZN7rocprim17ROCPRIM_400000_NS6detail17trampoline_kernelINS0_14default_configENS1_25transform_config_selectorIyLb0EEEZNS1_14transform_implILb0ES3_S5_NS0_18transform_iteratorINS0_17counting_iteratorImlEEZNS1_24adjacent_difference_implIS3_Lb1ELb0EPySB_N6thrust23THRUST_200600_302600_NS4plusIyEEEE10hipError_tPvRmT2_T3_mT4_P12ihipStream_tbEUlmE_yEESB_NS0_8identityIvEEEESG_SJ_SK_mSL_SN_bEUlT_E_NS1_11comp_targetILNS1_3genE2ELNS1_11target_archE906ELNS1_3gpuE6ELNS1_3repE0EEENS1_30default_config_static_selectorELNS0_4arch9wavefront6targetE1EEEvT1_
                                        ; -- End function
	.set _ZN7rocprim17ROCPRIM_400000_NS6detail17trampoline_kernelINS0_14default_configENS1_25transform_config_selectorIyLb0EEEZNS1_14transform_implILb0ES3_S5_NS0_18transform_iteratorINS0_17counting_iteratorImlEEZNS1_24adjacent_difference_implIS3_Lb1ELb0EPySB_N6thrust23THRUST_200600_302600_NS4plusIyEEEE10hipError_tPvRmT2_T3_mT4_P12ihipStream_tbEUlmE_yEESB_NS0_8identityIvEEEESG_SJ_SK_mSL_SN_bEUlT_E_NS1_11comp_targetILNS1_3genE2ELNS1_11target_archE906ELNS1_3gpuE6ELNS1_3repE0EEENS1_30default_config_static_selectorELNS0_4arch9wavefront6targetE1EEEvT1_.num_vgpr, 5
	.set _ZN7rocprim17ROCPRIM_400000_NS6detail17trampoline_kernelINS0_14default_configENS1_25transform_config_selectorIyLb0EEEZNS1_14transform_implILb0ES3_S5_NS0_18transform_iteratorINS0_17counting_iteratorImlEEZNS1_24adjacent_difference_implIS3_Lb1ELb0EPySB_N6thrust23THRUST_200600_302600_NS4plusIyEEEE10hipError_tPvRmT2_T3_mT4_P12ihipStream_tbEUlmE_yEESB_NS0_8identityIvEEEESG_SJ_SK_mSL_SN_bEUlT_E_NS1_11comp_targetILNS1_3genE2ELNS1_11target_archE906ELNS1_3gpuE6ELNS1_3repE0EEENS1_30default_config_static_selectorELNS0_4arch9wavefront6targetE1EEEvT1_.num_agpr, 0
	.set _ZN7rocprim17ROCPRIM_400000_NS6detail17trampoline_kernelINS0_14default_configENS1_25transform_config_selectorIyLb0EEEZNS1_14transform_implILb0ES3_S5_NS0_18transform_iteratorINS0_17counting_iteratorImlEEZNS1_24adjacent_difference_implIS3_Lb1ELb0EPySB_N6thrust23THRUST_200600_302600_NS4plusIyEEEE10hipError_tPvRmT2_T3_mT4_P12ihipStream_tbEUlmE_yEESB_NS0_8identityIvEEEESG_SJ_SK_mSL_SN_bEUlT_E_NS1_11comp_targetILNS1_3genE2ELNS1_11target_archE906ELNS1_3gpuE6ELNS1_3repE0EEENS1_30default_config_static_selectorELNS0_4arch9wavefront6targetE1EEEvT1_.numbered_sgpr, 12
	.set _ZN7rocprim17ROCPRIM_400000_NS6detail17trampoline_kernelINS0_14default_configENS1_25transform_config_selectorIyLb0EEEZNS1_14transform_implILb0ES3_S5_NS0_18transform_iteratorINS0_17counting_iteratorImlEEZNS1_24adjacent_difference_implIS3_Lb1ELb0EPySB_N6thrust23THRUST_200600_302600_NS4plusIyEEEE10hipError_tPvRmT2_T3_mT4_P12ihipStream_tbEUlmE_yEESB_NS0_8identityIvEEEESG_SJ_SK_mSL_SN_bEUlT_E_NS1_11comp_targetILNS1_3genE2ELNS1_11target_archE906ELNS1_3gpuE6ELNS1_3repE0EEENS1_30default_config_static_selectorELNS0_4arch9wavefront6targetE1EEEvT1_.num_named_barrier, 0
	.set _ZN7rocprim17ROCPRIM_400000_NS6detail17trampoline_kernelINS0_14default_configENS1_25transform_config_selectorIyLb0EEEZNS1_14transform_implILb0ES3_S5_NS0_18transform_iteratorINS0_17counting_iteratorImlEEZNS1_24adjacent_difference_implIS3_Lb1ELb0EPySB_N6thrust23THRUST_200600_302600_NS4plusIyEEEE10hipError_tPvRmT2_T3_mT4_P12ihipStream_tbEUlmE_yEESB_NS0_8identityIvEEEESG_SJ_SK_mSL_SN_bEUlT_E_NS1_11comp_targetILNS1_3genE2ELNS1_11target_archE906ELNS1_3gpuE6ELNS1_3repE0EEENS1_30default_config_static_selectorELNS0_4arch9wavefront6targetE1EEEvT1_.private_seg_size, 0
	.set _ZN7rocprim17ROCPRIM_400000_NS6detail17trampoline_kernelINS0_14default_configENS1_25transform_config_selectorIyLb0EEEZNS1_14transform_implILb0ES3_S5_NS0_18transform_iteratorINS0_17counting_iteratorImlEEZNS1_24adjacent_difference_implIS3_Lb1ELb0EPySB_N6thrust23THRUST_200600_302600_NS4plusIyEEEE10hipError_tPvRmT2_T3_mT4_P12ihipStream_tbEUlmE_yEESB_NS0_8identityIvEEEESG_SJ_SK_mSL_SN_bEUlT_E_NS1_11comp_targetILNS1_3genE2ELNS1_11target_archE906ELNS1_3gpuE6ELNS1_3repE0EEENS1_30default_config_static_selectorELNS0_4arch9wavefront6targetE1EEEvT1_.uses_vcc, 1
	.set _ZN7rocprim17ROCPRIM_400000_NS6detail17trampoline_kernelINS0_14default_configENS1_25transform_config_selectorIyLb0EEEZNS1_14transform_implILb0ES3_S5_NS0_18transform_iteratorINS0_17counting_iteratorImlEEZNS1_24adjacent_difference_implIS3_Lb1ELb0EPySB_N6thrust23THRUST_200600_302600_NS4plusIyEEEE10hipError_tPvRmT2_T3_mT4_P12ihipStream_tbEUlmE_yEESB_NS0_8identityIvEEEESG_SJ_SK_mSL_SN_bEUlT_E_NS1_11comp_targetILNS1_3genE2ELNS1_11target_archE906ELNS1_3gpuE6ELNS1_3repE0EEENS1_30default_config_static_selectorELNS0_4arch9wavefront6targetE1EEEvT1_.uses_flat_scratch, 0
	.set _ZN7rocprim17ROCPRIM_400000_NS6detail17trampoline_kernelINS0_14default_configENS1_25transform_config_selectorIyLb0EEEZNS1_14transform_implILb0ES3_S5_NS0_18transform_iteratorINS0_17counting_iteratorImlEEZNS1_24adjacent_difference_implIS3_Lb1ELb0EPySB_N6thrust23THRUST_200600_302600_NS4plusIyEEEE10hipError_tPvRmT2_T3_mT4_P12ihipStream_tbEUlmE_yEESB_NS0_8identityIvEEEESG_SJ_SK_mSL_SN_bEUlT_E_NS1_11comp_targetILNS1_3genE2ELNS1_11target_archE906ELNS1_3gpuE6ELNS1_3repE0EEENS1_30default_config_static_selectorELNS0_4arch9wavefront6targetE1EEEvT1_.has_dyn_sized_stack, 0
	.set _ZN7rocprim17ROCPRIM_400000_NS6detail17trampoline_kernelINS0_14default_configENS1_25transform_config_selectorIyLb0EEEZNS1_14transform_implILb0ES3_S5_NS0_18transform_iteratorINS0_17counting_iteratorImlEEZNS1_24adjacent_difference_implIS3_Lb1ELb0EPySB_N6thrust23THRUST_200600_302600_NS4plusIyEEEE10hipError_tPvRmT2_T3_mT4_P12ihipStream_tbEUlmE_yEESB_NS0_8identityIvEEEESG_SJ_SK_mSL_SN_bEUlT_E_NS1_11comp_targetILNS1_3genE2ELNS1_11target_archE906ELNS1_3gpuE6ELNS1_3repE0EEENS1_30default_config_static_selectorELNS0_4arch9wavefront6targetE1EEEvT1_.has_recursion, 0
	.set _ZN7rocprim17ROCPRIM_400000_NS6detail17trampoline_kernelINS0_14default_configENS1_25transform_config_selectorIyLb0EEEZNS1_14transform_implILb0ES3_S5_NS0_18transform_iteratorINS0_17counting_iteratorImlEEZNS1_24adjacent_difference_implIS3_Lb1ELb0EPySB_N6thrust23THRUST_200600_302600_NS4plusIyEEEE10hipError_tPvRmT2_T3_mT4_P12ihipStream_tbEUlmE_yEESB_NS0_8identityIvEEEESG_SJ_SK_mSL_SN_bEUlT_E_NS1_11comp_targetILNS1_3genE2ELNS1_11target_archE906ELNS1_3gpuE6ELNS1_3repE0EEENS1_30default_config_static_selectorELNS0_4arch9wavefront6targetE1EEEvT1_.has_indirect_call, 0
	.section	.AMDGPU.csdata,"",@progbits
; Kernel info:
; codeLenInByte = 232
; TotalNumSgprs: 16
; NumVgprs: 5
; ScratchSize: 0
; MemoryBound: 0
; FloatMode: 240
; IeeeMode: 1
; LDSByteSize: 0 bytes/workgroup (compile time only)
; SGPRBlocks: 1
; VGPRBlocks: 1
; NumSGPRsForWavesPerEU: 16
; NumVGPRsForWavesPerEU: 5
; Occupancy: 10
; WaveLimiterHint : 0
; COMPUTE_PGM_RSRC2:SCRATCH_EN: 0
; COMPUTE_PGM_RSRC2:USER_SGPR: 6
; COMPUTE_PGM_RSRC2:TRAP_HANDLER: 0
; COMPUTE_PGM_RSRC2:TGID_X_EN: 1
; COMPUTE_PGM_RSRC2:TGID_Y_EN: 0
; COMPUTE_PGM_RSRC2:TGID_Z_EN: 0
; COMPUTE_PGM_RSRC2:TIDIG_COMP_CNT: 0
	.section	.text._ZN7rocprim17ROCPRIM_400000_NS6detail17trampoline_kernelINS0_14default_configENS1_25transform_config_selectorIyLb0EEEZNS1_14transform_implILb0ES3_S5_NS0_18transform_iteratorINS0_17counting_iteratorImlEEZNS1_24adjacent_difference_implIS3_Lb1ELb0EPySB_N6thrust23THRUST_200600_302600_NS4plusIyEEEE10hipError_tPvRmT2_T3_mT4_P12ihipStream_tbEUlmE_yEESB_NS0_8identityIvEEEESG_SJ_SK_mSL_SN_bEUlT_E_NS1_11comp_targetILNS1_3genE10ELNS1_11target_archE1201ELNS1_3gpuE5ELNS1_3repE0EEENS1_30default_config_static_selectorELNS0_4arch9wavefront6targetE1EEEvT1_,"axG",@progbits,_ZN7rocprim17ROCPRIM_400000_NS6detail17trampoline_kernelINS0_14default_configENS1_25transform_config_selectorIyLb0EEEZNS1_14transform_implILb0ES3_S5_NS0_18transform_iteratorINS0_17counting_iteratorImlEEZNS1_24adjacent_difference_implIS3_Lb1ELb0EPySB_N6thrust23THRUST_200600_302600_NS4plusIyEEEE10hipError_tPvRmT2_T3_mT4_P12ihipStream_tbEUlmE_yEESB_NS0_8identityIvEEEESG_SJ_SK_mSL_SN_bEUlT_E_NS1_11comp_targetILNS1_3genE10ELNS1_11target_archE1201ELNS1_3gpuE5ELNS1_3repE0EEENS1_30default_config_static_selectorELNS0_4arch9wavefront6targetE1EEEvT1_,comdat
	.protected	_ZN7rocprim17ROCPRIM_400000_NS6detail17trampoline_kernelINS0_14default_configENS1_25transform_config_selectorIyLb0EEEZNS1_14transform_implILb0ES3_S5_NS0_18transform_iteratorINS0_17counting_iteratorImlEEZNS1_24adjacent_difference_implIS3_Lb1ELb0EPySB_N6thrust23THRUST_200600_302600_NS4plusIyEEEE10hipError_tPvRmT2_T3_mT4_P12ihipStream_tbEUlmE_yEESB_NS0_8identityIvEEEESG_SJ_SK_mSL_SN_bEUlT_E_NS1_11comp_targetILNS1_3genE10ELNS1_11target_archE1201ELNS1_3gpuE5ELNS1_3repE0EEENS1_30default_config_static_selectorELNS0_4arch9wavefront6targetE1EEEvT1_ ; -- Begin function _ZN7rocprim17ROCPRIM_400000_NS6detail17trampoline_kernelINS0_14default_configENS1_25transform_config_selectorIyLb0EEEZNS1_14transform_implILb0ES3_S5_NS0_18transform_iteratorINS0_17counting_iteratorImlEEZNS1_24adjacent_difference_implIS3_Lb1ELb0EPySB_N6thrust23THRUST_200600_302600_NS4plusIyEEEE10hipError_tPvRmT2_T3_mT4_P12ihipStream_tbEUlmE_yEESB_NS0_8identityIvEEEESG_SJ_SK_mSL_SN_bEUlT_E_NS1_11comp_targetILNS1_3genE10ELNS1_11target_archE1201ELNS1_3gpuE5ELNS1_3repE0EEENS1_30default_config_static_selectorELNS0_4arch9wavefront6targetE1EEEvT1_
	.globl	_ZN7rocprim17ROCPRIM_400000_NS6detail17trampoline_kernelINS0_14default_configENS1_25transform_config_selectorIyLb0EEEZNS1_14transform_implILb0ES3_S5_NS0_18transform_iteratorINS0_17counting_iteratorImlEEZNS1_24adjacent_difference_implIS3_Lb1ELb0EPySB_N6thrust23THRUST_200600_302600_NS4plusIyEEEE10hipError_tPvRmT2_T3_mT4_P12ihipStream_tbEUlmE_yEESB_NS0_8identityIvEEEESG_SJ_SK_mSL_SN_bEUlT_E_NS1_11comp_targetILNS1_3genE10ELNS1_11target_archE1201ELNS1_3gpuE5ELNS1_3repE0EEENS1_30default_config_static_selectorELNS0_4arch9wavefront6targetE1EEEvT1_
	.p2align	8
	.type	_ZN7rocprim17ROCPRIM_400000_NS6detail17trampoline_kernelINS0_14default_configENS1_25transform_config_selectorIyLb0EEEZNS1_14transform_implILb0ES3_S5_NS0_18transform_iteratorINS0_17counting_iteratorImlEEZNS1_24adjacent_difference_implIS3_Lb1ELb0EPySB_N6thrust23THRUST_200600_302600_NS4plusIyEEEE10hipError_tPvRmT2_T3_mT4_P12ihipStream_tbEUlmE_yEESB_NS0_8identityIvEEEESG_SJ_SK_mSL_SN_bEUlT_E_NS1_11comp_targetILNS1_3genE10ELNS1_11target_archE1201ELNS1_3gpuE5ELNS1_3repE0EEENS1_30default_config_static_selectorELNS0_4arch9wavefront6targetE1EEEvT1_,@function
_ZN7rocprim17ROCPRIM_400000_NS6detail17trampoline_kernelINS0_14default_configENS1_25transform_config_selectorIyLb0EEEZNS1_14transform_implILb0ES3_S5_NS0_18transform_iteratorINS0_17counting_iteratorImlEEZNS1_24adjacent_difference_implIS3_Lb1ELb0EPySB_N6thrust23THRUST_200600_302600_NS4plusIyEEEE10hipError_tPvRmT2_T3_mT4_P12ihipStream_tbEUlmE_yEESB_NS0_8identityIvEEEESG_SJ_SK_mSL_SN_bEUlT_E_NS1_11comp_targetILNS1_3genE10ELNS1_11target_archE1201ELNS1_3gpuE5ELNS1_3repE0EEENS1_30default_config_static_selectorELNS0_4arch9wavefront6targetE1EEEvT1_: ; @_ZN7rocprim17ROCPRIM_400000_NS6detail17trampoline_kernelINS0_14default_configENS1_25transform_config_selectorIyLb0EEEZNS1_14transform_implILb0ES3_S5_NS0_18transform_iteratorINS0_17counting_iteratorImlEEZNS1_24adjacent_difference_implIS3_Lb1ELb0EPySB_N6thrust23THRUST_200600_302600_NS4plusIyEEEE10hipError_tPvRmT2_T3_mT4_P12ihipStream_tbEUlmE_yEESB_NS0_8identityIvEEEESG_SJ_SK_mSL_SN_bEUlT_E_NS1_11comp_targetILNS1_3genE10ELNS1_11target_archE1201ELNS1_3gpuE5ELNS1_3repE0EEENS1_30default_config_static_selectorELNS0_4arch9wavefront6targetE1EEEvT1_
; %bb.0:
	.section	.rodata,"a",@progbits
	.p2align	6, 0x0
	.amdhsa_kernel _ZN7rocprim17ROCPRIM_400000_NS6detail17trampoline_kernelINS0_14default_configENS1_25transform_config_selectorIyLb0EEEZNS1_14transform_implILb0ES3_S5_NS0_18transform_iteratorINS0_17counting_iteratorImlEEZNS1_24adjacent_difference_implIS3_Lb1ELb0EPySB_N6thrust23THRUST_200600_302600_NS4plusIyEEEE10hipError_tPvRmT2_T3_mT4_P12ihipStream_tbEUlmE_yEESB_NS0_8identityIvEEEESG_SJ_SK_mSL_SN_bEUlT_E_NS1_11comp_targetILNS1_3genE10ELNS1_11target_archE1201ELNS1_3gpuE5ELNS1_3repE0EEENS1_30default_config_static_selectorELNS0_4arch9wavefront6targetE1EEEvT1_
		.amdhsa_group_segment_fixed_size 0
		.amdhsa_private_segment_fixed_size 0
		.amdhsa_kernarg_size 56
		.amdhsa_user_sgpr_count 6
		.amdhsa_user_sgpr_private_segment_buffer 1
		.amdhsa_user_sgpr_dispatch_ptr 0
		.amdhsa_user_sgpr_queue_ptr 0
		.amdhsa_user_sgpr_kernarg_segment_ptr 1
		.amdhsa_user_sgpr_dispatch_id 0
		.amdhsa_user_sgpr_flat_scratch_init 0
		.amdhsa_user_sgpr_private_segment_size 0
		.amdhsa_uses_dynamic_stack 0
		.amdhsa_system_sgpr_private_segment_wavefront_offset 0
		.amdhsa_system_sgpr_workgroup_id_x 1
		.amdhsa_system_sgpr_workgroup_id_y 0
		.amdhsa_system_sgpr_workgroup_id_z 0
		.amdhsa_system_sgpr_workgroup_info 0
		.amdhsa_system_vgpr_workitem_id 0
		.amdhsa_next_free_vgpr 1
		.amdhsa_next_free_sgpr 0
		.amdhsa_reserve_vcc 0
		.amdhsa_reserve_flat_scratch 0
		.amdhsa_float_round_mode_32 0
		.amdhsa_float_round_mode_16_64 0
		.amdhsa_float_denorm_mode_32 3
		.amdhsa_float_denorm_mode_16_64 3
		.amdhsa_dx10_clamp 1
		.amdhsa_ieee_mode 1
		.amdhsa_fp16_overflow 0
		.amdhsa_exception_fp_ieee_invalid_op 0
		.amdhsa_exception_fp_denorm_src 0
		.amdhsa_exception_fp_ieee_div_zero 0
		.amdhsa_exception_fp_ieee_overflow 0
		.amdhsa_exception_fp_ieee_underflow 0
		.amdhsa_exception_fp_ieee_inexact 0
		.amdhsa_exception_int_div_zero 0
	.end_amdhsa_kernel
	.section	.text._ZN7rocprim17ROCPRIM_400000_NS6detail17trampoline_kernelINS0_14default_configENS1_25transform_config_selectorIyLb0EEEZNS1_14transform_implILb0ES3_S5_NS0_18transform_iteratorINS0_17counting_iteratorImlEEZNS1_24adjacent_difference_implIS3_Lb1ELb0EPySB_N6thrust23THRUST_200600_302600_NS4plusIyEEEE10hipError_tPvRmT2_T3_mT4_P12ihipStream_tbEUlmE_yEESB_NS0_8identityIvEEEESG_SJ_SK_mSL_SN_bEUlT_E_NS1_11comp_targetILNS1_3genE10ELNS1_11target_archE1201ELNS1_3gpuE5ELNS1_3repE0EEENS1_30default_config_static_selectorELNS0_4arch9wavefront6targetE1EEEvT1_,"axG",@progbits,_ZN7rocprim17ROCPRIM_400000_NS6detail17trampoline_kernelINS0_14default_configENS1_25transform_config_selectorIyLb0EEEZNS1_14transform_implILb0ES3_S5_NS0_18transform_iteratorINS0_17counting_iteratorImlEEZNS1_24adjacent_difference_implIS3_Lb1ELb0EPySB_N6thrust23THRUST_200600_302600_NS4plusIyEEEE10hipError_tPvRmT2_T3_mT4_P12ihipStream_tbEUlmE_yEESB_NS0_8identityIvEEEESG_SJ_SK_mSL_SN_bEUlT_E_NS1_11comp_targetILNS1_3genE10ELNS1_11target_archE1201ELNS1_3gpuE5ELNS1_3repE0EEENS1_30default_config_static_selectorELNS0_4arch9wavefront6targetE1EEEvT1_,comdat
.Lfunc_end142:
	.size	_ZN7rocprim17ROCPRIM_400000_NS6detail17trampoline_kernelINS0_14default_configENS1_25transform_config_selectorIyLb0EEEZNS1_14transform_implILb0ES3_S5_NS0_18transform_iteratorINS0_17counting_iteratorImlEEZNS1_24adjacent_difference_implIS3_Lb1ELb0EPySB_N6thrust23THRUST_200600_302600_NS4plusIyEEEE10hipError_tPvRmT2_T3_mT4_P12ihipStream_tbEUlmE_yEESB_NS0_8identityIvEEEESG_SJ_SK_mSL_SN_bEUlT_E_NS1_11comp_targetILNS1_3genE10ELNS1_11target_archE1201ELNS1_3gpuE5ELNS1_3repE0EEENS1_30default_config_static_selectorELNS0_4arch9wavefront6targetE1EEEvT1_, .Lfunc_end142-_ZN7rocprim17ROCPRIM_400000_NS6detail17trampoline_kernelINS0_14default_configENS1_25transform_config_selectorIyLb0EEEZNS1_14transform_implILb0ES3_S5_NS0_18transform_iteratorINS0_17counting_iteratorImlEEZNS1_24adjacent_difference_implIS3_Lb1ELb0EPySB_N6thrust23THRUST_200600_302600_NS4plusIyEEEE10hipError_tPvRmT2_T3_mT4_P12ihipStream_tbEUlmE_yEESB_NS0_8identityIvEEEESG_SJ_SK_mSL_SN_bEUlT_E_NS1_11comp_targetILNS1_3genE10ELNS1_11target_archE1201ELNS1_3gpuE5ELNS1_3repE0EEENS1_30default_config_static_selectorELNS0_4arch9wavefront6targetE1EEEvT1_
                                        ; -- End function
	.set _ZN7rocprim17ROCPRIM_400000_NS6detail17trampoline_kernelINS0_14default_configENS1_25transform_config_selectorIyLb0EEEZNS1_14transform_implILb0ES3_S5_NS0_18transform_iteratorINS0_17counting_iteratorImlEEZNS1_24adjacent_difference_implIS3_Lb1ELb0EPySB_N6thrust23THRUST_200600_302600_NS4plusIyEEEE10hipError_tPvRmT2_T3_mT4_P12ihipStream_tbEUlmE_yEESB_NS0_8identityIvEEEESG_SJ_SK_mSL_SN_bEUlT_E_NS1_11comp_targetILNS1_3genE10ELNS1_11target_archE1201ELNS1_3gpuE5ELNS1_3repE0EEENS1_30default_config_static_selectorELNS0_4arch9wavefront6targetE1EEEvT1_.num_vgpr, 0
	.set _ZN7rocprim17ROCPRIM_400000_NS6detail17trampoline_kernelINS0_14default_configENS1_25transform_config_selectorIyLb0EEEZNS1_14transform_implILb0ES3_S5_NS0_18transform_iteratorINS0_17counting_iteratorImlEEZNS1_24adjacent_difference_implIS3_Lb1ELb0EPySB_N6thrust23THRUST_200600_302600_NS4plusIyEEEE10hipError_tPvRmT2_T3_mT4_P12ihipStream_tbEUlmE_yEESB_NS0_8identityIvEEEESG_SJ_SK_mSL_SN_bEUlT_E_NS1_11comp_targetILNS1_3genE10ELNS1_11target_archE1201ELNS1_3gpuE5ELNS1_3repE0EEENS1_30default_config_static_selectorELNS0_4arch9wavefront6targetE1EEEvT1_.num_agpr, 0
	.set _ZN7rocprim17ROCPRIM_400000_NS6detail17trampoline_kernelINS0_14default_configENS1_25transform_config_selectorIyLb0EEEZNS1_14transform_implILb0ES3_S5_NS0_18transform_iteratorINS0_17counting_iteratorImlEEZNS1_24adjacent_difference_implIS3_Lb1ELb0EPySB_N6thrust23THRUST_200600_302600_NS4plusIyEEEE10hipError_tPvRmT2_T3_mT4_P12ihipStream_tbEUlmE_yEESB_NS0_8identityIvEEEESG_SJ_SK_mSL_SN_bEUlT_E_NS1_11comp_targetILNS1_3genE10ELNS1_11target_archE1201ELNS1_3gpuE5ELNS1_3repE0EEENS1_30default_config_static_selectorELNS0_4arch9wavefront6targetE1EEEvT1_.numbered_sgpr, 0
	.set _ZN7rocprim17ROCPRIM_400000_NS6detail17trampoline_kernelINS0_14default_configENS1_25transform_config_selectorIyLb0EEEZNS1_14transform_implILb0ES3_S5_NS0_18transform_iteratorINS0_17counting_iteratorImlEEZNS1_24adjacent_difference_implIS3_Lb1ELb0EPySB_N6thrust23THRUST_200600_302600_NS4plusIyEEEE10hipError_tPvRmT2_T3_mT4_P12ihipStream_tbEUlmE_yEESB_NS0_8identityIvEEEESG_SJ_SK_mSL_SN_bEUlT_E_NS1_11comp_targetILNS1_3genE10ELNS1_11target_archE1201ELNS1_3gpuE5ELNS1_3repE0EEENS1_30default_config_static_selectorELNS0_4arch9wavefront6targetE1EEEvT1_.num_named_barrier, 0
	.set _ZN7rocprim17ROCPRIM_400000_NS6detail17trampoline_kernelINS0_14default_configENS1_25transform_config_selectorIyLb0EEEZNS1_14transform_implILb0ES3_S5_NS0_18transform_iteratorINS0_17counting_iteratorImlEEZNS1_24adjacent_difference_implIS3_Lb1ELb0EPySB_N6thrust23THRUST_200600_302600_NS4plusIyEEEE10hipError_tPvRmT2_T3_mT4_P12ihipStream_tbEUlmE_yEESB_NS0_8identityIvEEEESG_SJ_SK_mSL_SN_bEUlT_E_NS1_11comp_targetILNS1_3genE10ELNS1_11target_archE1201ELNS1_3gpuE5ELNS1_3repE0EEENS1_30default_config_static_selectorELNS0_4arch9wavefront6targetE1EEEvT1_.private_seg_size, 0
	.set _ZN7rocprim17ROCPRIM_400000_NS6detail17trampoline_kernelINS0_14default_configENS1_25transform_config_selectorIyLb0EEEZNS1_14transform_implILb0ES3_S5_NS0_18transform_iteratorINS0_17counting_iteratorImlEEZNS1_24adjacent_difference_implIS3_Lb1ELb0EPySB_N6thrust23THRUST_200600_302600_NS4plusIyEEEE10hipError_tPvRmT2_T3_mT4_P12ihipStream_tbEUlmE_yEESB_NS0_8identityIvEEEESG_SJ_SK_mSL_SN_bEUlT_E_NS1_11comp_targetILNS1_3genE10ELNS1_11target_archE1201ELNS1_3gpuE5ELNS1_3repE0EEENS1_30default_config_static_selectorELNS0_4arch9wavefront6targetE1EEEvT1_.uses_vcc, 0
	.set _ZN7rocprim17ROCPRIM_400000_NS6detail17trampoline_kernelINS0_14default_configENS1_25transform_config_selectorIyLb0EEEZNS1_14transform_implILb0ES3_S5_NS0_18transform_iteratorINS0_17counting_iteratorImlEEZNS1_24adjacent_difference_implIS3_Lb1ELb0EPySB_N6thrust23THRUST_200600_302600_NS4plusIyEEEE10hipError_tPvRmT2_T3_mT4_P12ihipStream_tbEUlmE_yEESB_NS0_8identityIvEEEESG_SJ_SK_mSL_SN_bEUlT_E_NS1_11comp_targetILNS1_3genE10ELNS1_11target_archE1201ELNS1_3gpuE5ELNS1_3repE0EEENS1_30default_config_static_selectorELNS0_4arch9wavefront6targetE1EEEvT1_.uses_flat_scratch, 0
	.set _ZN7rocprim17ROCPRIM_400000_NS6detail17trampoline_kernelINS0_14default_configENS1_25transform_config_selectorIyLb0EEEZNS1_14transform_implILb0ES3_S5_NS0_18transform_iteratorINS0_17counting_iteratorImlEEZNS1_24adjacent_difference_implIS3_Lb1ELb0EPySB_N6thrust23THRUST_200600_302600_NS4plusIyEEEE10hipError_tPvRmT2_T3_mT4_P12ihipStream_tbEUlmE_yEESB_NS0_8identityIvEEEESG_SJ_SK_mSL_SN_bEUlT_E_NS1_11comp_targetILNS1_3genE10ELNS1_11target_archE1201ELNS1_3gpuE5ELNS1_3repE0EEENS1_30default_config_static_selectorELNS0_4arch9wavefront6targetE1EEEvT1_.has_dyn_sized_stack, 0
	.set _ZN7rocprim17ROCPRIM_400000_NS6detail17trampoline_kernelINS0_14default_configENS1_25transform_config_selectorIyLb0EEEZNS1_14transform_implILb0ES3_S5_NS0_18transform_iteratorINS0_17counting_iteratorImlEEZNS1_24adjacent_difference_implIS3_Lb1ELb0EPySB_N6thrust23THRUST_200600_302600_NS4plusIyEEEE10hipError_tPvRmT2_T3_mT4_P12ihipStream_tbEUlmE_yEESB_NS0_8identityIvEEEESG_SJ_SK_mSL_SN_bEUlT_E_NS1_11comp_targetILNS1_3genE10ELNS1_11target_archE1201ELNS1_3gpuE5ELNS1_3repE0EEENS1_30default_config_static_selectorELNS0_4arch9wavefront6targetE1EEEvT1_.has_recursion, 0
	.set _ZN7rocprim17ROCPRIM_400000_NS6detail17trampoline_kernelINS0_14default_configENS1_25transform_config_selectorIyLb0EEEZNS1_14transform_implILb0ES3_S5_NS0_18transform_iteratorINS0_17counting_iteratorImlEEZNS1_24adjacent_difference_implIS3_Lb1ELb0EPySB_N6thrust23THRUST_200600_302600_NS4plusIyEEEE10hipError_tPvRmT2_T3_mT4_P12ihipStream_tbEUlmE_yEESB_NS0_8identityIvEEEESG_SJ_SK_mSL_SN_bEUlT_E_NS1_11comp_targetILNS1_3genE10ELNS1_11target_archE1201ELNS1_3gpuE5ELNS1_3repE0EEENS1_30default_config_static_selectorELNS0_4arch9wavefront6targetE1EEEvT1_.has_indirect_call, 0
	.section	.AMDGPU.csdata,"",@progbits
; Kernel info:
; codeLenInByte = 0
; TotalNumSgprs: 4
; NumVgprs: 0
; ScratchSize: 0
; MemoryBound: 0
; FloatMode: 240
; IeeeMode: 1
; LDSByteSize: 0 bytes/workgroup (compile time only)
; SGPRBlocks: 0
; VGPRBlocks: 0
; NumSGPRsForWavesPerEU: 4
; NumVGPRsForWavesPerEU: 1
; Occupancy: 10
; WaveLimiterHint : 0
; COMPUTE_PGM_RSRC2:SCRATCH_EN: 0
; COMPUTE_PGM_RSRC2:USER_SGPR: 6
; COMPUTE_PGM_RSRC2:TRAP_HANDLER: 0
; COMPUTE_PGM_RSRC2:TGID_X_EN: 1
; COMPUTE_PGM_RSRC2:TGID_Y_EN: 0
; COMPUTE_PGM_RSRC2:TGID_Z_EN: 0
; COMPUTE_PGM_RSRC2:TIDIG_COMP_CNT: 0
	.section	.text._ZN7rocprim17ROCPRIM_400000_NS6detail17trampoline_kernelINS0_14default_configENS1_25transform_config_selectorIyLb0EEEZNS1_14transform_implILb0ES3_S5_NS0_18transform_iteratorINS0_17counting_iteratorImlEEZNS1_24adjacent_difference_implIS3_Lb1ELb0EPySB_N6thrust23THRUST_200600_302600_NS4plusIyEEEE10hipError_tPvRmT2_T3_mT4_P12ihipStream_tbEUlmE_yEESB_NS0_8identityIvEEEESG_SJ_SK_mSL_SN_bEUlT_E_NS1_11comp_targetILNS1_3genE10ELNS1_11target_archE1200ELNS1_3gpuE4ELNS1_3repE0EEENS1_30default_config_static_selectorELNS0_4arch9wavefront6targetE1EEEvT1_,"axG",@progbits,_ZN7rocprim17ROCPRIM_400000_NS6detail17trampoline_kernelINS0_14default_configENS1_25transform_config_selectorIyLb0EEEZNS1_14transform_implILb0ES3_S5_NS0_18transform_iteratorINS0_17counting_iteratorImlEEZNS1_24adjacent_difference_implIS3_Lb1ELb0EPySB_N6thrust23THRUST_200600_302600_NS4plusIyEEEE10hipError_tPvRmT2_T3_mT4_P12ihipStream_tbEUlmE_yEESB_NS0_8identityIvEEEESG_SJ_SK_mSL_SN_bEUlT_E_NS1_11comp_targetILNS1_3genE10ELNS1_11target_archE1200ELNS1_3gpuE4ELNS1_3repE0EEENS1_30default_config_static_selectorELNS0_4arch9wavefront6targetE1EEEvT1_,comdat
	.protected	_ZN7rocprim17ROCPRIM_400000_NS6detail17trampoline_kernelINS0_14default_configENS1_25transform_config_selectorIyLb0EEEZNS1_14transform_implILb0ES3_S5_NS0_18transform_iteratorINS0_17counting_iteratorImlEEZNS1_24adjacent_difference_implIS3_Lb1ELb0EPySB_N6thrust23THRUST_200600_302600_NS4plusIyEEEE10hipError_tPvRmT2_T3_mT4_P12ihipStream_tbEUlmE_yEESB_NS0_8identityIvEEEESG_SJ_SK_mSL_SN_bEUlT_E_NS1_11comp_targetILNS1_3genE10ELNS1_11target_archE1200ELNS1_3gpuE4ELNS1_3repE0EEENS1_30default_config_static_selectorELNS0_4arch9wavefront6targetE1EEEvT1_ ; -- Begin function _ZN7rocprim17ROCPRIM_400000_NS6detail17trampoline_kernelINS0_14default_configENS1_25transform_config_selectorIyLb0EEEZNS1_14transform_implILb0ES3_S5_NS0_18transform_iteratorINS0_17counting_iteratorImlEEZNS1_24adjacent_difference_implIS3_Lb1ELb0EPySB_N6thrust23THRUST_200600_302600_NS4plusIyEEEE10hipError_tPvRmT2_T3_mT4_P12ihipStream_tbEUlmE_yEESB_NS0_8identityIvEEEESG_SJ_SK_mSL_SN_bEUlT_E_NS1_11comp_targetILNS1_3genE10ELNS1_11target_archE1200ELNS1_3gpuE4ELNS1_3repE0EEENS1_30default_config_static_selectorELNS0_4arch9wavefront6targetE1EEEvT1_
	.globl	_ZN7rocprim17ROCPRIM_400000_NS6detail17trampoline_kernelINS0_14default_configENS1_25transform_config_selectorIyLb0EEEZNS1_14transform_implILb0ES3_S5_NS0_18transform_iteratorINS0_17counting_iteratorImlEEZNS1_24adjacent_difference_implIS3_Lb1ELb0EPySB_N6thrust23THRUST_200600_302600_NS4plusIyEEEE10hipError_tPvRmT2_T3_mT4_P12ihipStream_tbEUlmE_yEESB_NS0_8identityIvEEEESG_SJ_SK_mSL_SN_bEUlT_E_NS1_11comp_targetILNS1_3genE10ELNS1_11target_archE1200ELNS1_3gpuE4ELNS1_3repE0EEENS1_30default_config_static_selectorELNS0_4arch9wavefront6targetE1EEEvT1_
	.p2align	8
	.type	_ZN7rocprim17ROCPRIM_400000_NS6detail17trampoline_kernelINS0_14default_configENS1_25transform_config_selectorIyLb0EEEZNS1_14transform_implILb0ES3_S5_NS0_18transform_iteratorINS0_17counting_iteratorImlEEZNS1_24adjacent_difference_implIS3_Lb1ELb0EPySB_N6thrust23THRUST_200600_302600_NS4plusIyEEEE10hipError_tPvRmT2_T3_mT4_P12ihipStream_tbEUlmE_yEESB_NS0_8identityIvEEEESG_SJ_SK_mSL_SN_bEUlT_E_NS1_11comp_targetILNS1_3genE10ELNS1_11target_archE1200ELNS1_3gpuE4ELNS1_3repE0EEENS1_30default_config_static_selectorELNS0_4arch9wavefront6targetE1EEEvT1_,@function
_ZN7rocprim17ROCPRIM_400000_NS6detail17trampoline_kernelINS0_14default_configENS1_25transform_config_selectorIyLb0EEEZNS1_14transform_implILb0ES3_S5_NS0_18transform_iteratorINS0_17counting_iteratorImlEEZNS1_24adjacent_difference_implIS3_Lb1ELb0EPySB_N6thrust23THRUST_200600_302600_NS4plusIyEEEE10hipError_tPvRmT2_T3_mT4_P12ihipStream_tbEUlmE_yEESB_NS0_8identityIvEEEESG_SJ_SK_mSL_SN_bEUlT_E_NS1_11comp_targetILNS1_3genE10ELNS1_11target_archE1200ELNS1_3gpuE4ELNS1_3repE0EEENS1_30default_config_static_selectorELNS0_4arch9wavefront6targetE1EEEvT1_: ; @_ZN7rocprim17ROCPRIM_400000_NS6detail17trampoline_kernelINS0_14default_configENS1_25transform_config_selectorIyLb0EEEZNS1_14transform_implILb0ES3_S5_NS0_18transform_iteratorINS0_17counting_iteratorImlEEZNS1_24adjacent_difference_implIS3_Lb1ELb0EPySB_N6thrust23THRUST_200600_302600_NS4plusIyEEEE10hipError_tPvRmT2_T3_mT4_P12ihipStream_tbEUlmE_yEESB_NS0_8identityIvEEEESG_SJ_SK_mSL_SN_bEUlT_E_NS1_11comp_targetILNS1_3genE10ELNS1_11target_archE1200ELNS1_3gpuE4ELNS1_3repE0EEENS1_30default_config_static_selectorELNS0_4arch9wavefront6targetE1EEEvT1_
; %bb.0:
	.section	.rodata,"a",@progbits
	.p2align	6, 0x0
	.amdhsa_kernel _ZN7rocprim17ROCPRIM_400000_NS6detail17trampoline_kernelINS0_14default_configENS1_25transform_config_selectorIyLb0EEEZNS1_14transform_implILb0ES3_S5_NS0_18transform_iteratorINS0_17counting_iteratorImlEEZNS1_24adjacent_difference_implIS3_Lb1ELb0EPySB_N6thrust23THRUST_200600_302600_NS4plusIyEEEE10hipError_tPvRmT2_T3_mT4_P12ihipStream_tbEUlmE_yEESB_NS0_8identityIvEEEESG_SJ_SK_mSL_SN_bEUlT_E_NS1_11comp_targetILNS1_3genE10ELNS1_11target_archE1200ELNS1_3gpuE4ELNS1_3repE0EEENS1_30default_config_static_selectorELNS0_4arch9wavefront6targetE1EEEvT1_
		.amdhsa_group_segment_fixed_size 0
		.amdhsa_private_segment_fixed_size 0
		.amdhsa_kernarg_size 56
		.amdhsa_user_sgpr_count 6
		.amdhsa_user_sgpr_private_segment_buffer 1
		.amdhsa_user_sgpr_dispatch_ptr 0
		.amdhsa_user_sgpr_queue_ptr 0
		.amdhsa_user_sgpr_kernarg_segment_ptr 1
		.amdhsa_user_sgpr_dispatch_id 0
		.amdhsa_user_sgpr_flat_scratch_init 0
		.amdhsa_user_sgpr_private_segment_size 0
		.amdhsa_uses_dynamic_stack 0
		.amdhsa_system_sgpr_private_segment_wavefront_offset 0
		.amdhsa_system_sgpr_workgroup_id_x 1
		.amdhsa_system_sgpr_workgroup_id_y 0
		.amdhsa_system_sgpr_workgroup_id_z 0
		.amdhsa_system_sgpr_workgroup_info 0
		.amdhsa_system_vgpr_workitem_id 0
		.amdhsa_next_free_vgpr 1
		.amdhsa_next_free_sgpr 0
		.amdhsa_reserve_vcc 0
		.amdhsa_reserve_flat_scratch 0
		.amdhsa_float_round_mode_32 0
		.amdhsa_float_round_mode_16_64 0
		.amdhsa_float_denorm_mode_32 3
		.amdhsa_float_denorm_mode_16_64 3
		.amdhsa_dx10_clamp 1
		.amdhsa_ieee_mode 1
		.amdhsa_fp16_overflow 0
		.amdhsa_exception_fp_ieee_invalid_op 0
		.amdhsa_exception_fp_denorm_src 0
		.amdhsa_exception_fp_ieee_div_zero 0
		.amdhsa_exception_fp_ieee_overflow 0
		.amdhsa_exception_fp_ieee_underflow 0
		.amdhsa_exception_fp_ieee_inexact 0
		.amdhsa_exception_int_div_zero 0
	.end_amdhsa_kernel
	.section	.text._ZN7rocprim17ROCPRIM_400000_NS6detail17trampoline_kernelINS0_14default_configENS1_25transform_config_selectorIyLb0EEEZNS1_14transform_implILb0ES3_S5_NS0_18transform_iteratorINS0_17counting_iteratorImlEEZNS1_24adjacent_difference_implIS3_Lb1ELb0EPySB_N6thrust23THRUST_200600_302600_NS4plusIyEEEE10hipError_tPvRmT2_T3_mT4_P12ihipStream_tbEUlmE_yEESB_NS0_8identityIvEEEESG_SJ_SK_mSL_SN_bEUlT_E_NS1_11comp_targetILNS1_3genE10ELNS1_11target_archE1200ELNS1_3gpuE4ELNS1_3repE0EEENS1_30default_config_static_selectorELNS0_4arch9wavefront6targetE1EEEvT1_,"axG",@progbits,_ZN7rocprim17ROCPRIM_400000_NS6detail17trampoline_kernelINS0_14default_configENS1_25transform_config_selectorIyLb0EEEZNS1_14transform_implILb0ES3_S5_NS0_18transform_iteratorINS0_17counting_iteratorImlEEZNS1_24adjacent_difference_implIS3_Lb1ELb0EPySB_N6thrust23THRUST_200600_302600_NS4plusIyEEEE10hipError_tPvRmT2_T3_mT4_P12ihipStream_tbEUlmE_yEESB_NS0_8identityIvEEEESG_SJ_SK_mSL_SN_bEUlT_E_NS1_11comp_targetILNS1_3genE10ELNS1_11target_archE1200ELNS1_3gpuE4ELNS1_3repE0EEENS1_30default_config_static_selectorELNS0_4arch9wavefront6targetE1EEEvT1_,comdat
.Lfunc_end143:
	.size	_ZN7rocprim17ROCPRIM_400000_NS6detail17trampoline_kernelINS0_14default_configENS1_25transform_config_selectorIyLb0EEEZNS1_14transform_implILb0ES3_S5_NS0_18transform_iteratorINS0_17counting_iteratorImlEEZNS1_24adjacent_difference_implIS3_Lb1ELb0EPySB_N6thrust23THRUST_200600_302600_NS4plusIyEEEE10hipError_tPvRmT2_T3_mT4_P12ihipStream_tbEUlmE_yEESB_NS0_8identityIvEEEESG_SJ_SK_mSL_SN_bEUlT_E_NS1_11comp_targetILNS1_3genE10ELNS1_11target_archE1200ELNS1_3gpuE4ELNS1_3repE0EEENS1_30default_config_static_selectorELNS0_4arch9wavefront6targetE1EEEvT1_, .Lfunc_end143-_ZN7rocprim17ROCPRIM_400000_NS6detail17trampoline_kernelINS0_14default_configENS1_25transform_config_selectorIyLb0EEEZNS1_14transform_implILb0ES3_S5_NS0_18transform_iteratorINS0_17counting_iteratorImlEEZNS1_24adjacent_difference_implIS3_Lb1ELb0EPySB_N6thrust23THRUST_200600_302600_NS4plusIyEEEE10hipError_tPvRmT2_T3_mT4_P12ihipStream_tbEUlmE_yEESB_NS0_8identityIvEEEESG_SJ_SK_mSL_SN_bEUlT_E_NS1_11comp_targetILNS1_3genE10ELNS1_11target_archE1200ELNS1_3gpuE4ELNS1_3repE0EEENS1_30default_config_static_selectorELNS0_4arch9wavefront6targetE1EEEvT1_
                                        ; -- End function
	.set _ZN7rocprim17ROCPRIM_400000_NS6detail17trampoline_kernelINS0_14default_configENS1_25transform_config_selectorIyLb0EEEZNS1_14transform_implILb0ES3_S5_NS0_18transform_iteratorINS0_17counting_iteratorImlEEZNS1_24adjacent_difference_implIS3_Lb1ELb0EPySB_N6thrust23THRUST_200600_302600_NS4plusIyEEEE10hipError_tPvRmT2_T3_mT4_P12ihipStream_tbEUlmE_yEESB_NS0_8identityIvEEEESG_SJ_SK_mSL_SN_bEUlT_E_NS1_11comp_targetILNS1_3genE10ELNS1_11target_archE1200ELNS1_3gpuE4ELNS1_3repE0EEENS1_30default_config_static_selectorELNS0_4arch9wavefront6targetE1EEEvT1_.num_vgpr, 0
	.set _ZN7rocprim17ROCPRIM_400000_NS6detail17trampoline_kernelINS0_14default_configENS1_25transform_config_selectorIyLb0EEEZNS1_14transform_implILb0ES3_S5_NS0_18transform_iteratorINS0_17counting_iteratorImlEEZNS1_24adjacent_difference_implIS3_Lb1ELb0EPySB_N6thrust23THRUST_200600_302600_NS4plusIyEEEE10hipError_tPvRmT2_T3_mT4_P12ihipStream_tbEUlmE_yEESB_NS0_8identityIvEEEESG_SJ_SK_mSL_SN_bEUlT_E_NS1_11comp_targetILNS1_3genE10ELNS1_11target_archE1200ELNS1_3gpuE4ELNS1_3repE0EEENS1_30default_config_static_selectorELNS0_4arch9wavefront6targetE1EEEvT1_.num_agpr, 0
	.set _ZN7rocprim17ROCPRIM_400000_NS6detail17trampoline_kernelINS0_14default_configENS1_25transform_config_selectorIyLb0EEEZNS1_14transform_implILb0ES3_S5_NS0_18transform_iteratorINS0_17counting_iteratorImlEEZNS1_24adjacent_difference_implIS3_Lb1ELb0EPySB_N6thrust23THRUST_200600_302600_NS4plusIyEEEE10hipError_tPvRmT2_T3_mT4_P12ihipStream_tbEUlmE_yEESB_NS0_8identityIvEEEESG_SJ_SK_mSL_SN_bEUlT_E_NS1_11comp_targetILNS1_3genE10ELNS1_11target_archE1200ELNS1_3gpuE4ELNS1_3repE0EEENS1_30default_config_static_selectorELNS0_4arch9wavefront6targetE1EEEvT1_.numbered_sgpr, 0
	.set _ZN7rocprim17ROCPRIM_400000_NS6detail17trampoline_kernelINS0_14default_configENS1_25transform_config_selectorIyLb0EEEZNS1_14transform_implILb0ES3_S5_NS0_18transform_iteratorINS0_17counting_iteratorImlEEZNS1_24adjacent_difference_implIS3_Lb1ELb0EPySB_N6thrust23THRUST_200600_302600_NS4plusIyEEEE10hipError_tPvRmT2_T3_mT4_P12ihipStream_tbEUlmE_yEESB_NS0_8identityIvEEEESG_SJ_SK_mSL_SN_bEUlT_E_NS1_11comp_targetILNS1_3genE10ELNS1_11target_archE1200ELNS1_3gpuE4ELNS1_3repE0EEENS1_30default_config_static_selectorELNS0_4arch9wavefront6targetE1EEEvT1_.num_named_barrier, 0
	.set _ZN7rocprim17ROCPRIM_400000_NS6detail17trampoline_kernelINS0_14default_configENS1_25transform_config_selectorIyLb0EEEZNS1_14transform_implILb0ES3_S5_NS0_18transform_iteratorINS0_17counting_iteratorImlEEZNS1_24adjacent_difference_implIS3_Lb1ELb0EPySB_N6thrust23THRUST_200600_302600_NS4plusIyEEEE10hipError_tPvRmT2_T3_mT4_P12ihipStream_tbEUlmE_yEESB_NS0_8identityIvEEEESG_SJ_SK_mSL_SN_bEUlT_E_NS1_11comp_targetILNS1_3genE10ELNS1_11target_archE1200ELNS1_3gpuE4ELNS1_3repE0EEENS1_30default_config_static_selectorELNS0_4arch9wavefront6targetE1EEEvT1_.private_seg_size, 0
	.set _ZN7rocprim17ROCPRIM_400000_NS6detail17trampoline_kernelINS0_14default_configENS1_25transform_config_selectorIyLb0EEEZNS1_14transform_implILb0ES3_S5_NS0_18transform_iteratorINS0_17counting_iteratorImlEEZNS1_24adjacent_difference_implIS3_Lb1ELb0EPySB_N6thrust23THRUST_200600_302600_NS4plusIyEEEE10hipError_tPvRmT2_T3_mT4_P12ihipStream_tbEUlmE_yEESB_NS0_8identityIvEEEESG_SJ_SK_mSL_SN_bEUlT_E_NS1_11comp_targetILNS1_3genE10ELNS1_11target_archE1200ELNS1_3gpuE4ELNS1_3repE0EEENS1_30default_config_static_selectorELNS0_4arch9wavefront6targetE1EEEvT1_.uses_vcc, 0
	.set _ZN7rocprim17ROCPRIM_400000_NS6detail17trampoline_kernelINS0_14default_configENS1_25transform_config_selectorIyLb0EEEZNS1_14transform_implILb0ES3_S5_NS0_18transform_iteratorINS0_17counting_iteratorImlEEZNS1_24adjacent_difference_implIS3_Lb1ELb0EPySB_N6thrust23THRUST_200600_302600_NS4plusIyEEEE10hipError_tPvRmT2_T3_mT4_P12ihipStream_tbEUlmE_yEESB_NS0_8identityIvEEEESG_SJ_SK_mSL_SN_bEUlT_E_NS1_11comp_targetILNS1_3genE10ELNS1_11target_archE1200ELNS1_3gpuE4ELNS1_3repE0EEENS1_30default_config_static_selectorELNS0_4arch9wavefront6targetE1EEEvT1_.uses_flat_scratch, 0
	.set _ZN7rocprim17ROCPRIM_400000_NS6detail17trampoline_kernelINS0_14default_configENS1_25transform_config_selectorIyLb0EEEZNS1_14transform_implILb0ES3_S5_NS0_18transform_iteratorINS0_17counting_iteratorImlEEZNS1_24adjacent_difference_implIS3_Lb1ELb0EPySB_N6thrust23THRUST_200600_302600_NS4plusIyEEEE10hipError_tPvRmT2_T3_mT4_P12ihipStream_tbEUlmE_yEESB_NS0_8identityIvEEEESG_SJ_SK_mSL_SN_bEUlT_E_NS1_11comp_targetILNS1_3genE10ELNS1_11target_archE1200ELNS1_3gpuE4ELNS1_3repE0EEENS1_30default_config_static_selectorELNS0_4arch9wavefront6targetE1EEEvT1_.has_dyn_sized_stack, 0
	.set _ZN7rocprim17ROCPRIM_400000_NS6detail17trampoline_kernelINS0_14default_configENS1_25transform_config_selectorIyLb0EEEZNS1_14transform_implILb0ES3_S5_NS0_18transform_iteratorINS0_17counting_iteratorImlEEZNS1_24adjacent_difference_implIS3_Lb1ELb0EPySB_N6thrust23THRUST_200600_302600_NS4plusIyEEEE10hipError_tPvRmT2_T3_mT4_P12ihipStream_tbEUlmE_yEESB_NS0_8identityIvEEEESG_SJ_SK_mSL_SN_bEUlT_E_NS1_11comp_targetILNS1_3genE10ELNS1_11target_archE1200ELNS1_3gpuE4ELNS1_3repE0EEENS1_30default_config_static_selectorELNS0_4arch9wavefront6targetE1EEEvT1_.has_recursion, 0
	.set _ZN7rocprim17ROCPRIM_400000_NS6detail17trampoline_kernelINS0_14default_configENS1_25transform_config_selectorIyLb0EEEZNS1_14transform_implILb0ES3_S5_NS0_18transform_iteratorINS0_17counting_iteratorImlEEZNS1_24adjacent_difference_implIS3_Lb1ELb0EPySB_N6thrust23THRUST_200600_302600_NS4plusIyEEEE10hipError_tPvRmT2_T3_mT4_P12ihipStream_tbEUlmE_yEESB_NS0_8identityIvEEEESG_SJ_SK_mSL_SN_bEUlT_E_NS1_11comp_targetILNS1_3genE10ELNS1_11target_archE1200ELNS1_3gpuE4ELNS1_3repE0EEENS1_30default_config_static_selectorELNS0_4arch9wavefront6targetE1EEEvT1_.has_indirect_call, 0
	.section	.AMDGPU.csdata,"",@progbits
; Kernel info:
; codeLenInByte = 0
; TotalNumSgprs: 4
; NumVgprs: 0
; ScratchSize: 0
; MemoryBound: 0
; FloatMode: 240
; IeeeMode: 1
; LDSByteSize: 0 bytes/workgroup (compile time only)
; SGPRBlocks: 0
; VGPRBlocks: 0
; NumSGPRsForWavesPerEU: 4
; NumVGPRsForWavesPerEU: 1
; Occupancy: 10
; WaveLimiterHint : 0
; COMPUTE_PGM_RSRC2:SCRATCH_EN: 0
; COMPUTE_PGM_RSRC2:USER_SGPR: 6
; COMPUTE_PGM_RSRC2:TRAP_HANDLER: 0
; COMPUTE_PGM_RSRC2:TGID_X_EN: 1
; COMPUTE_PGM_RSRC2:TGID_Y_EN: 0
; COMPUTE_PGM_RSRC2:TGID_Z_EN: 0
; COMPUTE_PGM_RSRC2:TIDIG_COMP_CNT: 0
	.section	.text._ZN7rocprim17ROCPRIM_400000_NS6detail17trampoline_kernelINS0_14default_configENS1_25transform_config_selectorIyLb0EEEZNS1_14transform_implILb0ES3_S5_NS0_18transform_iteratorINS0_17counting_iteratorImlEEZNS1_24adjacent_difference_implIS3_Lb1ELb0EPySB_N6thrust23THRUST_200600_302600_NS4plusIyEEEE10hipError_tPvRmT2_T3_mT4_P12ihipStream_tbEUlmE_yEESB_NS0_8identityIvEEEESG_SJ_SK_mSL_SN_bEUlT_E_NS1_11comp_targetILNS1_3genE9ELNS1_11target_archE1100ELNS1_3gpuE3ELNS1_3repE0EEENS1_30default_config_static_selectorELNS0_4arch9wavefront6targetE1EEEvT1_,"axG",@progbits,_ZN7rocprim17ROCPRIM_400000_NS6detail17trampoline_kernelINS0_14default_configENS1_25transform_config_selectorIyLb0EEEZNS1_14transform_implILb0ES3_S5_NS0_18transform_iteratorINS0_17counting_iteratorImlEEZNS1_24adjacent_difference_implIS3_Lb1ELb0EPySB_N6thrust23THRUST_200600_302600_NS4plusIyEEEE10hipError_tPvRmT2_T3_mT4_P12ihipStream_tbEUlmE_yEESB_NS0_8identityIvEEEESG_SJ_SK_mSL_SN_bEUlT_E_NS1_11comp_targetILNS1_3genE9ELNS1_11target_archE1100ELNS1_3gpuE3ELNS1_3repE0EEENS1_30default_config_static_selectorELNS0_4arch9wavefront6targetE1EEEvT1_,comdat
	.protected	_ZN7rocprim17ROCPRIM_400000_NS6detail17trampoline_kernelINS0_14default_configENS1_25transform_config_selectorIyLb0EEEZNS1_14transform_implILb0ES3_S5_NS0_18transform_iteratorINS0_17counting_iteratorImlEEZNS1_24adjacent_difference_implIS3_Lb1ELb0EPySB_N6thrust23THRUST_200600_302600_NS4plusIyEEEE10hipError_tPvRmT2_T3_mT4_P12ihipStream_tbEUlmE_yEESB_NS0_8identityIvEEEESG_SJ_SK_mSL_SN_bEUlT_E_NS1_11comp_targetILNS1_3genE9ELNS1_11target_archE1100ELNS1_3gpuE3ELNS1_3repE0EEENS1_30default_config_static_selectorELNS0_4arch9wavefront6targetE1EEEvT1_ ; -- Begin function _ZN7rocprim17ROCPRIM_400000_NS6detail17trampoline_kernelINS0_14default_configENS1_25transform_config_selectorIyLb0EEEZNS1_14transform_implILb0ES3_S5_NS0_18transform_iteratorINS0_17counting_iteratorImlEEZNS1_24adjacent_difference_implIS3_Lb1ELb0EPySB_N6thrust23THRUST_200600_302600_NS4plusIyEEEE10hipError_tPvRmT2_T3_mT4_P12ihipStream_tbEUlmE_yEESB_NS0_8identityIvEEEESG_SJ_SK_mSL_SN_bEUlT_E_NS1_11comp_targetILNS1_3genE9ELNS1_11target_archE1100ELNS1_3gpuE3ELNS1_3repE0EEENS1_30default_config_static_selectorELNS0_4arch9wavefront6targetE1EEEvT1_
	.globl	_ZN7rocprim17ROCPRIM_400000_NS6detail17trampoline_kernelINS0_14default_configENS1_25transform_config_selectorIyLb0EEEZNS1_14transform_implILb0ES3_S5_NS0_18transform_iteratorINS0_17counting_iteratorImlEEZNS1_24adjacent_difference_implIS3_Lb1ELb0EPySB_N6thrust23THRUST_200600_302600_NS4plusIyEEEE10hipError_tPvRmT2_T3_mT4_P12ihipStream_tbEUlmE_yEESB_NS0_8identityIvEEEESG_SJ_SK_mSL_SN_bEUlT_E_NS1_11comp_targetILNS1_3genE9ELNS1_11target_archE1100ELNS1_3gpuE3ELNS1_3repE0EEENS1_30default_config_static_selectorELNS0_4arch9wavefront6targetE1EEEvT1_
	.p2align	8
	.type	_ZN7rocprim17ROCPRIM_400000_NS6detail17trampoline_kernelINS0_14default_configENS1_25transform_config_selectorIyLb0EEEZNS1_14transform_implILb0ES3_S5_NS0_18transform_iteratorINS0_17counting_iteratorImlEEZNS1_24adjacent_difference_implIS3_Lb1ELb0EPySB_N6thrust23THRUST_200600_302600_NS4plusIyEEEE10hipError_tPvRmT2_T3_mT4_P12ihipStream_tbEUlmE_yEESB_NS0_8identityIvEEEESG_SJ_SK_mSL_SN_bEUlT_E_NS1_11comp_targetILNS1_3genE9ELNS1_11target_archE1100ELNS1_3gpuE3ELNS1_3repE0EEENS1_30default_config_static_selectorELNS0_4arch9wavefront6targetE1EEEvT1_,@function
_ZN7rocprim17ROCPRIM_400000_NS6detail17trampoline_kernelINS0_14default_configENS1_25transform_config_selectorIyLb0EEEZNS1_14transform_implILb0ES3_S5_NS0_18transform_iteratorINS0_17counting_iteratorImlEEZNS1_24adjacent_difference_implIS3_Lb1ELb0EPySB_N6thrust23THRUST_200600_302600_NS4plusIyEEEE10hipError_tPvRmT2_T3_mT4_P12ihipStream_tbEUlmE_yEESB_NS0_8identityIvEEEESG_SJ_SK_mSL_SN_bEUlT_E_NS1_11comp_targetILNS1_3genE9ELNS1_11target_archE1100ELNS1_3gpuE3ELNS1_3repE0EEENS1_30default_config_static_selectorELNS0_4arch9wavefront6targetE1EEEvT1_: ; @_ZN7rocprim17ROCPRIM_400000_NS6detail17trampoline_kernelINS0_14default_configENS1_25transform_config_selectorIyLb0EEEZNS1_14transform_implILb0ES3_S5_NS0_18transform_iteratorINS0_17counting_iteratorImlEEZNS1_24adjacent_difference_implIS3_Lb1ELb0EPySB_N6thrust23THRUST_200600_302600_NS4plusIyEEEE10hipError_tPvRmT2_T3_mT4_P12ihipStream_tbEUlmE_yEESB_NS0_8identityIvEEEESG_SJ_SK_mSL_SN_bEUlT_E_NS1_11comp_targetILNS1_3genE9ELNS1_11target_archE1100ELNS1_3gpuE3ELNS1_3repE0EEENS1_30default_config_static_selectorELNS0_4arch9wavefront6targetE1EEEvT1_
; %bb.0:
	.section	.rodata,"a",@progbits
	.p2align	6, 0x0
	.amdhsa_kernel _ZN7rocprim17ROCPRIM_400000_NS6detail17trampoline_kernelINS0_14default_configENS1_25transform_config_selectorIyLb0EEEZNS1_14transform_implILb0ES3_S5_NS0_18transform_iteratorINS0_17counting_iteratorImlEEZNS1_24adjacent_difference_implIS3_Lb1ELb0EPySB_N6thrust23THRUST_200600_302600_NS4plusIyEEEE10hipError_tPvRmT2_T3_mT4_P12ihipStream_tbEUlmE_yEESB_NS0_8identityIvEEEESG_SJ_SK_mSL_SN_bEUlT_E_NS1_11comp_targetILNS1_3genE9ELNS1_11target_archE1100ELNS1_3gpuE3ELNS1_3repE0EEENS1_30default_config_static_selectorELNS0_4arch9wavefront6targetE1EEEvT1_
		.amdhsa_group_segment_fixed_size 0
		.amdhsa_private_segment_fixed_size 0
		.amdhsa_kernarg_size 56
		.amdhsa_user_sgpr_count 6
		.amdhsa_user_sgpr_private_segment_buffer 1
		.amdhsa_user_sgpr_dispatch_ptr 0
		.amdhsa_user_sgpr_queue_ptr 0
		.amdhsa_user_sgpr_kernarg_segment_ptr 1
		.amdhsa_user_sgpr_dispatch_id 0
		.amdhsa_user_sgpr_flat_scratch_init 0
		.amdhsa_user_sgpr_private_segment_size 0
		.amdhsa_uses_dynamic_stack 0
		.amdhsa_system_sgpr_private_segment_wavefront_offset 0
		.amdhsa_system_sgpr_workgroup_id_x 1
		.amdhsa_system_sgpr_workgroup_id_y 0
		.amdhsa_system_sgpr_workgroup_id_z 0
		.amdhsa_system_sgpr_workgroup_info 0
		.amdhsa_system_vgpr_workitem_id 0
		.amdhsa_next_free_vgpr 1
		.amdhsa_next_free_sgpr 0
		.amdhsa_reserve_vcc 0
		.amdhsa_reserve_flat_scratch 0
		.amdhsa_float_round_mode_32 0
		.amdhsa_float_round_mode_16_64 0
		.amdhsa_float_denorm_mode_32 3
		.amdhsa_float_denorm_mode_16_64 3
		.amdhsa_dx10_clamp 1
		.amdhsa_ieee_mode 1
		.amdhsa_fp16_overflow 0
		.amdhsa_exception_fp_ieee_invalid_op 0
		.amdhsa_exception_fp_denorm_src 0
		.amdhsa_exception_fp_ieee_div_zero 0
		.amdhsa_exception_fp_ieee_overflow 0
		.amdhsa_exception_fp_ieee_underflow 0
		.amdhsa_exception_fp_ieee_inexact 0
		.amdhsa_exception_int_div_zero 0
	.end_amdhsa_kernel
	.section	.text._ZN7rocprim17ROCPRIM_400000_NS6detail17trampoline_kernelINS0_14default_configENS1_25transform_config_selectorIyLb0EEEZNS1_14transform_implILb0ES3_S5_NS0_18transform_iteratorINS0_17counting_iteratorImlEEZNS1_24adjacent_difference_implIS3_Lb1ELb0EPySB_N6thrust23THRUST_200600_302600_NS4plusIyEEEE10hipError_tPvRmT2_T3_mT4_P12ihipStream_tbEUlmE_yEESB_NS0_8identityIvEEEESG_SJ_SK_mSL_SN_bEUlT_E_NS1_11comp_targetILNS1_3genE9ELNS1_11target_archE1100ELNS1_3gpuE3ELNS1_3repE0EEENS1_30default_config_static_selectorELNS0_4arch9wavefront6targetE1EEEvT1_,"axG",@progbits,_ZN7rocprim17ROCPRIM_400000_NS6detail17trampoline_kernelINS0_14default_configENS1_25transform_config_selectorIyLb0EEEZNS1_14transform_implILb0ES3_S5_NS0_18transform_iteratorINS0_17counting_iteratorImlEEZNS1_24adjacent_difference_implIS3_Lb1ELb0EPySB_N6thrust23THRUST_200600_302600_NS4plusIyEEEE10hipError_tPvRmT2_T3_mT4_P12ihipStream_tbEUlmE_yEESB_NS0_8identityIvEEEESG_SJ_SK_mSL_SN_bEUlT_E_NS1_11comp_targetILNS1_3genE9ELNS1_11target_archE1100ELNS1_3gpuE3ELNS1_3repE0EEENS1_30default_config_static_selectorELNS0_4arch9wavefront6targetE1EEEvT1_,comdat
.Lfunc_end144:
	.size	_ZN7rocprim17ROCPRIM_400000_NS6detail17trampoline_kernelINS0_14default_configENS1_25transform_config_selectorIyLb0EEEZNS1_14transform_implILb0ES3_S5_NS0_18transform_iteratorINS0_17counting_iteratorImlEEZNS1_24adjacent_difference_implIS3_Lb1ELb0EPySB_N6thrust23THRUST_200600_302600_NS4plusIyEEEE10hipError_tPvRmT2_T3_mT4_P12ihipStream_tbEUlmE_yEESB_NS0_8identityIvEEEESG_SJ_SK_mSL_SN_bEUlT_E_NS1_11comp_targetILNS1_3genE9ELNS1_11target_archE1100ELNS1_3gpuE3ELNS1_3repE0EEENS1_30default_config_static_selectorELNS0_4arch9wavefront6targetE1EEEvT1_, .Lfunc_end144-_ZN7rocprim17ROCPRIM_400000_NS6detail17trampoline_kernelINS0_14default_configENS1_25transform_config_selectorIyLb0EEEZNS1_14transform_implILb0ES3_S5_NS0_18transform_iteratorINS0_17counting_iteratorImlEEZNS1_24adjacent_difference_implIS3_Lb1ELb0EPySB_N6thrust23THRUST_200600_302600_NS4plusIyEEEE10hipError_tPvRmT2_T3_mT4_P12ihipStream_tbEUlmE_yEESB_NS0_8identityIvEEEESG_SJ_SK_mSL_SN_bEUlT_E_NS1_11comp_targetILNS1_3genE9ELNS1_11target_archE1100ELNS1_3gpuE3ELNS1_3repE0EEENS1_30default_config_static_selectorELNS0_4arch9wavefront6targetE1EEEvT1_
                                        ; -- End function
	.set _ZN7rocprim17ROCPRIM_400000_NS6detail17trampoline_kernelINS0_14default_configENS1_25transform_config_selectorIyLb0EEEZNS1_14transform_implILb0ES3_S5_NS0_18transform_iteratorINS0_17counting_iteratorImlEEZNS1_24adjacent_difference_implIS3_Lb1ELb0EPySB_N6thrust23THRUST_200600_302600_NS4plusIyEEEE10hipError_tPvRmT2_T3_mT4_P12ihipStream_tbEUlmE_yEESB_NS0_8identityIvEEEESG_SJ_SK_mSL_SN_bEUlT_E_NS1_11comp_targetILNS1_3genE9ELNS1_11target_archE1100ELNS1_3gpuE3ELNS1_3repE0EEENS1_30default_config_static_selectorELNS0_4arch9wavefront6targetE1EEEvT1_.num_vgpr, 0
	.set _ZN7rocprim17ROCPRIM_400000_NS6detail17trampoline_kernelINS0_14default_configENS1_25transform_config_selectorIyLb0EEEZNS1_14transform_implILb0ES3_S5_NS0_18transform_iteratorINS0_17counting_iteratorImlEEZNS1_24adjacent_difference_implIS3_Lb1ELb0EPySB_N6thrust23THRUST_200600_302600_NS4plusIyEEEE10hipError_tPvRmT2_T3_mT4_P12ihipStream_tbEUlmE_yEESB_NS0_8identityIvEEEESG_SJ_SK_mSL_SN_bEUlT_E_NS1_11comp_targetILNS1_3genE9ELNS1_11target_archE1100ELNS1_3gpuE3ELNS1_3repE0EEENS1_30default_config_static_selectorELNS0_4arch9wavefront6targetE1EEEvT1_.num_agpr, 0
	.set _ZN7rocprim17ROCPRIM_400000_NS6detail17trampoline_kernelINS0_14default_configENS1_25transform_config_selectorIyLb0EEEZNS1_14transform_implILb0ES3_S5_NS0_18transform_iteratorINS0_17counting_iteratorImlEEZNS1_24adjacent_difference_implIS3_Lb1ELb0EPySB_N6thrust23THRUST_200600_302600_NS4plusIyEEEE10hipError_tPvRmT2_T3_mT4_P12ihipStream_tbEUlmE_yEESB_NS0_8identityIvEEEESG_SJ_SK_mSL_SN_bEUlT_E_NS1_11comp_targetILNS1_3genE9ELNS1_11target_archE1100ELNS1_3gpuE3ELNS1_3repE0EEENS1_30default_config_static_selectorELNS0_4arch9wavefront6targetE1EEEvT1_.numbered_sgpr, 0
	.set _ZN7rocprim17ROCPRIM_400000_NS6detail17trampoline_kernelINS0_14default_configENS1_25transform_config_selectorIyLb0EEEZNS1_14transform_implILb0ES3_S5_NS0_18transform_iteratorINS0_17counting_iteratorImlEEZNS1_24adjacent_difference_implIS3_Lb1ELb0EPySB_N6thrust23THRUST_200600_302600_NS4plusIyEEEE10hipError_tPvRmT2_T3_mT4_P12ihipStream_tbEUlmE_yEESB_NS0_8identityIvEEEESG_SJ_SK_mSL_SN_bEUlT_E_NS1_11comp_targetILNS1_3genE9ELNS1_11target_archE1100ELNS1_3gpuE3ELNS1_3repE0EEENS1_30default_config_static_selectorELNS0_4arch9wavefront6targetE1EEEvT1_.num_named_barrier, 0
	.set _ZN7rocprim17ROCPRIM_400000_NS6detail17trampoline_kernelINS0_14default_configENS1_25transform_config_selectorIyLb0EEEZNS1_14transform_implILb0ES3_S5_NS0_18transform_iteratorINS0_17counting_iteratorImlEEZNS1_24adjacent_difference_implIS3_Lb1ELb0EPySB_N6thrust23THRUST_200600_302600_NS4plusIyEEEE10hipError_tPvRmT2_T3_mT4_P12ihipStream_tbEUlmE_yEESB_NS0_8identityIvEEEESG_SJ_SK_mSL_SN_bEUlT_E_NS1_11comp_targetILNS1_3genE9ELNS1_11target_archE1100ELNS1_3gpuE3ELNS1_3repE0EEENS1_30default_config_static_selectorELNS0_4arch9wavefront6targetE1EEEvT1_.private_seg_size, 0
	.set _ZN7rocprim17ROCPRIM_400000_NS6detail17trampoline_kernelINS0_14default_configENS1_25transform_config_selectorIyLb0EEEZNS1_14transform_implILb0ES3_S5_NS0_18transform_iteratorINS0_17counting_iteratorImlEEZNS1_24adjacent_difference_implIS3_Lb1ELb0EPySB_N6thrust23THRUST_200600_302600_NS4plusIyEEEE10hipError_tPvRmT2_T3_mT4_P12ihipStream_tbEUlmE_yEESB_NS0_8identityIvEEEESG_SJ_SK_mSL_SN_bEUlT_E_NS1_11comp_targetILNS1_3genE9ELNS1_11target_archE1100ELNS1_3gpuE3ELNS1_3repE0EEENS1_30default_config_static_selectorELNS0_4arch9wavefront6targetE1EEEvT1_.uses_vcc, 0
	.set _ZN7rocprim17ROCPRIM_400000_NS6detail17trampoline_kernelINS0_14default_configENS1_25transform_config_selectorIyLb0EEEZNS1_14transform_implILb0ES3_S5_NS0_18transform_iteratorINS0_17counting_iteratorImlEEZNS1_24adjacent_difference_implIS3_Lb1ELb0EPySB_N6thrust23THRUST_200600_302600_NS4plusIyEEEE10hipError_tPvRmT2_T3_mT4_P12ihipStream_tbEUlmE_yEESB_NS0_8identityIvEEEESG_SJ_SK_mSL_SN_bEUlT_E_NS1_11comp_targetILNS1_3genE9ELNS1_11target_archE1100ELNS1_3gpuE3ELNS1_3repE0EEENS1_30default_config_static_selectorELNS0_4arch9wavefront6targetE1EEEvT1_.uses_flat_scratch, 0
	.set _ZN7rocprim17ROCPRIM_400000_NS6detail17trampoline_kernelINS0_14default_configENS1_25transform_config_selectorIyLb0EEEZNS1_14transform_implILb0ES3_S5_NS0_18transform_iteratorINS0_17counting_iteratorImlEEZNS1_24adjacent_difference_implIS3_Lb1ELb0EPySB_N6thrust23THRUST_200600_302600_NS4plusIyEEEE10hipError_tPvRmT2_T3_mT4_P12ihipStream_tbEUlmE_yEESB_NS0_8identityIvEEEESG_SJ_SK_mSL_SN_bEUlT_E_NS1_11comp_targetILNS1_3genE9ELNS1_11target_archE1100ELNS1_3gpuE3ELNS1_3repE0EEENS1_30default_config_static_selectorELNS0_4arch9wavefront6targetE1EEEvT1_.has_dyn_sized_stack, 0
	.set _ZN7rocprim17ROCPRIM_400000_NS6detail17trampoline_kernelINS0_14default_configENS1_25transform_config_selectorIyLb0EEEZNS1_14transform_implILb0ES3_S5_NS0_18transform_iteratorINS0_17counting_iteratorImlEEZNS1_24adjacent_difference_implIS3_Lb1ELb0EPySB_N6thrust23THRUST_200600_302600_NS4plusIyEEEE10hipError_tPvRmT2_T3_mT4_P12ihipStream_tbEUlmE_yEESB_NS0_8identityIvEEEESG_SJ_SK_mSL_SN_bEUlT_E_NS1_11comp_targetILNS1_3genE9ELNS1_11target_archE1100ELNS1_3gpuE3ELNS1_3repE0EEENS1_30default_config_static_selectorELNS0_4arch9wavefront6targetE1EEEvT1_.has_recursion, 0
	.set _ZN7rocprim17ROCPRIM_400000_NS6detail17trampoline_kernelINS0_14default_configENS1_25transform_config_selectorIyLb0EEEZNS1_14transform_implILb0ES3_S5_NS0_18transform_iteratorINS0_17counting_iteratorImlEEZNS1_24adjacent_difference_implIS3_Lb1ELb0EPySB_N6thrust23THRUST_200600_302600_NS4plusIyEEEE10hipError_tPvRmT2_T3_mT4_P12ihipStream_tbEUlmE_yEESB_NS0_8identityIvEEEESG_SJ_SK_mSL_SN_bEUlT_E_NS1_11comp_targetILNS1_3genE9ELNS1_11target_archE1100ELNS1_3gpuE3ELNS1_3repE0EEENS1_30default_config_static_selectorELNS0_4arch9wavefront6targetE1EEEvT1_.has_indirect_call, 0
	.section	.AMDGPU.csdata,"",@progbits
; Kernel info:
; codeLenInByte = 0
; TotalNumSgprs: 4
; NumVgprs: 0
; ScratchSize: 0
; MemoryBound: 0
; FloatMode: 240
; IeeeMode: 1
; LDSByteSize: 0 bytes/workgroup (compile time only)
; SGPRBlocks: 0
; VGPRBlocks: 0
; NumSGPRsForWavesPerEU: 4
; NumVGPRsForWavesPerEU: 1
; Occupancy: 10
; WaveLimiterHint : 0
; COMPUTE_PGM_RSRC2:SCRATCH_EN: 0
; COMPUTE_PGM_RSRC2:USER_SGPR: 6
; COMPUTE_PGM_RSRC2:TRAP_HANDLER: 0
; COMPUTE_PGM_RSRC2:TGID_X_EN: 1
; COMPUTE_PGM_RSRC2:TGID_Y_EN: 0
; COMPUTE_PGM_RSRC2:TGID_Z_EN: 0
; COMPUTE_PGM_RSRC2:TIDIG_COMP_CNT: 0
	.section	.text._ZN7rocprim17ROCPRIM_400000_NS6detail17trampoline_kernelINS0_14default_configENS1_25transform_config_selectorIyLb0EEEZNS1_14transform_implILb0ES3_S5_NS0_18transform_iteratorINS0_17counting_iteratorImlEEZNS1_24adjacent_difference_implIS3_Lb1ELb0EPySB_N6thrust23THRUST_200600_302600_NS4plusIyEEEE10hipError_tPvRmT2_T3_mT4_P12ihipStream_tbEUlmE_yEESB_NS0_8identityIvEEEESG_SJ_SK_mSL_SN_bEUlT_E_NS1_11comp_targetILNS1_3genE8ELNS1_11target_archE1030ELNS1_3gpuE2ELNS1_3repE0EEENS1_30default_config_static_selectorELNS0_4arch9wavefront6targetE1EEEvT1_,"axG",@progbits,_ZN7rocprim17ROCPRIM_400000_NS6detail17trampoline_kernelINS0_14default_configENS1_25transform_config_selectorIyLb0EEEZNS1_14transform_implILb0ES3_S5_NS0_18transform_iteratorINS0_17counting_iteratorImlEEZNS1_24adjacent_difference_implIS3_Lb1ELb0EPySB_N6thrust23THRUST_200600_302600_NS4plusIyEEEE10hipError_tPvRmT2_T3_mT4_P12ihipStream_tbEUlmE_yEESB_NS0_8identityIvEEEESG_SJ_SK_mSL_SN_bEUlT_E_NS1_11comp_targetILNS1_3genE8ELNS1_11target_archE1030ELNS1_3gpuE2ELNS1_3repE0EEENS1_30default_config_static_selectorELNS0_4arch9wavefront6targetE1EEEvT1_,comdat
	.protected	_ZN7rocprim17ROCPRIM_400000_NS6detail17trampoline_kernelINS0_14default_configENS1_25transform_config_selectorIyLb0EEEZNS1_14transform_implILb0ES3_S5_NS0_18transform_iteratorINS0_17counting_iteratorImlEEZNS1_24adjacent_difference_implIS3_Lb1ELb0EPySB_N6thrust23THRUST_200600_302600_NS4plusIyEEEE10hipError_tPvRmT2_T3_mT4_P12ihipStream_tbEUlmE_yEESB_NS0_8identityIvEEEESG_SJ_SK_mSL_SN_bEUlT_E_NS1_11comp_targetILNS1_3genE8ELNS1_11target_archE1030ELNS1_3gpuE2ELNS1_3repE0EEENS1_30default_config_static_selectorELNS0_4arch9wavefront6targetE1EEEvT1_ ; -- Begin function _ZN7rocprim17ROCPRIM_400000_NS6detail17trampoline_kernelINS0_14default_configENS1_25transform_config_selectorIyLb0EEEZNS1_14transform_implILb0ES3_S5_NS0_18transform_iteratorINS0_17counting_iteratorImlEEZNS1_24adjacent_difference_implIS3_Lb1ELb0EPySB_N6thrust23THRUST_200600_302600_NS4plusIyEEEE10hipError_tPvRmT2_T3_mT4_P12ihipStream_tbEUlmE_yEESB_NS0_8identityIvEEEESG_SJ_SK_mSL_SN_bEUlT_E_NS1_11comp_targetILNS1_3genE8ELNS1_11target_archE1030ELNS1_3gpuE2ELNS1_3repE0EEENS1_30default_config_static_selectorELNS0_4arch9wavefront6targetE1EEEvT1_
	.globl	_ZN7rocprim17ROCPRIM_400000_NS6detail17trampoline_kernelINS0_14default_configENS1_25transform_config_selectorIyLb0EEEZNS1_14transform_implILb0ES3_S5_NS0_18transform_iteratorINS0_17counting_iteratorImlEEZNS1_24adjacent_difference_implIS3_Lb1ELb0EPySB_N6thrust23THRUST_200600_302600_NS4plusIyEEEE10hipError_tPvRmT2_T3_mT4_P12ihipStream_tbEUlmE_yEESB_NS0_8identityIvEEEESG_SJ_SK_mSL_SN_bEUlT_E_NS1_11comp_targetILNS1_3genE8ELNS1_11target_archE1030ELNS1_3gpuE2ELNS1_3repE0EEENS1_30default_config_static_selectorELNS0_4arch9wavefront6targetE1EEEvT1_
	.p2align	8
	.type	_ZN7rocprim17ROCPRIM_400000_NS6detail17trampoline_kernelINS0_14default_configENS1_25transform_config_selectorIyLb0EEEZNS1_14transform_implILb0ES3_S5_NS0_18transform_iteratorINS0_17counting_iteratorImlEEZNS1_24adjacent_difference_implIS3_Lb1ELb0EPySB_N6thrust23THRUST_200600_302600_NS4plusIyEEEE10hipError_tPvRmT2_T3_mT4_P12ihipStream_tbEUlmE_yEESB_NS0_8identityIvEEEESG_SJ_SK_mSL_SN_bEUlT_E_NS1_11comp_targetILNS1_3genE8ELNS1_11target_archE1030ELNS1_3gpuE2ELNS1_3repE0EEENS1_30default_config_static_selectorELNS0_4arch9wavefront6targetE1EEEvT1_,@function
_ZN7rocprim17ROCPRIM_400000_NS6detail17trampoline_kernelINS0_14default_configENS1_25transform_config_selectorIyLb0EEEZNS1_14transform_implILb0ES3_S5_NS0_18transform_iteratorINS0_17counting_iteratorImlEEZNS1_24adjacent_difference_implIS3_Lb1ELb0EPySB_N6thrust23THRUST_200600_302600_NS4plusIyEEEE10hipError_tPvRmT2_T3_mT4_P12ihipStream_tbEUlmE_yEESB_NS0_8identityIvEEEESG_SJ_SK_mSL_SN_bEUlT_E_NS1_11comp_targetILNS1_3genE8ELNS1_11target_archE1030ELNS1_3gpuE2ELNS1_3repE0EEENS1_30default_config_static_selectorELNS0_4arch9wavefront6targetE1EEEvT1_: ; @_ZN7rocprim17ROCPRIM_400000_NS6detail17trampoline_kernelINS0_14default_configENS1_25transform_config_selectorIyLb0EEEZNS1_14transform_implILb0ES3_S5_NS0_18transform_iteratorINS0_17counting_iteratorImlEEZNS1_24adjacent_difference_implIS3_Lb1ELb0EPySB_N6thrust23THRUST_200600_302600_NS4plusIyEEEE10hipError_tPvRmT2_T3_mT4_P12ihipStream_tbEUlmE_yEESB_NS0_8identityIvEEEESG_SJ_SK_mSL_SN_bEUlT_E_NS1_11comp_targetILNS1_3genE8ELNS1_11target_archE1030ELNS1_3gpuE2ELNS1_3repE0EEENS1_30default_config_static_selectorELNS0_4arch9wavefront6targetE1EEEvT1_
; %bb.0:
	.section	.rodata,"a",@progbits
	.p2align	6, 0x0
	.amdhsa_kernel _ZN7rocprim17ROCPRIM_400000_NS6detail17trampoline_kernelINS0_14default_configENS1_25transform_config_selectorIyLb0EEEZNS1_14transform_implILb0ES3_S5_NS0_18transform_iteratorINS0_17counting_iteratorImlEEZNS1_24adjacent_difference_implIS3_Lb1ELb0EPySB_N6thrust23THRUST_200600_302600_NS4plusIyEEEE10hipError_tPvRmT2_T3_mT4_P12ihipStream_tbEUlmE_yEESB_NS0_8identityIvEEEESG_SJ_SK_mSL_SN_bEUlT_E_NS1_11comp_targetILNS1_3genE8ELNS1_11target_archE1030ELNS1_3gpuE2ELNS1_3repE0EEENS1_30default_config_static_selectorELNS0_4arch9wavefront6targetE1EEEvT1_
		.amdhsa_group_segment_fixed_size 0
		.amdhsa_private_segment_fixed_size 0
		.amdhsa_kernarg_size 56
		.amdhsa_user_sgpr_count 6
		.amdhsa_user_sgpr_private_segment_buffer 1
		.amdhsa_user_sgpr_dispatch_ptr 0
		.amdhsa_user_sgpr_queue_ptr 0
		.amdhsa_user_sgpr_kernarg_segment_ptr 1
		.amdhsa_user_sgpr_dispatch_id 0
		.amdhsa_user_sgpr_flat_scratch_init 0
		.amdhsa_user_sgpr_private_segment_size 0
		.amdhsa_uses_dynamic_stack 0
		.amdhsa_system_sgpr_private_segment_wavefront_offset 0
		.amdhsa_system_sgpr_workgroup_id_x 1
		.amdhsa_system_sgpr_workgroup_id_y 0
		.amdhsa_system_sgpr_workgroup_id_z 0
		.amdhsa_system_sgpr_workgroup_info 0
		.amdhsa_system_vgpr_workitem_id 0
		.amdhsa_next_free_vgpr 1
		.amdhsa_next_free_sgpr 0
		.amdhsa_reserve_vcc 0
		.amdhsa_reserve_flat_scratch 0
		.amdhsa_float_round_mode_32 0
		.amdhsa_float_round_mode_16_64 0
		.amdhsa_float_denorm_mode_32 3
		.amdhsa_float_denorm_mode_16_64 3
		.amdhsa_dx10_clamp 1
		.amdhsa_ieee_mode 1
		.amdhsa_fp16_overflow 0
		.amdhsa_exception_fp_ieee_invalid_op 0
		.amdhsa_exception_fp_denorm_src 0
		.amdhsa_exception_fp_ieee_div_zero 0
		.amdhsa_exception_fp_ieee_overflow 0
		.amdhsa_exception_fp_ieee_underflow 0
		.amdhsa_exception_fp_ieee_inexact 0
		.amdhsa_exception_int_div_zero 0
	.end_amdhsa_kernel
	.section	.text._ZN7rocprim17ROCPRIM_400000_NS6detail17trampoline_kernelINS0_14default_configENS1_25transform_config_selectorIyLb0EEEZNS1_14transform_implILb0ES3_S5_NS0_18transform_iteratorINS0_17counting_iteratorImlEEZNS1_24adjacent_difference_implIS3_Lb1ELb0EPySB_N6thrust23THRUST_200600_302600_NS4plusIyEEEE10hipError_tPvRmT2_T3_mT4_P12ihipStream_tbEUlmE_yEESB_NS0_8identityIvEEEESG_SJ_SK_mSL_SN_bEUlT_E_NS1_11comp_targetILNS1_3genE8ELNS1_11target_archE1030ELNS1_3gpuE2ELNS1_3repE0EEENS1_30default_config_static_selectorELNS0_4arch9wavefront6targetE1EEEvT1_,"axG",@progbits,_ZN7rocprim17ROCPRIM_400000_NS6detail17trampoline_kernelINS0_14default_configENS1_25transform_config_selectorIyLb0EEEZNS1_14transform_implILb0ES3_S5_NS0_18transform_iteratorINS0_17counting_iteratorImlEEZNS1_24adjacent_difference_implIS3_Lb1ELb0EPySB_N6thrust23THRUST_200600_302600_NS4plusIyEEEE10hipError_tPvRmT2_T3_mT4_P12ihipStream_tbEUlmE_yEESB_NS0_8identityIvEEEESG_SJ_SK_mSL_SN_bEUlT_E_NS1_11comp_targetILNS1_3genE8ELNS1_11target_archE1030ELNS1_3gpuE2ELNS1_3repE0EEENS1_30default_config_static_selectorELNS0_4arch9wavefront6targetE1EEEvT1_,comdat
.Lfunc_end145:
	.size	_ZN7rocprim17ROCPRIM_400000_NS6detail17trampoline_kernelINS0_14default_configENS1_25transform_config_selectorIyLb0EEEZNS1_14transform_implILb0ES3_S5_NS0_18transform_iteratorINS0_17counting_iteratorImlEEZNS1_24adjacent_difference_implIS3_Lb1ELb0EPySB_N6thrust23THRUST_200600_302600_NS4plusIyEEEE10hipError_tPvRmT2_T3_mT4_P12ihipStream_tbEUlmE_yEESB_NS0_8identityIvEEEESG_SJ_SK_mSL_SN_bEUlT_E_NS1_11comp_targetILNS1_3genE8ELNS1_11target_archE1030ELNS1_3gpuE2ELNS1_3repE0EEENS1_30default_config_static_selectorELNS0_4arch9wavefront6targetE1EEEvT1_, .Lfunc_end145-_ZN7rocprim17ROCPRIM_400000_NS6detail17trampoline_kernelINS0_14default_configENS1_25transform_config_selectorIyLb0EEEZNS1_14transform_implILb0ES3_S5_NS0_18transform_iteratorINS0_17counting_iteratorImlEEZNS1_24adjacent_difference_implIS3_Lb1ELb0EPySB_N6thrust23THRUST_200600_302600_NS4plusIyEEEE10hipError_tPvRmT2_T3_mT4_P12ihipStream_tbEUlmE_yEESB_NS0_8identityIvEEEESG_SJ_SK_mSL_SN_bEUlT_E_NS1_11comp_targetILNS1_3genE8ELNS1_11target_archE1030ELNS1_3gpuE2ELNS1_3repE0EEENS1_30default_config_static_selectorELNS0_4arch9wavefront6targetE1EEEvT1_
                                        ; -- End function
	.set _ZN7rocprim17ROCPRIM_400000_NS6detail17trampoline_kernelINS0_14default_configENS1_25transform_config_selectorIyLb0EEEZNS1_14transform_implILb0ES3_S5_NS0_18transform_iteratorINS0_17counting_iteratorImlEEZNS1_24adjacent_difference_implIS3_Lb1ELb0EPySB_N6thrust23THRUST_200600_302600_NS4plusIyEEEE10hipError_tPvRmT2_T3_mT4_P12ihipStream_tbEUlmE_yEESB_NS0_8identityIvEEEESG_SJ_SK_mSL_SN_bEUlT_E_NS1_11comp_targetILNS1_3genE8ELNS1_11target_archE1030ELNS1_3gpuE2ELNS1_3repE0EEENS1_30default_config_static_selectorELNS0_4arch9wavefront6targetE1EEEvT1_.num_vgpr, 0
	.set _ZN7rocprim17ROCPRIM_400000_NS6detail17trampoline_kernelINS0_14default_configENS1_25transform_config_selectorIyLb0EEEZNS1_14transform_implILb0ES3_S5_NS0_18transform_iteratorINS0_17counting_iteratorImlEEZNS1_24adjacent_difference_implIS3_Lb1ELb0EPySB_N6thrust23THRUST_200600_302600_NS4plusIyEEEE10hipError_tPvRmT2_T3_mT4_P12ihipStream_tbEUlmE_yEESB_NS0_8identityIvEEEESG_SJ_SK_mSL_SN_bEUlT_E_NS1_11comp_targetILNS1_3genE8ELNS1_11target_archE1030ELNS1_3gpuE2ELNS1_3repE0EEENS1_30default_config_static_selectorELNS0_4arch9wavefront6targetE1EEEvT1_.num_agpr, 0
	.set _ZN7rocprim17ROCPRIM_400000_NS6detail17trampoline_kernelINS0_14default_configENS1_25transform_config_selectorIyLb0EEEZNS1_14transform_implILb0ES3_S5_NS0_18transform_iteratorINS0_17counting_iteratorImlEEZNS1_24adjacent_difference_implIS3_Lb1ELb0EPySB_N6thrust23THRUST_200600_302600_NS4plusIyEEEE10hipError_tPvRmT2_T3_mT4_P12ihipStream_tbEUlmE_yEESB_NS0_8identityIvEEEESG_SJ_SK_mSL_SN_bEUlT_E_NS1_11comp_targetILNS1_3genE8ELNS1_11target_archE1030ELNS1_3gpuE2ELNS1_3repE0EEENS1_30default_config_static_selectorELNS0_4arch9wavefront6targetE1EEEvT1_.numbered_sgpr, 0
	.set _ZN7rocprim17ROCPRIM_400000_NS6detail17trampoline_kernelINS0_14default_configENS1_25transform_config_selectorIyLb0EEEZNS1_14transform_implILb0ES3_S5_NS0_18transform_iteratorINS0_17counting_iteratorImlEEZNS1_24adjacent_difference_implIS3_Lb1ELb0EPySB_N6thrust23THRUST_200600_302600_NS4plusIyEEEE10hipError_tPvRmT2_T3_mT4_P12ihipStream_tbEUlmE_yEESB_NS0_8identityIvEEEESG_SJ_SK_mSL_SN_bEUlT_E_NS1_11comp_targetILNS1_3genE8ELNS1_11target_archE1030ELNS1_3gpuE2ELNS1_3repE0EEENS1_30default_config_static_selectorELNS0_4arch9wavefront6targetE1EEEvT1_.num_named_barrier, 0
	.set _ZN7rocprim17ROCPRIM_400000_NS6detail17trampoline_kernelINS0_14default_configENS1_25transform_config_selectorIyLb0EEEZNS1_14transform_implILb0ES3_S5_NS0_18transform_iteratorINS0_17counting_iteratorImlEEZNS1_24adjacent_difference_implIS3_Lb1ELb0EPySB_N6thrust23THRUST_200600_302600_NS4plusIyEEEE10hipError_tPvRmT2_T3_mT4_P12ihipStream_tbEUlmE_yEESB_NS0_8identityIvEEEESG_SJ_SK_mSL_SN_bEUlT_E_NS1_11comp_targetILNS1_3genE8ELNS1_11target_archE1030ELNS1_3gpuE2ELNS1_3repE0EEENS1_30default_config_static_selectorELNS0_4arch9wavefront6targetE1EEEvT1_.private_seg_size, 0
	.set _ZN7rocprim17ROCPRIM_400000_NS6detail17trampoline_kernelINS0_14default_configENS1_25transform_config_selectorIyLb0EEEZNS1_14transform_implILb0ES3_S5_NS0_18transform_iteratorINS0_17counting_iteratorImlEEZNS1_24adjacent_difference_implIS3_Lb1ELb0EPySB_N6thrust23THRUST_200600_302600_NS4plusIyEEEE10hipError_tPvRmT2_T3_mT4_P12ihipStream_tbEUlmE_yEESB_NS0_8identityIvEEEESG_SJ_SK_mSL_SN_bEUlT_E_NS1_11comp_targetILNS1_3genE8ELNS1_11target_archE1030ELNS1_3gpuE2ELNS1_3repE0EEENS1_30default_config_static_selectorELNS0_4arch9wavefront6targetE1EEEvT1_.uses_vcc, 0
	.set _ZN7rocprim17ROCPRIM_400000_NS6detail17trampoline_kernelINS0_14default_configENS1_25transform_config_selectorIyLb0EEEZNS1_14transform_implILb0ES3_S5_NS0_18transform_iteratorINS0_17counting_iteratorImlEEZNS1_24adjacent_difference_implIS3_Lb1ELb0EPySB_N6thrust23THRUST_200600_302600_NS4plusIyEEEE10hipError_tPvRmT2_T3_mT4_P12ihipStream_tbEUlmE_yEESB_NS0_8identityIvEEEESG_SJ_SK_mSL_SN_bEUlT_E_NS1_11comp_targetILNS1_3genE8ELNS1_11target_archE1030ELNS1_3gpuE2ELNS1_3repE0EEENS1_30default_config_static_selectorELNS0_4arch9wavefront6targetE1EEEvT1_.uses_flat_scratch, 0
	.set _ZN7rocprim17ROCPRIM_400000_NS6detail17trampoline_kernelINS0_14default_configENS1_25transform_config_selectorIyLb0EEEZNS1_14transform_implILb0ES3_S5_NS0_18transform_iteratorINS0_17counting_iteratorImlEEZNS1_24adjacent_difference_implIS3_Lb1ELb0EPySB_N6thrust23THRUST_200600_302600_NS4plusIyEEEE10hipError_tPvRmT2_T3_mT4_P12ihipStream_tbEUlmE_yEESB_NS0_8identityIvEEEESG_SJ_SK_mSL_SN_bEUlT_E_NS1_11comp_targetILNS1_3genE8ELNS1_11target_archE1030ELNS1_3gpuE2ELNS1_3repE0EEENS1_30default_config_static_selectorELNS0_4arch9wavefront6targetE1EEEvT1_.has_dyn_sized_stack, 0
	.set _ZN7rocprim17ROCPRIM_400000_NS6detail17trampoline_kernelINS0_14default_configENS1_25transform_config_selectorIyLb0EEEZNS1_14transform_implILb0ES3_S5_NS0_18transform_iteratorINS0_17counting_iteratorImlEEZNS1_24adjacent_difference_implIS3_Lb1ELb0EPySB_N6thrust23THRUST_200600_302600_NS4plusIyEEEE10hipError_tPvRmT2_T3_mT4_P12ihipStream_tbEUlmE_yEESB_NS0_8identityIvEEEESG_SJ_SK_mSL_SN_bEUlT_E_NS1_11comp_targetILNS1_3genE8ELNS1_11target_archE1030ELNS1_3gpuE2ELNS1_3repE0EEENS1_30default_config_static_selectorELNS0_4arch9wavefront6targetE1EEEvT1_.has_recursion, 0
	.set _ZN7rocprim17ROCPRIM_400000_NS6detail17trampoline_kernelINS0_14default_configENS1_25transform_config_selectorIyLb0EEEZNS1_14transform_implILb0ES3_S5_NS0_18transform_iteratorINS0_17counting_iteratorImlEEZNS1_24adjacent_difference_implIS3_Lb1ELb0EPySB_N6thrust23THRUST_200600_302600_NS4plusIyEEEE10hipError_tPvRmT2_T3_mT4_P12ihipStream_tbEUlmE_yEESB_NS0_8identityIvEEEESG_SJ_SK_mSL_SN_bEUlT_E_NS1_11comp_targetILNS1_3genE8ELNS1_11target_archE1030ELNS1_3gpuE2ELNS1_3repE0EEENS1_30default_config_static_selectorELNS0_4arch9wavefront6targetE1EEEvT1_.has_indirect_call, 0
	.section	.AMDGPU.csdata,"",@progbits
; Kernel info:
; codeLenInByte = 0
; TotalNumSgprs: 4
; NumVgprs: 0
; ScratchSize: 0
; MemoryBound: 0
; FloatMode: 240
; IeeeMode: 1
; LDSByteSize: 0 bytes/workgroup (compile time only)
; SGPRBlocks: 0
; VGPRBlocks: 0
; NumSGPRsForWavesPerEU: 4
; NumVGPRsForWavesPerEU: 1
; Occupancy: 10
; WaveLimiterHint : 0
; COMPUTE_PGM_RSRC2:SCRATCH_EN: 0
; COMPUTE_PGM_RSRC2:USER_SGPR: 6
; COMPUTE_PGM_RSRC2:TRAP_HANDLER: 0
; COMPUTE_PGM_RSRC2:TGID_X_EN: 1
; COMPUTE_PGM_RSRC2:TGID_Y_EN: 0
; COMPUTE_PGM_RSRC2:TGID_Z_EN: 0
; COMPUTE_PGM_RSRC2:TIDIG_COMP_CNT: 0
	.section	.text._ZN7rocprim17ROCPRIM_400000_NS6detail17trampoline_kernelINS0_14default_configENS1_35adjacent_difference_config_selectorILb1EyEEZNS1_24adjacent_difference_implIS3_Lb1ELb0EPyS7_N6thrust23THRUST_200600_302600_NS4plusIyEEEE10hipError_tPvRmT2_T3_mT4_P12ihipStream_tbEUlT_E_NS1_11comp_targetILNS1_3genE0ELNS1_11target_archE4294967295ELNS1_3gpuE0ELNS1_3repE0EEENS1_30default_config_static_selectorELNS0_4arch9wavefront6targetE1EEEvT1_,"axG",@progbits,_ZN7rocprim17ROCPRIM_400000_NS6detail17trampoline_kernelINS0_14default_configENS1_35adjacent_difference_config_selectorILb1EyEEZNS1_24adjacent_difference_implIS3_Lb1ELb0EPyS7_N6thrust23THRUST_200600_302600_NS4plusIyEEEE10hipError_tPvRmT2_T3_mT4_P12ihipStream_tbEUlT_E_NS1_11comp_targetILNS1_3genE0ELNS1_11target_archE4294967295ELNS1_3gpuE0ELNS1_3repE0EEENS1_30default_config_static_selectorELNS0_4arch9wavefront6targetE1EEEvT1_,comdat
	.protected	_ZN7rocprim17ROCPRIM_400000_NS6detail17trampoline_kernelINS0_14default_configENS1_35adjacent_difference_config_selectorILb1EyEEZNS1_24adjacent_difference_implIS3_Lb1ELb0EPyS7_N6thrust23THRUST_200600_302600_NS4plusIyEEEE10hipError_tPvRmT2_T3_mT4_P12ihipStream_tbEUlT_E_NS1_11comp_targetILNS1_3genE0ELNS1_11target_archE4294967295ELNS1_3gpuE0ELNS1_3repE0EEENS1_30default_config_static_selectorELNS0_4arch9wavefront6targetE1EEEvT1_ ; -- Begin function _ZN7rocprim17ROCPRIM_400000_NS6detail17trampoline_kernelINS0_14default_configENS1_35adjacent_difference_config_selectorILb1EyEEZNS1_24adjacent_difference_implIS3_Lb1ELb0EPyS7_N6thrust23THRUST_200600_302600_NS4plusIyEEEE10hipError_tPvRmT2_T3_mT4_P12ihipStream_tbEUlT_E_NS1_11comp_targetILNS1_3genE0ELNS1_11target_archE4294967295ELNS1_3gpuE0ELNS1_3repE0EEENS1_30default_config_static_selectorELNS0_4arch9wavefront6targetE1EEEvT1_
	.globl	_ZN7rocprim17ROCPRIM_400000_NS6detail17trampoline_kernelINS0_14default_configENS1_35adjacent_difference_config_selectorILb1EyEEZNS1_24adjacent_difference_implIS3_Lb1ELb0EPyS7_N6thrust23THRUST_200600_302600_NS4plusIyEEEE10hipError_tPvRmT2_T3_mT4_P12ihipStream_tbEUlT_E_NS1_11comp_targetILNS1_3genE0ELNS1_11target_archE4294967295ELNS1_3gpuE0ELNS1_3repE0EEENS1_30default_config_static_selectorELNS0_4arch9wavefront6targetE1EEEvT1_
	.p2align	8
	.type	_ZN7rocprim17ROCPRIM_400000_NS6detail17trampoline_kernelINS0_14default_configENS1_35adjacent_difference_config_selectorILb1EyEEZNS1_24adjacent_difference_implIS3_Lb1ELb0EPyS7_N6thrust23THRUST_200600_302600_NS4plusIyEEEE10hipError_tPvRmT2_T3_mT4_P12ihipStream_tbEUlT_E_NS1_11comp_targetILNS1_3genE0ELNS1_11target_archE4294967295ELNS1_3gpuE0ELNS1_3repE0EEENS1_30default_config_static_selectorELNS0_4arch9wavefront6targetE1EEEvT1_,@function
_ZN7rocprim17ROCPRIM_400000_NS6detail17trampoline_kernelINS0_14default_configENS1_35adjacent_difference_config_selectorILb1EyEEZNS1_24adjacent_difference_implIS3_Lb1ELb0EPyS7_N6thrust23THRUST_200600_302600_NS4plusIyEEEE10hipError_tPvRmT2_T3_mT4_P12ihipStream_tbEUlT_E_NS1_11comp_targetILNS1_3genE0ELNS1_11target_archE4294967295ELNS1_3gpuE0ELNS1_3repE0EEENS1_30default_config_static_selectorELNS0_4arch9wavefront6targetE1EEEvT1_: ; @_ZN7rocprim17ROCPRIM_400000_NS6detail17trampoline_kernelINS0_14default_configENS1_35adjacent_difference_config_selectorILb1EyEEZNS1_24adjacent_difference_implIS3_Lb1ELb0EPyS7_N6thrust23THRUST_200600_302600_NS4plusIyEEEE10hipError_tPvRmT2_T3_mT4_P12ihipStream_tbEUlT_E_NS1_11comp_targetILNS1_3genE0ELNS1_11target_archE4294967295ELNS1_3gpuE0ELNS1_3repE0EEENS1_30default_config_static_selectorELNS0_4arch9wavefront6targetE1EEEvT1_
; %bb.0:
	.section	.rodata,"a",@progbits
	.p2align	6, 0x0
	.amdhsa_kernel _ZN7rocprim17ROCPRIM_400000_NS6detail17trampoline_kernelINS0_14default_configENS1_35adjacent_difference_config_selectorILb1EyEEZNS1_24adjacent_difference_implIS3_Lb1ELb0EPyS7_N6thrust23THRUST_200600_302600_NS4plusIyEEEE10hipError_tPvRmT2_T3_mT4_P12ihipStream_tbEUlT_E_NS1_11comp_targetILNS1_3genE0ELNS1_11target_archE4294967295ELNS1_3gpuE0ELNS1_3repE0EEENS1_30default_config_static_selectorELNS0_4arch9wavefront6targetE1EEEvT1_
		.amdhsa_group_segment_fixed_size 0
		.amdhsa_private_segment_fixed_size 0
		.amdhsa_kernarg_size 56
		.amdhsa_user_sgpr_count 6
		.amdhsa_user_sgpr_private_segment_buffer 1
		.amdhsa_user_sgpr_dispatch_ptr 0
		.amdhsa_user_sgpr_queue_ptr 0
		.amdhsa_user_sgpr_kernarg_segment_ptr 1
		.amdhsa_user_sgpr_dispatch_id 0
		.amdhsa_user_sgpr_flat_scratch_init 0
		.amdhsa_user_sgpr_private_segment_size 0
		.amdhsa_uses_dynamic_stack 0
		.amdhsa_system_sgpr_private_segment_wavefront_offset 0
		.amdhsa_system_sgpr_workgroup_id_x 1
		.amdhsa_system_sgpr_workgroup_id_y 0
		.amdhsa_system_sgpr_workgroup_id_z 0
		.amdhsa_system_sgpr_workgroup_info 0
		.amdhsa_system_vgpr_workitem_id 0
		.amdhsa_next_free_vgpr 1
		.amdhsa_next_free_sgpr 0
		.amdhsa_reserve_vcc 0
		.amdhsa_reserve_flat_scratch 0
		.amdhsa_float_round_mode_32 0
		.amdhsa_float_round_mode_16_64 0
		.amdhsa_float_denorm_mode_32 3
		.amdhsa_float_denorm_mode_16_64 3
		.amdhsa_dx10_clamp 1
		.amdhsa_ieee_mode 1
		.amdhsa_fp16_overflow 0
		.amdhsa_exception_fp_ieee_invalid_op 0
		.amdhsa_exception_fp_denorm_src 0
		.amdhsa_exception_fp_ieee_div_zero 0
		.amdhsa_exception_fp_ieee_overflow 0
		.amdhsa_exception_fp_ieee_underflow 0
		.amdhsa_exception_fp_ieee_inexact 0
		.amdhsa_exception_int_div_zero 0
	.end_amdhsa_kernel
	.section	.text._ZN7rocprim17ROCPRIM_400000_NS6detail17trampoline_kernelINS0_14default_configENS1_35adjacent_difference_config_selectorILb1EyEEZNS1_24adjacent_difference_implIS3_Lb1ELb0EPyS7_N6thrust23THRUST_200600_302600_NS4plusIyEEEE10hipError_tPvRmT2_T3_mT4_P12ihipStream_tbEUlT_E_NS1_11comp_targetILNS1_3genE0ELNS1_11target_archE4294967295ELNS1_3gpuE0ELNS1_3repE0EEENS1_30default_config_static_selectorELNS0_4arch9wavefront6targetE1EEEvT1_,"axG",@progbits,_ZN7rocprim17ROCPRIM_400000_NS6detail17trampoline_kernelINS0_14default_configENS1_35adjacent_difference_config_selectorILb1EyEEZNS1_24adjacent_difference_implIS3_Lb1ELb0EPyS7_N6thrust23THRUST_200600_302600_NS4plusIyEEEE10hipError_tPvRmT2_T3_mT4_P12ihipStream_tbEUlT_E_NS1_11comp_targetILNS1_3genE0ELNS1_11target_archE4294967295ELNS1_3gpuE0ELNS1_3repE0EEENS1_30default_config_static_selectorELNS0_4arch9wavefront6targetE1EEEvT1_,comdat
.Lfunc_end146:
	.size	_ZN7rocprim17ROCPRIM_400000_NS6detail17trampoline_kernelINS0_14default_configENS1_35adjacent_difference_config_selectorILb1EyEEZNS1_24adjacent_difference_implIS3_Lb1ELb0EPyS7_N6thrust23THRUST_200600_302600_NS4plusIyEEEE10hipError_tPvRmT2_T3_mT4_P12ihipStream_tbEUlT_E_NS1_11comp_targetILNS1_3genE0ELNS1_11target_archE4294967295ELNS1_3gpuE0ELNS1_3repE0EEENS1_30default_config_static_selectorELNS0_4arch9wavefront6targetE1EEEvT1_, .Lfunc_end146-_ZN7rocprim17ROCPRIM_400000_NS6detail17trampoline_kernelINS0_14default_configENS1_35adjacent_difference_config_selectorILb1EyEEZNS1_24adjacent_difference_implIS3_Lb1ELb0EPyS7_N6thrust23THRUST_200600_302600_NS4plusIyEEEE10hipError_tPvRmT2_T3_mT4_P12ihipStream_tbEUlT_E_NS1_11comp_targetILNS1_3genE0ELNS1_11target_archE4294967295ELNS1_3gpuE0ELNS1_3repE0EEENS1_30default_config_static_selectorELNS0_4arch9wavefront6targetE1EEEvT1_
                                        ; -- End function
	.set _ZN7rocprim17ROCPRIM_400000_NS6detail17trampoline_kernelINS0_14default_configENS1_35adjacent_difference_config_selectorILb1EyEEZNS1_24adjacent_difference_implIS3_Lb1ELb0EPyS7_N6thrust23THRUST_200600_302600_NS4plusIyEEEE10hipError_tPvRmT2_T3_mT4_P12ihipStream_tbEUlT_E_NS1_11comp_targetILNS1_3genE0ELNS1_11target_archE4294967295ELNS1_3gpuE0ELNS1_3repE0EEENS1_30default_config_static_selectorELNS0_4arch9wavefront6targetE1EEEvT1_.num_vgpr, 0
	.set _ZN7rocprim17ROCPRIM_400000_NS6detail17trampoline_kernelINS0_14default_configENS1_35adjacent_difference_config_selectorILb1EyEEZNS1_24adjacent_difference_implIS3_Lb1ELb0EPyS7_N6thrust23THRUST_200600_302600_NS4plusIyEEEE10hipError_tPvRmT2_T3_mT4_P12ihipStream_tbEUlT_E_NS1_11comp_targetILNS1_3genE0ELNS1_11target_archE4294967295ELNS1_3gpuE0ELNS1_3repE0EEENS1_30default_config_static_selectorELNS0_4arch9wavefront6targetE1EEEvT1_.num_agpr, 0
	.set _ZN7rocprim17ROCPRIM_400000_NS6detail17trampoline_kernelINS0_14default_configENS1_35adjacent_difference_config_selectorILb1EyEEZNS1_24adjacent_difference_implIS3_Lb1ELb0EPyS7_N6thrust23THRUST_200600_302600_NS4plusIyEEEE10hipError_tPvRmT2_T3_mT4_P12ihipStream_tbEUlT_E_NS1_11comp_targetILNS1_3genE0ELNS1_11target_archE4294967295ELNS1_3gpuE0ELNS1_3repE0EEENS1_30default_config_static_selectorELNS0_4arch9wavefront6targetE1EEEvT1_.numbered_sgpr, 0
	.set _ZN7rocprim17ROCPRIM_400000_NS6detail17trampoline_kernelINS0_14default_configENS1_35adjacent_difference_config_selectorILb1EyEEZNS1_24adjacent_difference_implIS3_Lb1ELb0EPyS7_N6thrust23THRUST_200600_302600_NS4plusIyEEEE10hipError_tPvRmT2_T3_mT4_P12ihipStream_tbEUlT_E_NS1_11comp_targetILNS1_3genE0ELNS1_11target_archE4294967295ELNS1_3gpuE0ELNS1_3repE0EEENS1_30default_config_static_selectorELNS0_4arch9wavefront6targetE1EEEvT1_.num_named_barrier, 0
	.set _ZN7rocprim17ROCPRIM_400000_NS6detail17trampoline_kernelINS0_14default_configENS1_35adjacent_difference_config_selectorILb1EyEEZNS1_24adjacent_difference_implIS3_Lb1ELb0EPyS7_N6thrust23THRUST_200600_302600_NS4plusIyEEEE10hipError_tPvRmT2_T3_mT4_P12ihipStream_tbEUlT_E_NS1_11comp_targetILNS1_3genE0ELNS1_11target_archE4294967295ELNS1_3gpuE0ELNS1_3repE0EEENS1_30default_config_static_selectorELNS0_4arch9wavefront6targetE1EEEvT1_.private_seg_size, 0
	.set _ZN7rocprim17ROCPRIM_400000_NS6detail17trampoline_kernelINS0_14default_configENS1_35adjacent_difference_config_selectorILb1EyEEZNS1_24adjacent_difference_implIS3_Lb1ELb0EPyS7_N6thrust23THRUST_200600_302600_NS4plusIyEEEE10hipError_tPvRmT2_T3_mT4_P12ihipStream_tbEUlT_E_NS1_11comp_targetILNS1_3genE0ELNS1_11target_archE4294967295ELNS1_3gpuE0ELNS1_3repE0EEENS1_30default_config_static_selectorELNS0_4arch9wavefront6targetE1EEEvT1_.uses_vcc, 0
	.set _ZN7rocprim17ROCPRIM_400000_NS6detail17trampoline_kernelINS0_14default_configENS1_35adjacent_difference_config_selectorILb1EyEEZNS1_24adjacent_difference_implIS3_Lb1ELb0EPyS7_N6thrust23THRUST_200600_302600_NS4plusIyEEEE10hipError_tPvRmT2_T3_mT4_P12ihipStream_tbEUlT_E_NS1_11comp_targetILNS1_3genE0ELNS1_11target_archE4294967295ELNS1_3gpuE0ELNS1_3repE0EEENS1_30default_config_static_selectorELNS0_4arch9wavefront6targetE1EEEvT1_.uses_flat_scratch, 0
	.set _ZN7rocprim17ROCPRIM_400000_NS6detail17trampoline_kernelINS0_14default_configENS1_35adjacent_difference_config_selectorILb1EyEEZNS1_24adjacent_difference_implIS3_Lb1ELb0EPyS7_N6thrust23THRUST_200600_302600_NS4plusIyEEEE10hipError_tPvRmT2_T3_mT4_P12ihipStream_tbEUlT_E_NS1_11comp_targetILNS1_3genE0ELNS1_11target_archE4294967295ELNS1_3gpuE0ELNS1_3repE0EEENS1_30default_config_static_selectorELNS0_4arch9wavefront6targetE1EEEvT1_.has_dyn_sized_stack, 0
	.set _ZN7rocprim17ROCPRIM_400000_NS6detail17trampoline_kernelINS0_14default_configENS1_35adjacent_difference_config_selectorILb1EyEEZNS1_24adjacent_difference_implIS3_Lb1ELb0EPyS7_N6thrust23THRUST_200600_302600_NS4plusIyEEEE10hipError_tPvRmT2_T3_mT4_P12ihipStream_tbEUlT_E_NS1_11comp_targetILNS1_3genE0ELNS1_11target_archE4294967295ELNS1_3gpuE0ELNS1_3repE0EEENS1_30default_config_static_selectorELNS0_4arch9wavefront6targetE1EEEvT1_.has_recursion, 0
	.set _ZN7rocprim17ROCPRIM_400000_NS6detail17trampoline_kernelINS0_14default_configENS1_35adjacent_difference_config_selectorILb1EyEEZNS1_24adjacent_difference_implIS3_Lb1ELb0EPyS7_N6thrust23THRUST_200600_302600_NS4plusIyEEEE10hipError_tPvRmT2_T3_mT4_P12ihipStream_tbEUlT_E_NS1_11comp_targetILNS1_3genE0ELNS1_11target_archE4294967295ELNS1_3gpuE0ELNS1_3repE0EEENS1_30default_config_static_selectorELNS0_4arch9wavefront6targetE1EEEvT1_.has_indirect_call, 0
	.section	.AMDGPU.csdata,"",@progbits
; Kernel info:
; codeLenInByte = 0
; TotalNumSgprs: 4
; NumVgprs: 0
; ScratchSize: 0
; MemoryBound: 0
; FloatMode: 240
; IeeeMode: 1
; LDSByteSize: 0 bytes/workgroup (compile time only)
; SGPRBlocks: 0
; VGPRBlocks: 0
; NumSGPRsForWavesPerEU: 4
; NumVGPRsForWavesPerEU: 1
; Occupancy: 10
; WaveLimiterHint : 0
; COMPUTE_PGM_RSRC2:SCRATCH_EN: 0
; COMPUTE_PGM_RSRC2:USER_SGPR: 6
; COMPUTE_PGM_RSRC2:TRAP_HANDLER: 0
; COMPUTE_PGM_RSRC2:TGID_X_EN: 1
; COMPUTE_PGM_RSRC2:TGID_Y_EN: 0
; COMPUTE_PGM_RSRC2:TGID_Z_EN: 0
; COMPUTE_PGM_RSRC2:TIDIG_COMP_CNT: 0
	.section	.text._ZN7rocprim17ROCPRIM_400000_NS6detail17trampoline_kernelINS0_14default_configENS1_35adjacent_difference_config_selectorILb1EyEEZNS1_24adjacent_difference_implIS3_Lb1ELb0EPyS7_N6thrust23THRUST_200600_302600_NS4plusIyEEEE10hipError_tPvRmT2_T3_mT4_P12ihipStream_tbEUlT_E_NS1_11comp_targetILNS1_3genE10ELNS1_11target_archE1201ELNS1_3gpuE5ELNS1_3repE0EEENS1_30default_config_static_selectorELNS0_4arch9wavefront6targetE1EEEvT1_,"axG",@progbits,_ZN7rocprim17ROCPRIM_400000_NS6detail17trampoline_kernelINS0_14default_configENS1_35adjacent_difference_config_selectorILb1EyEEZNS1_24adjacent_difference_implIS3_Lb1ELb0EPyS7_N6thrust23THRUST_200600_302600_NS4plusIyEEEE10hipError_tPvRmT2_T3_mT4_P12ihipStream_tbEUlT_E_NS1_11comp_targetILNS1_3genE10ELNS1_11target_archE1201ELNS1_3gpuE5ELNS1_3repE0EEENS1_30default_config_static_selectorELNS0_4arch9wavefront6targetE1EEEvT1_,comdat
	.protected	_ZN7rocprim17ROCPRIM_400000_NS6detail17trampoline_kernelINS0_14default_configENS1_35adjacent_difference_config_selectorILb1EyEEZNS1_24adjacent_difference_implIS3_Lb1ELb0EPyS7_N6thrust23THRUST_200600_302600_NS4plusIyEEEE10hipError_tPvRmT2_T3_mT4_P12ihipStream_tbEUlT_E_NS1_11comp_targetILNS1_3genE10ELNS1_11target_archE1201ELNS1_3gpuE5ELNS1_3repE0EEENS1_30default_config_static_selectorELNS0_4arch9wavefront6targetE1EEEvT1_ ; -- Begin function _ZN7rocprim17ROCPRIM_400000_NS6detail17trampoline_kernelINS0_14default_configENS1_35adjacent_difference_config_selectorILb1EyEEZNS1_24adjacent_difference_implIS3_Lb1ELb0EPyS7_N6thrust23THRUST_200600_302600_NS4plusIyEEEE10hipError_tPvRmT2_T3_mT4_P12ihipStream_tbEUlT_E_NS1_11comp_targetILNS1_3genE10ELNS1_11target_archE1201ELNS1_3gpuE5ELNS1_3repE0EEENS1_30default_config_static_selectorELNS0_4arch9wavefront6targetE1EEEvT1_
	.globl	_ZN7rocprim17ROCPRIM_400000_NS6detail17trampoline_kernelINS0_14default_configENS1_35adjacent_difference_config_selectorILb1EyEEZNS1_24adjacent_difference_implIS3_Lb1ELb0EPyS7_N6thrust23THRUST_200600_302600_NS4plusIyEEEE10hipError_tPvRmT2_T3_mT4_P12ihipStream_tbEUlT_E_NS1_11comp_targetILNS1_3genE10ELNS1_11target_archE1201ELNS1_3gpuE5ELNS1_3repE0EEENS1_30default_config_static_selectorELNS0_4arch9wavefront6targetE1EEEvT1_
	.p2align	8
	.type	_ZN7rocprim17ROCPRIM_400000_NS6detail17trampoline_kernelINS0_14default_configENS1_35adjacent_difference_config_selectorILb1EyEEZNS1_24adjacent_difference_implIS3_Lb1ELb0EPyS7_N6thrust23THRUST_200600_302600_NS4plusIyEEEE10hipError_tPvRmT2_T3_mT4_P12ihipStream_tbEUlT_E_NS1_11comp_targetILNS1_3genE10ELNS1_11target_archE1201ELNS1_3gpuE5ELNS1_3repE0EEENS1_30default_config_static_selectorELNS0_4arch9wavefront6targetE1EEEvT1_,@function
_ZN7rocprim17ROCPRIM_400000_NS6detail17trampoline_kernelINS0_14default_configENS1_35adjacent_difference_config_selectorILb1EyEEZNS1_24adjacent_difference_implIS3_Lb1ELb0EPyS7_N6thrust23THRUST_200600_302600_NS4plusIyEEEE10hipError_tPvRmT2_T3_mT4_P12ihipStream_tbEUlT_E_NS1_11comp_targetILNS1_3genE10ELNS1_11target_archE1201ELNS1_3gpuE5ELNS1_3repE0EEENS1_30default_config_static_selectorELNS0_4arch9wavefront6targetE1EEEvT1_: ; @_ZN7rocprim17ROCPRIM_400000_NS6detail17trampoline_kernelINS0_14default_configENS1_35adjacent_difference_config_selectorILb1EyEEZNS1_24adjacent_difference_implIS3_Lb1ELb0EPyS7_N6thrust23THRUST_200600_302600_NS4plusIyEEEE10hipError_tPvRmT2_T3_mT4_P12ihipStream_tbEUlT_E_NS1_11comp_targetILNS1_3genE10ELNS1_11target_archE1201ELNS1_3gpuE5ELNS1_3repE0EEENS1_30default_config_static_selectorELNS0_4arch9wavefront6targetE1EEEvT1_
; %bb.0:
	.section	.rodata,"a",@progbits
	.p2align	6, 0x0
	.amdhsa_kernel _ZN7rocprim17ROCPRIM_400000_NS6detail17trampoline_kernelINS0_14default_configENS1_35adjacent_difference_config_selectorILb1EyEEZNS1_24adjacent_difference_implIS3_Lb1ELb0EPyS7_N6thrust23THRUST_200600_302600_NS4plusIyEEEE10hipError_tPvRmT2_T3_mT4_P12ihipStream_tbEUlT_E_NS1_11comp_targetILNS1_3genE10ELNS1_11target_archE1201ELNS1_3gpuE5ELNS1_3repE0EEENS1_30default_config_static_selectorELNS0_4arch9wavefront6targetE1EEEvT1_
		.amdhsa_group_segment_fixed_size 0
		.amdhsa_private_segment_fixed_size 0
		.amdhsa_kernarg_size 56
		.amdhsa_user_sgpr_count 6
		.amdhsa_user_sgpr_private_segment_buffer 1
		.amdhsa_user_sgpr_dispatch_ptr 0
		.amdhsa_user_sgpr_queue_ptr 0
		.amdhsa_user_sgpr_kernarg_segment_ptr 1
		.amdhsa_user_sgpr_dispatch_id 0
		.amdhsa_user_sgpr_flat_scratch_init 0
		.amdhsa_user_sgpr_private_segment_size 0
		.amdhsa_uses_dynamic_stack 0
		.amdhsa_system_sgpr_private_segment_wavefront_offset 0
		.amdhsa_system_sgpr_workgroup_id_x 1
		.amdhsa_system_sgpr_workgroup_id_y 0
		.amdhsa_system_sgpr_workgroup_id_z 0
		.amdhsa_system_sgpr_workgroup_info 0
		.amdhsa_system_vgpr_workitem_id 0
		.amdhsa_next_free_vgpr 1
		.amdhsa_next_free_sgpr 0
		.amdhsa_reserve_vcc 0
		.amdhsa_reserve_flat_scratch 0
		.amdhsa_float_round_mode_32 0
		.amdhsa_float_round_mode_16_64 0
		.amdhsa_float_denorm_mode_32 3
		.amdhsa_float_denorm_mode_16_64 3
		.amdhsa_dx10_clamp 1
		.amdhsa_ieee_mode 1
		.amdhsa_fp16_overflow 0
		.amdhsa_exception_fp_ieee_invalid_op 0
		.amdhsa_exception_fp_denorm_src 0
		.amdhsa_exception_fp_ieee_div_zero 0
		.amdhsa_exception_fp_ieee_overflow 0
		.amdhsa_exception_fp_ieee_underflow 0
		.amdhsa_exception_fp_ieee_inexact 0
		.amdhsa_exception_int_div_zero 0
	.end_amdhsa_kernel
	.section	.text._ZN7rocprim17ROCPRIM_400000_NS6detail17trampoline_kernelINS0_14default_configENS1_35adjacent_difference_config_selectorILb1EyEEZNS1_24adjacent_difference_implIS3_Lb1ELb0EPyS7_N6thrust23THRUST_200600_302600_NS4plusIyEEEE10hipError_tPvRmT2_T3_mT4_P12ihipStream_tbEUlT_E_NS1_11comp_targetILNS1_3genE10ELNS1_11target_archE1201ELNS1_3gpuE5ELNS1_3repE0EEENS1_30default_config_static_selectorELNS0_4arch9wavefront6targetE1EEEvT1_,"axG",@progbits,_ZN7rocprim17ROCPRIM_400000_NS6detail17trampoline_kernelINS0_14default_configENS1_35adjacent_difference_config_selectorILb1EyEEZNS1_24adjacent_difference_implIS3_Lb1ELb0EPyS7_N6thrust23THRUST_200600_302600_NS4plusIyEEEE10hipError_tPvRmT2_T3_mT4_P12ihipStream_tbEUlT_E_NS1_11comp_targetILNS1_3genE10ELNS1_11target_archE1201ELNS1_3gpuE5ELNS1_3repE0EEENS1_30default_config_static_selectorELNS0_4arch9wavefront6targetE1EEEvT1_,comdat
.Lfunc_end147:
	.size	_ZN7rocprim17ROCPRIM_400000_NS6detail17trampoline_kernelINS0_14default_configENS1_35adjacent_difference_config_selectorILb1EyEEZNS1_24adjacent_difference_implIS3_Lb1ELb0EPyS7_N6thrust23THRUST_200600_302600_NS4plusIyEEEE10hipError_tPvRmT2_T3_mT4_P12ihipStream_tbEUlT_E_NS1_11comp_targetILNS1_3genE10ELNS1_11target_archE1201ELNS1_3gpuE5ELNS1_3repE0EEENS1_30default_config_static_selectorELNS0_4arch9wavefront6targetE1EEEvT1_, .Lfunc_end147-_ZN7rocprim17ROCPRIM_400000_NS6detail17trampoline_kernelINS0_14default_configENS1_35adjacent_difference_config_selectorILb1EyEEZNS1_24adjacent_difference_implIS3_Lb1ELb0EPyS7_N6thrust23THRUST_200600_302600_NS4plusIyEEEE10hipError_tPvRmT2_T3_mT4_P12ihipStream_tbEUlT_E_NS1_11comp_targetILNS1_3genE10ELNS1_11target_archE1201ELNS1_3gpuE5ELNS1_3repE0EEENS1_30default_config_static_selectorELNS0_4arch9wavefront6targetE1EEEvT1_
                                        ; -- End function
	.set _ZN7rocprim17ROCPRIM_400000_NS6detail17trampoline_kernelINS0_14default_configENS1_35adjacent_difference_config_selectorILb1EyEEZNS1_24adjacent_difference_implIS3_Lb1ELb0EPyS7_N6thrust23THRUST_200600_302600_NS4plusIyEEEE10hipError_tPvRmT2_T3_mT4_P12ihipStream_tbEUlT_E_NS1_11comp_targetILNS1_3genE10ELNS1_11target_archE1201ELNS1_3gpuE5ELNS1_3repE0EEENS1_30default_config_static_selectorELNS0_4arch9wavefront6targetE1EEEvT1_.num_vgpr, 0
	.set _ZN7rocprim17ROCPRIM_400000_NS6detail17trampoline_kernelINS0_14default_configENS1_35adjacent_difference_config_selectorILb1EyEEZNS1_24adjacent_difference_implIS3_Lb1ELb0EPyS7_N6thrust23THRUST_200600_302600_NS4plusIyEEEE10hipError_tPvRmT2_T3_mT4_P12ihipStream_tbEUlT_E_NS1_11comp_targetILNS1_3genE10ELNS1_11target_archE1201ELNS1_3gpuE5ELNS1_3repE0EEENS1_30default_config_static_selectorELNS0_4arch9wavefront6targetE1EEEvT1_.num_agpr, 0
	.set _ZN7rocprim17ROCPRIM_400000_NS6detail17trampoline_kernelINS0_14default_configENS1_35adjacent_difference_config_selectorILb1EyEEZNS1_24adjacent_difference_implIS3_Lb1ELb0EPyS7_N6thrust23THRUST_200600_302600_NS4plusIyEEEE10hipError_tPvRmT2_T3_mT4_P12ihipStream_tbEUlT_E_NS1_11comp_targetILNS1_3genE10ELNS1_11target_archE1201ELNS1_3gpuE5ELNS1_3repE0EEENS1_30default_config_static_selectorELNS0_4arch9wavefront6targetE1EEEvT1_.numbered_sgpr, 0
	.set _ZN7rocprim17ROCPRIM_400000_NS6detail17trampoline_kernelINS0_14default_configENS1_35adjacent_difference_config_selectorILb1EyEEZNS1_24adjacent_difference_implIS3_Lb1ELb0EPyS7_N6thrust23THRUST_200600_302600_NS4plusIyEEEE10hipError_tPvRmT2_T3_mT4_P12ihipStream_tbEUlT_E_NS1_11comp_targetILNS1_3genE10ELNS1_11target_archE1201ELNS1_3gpuE5ELNS1_3repE0EEENS1_30default_config_static_selectorELNS0_4arch9wavefront6targetE1EEEvT1_.num_named_barrier, 0
	.set _ZN7rocprim17ROCPRIM_400000_NS6detail17trampoline_kernelINS0_14default_configENS1_35adjacent_difference_config_selectorILb1EyEEZNS1_24adjacent_difference_implIS3_Lb1ELb0EPyS7_N6thrust23THRUST_200600_302600_NS4plusIyEEEE10hipError_tPvRmT2_T3_mT4_P12ihipStream_tbEUlT_E_NS1_11comp_targetILNS1_3genE10ELNS1_11target_archE1201ELNS1_3gpuE5ELNS1_3repE0EEENS1_30default_config_static_selectorELNS0_4arch9wavefront6targetE1EEEvT1_.private_seg_size, 0
	.set _ZN7rocprim17ROCPRIM_400000_NS6detail17trampoline_kernelINS0_14default_configENS1_35adjacent_difference_config_selectorILb1EyEEZNS1_24adjacent_difference_implIS3_Lb1ELb0EPyS7_N6thrust23THRUST_200600_302600_NS4plusIyEEEE10hipError_tPvRmT2_T3_mT4_P12ihipStream_tbEUlT_E_NS1_11comp_targetILNS1_3genE10ELNS1_11target_archE1201ELNS1_3gpuE5ELNS1_3repE0EEENS1_30default_config_static_selectorELNS0_4arch9wavefront6targetE1EEEvT1_.uses_vcc, 0
	.set _ZN7rocprim17ROCPRIM_400000_NS6detail17trampoline_kernelINS0_14default_configENS1_35adjacent_difference_config_selectorILb1EyEEZNS1_24adjacent_difference_implIS3_Lb1ELb0EPyS7_N6thrust23THRUST_200600_302600_NS4plusIyEEEE10hipError_tPvRmT2_T3_mT4_P12ihipStream_tbEUlT_E_NS1_11comp_targetILNS1_3genE10ELNS1_11target_archE1201ELNS1_3gpuE5ELNS1_3repE0EEENS1_30default_config_static_selectorELNS0_4arch9wavefront6targetE1EEEvT1_.uses_flat_scratch, 0
	.set _ZN7rocprim17ROCPRIM_400000_NS6detail17trampoline_kernelINS0_14default_configENS1_35adjacent_difference_config_selectorILb1EyEEZNS1_24adjacent_difference_implIS3_Lb1ELb0EPyS7_N6thrust23THRUST_200600_302600_NS4plusIyEEEE10hipError_tPvRmT2_T3_mT4_P12ihipStream_tbEUlT_E_NS1_11comp_targetILNS1_3genE10ELNS1_11target_archE1201ELNS1_3gpuE5ELNS1_3repE0EEENS1_30default_config_static_selectorELNS0_4arch9wavefront6targetE1EEEvT1_.has_dyn_sized_stack, 0
	.set _ZN7rocprim17ROCPRIM_400000_NS6detail17trampoline_kernelINS0_14default_configENS1_35adjacent_difference_config_selectorILb1EyEEZNS1_24adjacent_difference_implIS3_Lb1ELb0EPyS7_N6thrust23THRUST_200600_302600_NS4plusIyEEEE10hipError_tPvRmT2_T3_mT4_P12ihipStream_tbEUlT_E_NS1_11comp_targetILNS1_3genE10ELNS1_11target_archE1201ELNS1_3gpuE5ELNS1_3repE0EEENS1_30default_config_static_selectorELNS0_4arch9wavefront6targetE1EEEvT1_.has_recursion, 0
	.set _ZN7rocprim17ROCPRIM_400000_NS6detail17trampoline_kernelINS0_14default_configENS1_35adjacent_difference_config_selectorILb1EyEEZNS1_24adjacent_difference_implIS3_Lb1ELb0EPyS7_N6thrust23THRUST_200600_302600_NS4plusIyEEEE10hipError_tPvRmT2_T3_mT4_P12ihipStream_tbEUlT_E_NS1_11comp_targetILNS1_3genE10ELNS1_11target_archE1201ELNS1_3gpuE5ELNS1_3repE0EEENS1_30default_config_static_selectorELNS0_4arch9wavefront6targetE1EEEvT1_.has_indirect_call, 0
	.section	.AMDGPU.csdata,"",@progbits
; Kernel info:
; codeLenInByte = 0
; TotalNumSgprs: 4
; NumVgprs: 0
; ScratchSize: 0
; MemoryBound: 0
; FloatMode: 240
; IeeeMode: 1
; LDSByteSize: 0 bytes/workgroup (compile time only)
; SGPRBlocks: 0
; VGPRBlocks: 0
; NumSGPRsForWavesPerEU: 4
; NumVGPRsForWavesPerEU: 1
; Occupancy: 10
; WaveLimiterHint : 0
; COMPUTE_PGM_RSRC2:SCRATCH_EN: 0
; COMPUTE_PGM_RSRC2:USER_SGPR: 6
; COMPUTE_PGM_RSRC2:TRAP_HANDLER: 0
; COMPUTE_PGM_RSRC2:TGID_X_EN: 1
; COMPUTE_PGM_RSRC2:TGID_Y_EN: 0
; COMPUTE_PGM_RSRC2:TGID_Z_EN: 0
; COMPUTE_PGM_RSRC2:TIDIG_COMP_CNT: 0
	.section	.text._ZN7rocprim17ROCPRIM_400000_NS6detail17trampoline_kernelINS0_14default_configENS1_35adjacent_difference_config_selectorILb1EyEEZNS1_24adjacent_difference_implIS3_Lb1ELb0EPyS7_N6thrust23THRUST_200600_302600_NS4plusIyEEEE10hipError_tPvRmT2_T3_mT4_P12ihipStream_tbEUlT_E_NS1_11comp_targetILNS1_3genE5ELNS1_11target_archE942ELNS1_3gpuE9ELNS1_3repE0EEENS1_30default_config_static_selectorELNS0_4arch9wavefront6targetE1EEEvT1_,"axG",@progbits,_ZN7rocprim17ROCPRIM_400000_NS6detail17trampoline_kernelINS0_14default_configENS1_35adjacent_difference_config_selectorILb1EyEEZNS1_24adjacent_difference_implIS3_Lb1ELb0EPyS7_N6thrust23THRUST_200600_302600_NS4plusIyEEEE10hipError_tPvRmT2_T3_mT4_P12ihipStream_tbEUlT_E_NS1_11comp_targetILNS1_3genE5ELNS1_11target_archE942ELNS1_3gpuE9ELNS1_3repE0EEENS1_30default_config_static_selectorELNS0_4arch9wavefront6targetE1EEEvT1_,comdat
	.protected	_ZN7rocprim17ROCPRIM_400000_NS6detail17trampoline_kernelINS0_14default_configENS1_35adjacent_difference_config_selectorILb1EyEEZNS1_24adjacent_difference_implIS3_Lb1ELb0EPyS7_N6thrust23THRUST_200600_302600_NS4plusIyEEEE10hipError_tPvRmT2_T3_mT4_P12ihipStream_tbEUlT_E_NS1_11comp_targetILNS1_3genE5ELNS1_11target_archE942ELNS1_3gpuE9ELNS1_3repE0EEENS1_30default_config_static_selectorELNS0_4arch9wavefront6targetE1EEEvT1_ ; -- Begin function _ZN7rocprim17ROCPRIM_400000_NS6detail17trampoline_kernelINS0_14default_configENS1_35adjacent_difference_config_selectorILb1EyEEZNS1_24adjacent_difference_implIS3_Lb1ELb0EPyS7_N6thrust23THRUST_200600_302600_NS4plusIyEEEE10hipError_tPvRmT2_T3_mT4_P12ihipStream_tbEUlT_E_NS1_11comp_targetILNS1_3genE5ELNS1_11target_archE942ELNS1_3gpuE9ELNS1_3repE0EEENS1_30default_config_static_selectorELNS0_4arch9wavefront6targetE1EEEvT1_
	.globl	_ZN7rocprim17ROCPRIM_400000_NS6detail17trampoline_kernelINS0_14default_configENS1_35adjacent_difference_config_selectorILb1EyEEZNS1_24adjacent_difference_implIS3_Lb1ELb0EPyS7_N6thrust23THRUST_200600_302600_NS4plusIyEEEE10hipError_tPvRmT2_T3_mT4_P12ihipStream_tbEUlT_E_NS1_11comp_targetILNS1_3genE5ELNS1_11target_archE942ELNS1_3gpuE9ELNS1_3repE0EEENS1_30default_config_static_selectorELNS0_4arch9wavefront6targetE1EEEvT1_
	.p2align	8
	.type	_ZN7rocprim17ROCPRIM_400000_NS6detail17trampoline_kernelINS0_14default_configENS1_35adjacent_difference_config_selectorILb1EyEEZNS1_24adjacent_difference_implIS3_Lb1ELb0EPyS7_N6thrust23THRUST_200600_302600_NS4plusIyEEEE10hipError_tPvRmT2_T3_mT4_P12ihipStream_tbEUlT_E_NS1_11comp_targetILNS1_3genE5ELNS1_11target_archE942ELNS1_3gpuE9ELNS1_3repE0EEENS1_30default_config_static_selectorELNS0_4arch9wavefront6targetE1EEEvT1_,@function
_ZN7rocprim17ROCPRIM_400000_NS6detail17trampoline_kernelINS0_14default_configENS1_35adjacent_difference_config_selectorILb1EyEEZNS1_24adjacent_difference_implIS3_Lb1ELb0EPyS7_N6thrust23THRUST_200600_302600_NS4plusIyEEEE10hipError_tPvRmT2_T3_mT4_P12ihipStream_tbEUlT_E_NS1_11comp_targetILNS1_3genE5ELNS1_11target_archE942ELNS1_3gpuE9ELNS1_3repE0EEENS1_30default_config_static_selectorELNS0_4arch9wavefront6targetE1EEEvT1_: ; @_ZN7rocprim17ROCPRIM_400000_NS6detail17trampoline_kernelINS0_14default_configENS1_35adjacent_difference_config_selectorILb1EyEEZNS1_24adjacent_difference_implIS3_Lb1ELb0EPyS7_N6thrust23THRUST_200600_302600_NS4plusIyEEEE10hipError_tPvRmT2_T3_mT4_P12ihipStream_tbEUlT_E_NS1_11comp_targetILNS1_3genE5ELNS1_11target_archE942ELNS1_3gpuE9ELNS1_3repE0EEENS1_30default_config_static_selectorELNS0_4arch9wavefront6targetE1EEEvT1_
; %bb.0:
	.section	.rodata,"a",@progbits
	.p2align	6, 0x0
	.amdhsa_kernel _ZN7rocprim17ROCPRIM_400000_NS6detail17trampoline_kernelINS0_14default_configENS1_35adjacent_difference_config_selectorILb1EyEEZNS1_24adjacent_difference_implIS3_Lb1ELb0EPyS7_N6thrust23THRUST_200600_302600_NS4plusIyEEEE10hipError_tPvRmT2_T3_mT4_P12ihipStream_tbEUlT_E_NS1_11comp_targetILNS1_3genE5ELNS1_11target_archE942ELNS1_3gpuE9ELNS1_3repE0EEENS1_30default_config_static_selectorELNS0_4arch9wavefront6targetE1EEEvT1_
		.amdhsa_group_segment_fixed_size 0
		.amdhsa_private_segment_fixed_size 0
		.amdhsa_kernarg_size 56
		.amdhsa_user_sgpr_count 6
		.amdhsa_user_sgpr_private_segment_buffer 1
		.amdhsa_user_sgpr_dispatch_ptr 0
		.amdhsa_user_sgpr_queue_ptr 0
		.amdhsa_user_sgpr_kernarg_segment_ptr 1
		.amdhsa_user_sgpr_dispatch_id 0
		.amdhsa_user_sgpr_flat_scratch_init 0
		.amdhsa_user_sgpr_private_segment_size 0
		.amdhsa_uses_dynamic_stack 0
		.amdhsa_system_sgpr_private_segment_wavefront_offset 0
		.amdhsa_system_sgpr_workgroup_id_x 1
		.amdhsa_system_sgpr_workgroup_id_y 0
		.amdhsa_system_sgpr_workgroup_id_z 0
		.amdhsa_system_sgpr_workgroup_info 0
		.amdhsa_system_vgpr_workitem_id 0
		.amdhsa_next_free_vgpr 1
		.amdhsa_next_free_sgpr 0
		.amdhsa_reserve_vcc 0
		.amdhsa_reserve_flat_scratch 0
		.amdhsa_float_round_mode_32 0
		.amdhsa_float_round_mode_16_64 0
		.amdhsa_float_denorm_mode_32 3
		.amdhsa_float_denorm_mode_16_64 3
		.amdhsa_dx10_clamp 1
		.amdhsa_ieee_mode 1
		.amdhsa_fp16_overflow 0
		.amdhsa_exception_fp_ieee_invalid_op 0
		.amdhsa_exception_fp_denorm_src 0
		.amdhsa_exception_fp_ieee_div_zero 0
		.amdhsa_exception_fp_ieee_overflow 0
		.amdhsa_exception_fp_ieee_underflow 0
		.amdhsa_exception_fp_ieee_inexact 0
		.amdhsa_exception_int_div_zero 0
	.end_amdhsa_kernel
	.section	.text._ZN7rocprim17ROCPRIM_400000_NS6detail17trampoline_kernelINS0_14default_configENS1_35adjacent_difference_config_selectorILb1EyEEZNS1_24adjacent_difference_implIS3_Lb1ELb0EPyS7_N6thrust23THRUST_200600_302600_NS4plusIyEEEE10hipError_tPvRmT2_T3_mT4_P12ihipStream_tbEUlT_E_NS1_11comp_targetILNS1_3genE5ELNS1_11target_archE942ELNS1_3gpuE9ELNS1_3repE0EEENS1_30default_config_static_selectorELNS0_4arch9wavefront6targetE1EEEvT1_,"axG",@progbits,_ZN7rocprim17ROCPRIM_400000_NS6detail17trampoline_kernelINS0_14default_configENS1_35adjacent_difference_config_selectorILb1EyEEZNS1_24adjacent_difference_implIS3_Lb1ELb0EPyS7_N6thrust23THRUST_200600_302600_NS4plusIyEEEE10hipError_tPvRmT2_T3_mT4_P12ihipStream_tbEUlT_E_NS1_11comp_targetILNS1_3genE5ELNS1_11target_archE942ELNS1_3gpuE9ELNS1_3repE0EEENS1_30default_config_static_selectorELNS0_4arch9wavefront6targetE1EEEvT1_,comdat
.Lfunc_end148:
	.size	_ZN7rocprim17ROCPRIM_400000_NS6detail17trampoline_kernelINS0_14default_configENS1_35adjacent_difference_config_selectorILb1EyEEZNS1_24adjacent_difference_implIS3_Lb1ELb0EPyS7_N6thrust23THRUST_200600_302600_NS4plusIyEEEE10hipError_tPvRmT2_T3_mT4_P12ihipStream_tbEUlT_E_NS1_11comp_targetILNS1_3genE5ELNS1_11target_archE942ELNS1_3gpuE9ELNS1_3repE0EEENS1_30default_config_static_selectorELNS0_4arch9wavefront6targetE1EEEvT1_, .Lfunc_end148-_ZN7rocprim17ROCPRIM_400000_NS6detail17trampoline_kernelINS0_14default_configENS1_35adjacent_difference_config_selectorILb1EyEEZNS1_24adjacent_difference_implIS3_Lb1ELb0EPyS7_N6thrust23THRUST_200600_302600_NS4plusIyEEEE10hipError_tPvRmT2_T3_mT4_P12ihipStream_tbEUlT_E_NS1_11comp_targetILNS1_3genE5ELNS1_11target_archE942ELNS1_3gpuE9ELNS1_3repE0EEENS1_30default_config_static_selectorELNS0_4arch9wavefront6targetE1EEEvT1_
                                        ; -- End function
	.set _ZN7rocprim17ROCPRIM_400000_NS6detail17trampoline_kernelINS0_14default_configENS1_35adjacent_difference_config_selectorILb1EyEEZNS1_24adjacent_difference_implIS3_Lb1ELb0EPyS7_N6thrust23THRUST_200600_302600_NS4plusIyEEEE10hipError_tPvRmT2_T3_mT4_P12ihipStream_tbEUlT_E_NS1_11comp_targetILNS1_3genE5ELNS1_11target_archE942ELNS1_3gpuE9ELNS1_3repE0EEENS1_30default_config_static_selectorELNS0_4arch9wavefront6targetE1EEEvT1_.num_vgpr, 0
	.set _ZN7rocprim17ROCPRIM_400000_NS6detail17trampoline_kernelINS0_14default_configENS1_35adjacent_difference_config_selectorILb1EyEEZNS1_24adjacent_difference_implIS3_Lb1ELb0EPyS7_N6thrust23THRUST_200600_302600_NS4plusIyEEEE10hipError_tPvRmT2_T3_mT4_P12ihipStream_tbEUlT_E_NS1_11comp_targetILNS1_3genE5ELNS1_11target_archE942ELNS1_3gpuE9ELNS1_3repE0EEENS1_30default_config_static_selectorELNS0_4arch9wavefront6targetE1EEEvT1_.num_agpr, 0
	.set _ZN7rocprim17ROCPRIM_400000_NS6detail17trampoline_kernelINS0_14default_configENS1_35adjacent_difference_config_selectorILb1EyEEZNS1_24adjacent_difference_implIS3_Lb1ELb0EPyS7_N6thrust23THRUST_200600_302600_NS4plusIyEEEE10hipError_tPvRmT2_T3_mT4_P12ihipStream_tbEUlT_E_NS1_11comp_targetILNS1_3genE5ELNS1_11target_archE942ELNS1_3gpuE9ELNS1_3repE0EEENS1_30default_config_static_selectorELNS0_4arch9wavefront6targetE1EEEvT1_.numbered_sgpr, 0
	.set _ZN7rocprim17ROCPRIM_400000_NS6detail17trampoline_kernelINS0_14default_configENS1_35adjacent_difference_config_selectorILb1EyEEZNS1_24adjacent_difference_implIS3_Lb1ELb0EPyS7_N6thrust23THRUST_200600_302600_NS4plusIyEEEE10hipError_tPvRmT2_T3_mT4_P12ihipStream_tbEUlT_E_NS1_11comp_targetILNS1_3genE5ELNS1_11target_archE942ELNS1_3gpuE9ELNS1_3repE0EEENS1_30default_config_static_selectorELNS0_4arch9wavefront6targetE1EEEvT1_.num_named_barrier, 0
	.set _ZN7rocprim17ROCPRIM_400000_NS6detail17trampoline_kernelINS0_14default_configENS1_35adjacent_difference_config_selectorILb1EyEEZNS1_24adjacent_difference_implIS3_Lb1ELb0EPyS7_N6thrust23THRUST_200600_302600_NS4plusIyEEEE10hipError_tPvRmT2_T3_mT4_P12ihipStream_tbEUlT_E_NS1_11comp_targetILNS1_3genE5ELNS1_11target_archE942ELNS1_3gpuE9ELNS1_3repE0EEENS1_30default_config_static_selectorELNS0_4arch9wavefront6targetE1EEEvT1_.private_seg_size, 0
	.set _ZN7rocprim17ROCPRIM_400000_NS6detail17trampoline_kernelINS0_14default_configENS1_35adjacent_difference_config_selectorILb1EyEEZNS1_24adjacent_difference_implIS3_Lb1ELb0EPyS7_N6thrust23THRUST_200600_302600_NS4plusIyEEEE10hipError_tPvRmT2_T3_mT4_P12ihipStream_tbEUlT_E_NS1_11comp_targetILNS1_3genE5ELNS1_11target_archE942ELNS1_3gpuE9ELNS1_3repE0EEENS1_30default_config_static_selectorELNS0_4arch9wavefront6targetE1EEEvT1_.uses_vcc, 0
	.set _ZN7rocprim17ROCPRIM_400000_NS6detail17trampoline_kernelINS0_14default_configENS1_35adjacent_difference_config_selectorILb1EyEEZNS1_24adjacent_difference_implIS3_Lb1ELb0EPyS7_N6thrust23THRUST_200600_302600_NS4plusIyEEEE10hipError_tPvRmT2_T3_mT4_P12ihipStream_tbEUlT_E_NS1_11comp_targetILNS1_3genE5ELNS1_11target_archE942ELNS1_3gpuE9ELNS1_3repE0EEENS1_30default_config_static_selectorELNS0_4arch9wavefront6targetE1EEEvT1_.uses_flat_scratch, 0
	.set _ZN7rocprim17ROCPRIM_400000_NS6detail17trampoline_kernelINS0_14default_configENS1_35adjacent_difference_config_selectorILb1EyEEZNS1_24adjacent_difference_implIS3_Lb1ELb0EPyS7_N6thrust23THRUST_200600_302600_NS4plusIyEEEE10hipError_tPvRmT2_T3_mT4_P12ihipStream_tbEUlT_E_NS1_11comp_targetILNS1_3genE5ELNS1_11target_archE942ELNS1_3gpuE9ELNS1_3repE0EEENS1_30default_config_static_selectorELNS0_4arch9wavefront6targetE1EEEvT1_.has_dyn_sized_stack, 0
	.set _ZN7rocprim17ROCPRIM_400000_NS6detail17trampoline_kernelINS0_14default_configENS1_35adjacent_difference_config_selectorILb1EyEEZNS1_24adjacent_difference_implIS3_Lb1ELb0EPyS7_N6thrust23THRUST_200600_302600_NS4plusIyEEEE10hipError_tPvRmT2_T3_mT4_P12ihipStream_tbEUlT_E_NS1_11comp_targetILNS1_3genE5ELNS1_11target_archE942ELNS1_3gpuE9ELNS1_3repE0EEENS1_30default_config_static_selectorELNS0_4arch9wavefront6targetE1EEEvT1_.has_recursion, 0
	.set _ZN7rocprim17ROCPRIM_400000_NS6detail17trampoline_kernelINS0_14default_configENS1_35adjacent_difference_config_selectorILb1EyEEZNS1_24adjacent_difference_implIS3_Lb1ELb0EPyS7_N6thrust23THRUST_200600_302600_NS4plusIyEEEE10hipError_tPvRmT2_T3_mT4_P12ihipStream_tbEUlT_E_NS1_11comp_targetILNS1_3genE5ELNS1_11target_archE942ELNS1_3gpuE9ELNS1_3repE0EEENS1_30default_config_static_selectorELNS0_4arch9wavefront6targetE1EEEvT1_.has_indirect_call, 0
	.section	.AMDGPU.csdata,"",@progbits
; Kernel info:
; codeLenInByte = 0
; TotalNumSgprs: 4
; NumVgprs: 0
; ScratchSize: 0
; MemoryBound: 0
; FloatMode: 240
; IeeeMode: 1
; LDSByteSize: 0 bytes/workgroup (compile time only)
; SGPRBlocks: 0
; VGPRBlocks: 0
; NumSGPRsForWavesPerEU: 4
; NumVGPRsForWavesPerEU: 1
; Occupancy: 10
; WaveLimiterHint : 0
; COMPUTE_PGM_RSRC2:SCRATCH_EN: 0
; COMPUTE_PGM_RSRC2:USER_SGPR: 6
; COMPUTE_PGM_RSRC2:TRAP_HANDLER: 0
; COMPUTE_PGM_RSRC2:TGID_X_EN: 1
; COMPUTE_PGM_RSRC2:TGID_Y_EN: 0
; COMPUTE_PGM_RSRC2:TGID_Z_EN: 0
; COMPUTE_PGM_RSRC2:TIDIG_COMP_CNT: 0
	.section	.text._ZN7rocprim17ROCPRIM_400000_NS6detail17trampoline_kernelINS0_14default_configENS1_35adjacent_difference_config_selectorILb1EyEEZNS1_24adjacent_difference_implIS3_Lb1ELb0EPyS7_N6thrust23THRUST_200600_302600_NS4plusIyEEEE10hipError_tPvRmT2_T3_mT4_P12ihipStream_tbEUlT_E_NS1_11comp_targetILNS1_3genE4ELNS1_11target_archE910ELNS1_3gpuE8ELNS1_3repE0EEENS1_30default_config_static_selectorELNS0_4arch9wavefront6targetE1EEEvT1_,"axG",@progbits,_ZN7rocprim17ROCPRIM_400000_NS6detail17trampoline_kernelINS0_14default_configENS1_35adjacent_difference_config_selectorILb1EyEEZNS1_24adjacent_difference_implIS3_Lb1ELb0EPyS7_N6thrust23THRUST_200600_302600_NS4plusIyEEEE10hipError_tPvRmT2_T3_mT4_P12ihipStream_tbEUlT_E_NS1_11comp_targetILNS1_3genE4ELNS1_11target_archE910ELNS1_3gpuE8ELNS1_3repE0EEENS1_30default_config_static_selectorELNS0_4arch9wavefront6targetE1EEEvT1_,comdat
	.protected	_ZN7rocprim17ROCPRIM_400000_NS6detail17trampoline_kernelINS0_14default_configENS1_35adjacent_difference_config_selectorILb1EyEEZNS1_24adjacent_difference_implIS3_Lb1ELb0EPyS7_N6thrust23THRUST_200600_302600_NS4plusIyEEEE10hipError_tPvRmT2_T3_mT4_P12ihipStream_tbEUlT_E_NS1_11comp_targetILNS1_3genE4ELNS1_11target_archE910ELNS1_3gpuE8ELNS1_3repE0EEENS1_30default_config_static_selectorELNS0_4arch9wavefront6targetE1EEEvT1_ ; -- Begin function _ZN7rocprim17ROCPRIM_400000_NS6detail17trampoline_kernelINS0_14default_configENS1_35adjacent_difference_config_selectorILb1EyEEZNS1_24adjacent_difference_implIS3_Lb1ELb0EPyS7_N6thrust23THRUST_200600_302600_NS4plusIyEEEE10hipError_tPvRmT2_T3_mT4_P12ihipStream_tbEUlT_E_NS1_11comp_targetILNS1_3genE4ELNS1_11target_archE910ELNS1_3gpuE8ELNS1_3repE0EEENS1_30default_config_static_selectorELNS0_4arch9wavefront6targetE1EEEvT1_
	.globl	_ZN7rocprim17ROCPRIM_400000_NS6detail17trampoline_kernelINS0_14default_configENS1_35adjacent_difference_config_selectorILb1EyEEZNS1_24adjacent_difference_implIS3_Lb1ELb0EPyS7_N6thrust23THRUST_200600_302600_NS4plusIyEEEE10hipError_tPvRmT2_T3_mT4_P12ihipStream_tbEUlT_E_NS1_11comp_targetILNS1_3genE4ELNS1_11target_archE910ELNS1_3gpuE8ELNS1_3repE0EEENS1_30default_config_static_selectorELNS0_4arch9wavefront6targetE1EEEvT1_
	.p2align	8
	.type	_ZN7rocprim17ROCPRIM_400000_NS6detail17trampoline_kernelINS0_14default_configENS1_35adjacent_difference_config_selectorILb1EyEEZNS1_24adjacent_difference_implIS3_Lb1ELb0EPyS7_N6thrust23THRUST_200600_302600_NS4plusIyEEEE10hipError_tPvRmT2_T3_mT4_P12ihipStream_tbEUlT_E_NS1_11comp_targetILNS1_3genE4ELNS1_11target_archE910ELNS1_3gpuE8ELNS1_3repE0EEENS1_30default_config_static_selectorELNS0_4arch9wavefront6targetE1EEEvT1_,@function
_ZN7rocprim17ROCPRIM_400000_NS6detail17trampoline_kernelINS0_14default_configENS1_35adjacent_difference_config_selectorILb1EyEEZNS1_24adjacent_difference_implIS3_Lb1ELb0EPyS7_N6thrust23THRUST_200600_302600_NS4plusIyEEEE10hipError_tPvRmT2_T3_mT4_P12ihipStream_tbEUlT_E_NS1_11comp_targetILNS1_3genE4ELNS1_11target_archE910ELNS1_3gpuE8ELNS1_3repE0EEENS1_30default_config_static_selectorELNS0_4arch9wavefront6targetE1EEEvT1_: ; @_ZN7rocprim17ROCPRIM_400000_NS6detail17trampoline_kernelINS0_14default_configENS1_35adjacent_difference_config_selectorILb1EyEEZNS1_24adjacent_difference_implIS3_Lb1ELb0EPyS7_N6thrust23THRUST_200600_302600_NS4plusIyEEEE10hipError_tPvRmT2_T3_mT4_P12ihipStream_tbEUlT_E_NS1_11comp_targetILNS1_3genE4ELNS1_11target_archE910ELNS1_3gpuE8ELNS1_3repE0EEENS1_30default_config_static_selectorELNS0_4arch9wavefront6targetE1EEEvT1_
; %bb.0:
	.section	.rodata,"a",@progbits
	.p2align	6, 0x0
	.amdhsa_kernel _ZN7rocprim17ROCPRIM_400000_NS6detail17trampoline_kernelINS0_14default_configENS1_35adjacent_difference_config_selectorILb1EyEEZNS1_24adjacent_difference_implIS3_Lb1ELb0EPyS7_N6thrust23THRUST_200600_302600_NS4plusIyEEEE10hipError_tPvRmT2_T3_mT4_P12ihipStream_tbEUlT_E_NS1_11comp_targetILNS1_3genE4ELNS1_11target_archE910ELNS1_3gpuE8ELNS1_3repE0EEENS1_30default_config_static_selectorELNS0_4arch9wavefront6targetE1EEEvT1_
		.amdhsa_group_segment_fixed_size 0
		.amdhsa_private_segment_fixed_size 0
		.amdhsa_kernarg_size 56
		.amdhsa_user_sgpr_count 6
		.amdhsa_user_sgpr_private_segment_buffer 1
		.amdhsa_user_sgpr_dispatch_ptr 0
		.amdhsa_user_sgpr_queue_ptr 0
		.amdhsa_user_sgpr_kernarg_segment_ptr 1
		.amdhsa_user_sgpr_dispatch_id 0
		.amdhsa_user_sgpr_flat_scratch_init 0
		.amdhsa_user_sgpr_private_segment_size 0
		.amdhsa_uses_dynamic_stack 0
		.amdhsa_system_sgpr_private_segment_wavefront_offset 0
		.amdhsa_system_sgpr_workgroup_id_x 1
		.amdhsa_system_sgpr_workgroup_id_y 0
		.amdhsa_system_sgpr_workgroup_id_z 0
		.amdhsa_system_sgpr_workgroup_info 0
		.amdhsa_system_vgpr_workitem_id 0
		.amdhsa_next_free_vgpr 1
		.amdhsa_next_free_sgpr 0
		.amdhsa_reserve_vcc 0
		.amdhsa_reserve_flat_scratch 0
		.amdhsa_float_round_mode_32 0
		.amdhsa_float_round_mode_16_64 0
		.amdhsa_float_denorm_mode_32 3
		.amdhsa_float_denorm_mode_16_64 3
		.amdhsa_dx10_clamp 1
		.amdhsa_ieee_mode 1
		.amdhsa_fp16_overflow 0
		.amdhsa_exception_fp_ieee_invalid_op 0
		.amdhsa_exception_fp_denorm_src 0
		.amdhsa_exception_fp_ieee_div_zero 0
		.amdhsa_exception_fp_ieee_overflow 0
		.amdhsa_exception_fp_ieee_underflow 0
		.amdhsa_exception_fp_ieee_inexact 0
		.amdhsa_exception_int_div_zero 0
	.end_amdhsa_kernel
	.section	.text._ZN7rocprim17ROCPRIM_400000_NS6detail17trampoline_kernelINS0_14default_configENS1_35adjacent_difference_config_selectorILb1EyEEZNS1_24adjacent_difference_implIS3_Lb1ELb0EPyS7_N6thrust23THRUST_200600_302600_NS4plusIyEEEE10hipError_tPvRmT2_T3_mT4_P12ihipStream_tbEUlT_E_NS1_11comp_targetILNS1_3genE4ELNS1_11target_archE910ELNS1_3gpuE8ELNS1_3repE0EEENS1_30default_config_static_selectorELNS0_4arch9wavefront6targetE1EEEvT1_,"axG",@progbits,_ZN7rocprim17ROCPRIM_400000_NS6detail17trampoline_kernelINS0_14default_configENS1_35adjacent_difference_config_selectorILb1EyEEZNS1_24adjacent_difference_implIS3_Lb1ELb0EPyS7_N6thrust23THRUST_200600_302600_NS4plusIyEEEE10hipError_tPvRmT2_T3_mT4_P12ihipStream_tbEUlT_E_NS1_11comp_targetILNS1_3genE4ELNS1_11target_archE910ELNS1_3gpuE8ELNS1_3repE0EEENS1_30default_config_static_selectorELNS0_4arch9wavefront6targetE1EEEvT1_,comdat
.Lfunc_end149:
	.size	_ZN7rocprim17ROCPRIM_400000_NS6detail17trampoline_kernelINS0_14default_configENS1_35adjacent_difference_config_selectorILb1EyEEZNS1_24adjacent_difference_implIS3_Lb1ELb0EPyS7_N6thrust23THRUST_200600_302600_NS4plusIyEEEE10hipError_tPvRmT2_T3_mT4_P12ihipStream_tbEUlT_E_NS1_11comp_targetILNS1_3genE4ELNS1_11target_archE910ELNS1_3gpuE8ELNS1_3repE0EEENS1_30default_config_static_selectorELNS0_4arch9wavefront6targetE1EEEvT1_, .Lfunc_end149-_ZN7rocprim17ROCPRIM_400000_NS6detail17trampoline_kernelINS0_14default_configENS1_35adjacent_difference_config_selectorILb1EyEEZNS1_24adjacent_difference_implIS3_Lb1ELb0EPyS7_N6thrust23THRUST_200600_302600_NS4plusIyEEEE10hipError_tPvRmT2_T3_mT4_P12ihipStream_tbEUlT_E_NS1_11comp_targetILNS1_3genE4ELNS1_11target_archE910ELNS1_3gpuE8ELNS1_3repE0EEENS1_30default_config_static_selectorELNS0_4arch9wavefront6targetE1EEEvT1_
                                        ; -- End function
	.set _ZN7rocprim17ROCPRIM_400000_NS6detail17trampoline_kernelINS0_14default_configENS1_35adjacent_difference_config_selectorILb1EyEEZNS1_24adjacent_difference_implIS3_Lb1ELb0EPyS7_N6thrust23THRUST_200600_302600_NS4plusIyEEEE10hipError_tPvRmT2_T3_mT4_P12ihipStream_tbEUlT_E_NS1_11comp_targetILNS1_3genE4ELNS1_11target_archE910ELNS1_3gpuE8ELNS1_3repE0EEENS1_30default_config_static_selectorELNS0_4arch9wavefront6targetE1EEEvT1_.num_vgpr, 0
	.set _ZN7rocprim17ROCPRIM_400000_NS6detail17trampoline_kernelINS0_14default_configENS1_35adjacent_difference_config_selectorILb1EyEEZNS1_24adjacent_difference_implIS3_Lb1ELb0EPyS7_N6thrust23THRUST_200600_302600_NS4plusIyEEEE10hipError_tPvRmT2_T3_mT4_P12ihipStream_tbEUlT_E_NS1_11comp_targetILNS1_3genE4ELNS1_11target_archE910ELNS1_3gpuE8ELNS1_3repE0EEENS1_30default_config_static_selectorELNS0_4arch9wavefront6targetE1EEEvT1_.num_agpr, 0
	.set _ZN7rocprim17ROCPRIM_400000_NS6detail17trampoline_kernelINS0_14default_configENS1_35adjacent_difference_config_selectorILb1EyEEZNS1_24adjacent_difference_implIS3_Lb1ELb0EPyS7_N6thrust23THRUST_200600_302600_NS4plusIyEEEE10hipError_tPvRmT2_T3_mT4_P12ihipStream_tbEUlT_E_NS1_11comp_targetILNS1_3genE4ELNS1_11target_archE910ELNS1_3gpuE8ELNS1_3repE0EEENS1_30default_config_static_selectorELNS0_4arch9wavefront6targetE1EEEvT1_.numbered_sgpr, 0
	.set _ZN7rocprim17ROCPRIM_400000_NS6detail17trampoline_kernelINS0_14default_configENS1_35adjacent_difference_config_selectorILb1EyEEZNS1_24adjacent_difference_implIS3_Lb1ELb0EPyS7_N6thrust23THRUST_200600_302600_NS4plusIyEEEE10hipError_tPvRmT2_T3_mT4_P12ihipStream_tbEUlT_E_NS1_11comp_targetILNS1_3genE4ELNS1_11target_archE910ELNS1_3gpuE8ELNS1_3repE0EEENS1_30default_config_static_selectorELNS0_4arch9wavefront6targetE1EEEvT1_.num_named_barrier, 0
	.set _ZN7rocprim17ROCPRIM_400000_NS6detail17trampoline_kernelINS0_14default_configENS1_35adjacent_difference_config_selectorILb1EyEEZNS1_24adjacent_difference_implIS3_Lb1ELb0EPyS7_N6thrust23THRUST_200600_302600_NS4plusIyEEEE10hipError_tPvRmT2_T3_mT4_P12ihipStream_tbEUlT_E_NS1_11comp_targetILNS1_3genE4ELNS1_11target_archE910ELNS1_3gpuE8ELNS1_3repE0EEENS1_30default_config_static_selectorELNS0_4arch9wavefront6targetE1EEEvT1_.private_seg_size, 0
	.set _ZN7rocprim17ROCPRIM_400000_NS6detail17trampoline_kernelINS0_14default_configENS1_35adjacent_difference_config_selectorILb1EyEEZNS1_24adjacent_difference_implIS3_Lb1ELb0EPyS7_N6thrust23THRUST_200600_302600_NS4plusIyEEEE10hipError_tPvRmT2_T3_mT4_P12ihipStream_tbEUlT_E_NS1_11comp_targetILNS1_3genE4ELNS1_11target_archE910ELNS1_3gpuE8ELNS1_3repE0EEENS1_30default_config_static_selectorELNS0_4arch9wavefront6targetE1EEEvT1_.uses_vcc, 0
	.set _ZN7rocprim17ROCPRIM_400000_NS6detail17trampoline_kernelINS0_14default_configENS1_35adjacent_difference_config_selectorILb1EyEEZNS1_24adjacent_difference_implIS3_Lb1ELb0EPyS7_N6thrust23THRUST_200600_302600_NS4plusIyEEEE10hipError_tPvRmT2_T3_mT4_P12ihipStream_tbEUlT_E_NS1_11comp_targetILNS1_3genE4ELNS1_11target_archE910ELNS1_3gpuE8ELNS1_3repE0EEENS1_30default_config_static_selectorELNS0_4arch9wavefront6targetE1EEEvT1_.uses_flat_scratch, 0
	.set _ZN7rocprim17ROCPRIM_400000_NS6detail17trampoline_kernelINS0_14default_configENS1_35adjacent_difference_config_selectorILb1EyEEZNS1_24adjacent_difference_implIS3_Lb1ELb0EPyS7_N6thrust23THRUST_200600_302600_NS4plusIyEEEE10hipError_tPvRmT2_T3_mT4_P12ihipStream_tbEUlT_E_NS1_11comp_targetILNS1_3genE4ELNS1_11target_archE910ELNS1_3gpuE8ELNS1_3repE0EEENS1_30default_config_static_selectorELNS0_4arch9wavefront6targetE1EEEvT1_.has_dyn_sized_stack, 0
	.set _ZN7rocprim17ROCPRIM_400000_NS6detail17trampoline_kernelINS0_14default_configENS1_35adjacent_difference_config_selectorILb1EyEEZNS1_24adjacent_difference_implIS3_Lb1ELb0EPyS7_N6thrust23THRUST_200600_302600_NS4plusIyEEEE10hipError_tPvRmT2_T3_mT4_P12ihipStream_tbEUlT_E_NS1_11comp_targetILNS1_3genE4ELNS1_11target_archE910ELNS1_3gpuE8ELNS1_3repE0EEENS1_30default_config_static_selectorELNS0_4arch9wavefront6targetE1EEEvT1_.has_recursion, 0
	.set _ZN7rocprim17ROCPRIM_400000_NS6detail17trampoline_kernelINS0_14default_configENS1_35adjacent_difference_config_selectorILb1EyEEZNS1_24adjacent_difference_implIS3_Lb1ELb0EPyS7_N6thrust23THRUST_200600_302600_NS4plusIyEEEE10hipError_tPvRmT2_T3_mT4_P12ihipStream_tbEUlT_E_NS1_11comp_targetILNS1_3genE4ELNS1_11target_archE910ELNS1_3gpuE8ELNS1_3repE0EEENS1_30default_config_static_selectorELNS0_4arch9wavefront6targetE1EEEvT1_.has_indirect_call, 0
	.section	.AMDGPU.csdata,"",@progbits
; Kernel info:
; codeLenInByte = 0
; TotalNumSgprs: 4
; NumVgprs: 0
; ScratchSize: 0
; MemoryBound: 0
; FloatMode: 240
; IeeeMode: 1
; LDSByteSize: 0 bytes/workgroup (compile time only)
; SGPRBlocks: 0
; VGPRBlocks: 0
; NumSGPRsForWavesPerEU: 4
; NumVGPRsForWavesPerEU: 1
; Occupancy: 10
; WaveLimiterHint : 0
; COMPUTE_PGM_RSRC2:SCRATCH_EN: 0
; COMPUTE_PGM_RSRC2:USER_SGPR: 6
; COMPUTE_PGM_RSRC2:TRAP_HANDLER: 0
; COMPUTE_PGM_RSRC2:TGID_X_EN: 1
; COMPUTE_PGM_RSRC2:TGID_Y_EN: 0
; COMPUTE_PGM_RSRC2:TGID_Z_EN: 0
; COMPUTE_PGM_RSRC2:TIDIG_COMP_CNT: 0
	.section	.text._ZN7rocprim17ROCPRIM_400000_NS6detail17trampoline_kernelINS0_14default_configENS1_35adjacent_difference_config_selectorILb1EyEEZNS1_24adjacent_difference_implIS3_Lb1ELb0EPyS7_N6thrust23THRUST_200600_302600_NS4plusIyEEEE10hipError_tPvRmT2_T3_mT4_P12ihipStream_tbEUlT_E_NS1_11comp_targetILNS1_3genE3ELNS1_11target_archE908ELNS1_3gpuE7ELNS1_3repE0EEENS1_30default_config_static_selectorELNS0_4arch9wavefront6targetE1EEEvT1_,"axG",@progbits,_ZN7rocprim17ROCPRIM_400000_NS6detail17trampoline_kernelINS0_14default_configENS1_35adjacent_difference_config_selectorILb1EyEEZNS1_24adjacent_difference_implIS3_Lb1ELb0EPyS7_N6thrust23THRUST_200600_302600_NS4plusIyEEEE10hipError_tPvRmT2_T3_mT4_P12ihipStream_tbEUlT_E_NS1_11comp_targetILNS1_3genE3ELNS1_11target_archE908ELNS1_3gpuE7ELNS1_3repE0EEENS1_30default_config_static_selectorELNS0_4arch9wavefront6targetE1EEEvT1_,comdat
	.protected	_ZN7rocprim17ROCPRIM_400000_NS6detail17trampoline_kernelINS0_14default_configENS1_35adjacent_difference_config_selectorILb1EyEEZNS1_24adjacent_difference_implIS3_Lb1ELb0EPyS7_N6thrust23THRUST_200600_302600_NS4plusIyEEEE10hipError_tPvRmT2_T3_mT4_P12ihipStream_tbEUlT_E_NS1_11comp_targetILNS1_3genE3ELNS1_11target_archE908ELNS1_3gpuE7ELNS1_3repE0EEENS1_30default_config_static_selectorELNS0_4arch9wavefront6targetE1EEEvT1_ ; -- Begin function _ZN7rocprim17ROCPRIM_400000_NS6detail17trampoline_kernelINS0_14default_configENS1_35adjacent_difference_config_selectorILb1EyEEZNS1_24adjacent_difference_implIS3_Lb1ELb0EPyS7_N6thrust23THRUST_200600_302600_NS4plusIyEEEE10hipError_tPvRmT2_T3_mT4_P12ihipStream_tbEUlT_E_NS1_11comp_targetILNS1_3genE3ELNS1_11target_archE908ELNS1_3gpuE7ELNS1_3repE0EEENS1_30default_config_static_selectorELNS0_4arch9wavefront6targetE1EEEvT1_
	.globl	_ZN7rocprim17ROCPRIM_400000_NS6detail17trampoline_kernelINS0_14default_configENS1_35adjacent_difference_config_selectorILb1EyEEZNS1_24adjacent_difference_implIS3_Lb1ELb0EPyS7_N6thrust23THRUST_200600_302600_NS4plusIyEEEE10hipError_tPvRmT2_T3_mT4_P12ihipStream_tbEUlT_E_NS1_11comp_targetILNS1_3genE3ELNS1_11target_archE908ELNS1_3gpuE7ELNS1_3repE0EEENS1_30default_config_static_selectorELNS0_4arch9wavefront6targetE1EEEvT1_
	.p2align	8
	.type	_ZN7rocprim17ROCPRIM_400000_NS6detail17trampoline_kernelINS0_14default_configENS1_35adjacent_difference_config_selectorILb1EyEEZNS1_24adjacent_difference_implIS3_Lb1ELb0EPyS7_N6thrust23THRUST_200600_302600_NS4plusIyEEEE10hipError_tPvRmT2_T3_mT4_P12ihipStream_tbEUlT_E_NS1_11comp_targetILNS1_3genE3ELNS1_11target_archE908ELNS1_3gpuE7ELNS1_3repE0EEENS1_30default_config_static_selectorELNS0_4arch9wavefront6targetE1EEEvT1_,@function
_ZN7rocprim17ROCPRIM_400000_NS6detail17trampoline_kernelINS0_14default_configENS1_35adjacent_difference_config_selectorILb1EyEEZNS1_24adjacent_difference_implIS3_Lb1ELb0EPyS7_N6thrust23THRUST_200600_302600_NS4plusIyEEEE10hipError_tPvRmT2_T3_mT4_P12ihipStream_tbEUlT_E_NS1_11comp_targetILNS1_3genE3ELNS1_11target_archE908ELNS1_3gpuE7ELNS1_3repE0EEENS1_30default_config_static_selectorELNS0_4arch9wavefront6targetE1EEEvT1_: ; @_ZN7rocprim17ROCPRIM_400000_NS6detail17trampoline_kernelINS0_14default_configENS1_35adjacent_difference_config_selectorILb1EyEEZNS1_24adjacent_difference_implIS3_Lb1ELb0EPyS7_N6thrust23THRUST_200600_302600_NS4plusIyEEEE10hipError_tPvRmT2_T3_mT4_P12ihipStream_tbEUlT_E_NS1_11comp_targetILNS1_3genE3ELNS1_11target_archE908ELNS1_3gpuE7ELNS1_3repE0EEENS1_30default_config_static_selectorELNS0_4arch9wavefront6targetE1EEEvT1_
; %bb.0:
	.section	.rodata,"a",@progbits
	.p2align	6, 0x0
	.amdhsa_kernel _ZN7rocprim17ROCPRIM_400000_NS6detail17trampoline_kernelINS0_14default_configENS1_35adjacent_difference_config_selectorILb1EyEEZNS1_24adjacent_difference_implIS3_Lb1ELb0EPyS7_N6thrust23THRUST_200600_302600_NS4plusIyEEEE10hipError_tPvRmT2_T3_mT4_P12ihipStream_tbEUlT_E_NS1_11comp_targetILNS1_3genE3ELNS1_11target_archE908ELNS1_3gpuE7ELNS1_3repE0EEENS1_30default_config_static_selectorELNS0_4arch9wavefront6targetE1EEEvT1_
		.amdhsa_group_segment_fixed_size 0
		.amdhsa_private_segment_fixed_size 0
		.amdhsa_kernarg_size 56
		.amdhsa_user_sgpr_count 6
		.amdhsa_user_sgpr_private_segment_buffer 1
		.amdhsa_user_sgpr_dispatch_ptr 0
		.amdhsa_user_sgpr_queue_ptr 0
		.amdhsa_user_sgpr_kernarg_segment_ptr 1
		.amdhsa_user_sgpr_dispatch_id 0
		.amdhsa_user_sgpr_flat_scratch_init 0
		.amdhsa_user_sgpr_private_segment_size 0
		.amdhsa_uses_dynamic_stack 0
		.amdhsa_system_sgpr_private_segment_wavefront_offset 0
		.amdhsa_system_sgpr_workgroup_id_x 1
		.amdhsa_system_sgpr_workgroup_id_y 0
		.amdhsa_system_sgpr_workgroup_id_z 0
		.amdhsa_system_sgpr_workgroup_info 0
		.amdhsa_system_vgpr_workitem_id 0
		.amdhsa_next_free_vgpr 1
		.amdhsa_next_free_sgpr 0
		.amdhsa_reserve_vcc 0
		.amdhsa_reserve_flat_scratch 0
		.amdhsa_float_round_mode_32 0
		.amdhsa_float_round_mode_16_64 0
		.amdhsa_float_denorm_mode_32 3
		.amdhsa_float_denorm_mode_16_64 3
		.amdhsa_dx10_clamp 1
		.amdhsa_ieee_mode 1
		.amdhsa_fp16_overflow 0
		.amdhsa_exception_fp_ieee_invalid_op 0
		.amdhsa_exception_fp_denorm_src 0
		.amdhsa_exception_fp_ieee_div_zero 0
		.amdhsa_exception_fp_ieee_overflow 0
		.amdhsa_exception_fp_ieee_underflow 0
		.amdhsa_exception_fp_ieee_inexact 0
		.amdhsa_exception_int_div_zero 0
	.end_amdhsa_kernel
	.section	.text._ZN7rocprim17ROCPRIM_400000_NS6detail17trampoline_kernelINS0_14default_configENS1_35adjacent_difference_config_selectorILb1EyEEZNS1_24adjacent_difference_implIS3_Lb1ELb0EPyS7_N6thrust23THRUST_200600_302600_NS4plusIyEEEE10hipError_tPvRmT2_T3_mT4_P12ihipStream_tbEUlT_E_NS1_11comp_targetILNS1_3genE3ELNS1_11target_archE908ELNS1_3gpuE7ELNS1_3repE0EEENS1_30default_config_static_selectorELNS0_4arch9wavefront6targetE1EEEvT1_,"axG",@progbits,_ZN7rocprim17ROCPRIM_400000_NS6detail17trampoline_kernelINS0_14default_configENS1_35adjacent_difference_config_selectorILb1EyEEZNS1_24adjacent_difference_implIS3_Lb1ELb0EPyS7_N6thrust23THRUST_200600_302600_NS4plusIyEEEE10hipError_tPvRmT2_T3_mT4_P12ihipStream_tbEUlT_E_NS1_11comp_targetILNS1_3genE3ELNS1_11target_archE908ELNS1_3gpuE7ELNS1_3repE0EEENS1_30default_config_static_selectorELNS0_4arch9wavefront6targetE1EEEvT1_,comdat
.Lfunc_end150:
	.size	_ZN7rocprim17ROCPRIM_400000_NS6detail17trampoline_kernelINS0_14default_configENS1_35adjacent_difference_config_selectorILb1EyEEZNS1_24adjacent_difference_implIS3_Lb1ELb0EPyS7_N6thrust23THRUST_200600_302600_NS4plusIyEEEE10hipError_tPvRmT2_T3_mT4_P12ihipStream_tbEUlT_E_NS1_11comp_targetILNS1_3genE3ELNS1_11target_archE908ELNS1_3gpuE7ELNS1_3repE0EEENS1_30default_config_static_selectorELNS0_4arch9wavefront6targetE1EEEvT1_, .Lfunc_end150-_ZN7rocprim17ROCPRIM_400000_NS6detail17trampoline_kernelINS0_14default_configENS1_35adjacent_difference_config_selectorILb1EyEEZNS1_24adjacent_difference_implIS3_Lb1ELb0EPyS7_N6thrust23THRUST_200600_302600_NS4plusIyEEEE10hipError_tPvRmT2_T3_mT4_P12ihipStream_tbEUlT_E_NS1_11comp_targetILNS1_3genE3ELNS1_11target_archE908ELNS1_3gpuE7ELNS1_3repE0EEENS1_30default_config_static_selectorELNS0_4arch9wavefront6targetE1EEEvT1_
                                        ; -- End function
	.set _ZN7rocprim17ROCPRIM_400000_NS6detail17trampoline_kernelINS0_14default_configENS1_35adjacent_difference_config_selectorILb1EyEEZNS1_24adjacent_difference_implIS3_Lb1ELb0EPyS7_N6thrust23THRUST_200600_302600_NS4plusIyEEEE10hipError_tPvRmT2_T3_mT4_P12ihipStream_tbEUlT_E_NS1_11comp_targetILNS1_3genE3ELNS1_11target_archE908ELNS1_3gpuE7ELNS1_3repE0EEENS1_30default_config_static_selectorELNS0_4arch9wavefront6targetE1EEEvT1_.num_vgpr, 0
	.set _ZN7rocprim17ROCPRIM_400000_NS6detail17trampoline_kernelINS0_14default_configENS1_35adjacent_difference_config_selectorILb1EyEEZNS1_24adjacent_difference_implIS3_Lb1ELb0EPyS7_N6thrust23THRUST_200600_302600_NS4plusIyEEEE10hipError_tPvRmT2_T3_mT4_P12ihipStream_tbEUlT_E_NS1_11comp_targetILNS1_3genE3ELNS1_11target_archE908ELNS1_3gpuE7ELNS1_3repE0EEENS1_30default_config_static_selectorELNS0_4arch9wavefront6targetE1EEEvT1_.num_agpr, 0
	.set _ZN7rocprim17ROCPRIM_400000_NS6detail17trampoline_kernelINS0_14default_configENS1_35adjacent_difference_config_selectorILb1EyEEZNS1_24adjacent_difference_implIS3_Lb1ELb0EPyS7_N6thrust23THRUST_200600_302600_NS4plusIyEEEE10hipError_tPvRmT2_T3_mT4_P12ihipStream_tbEUlT_E_NS1_11comp_targetILNS1_3genE3ELNS1_11target_archE908ELNS1_3gpuE7ELNS1_3repE0EEENS1_30default_config_static_selectorELNS0_4arch9wavefront6targetE1EEEvT1_.numbered_sgpr, 0
	.set _ZN7rocprim17ROCPRIM_400000_NS6detail17trampoline_kernelINS0_14default_configENS1_35adjacent_difference_config_selectorILb1EyEEZNS1_24adjacent_difference_implIS3_Lb1ELb0EPyS7_N6thrust23THRUST_200600_302600_NS4plusIyEEEE10hipError_tPvRmT2_T3_mT4_P12ihipStream_tbEUlT_E_NS1_11comp_targetILNS1_3genE3ELNS1_11target_archE908ELNS1_3gpuE7ELNS1_3repE0EEENS1_30default_config_static_selectorELNS0_4arch9wavefront6targetE1EEEvT1_.num_named_barrier, 0
	.set _ZN7rocprim17ROCPRIM_400000_NS6detail17trampoline_kernelINS0_14default_configENS1_35adjacent_difference_config_selectorILb1EyEEZNS1_24adjacent_difference_implIS3_Lb1ELb0EPyS7_N6thrust23THRUST_200600_302600_NS4plusIyEEEE10hipError_tPvRmT2_T3_mT4_P12ihipStream_tbEUlT_E_NS1_11comp_targetILNS1_3genE3ELNS1_11target_archE908ELNS1_3gpuE7ELNS1_3repE0EEENS1_30default_config_static_selectorELNS0_4arch9wavefront6targetE1EEEvT1_.private_seg_size, 0
	.set _ZN7rocprim17ROCPRIM_400000_NS6detail17trampoline_kernelINS0_14default_configENS1_35adjacent_difference_config_selectorILb1EyEEZNS1_24adjacent_difference_implIS3_Lb1ELb0EPyS7_N6thrust23THRUST_200600_302600_NS4plusIyEEEE10hipError_tPvRmT2_T3_mT4_P12ihipStream_tbEUlT_E_NS1_11comp_targetILNS1_3genE3ELNS1_11target_archE908ELNS1_3gpuE7ELNS1_3repE0EEENS1_30default_config_static_selectorELNS0_4arch9wavefront6targetE1EEEvT1_.uses_vcc, 0
	.set _ZN7rocprim17ROCPRIM_400000_NS6detail17trampoline_kernelINS0_14default_configENS1_35adjacent_difference_config_selectorILb1EyEEZNS1_24adjacent_difference_implIS3_Lb1ELb0EPyS7_N6thrust23THRUST_200600_302600_NS4plusIyEEEE10hipError_tPvRmT2_T3_mT4_P12ihipStream_tbEUlT_E_NS1_11comp_targetILNS1_3genE3ELNS1_11target_archE908ELNS1_3gpuE7ELNS1_3repE0EEENS1_30default_config_static_selectorELNS0_4arch9wavefront6targetE1EEEvT1_.uses_flat_scratch, 0
	.set _ZN7rocprim17ROCPRIM_400000_NS6detail17trampoline_kernelINS0_14default_configENS1_35adjacent_difference_config_selectorILb1EyEEZNS1_24adjacent_difference_implIS3_Lb1ELb0EPyS7_N6thrust23THRUST_200600_302600_NS4plusIyEEEE10hipError_tPvRmT2_T3_mT4_P12ihipStream_tbEUlT_E_NS1_11comp_targetILNS1_3genE3ELNS1_11target_archE908ELNS1_3gpuE7ELNS1_3repE0EEENS1_30default_config_static_selectorELNS0_4arch9wavefront6targetE1EEEvT1_.has_dyn_sized_stack, 0
	.set _ZN7rocprim17ROCPRIM_400000_NS6detail17trampoline_kernelINS0_14default_configENS1_35adjacent_difference_config_selectorILb1EyEEZNS1_24adjacent_difference_implIS3_Lb1ELb0EPyS7_N6thrust23THRUST_200600_302600_NS4plusIyEEEE10hipError_tPvRmT2_T3_mT4_P12ihipStream_tbEUlT_E_NS1_11comp_targetILNS1_3genE3ELNS1_11target_archE908ELNS1_3gpuE7ELNS1_3repE0EEENS1_30default_config_static_selectorELNS0_4arch9wavefront6targetE1EEEvT1_.has_recursion, 0
	.set _ZN7rocprim17ROCPRIM_400000_NS6detail17trampoline_kernelINS0_14default_configENS1_35adjacent_difference_config_selectorILb1EyEEZNS1_24adjacent_difference_implIS3_Lb1ELb0EPyS7_N6thrust23THRUST_200600_302600_NS4plusIyEEEE10hipError_tPvRmT2_T3_mT4_P12ihipStream_tbEUlT_E_NS1_11comp_targetILNS1_3genE3ELNS1_11target_archE908ELNS1_3gpuE7ELNS1_3repE0EEENS1_30default_config_static_selectorELNS0_4arch9wavefront6targetE1EEEvT1_.has_indirect_call, 0
	.section	.AMDGPU.csdata,"",@progbits
; Kernel info:
; codeLenInByte = 0
; TotalNumSgprs: 4
; NumVgprs: 0
; ScratchSize: 0
; MemoryBound: 0
; FloatMode: 240
; IeeeMode: 1
; LDSByteSize: 0 bytes/workgroup (compile time only)
; SGPRBlocks: 0
; VGPRBlocks: 0
; NumSGPRsForWavesPerEU: 4
; NumVGPRsForWavesPerEU: 1
; Occupancy: 10
; WaveLimiterHint : 0
; COMPUTE_PGM_RSRC2:SCRATCH_EN: 0
; COMPUTE_PGM_RSRC2:USER_SGPR: 6
; COMPUTE_PGM_RSRC2:TRAP_HANDLER: 0
; COMPUTE_PGM_RSRC2:TGID_X_EN: 1
; COMPUTE_PGM_RSRC2:TGID_Y_EN: 0
; COMPUTE_PGM_RSRC2:TGID_Z_EN: 0
; COMPUTE_PGM_RSRC2:TIDIG_COMP_CNT: 0
	.section	.text._ZN7rocprim17ROCPRIM_400000_NS6detail17trampoline_kernelINS0_14default_configENS1_35adjacent_difference_config_selectorILb1EyEEZNS1_24adjacent_difference_implIS3_Lb1ELb0EPyS7_N6thrust23THRUST_200600_302600_NS4plusIyEEEE10hipError_tPvRmT2_T3_mT4_P12ihipStream_tbEUlT_E_NS1_11comp_targetILNS1_3genE2ELNS1_11target_archE906ELNS1_3gpuE6ELNS1_3repE0EEENS1_30default_config_static_selectorELNS0_4arch9wavefront6targetE1EEEvT1_,"axG",@progbits,_ZN7rocprim17ROCPRIM_400000_NS6detail17trampoline_kernelINS0_14default_configENS1_35adjacent_difference_config_selectorILb1EyEEZNS1_24adjacent_difference_implIS3_Lb1ELb0EPyS7_N6thrust23THRUST_200600_302600_NS4plusIyEEEE10hipError_tPvRmT2_T3_mT4_P12ihipStream_tbEUlT_E_NS1_11comp_targetILNS1_3genE2ELNS1_11target_archE906ELNS1_3gpuE6ELNS1_3repE0EEENS1_30default_config_static_selectorELNS0_4arch9wavefront6targetE1EEEvT1_,comdat
	.protected	_ZN7rocprim17ROCPRIM_400000_NS6detail17trampoline_kernelINS0_14default_configENS1_35adjacent_difference_config_selectorILb1EyEEZNS1_24adjacent_difference_implIS3_Lb1ELb0EPyS7_N6thrust23THRUST_200600_302600_NS4plusIyEEEE10hipError_tPvRmT2_T3_mT4_P12ihipStream_tbEUlT_E_NS1_11comp_targetILNS1_3genE2ELNS1_11target_archE906ELNS1_3gpuE6ELNS1_3repE0EEENS1_30default_config_static_selectorELNS0_4arch9wavefront6targetE1EEEvT1_ ; -- Begin function _ZN7rocprim17ROCPRIM_400000_NS6detail17trampoline_kernelINS0_14default_configENS1_35adjacent_difference_config_selectorILb1EyEEZNS1_24adjacent_difference_implIS3_Lb1ELb0EPyS7_N6thrust23THRUST_200600_302600_NS4plusIyEEEE10hipError_tPvRmT2_T3_mT4_P12ihipStream_tbEUlT_E_NS1_11comp_targetILNS1_3genE2ELNS1_11target_archE906ELNS1_3gpuE6ELNS1_3repE0EEENS1_30default_config_static_selectorELNS0_4arch9wavefront6targetE1EEEvT1_
	.globl	_ZN7rocprim17ROCPRIM_400000_NS6detail17trampoline_kernelINS0_14default_configENS1_35adjacent_difference_config_selectorILb1EyEEZNS1_24adjacent_difference_implIS3_Lb1ELb0EPyS7_N6thrust23THRUST_200600_302600_NS4plusIyEEEE10hipError_tPvRmT2_T3_mT4_P12ihipStream_tbEUlT_E_NS1_11comp_targetILNS1_3genE2ELNS1_11target_archE906ELNS1_3gpuE6ELNS1_3repE0EEENS1_30default_config_static_selectorELNS0_4arch9wavefront6targetE1EEEvT1_
	.p2align	8
	.type	_ZN7rocprim17ROCPRIM_400000_NS6detail17trampoline_kernelINS0_14default_configENS1_35adjacent_difference_config_selectorILb1EyEEZNS1_24adjacent_difference_implIS3_Lb1ELb0EPyS7_N6thrust23THRUST_200600_302600_NS4plusIyEEEE10hipError_tPvRmT2_T3_mT4_P12ihipStream_tbEUlT_E_NS1_11comp_targetILNS1_3genE2ELNS1_11target_archE906ELNS1_3gpuE6ELNS1_3repE0EEENS1_30default_config_static_selectorELNS0_4arch9wavefront6targetE1EEEvT1_,@function
_ZN7rocprim17ROCPRIM_400000_NS6detail17trampoline_kernelINS0_14default_configENS1_35adjacent_difference_config_selectorILb1EyEEZNS1_24adjacent_difference_implIS3_Lb1ELb0EPyS7_N6thrust23THRUST_200600_302600_NS4plusIyEEEE10hipError_tPvRmT2_T3_mT4_P12ihipStream_tbEUlT_E_NS1_11comp_targetILNS1_3genE2ELNS1_11target_archE906ELNS1_3gpuE6ELNS1_3repE0EEENS1_30default_config_static_selectorELNS0_4arch9wavefront6targetE1EEEvT1_: ; @_ZN7rocprim17ROCPRIM_400000_NS6detail17trampoline_kernelINS0_14default_configENS1_35adjacent_difference_config_selectorILb1EyEEZNS1_24adjacent_difference_implIS3_Lb1ELb0EPyS7_N6thrust23THRUST_200600_302600_NS4plusIyEEEE10hipError_tPvRmT2_T3_mT4_P12ihipStream_tbEUlT_E_NS1_11comp_targetILNS1_3genE2ELNS1_11target_archE906ELNS1_3gpuE6ELNS1_3repE0EEENS1_30default_config_static_selectorELNS0_4arch9wavefront6targetE1EEEvT1_
; %bb.0:
	s_load_dwordx8 s[8:15], s[4:5], 0x0
	s_load_dwordx4 s[16:19], s[4:5], 0x28
	s_mul_i32 s4, s6, 0x580
	s_mov_b32 s7, 0
	s_mov_b64 s[22:23], -1
	s_waitcnt lgkmcnt(0)
	s_lshl_b64 s[10:11], s[10:11], 3
	s_add_u32 s26, s8, s10
	s_addc_u32 s27, s9, s11
	s_mul_i32 s3, s15, 0xba2e8ba3
	s_mul_hi_u32 s5, s14, 0xba2e8ba3
	s_mul_hi_u32 s2, s15, 0xba2e8ba3
	s_add_u32 s3, s3, s5
	s_mul_i32 s1, s14, 0x2e8ba2e8
	s_addc_u32 s2, s2, 0
	s_mul_hi_u32 s0, s14, 0x2e8ba2e8
	s_add_u32 s1, s1, s3
	s_addc_u32 s0, s0, 0
	s_add_u32 s0, s2, s0
	s_addc_u32 s1, 0, 0
	s_mul_i32 s3, s15, 0x2e8ba2e8
	s_mul_hi_u32 s2, s15, 0x2e8ba2e8
	s_add_u32 s0, s3, s0
	s_addc_u32 s1, s2, s1
	s_lshr_b64 s[2:3], s[0:1], 8
	s_lshr_b32 s0, s1, 8
	s_mulk_i32 s0, 0x580
	s_mul_hi_u32 s1, s2, 0x580
	s_add_i32 s1, s1, s0
	s_mul_i32 s0, s2, 0x580
	s_sub_u32 s0, s14, s0
	s_subb_u32 s1, s15, s1
	s_cmp_lg_u64 s[0:1], 0
	s_cselect_b64 s[0:1], -1, 0
	v_cndmask_b32_e64 v1, 0, 1, s[0:1]
	v_readfirstlane_b32 s0, v1
	s_add_u32 s2, s2, s0
	s_addc_u32 s3, s3, 0
	s_add_u32 s8, s18, s6
	s_addc_u32 s9, s19, 0
	s_add_u32 s20, s2, -1
	s_addc_u32 s21, s3, -1
	v_mov_b32_e32 v1, s20
	v_mov_b32_e32 v2, s21
	v_cmp_ge_u64_e64 s[0:1], s[8:9], v[1:2]
	s_mul_i32 s15, s20, 0xfffffa80
	s_and_b64 vcc, exec, s[0:1]
	s_cbranch_vccz .LBB151_24
; %bb.1:
	s_mov_b32 s5, s7
	s_add_i32 s28, s15, s14
	s_lshl_b64 s[22:23], s[4:5], 3
	s_add_u32 s22, s26, s22
	s_addc_u32 s23, s27, s23
	v_cmp_gt_u32_e32 vcc, s28, v0
                                        ; implicit-def: $vgpr1_vgpr2
	s_and_saveexec_b64 s[24:25], vcc
	s_cbranch_execz .LBB151_3
; %bb.2:
	v_lshlrev_b32_e32 v1, 3, v0
	global_load_dwordx2 v[1:2], v1, s[22:23]
.LBB151_3:
	s_or_b64 exec, exec, s[24:25]
	v_or_b32_e32 v3, 0x80, v0
	v_cmp_gt_u32_e32 vcc, s28, v3
                                        ; implicit-def: $vgpr3_vgpr4
	s_and_saveexec_b64 s[24:25], vcc
	s_cbranch_execz .LBB151_5
; %bb.4:
	v_lshlrev_b32_e32 v3, 3, v0
	global_load_dwordx2 v[3:4], v3, s[22:23] offset:1024
.LBB151_5:
	s_or_b64 exec, exec, s[24:25]
	v_or_b32_e32 v5, 0x100, v0
	v_cmp_gt_u32_e32 vcc, s28, v5
                                        ; implicit-def: $vgpr5_vgpr6
	s_and_saveexec_b64 s[24:25], vcc
	s_cbranch_execz .LBB151_7
; %bb.6:
	v_lshlrev_b32_e32 v5, 3, v0
	global_load_dwordx2 v[5:6], v5, s[22:23] offset:2048
.LBB151_7:
	s_or_b64 exec, exec, s[24:25]
	v_or_b32_e32 v7, 0x180, v0
	v_cmp_gt_u32_e32 vcc, s28, v7
                                        ; implicit-def: $vgpr7_vgpr8
	s_and_saveexec_b64 s[24:25], vcc
	s_cbranch_execz .LBB151_9
; %bb.8:
	v_lshlrev_b32_e32 v7, 3, v0
	global_load_dwordx2 v[7:8], v7, s[22:23] offset:3072
.LBB151_9:
	s_or_b64 exec, exec, s[24:25]
	v_or_b32_e32 v11, 0x200, v0
	v_cmp_gt_u32_e32 vcc, s28, v11
                                        ; implicit-def: $vgpr9_vgpr10
	s_and_saveexec_b64 s[24:25], vcc
	s_cbranch_execz .LBB151_11
; %bb.10:
	v_lshlrev_b32_e32 v9, 3, v11
	global_load_dwordx2 v[9:10], v9, s[22:23]
.LBB151_11:
	s_or_b64 exec, exec, s[24:25]
	v_or_b32_e32 v13, 0x280, v0
	v_cmp_gt_u32_e32 vcc, s28, v13
                                        ; implicit-def: $vgpr11_vgpr12
	s_and_saveexec_b64 s[24:25], vcc
	s_cbranch_execz .LBB151_13
; %bb.12:
	v_lshlrev_b32_e32 v11, 3, v13
	global_load_dwordx2 v[11:12], v11, s[22:23]
.LBB151_13:
	s_or_b64 exec, exec, s[24:25]
	v_or_b32_e32 v15, 0x300, v0
	v_cmp_gt_u32_e32 vcc, s28, v15
                                        ; implicit-def: $vgpr13_vgpr14
	s_and_saveexec_b64 s[24:25], vcc
	s_cbranch_execz .LBB151_15
; %bb.14:
	v_lshlrev_b32_e32 v13, 3, v15
	global_load_dwordx2 v[13:14], v13, s[22:23]
.LBB151_15:
	s_or_b64 exec, exec, s[24:25]
	v_or_b32_e32 v17, 0x380, v0
	v_cmp_gt_u32_e32 vcc, s28, v17
                                        ; implicit-def: $vgpr15_vgpr16
	s_and_saveexec_b64 s[24:25], vcc
	s_cbranch_execz .LBB151_17
; %bb.16:
	v_lshlrev_b32_e32 v15, 3, v17
	global_load_dwordx2 v[15:16], v15, s[22:23]
.LBB151_17:
	s_or_b64 exec, exec, s[24:25]
	v_or_b32_e32 v19, 0x400, v0
	v_cmp_gt_u32_e32 vcc, s28, v19
                                        ; implicit-def: $vgpr17_vgpr18
	s_and_saveexec_b64 s[24:25], vcc
	s_cbranch_execz .LBB151_19
; %bb.18:
	v_lshlrev_b32_e32 v17, 3, v19
	global_load_dwordx2 v[17:18], v17, s[22:23]
.LBB151_19:
	s_or_b64 exec, exec, s[24:25]
	v_or_b32_e32 v21, 0x480, v0
	v_cmp_gt_u32_e32 vcc, s28, v21
                                        ; implicit-def: $vgpr19_vgpr20
	s_and_saveexec_b64 s[24:25], vcc
	s_cbranch_execz .LBB151_21
; %bb.20:
	v_lshlrev_b32_e32 v19, 3, v21
	global_load_dwordx2 v[19:20], v19, s[22:23]
.LBB151_21:
	s_or_b64 exec, exec, s[24:25]
	v_or_b32_e32 v23, 0x500, v0
	v_cmp_gt_u32_e32 vcc, s28, v23
                                        ; implicit-def: $vgpr21_vgpr22
	s_and_saveexec_b64 s[24:25], vcc
	s_cbranch_execz .LBB151_23
; %bb.22:
	v_lshlrev_b32_e32 v21, 3, v23
	global_load_dwordx2 v[21:22], v21, s[22:23]
.LBB151_23:
	s_or_b64 exec, exec, s[24:25]
	v_lshlrev_b32_e32 v23, 3, v0
	s_mov_b64 s[22:23], 0
	s_waitcnt vmcnt(0)
	ds_write2st64_b64 v23, v[1:2], v[3:4] offset1:2
	ds_write2st64_b64 v23, v[5:6], v[7:8] offset0:4 offset1:6
	ds_write2st64_b64 v23, v[9:10], v[11:12] offset0:8 offset1:10
	;; [unrolled: 1-line block ×4, first 2 shown]
	ds_write_b64 v23, v[21:22] offset:10240
	s_waitcnt lgkmcnt(0)
	s_barrier
.LBB151_24:
	s_and_b64 vcc, exec, s[22:23]
	v_lshlrev_b32_e32 v45, 3, v0
	s_cbranch_vccz .LBB151_26
; %bb.25:
	s_mov_b32 s5, 0
	s_lshl_b64 s[22:23], s[4:5], 3
	s_add_u32 s22, s26, s22
	s_addc_u32 s23, s27, s23
	v_mov_b32_e32 v1, s23
	v_add_co_u32_e32 v19, vcc, s22, v45
	v_addc_co_u32_e32 v20, vcc, 0, v1, vcc
	v_add_co_u32_e32 v9, vcc, 0x1000, v19
	v_addc_co_u32_e32 v10, vcc, 0, v20, vcc
	global_load_dwordx2 v[1:2], v45, s[22:23]
	global_load_dwordx2 v[3:4], v45, s[22:23] offset:1024
	global_load_dwordx2 v[5:6], v45, s[22:23] offset:2048
	;; [unrolled: 1-line block ×3, first 2 shown]
	global_load_dwordx2 v[11:12], v[9:10], off
	global_load_dwordx2 v[13:14], v[9:10], off offset:1024
	global_load_dwordx2 v[15:16], v[9:10], off offset:2048
	global_load_dwordx2 v[17:18], v[9:10], off offset:3072
	v_add_co_u32_e32 v9, vcc, 0x2000, v19
	v_addc_co_u32_e32 v10, vcc, 0, v20, vcc
	global_load_dwordx2 v[19:20], v[9:10], off
	global_load_dwordx2 v[21:22], v[9:10], off offset:1024
	global_load_dwordx2 v[23:24], v[9:10], off offset:2048
	s_waitcnt vmcnt(9)
	ds_write2st64_b64 v45, v[1:2], v[3:4] offset1:2
	s_waitcnt vmcnt(7)
	ds_write2st64_b64 v45, v[5:6], v[7:8] offset0:4 offset1:6
	s_waitcnt vmcnt(5)
	ds_write2st64_b64 v45, v[11:12], v[13:14] offset0:8 offset1:10
	;; [unrolled: 2-line block ×4, first 2 shown]
	s_waitcnt vmcnt(0)
	ds_write_b64 v45, v[23:24] offset:10240
	s_waitcnt lgkmcnt(0)
	s_barrier
.LBB151_26:
	v_mul_u32_u24_e32 v17, 0x58, v0
	ds_read_b64 v[21:22], v17 offset:80
	ds_read2_b64 v[1:4], v17 offset0:8 offset1:9
	ds_read2_b64 v[9:12], v17 offset1:1
	ds_read2_b64 v[13:16], v17 offset0:2 offset1:3
	ds_read2_b64 v[5:8], v17 offset0:6 offset1:7
	;; [unrolled: 1-line block ×3, first 2 shown]
	s_cmp_eq_u64 s[8:9], 0
	s_waitcnt lgkmcnt(0)
	s_barrier
	s_cbranch_scc1 .LBB151_31
; %bb.27:
	s_lshl_b64 s[18:19], s[18:19], 3
	s_add_u32 s5, s16, s18
	s_addc_u32 s16, s17, s19
	s_lshl_b64 s[6:7], s[6:7], 3
	s_add_u32 s5, s5, s6
	s_addc_u32 s7, s16, s7
	s_add_u32 s6, s5, -8
	s_addc_u32 s7, s7, -1
	s_load_dwordx2 s[6:7], s[6:7], 0x0
	s_cmp_eq_u64 s[8:9], s[20:21]
	s_cbranch_scc1 .LBB151_32
; %bb.28:
	s_waitcnt lgkmcnt(0)
	v_mov_b32_e32 v24, s7
	v_cmp_ne_u32_e32 vcc, 0, v0
	v_mov_b32_e32 v23, s6
	ds_write_b64 v45, v[21:22]
	s_waitcnt lgkmcnt(0)
	s_barrier
	s_and_saveexec_b64 s[16:17], vcc
; %bb.29:
	v_add_u32_e32 v23, -8, v45
	ds_read_b64 v[23:24], v23
; %bb.30:
	s_or_b64 exec, exec, s[16:17]
	s_waitcnt lgkmcnt(0)
	v_add_co_u32_e32 v23, vcc, v23, v9
	v_addc_co_u32_e32 v24, vcc, v24, v10, vcc
	s_mov_b64 s[16:17], 0
	s_branch .LBB151_33
.LBB151_31:
                                        ; implicit-def: $vgpr23_vgpr24
                                        ; implicit-def: $vgpr41_vgpr42
                                        ; implicit-def: $vgpr35_vgpr36
                                        ; implicit-def: $vgpr39_vgpr40
                                        ; implicit-def: $vgpr33_vgpr34
                                        ; implicit-def: $vgpr37_vgpr38
                                        ; implicit-def: $vgpr43_vgpr44
                                        ; implicit-def: $vgpr31_vgpr32
                                        ; implicit-def: $vgpr27_vgpr28
                                        ; implicit-def: $vgpr25_vgpr26
                                        ; implicit-def: $vgpr29_vgpr30
	s_branch .LBB151_38
.LBB151_32:
	s_mov_b64 s[16:17], -1
                                        ; implicit-def: $vgpr23_vgpr24
.LBB151_33:
	v_mov_b32_e32 v42, v10
	v_mov_b32_e32 v36, v12
	;; [unrolled: 1-line block ×10, first 2 shown]
	s_and_b64 vcc, exec, s[16:17]
	v_mov_b32_e32 v41, v9
	v_mov_b32_e32 v35, v11
	;; [unrolled: 1-line block ×10, first 2 shown]
	s_cbranch_vccz .LBB151_37
; %bb.34:
	s_waitcnt lgkmcnt(0)
	v_mov_b32_e32 v24, s7
	v_mul_u32_u24_e32 v46, 11, v0
	v_cmp_ne_u32_e32 vcc, 0, v0
	v_mov_b32_e32 v23, s6
	ds_write_b64 v45, v[21:22]
	s_waitcnt lgkmcnt(0)
	s_barrier
	s_and_saveexec_b64 s[6:7], vcc
; %bb.35:
	v_add_u32_e32 v23, -8, v45
	ds_read_b64 v[23:24], v23
; %bb.36:
	s_or_b64 exec, exec, s[6:7]
	s_mul_i32 s5, s8, 0xfffffa80
	s_add_i32 s5, s5, s14
	v_add_u32_e32 v25, 10, v46
	v_cmp_gt_u32_e32 vcc, s5, v25
	v_add_u32_e32 v25, 9, v46
	v_cndmask_b32_e32 v30, 0, v4, vcc
	v_cndmask_b32_e32 v29, 0, v3, vcc
	v_cmp_gt_u32_e32 vcc, s5, v25
	v_add_u32_e32 v27, 8, v46
	v_cndmask_b32_e32 v26, 0, v2, vcc
	v_cndmask_b32_e32 v25, 0, v1, vcc
	;; [unrolled: 4-line block ×9, first 2 shown]
	v_cmp_gt_u32_e32 vcc, s5, v41
	v_cndmask_b32_e32 v42, 0, v10, vcc
	v_cndmask_b32_e32 v41, 0, v9, vcc
	v_cmp_gt_u32_e32 vcc, s5, v46
	s_waitcnt lgkmcnt(0)
	v_cndmask_b32_e32 v23, 0, v23, vcc
	v_cndmask_b32_e32 v24, 0, v24, vcc
	v_add_co_u32_e32 v23, vcc, v23, v9
	v_addc_co_u32_e32 v24, vcc, v24, v10, vcc
.LBB151_37:
	s_waitcnt lgkmcnt(0)
	s_cbranch_execnz .LBB151_48
.LBB151_38:
	s_cmp_eq_u64 s[2:3], 1
	v_cmp_ne_u32_e32 vcc, 0, v0
	s_cbranch_scc1 .LBB151_43
; %bb.39:
	v_mov_b32_e32 v24, v10
	v_mov_b32_e32 v23, v9
	ds_write_b64 v45, v[21:22]
	s_waitcnt lgkmcnt(0)
	s_barrier
	s_and_saveexec_b64 s[2:3], vcc
	s_cbranch_execz .LBB151_41
; %bb.40:
	v_add_u32_e32 v23, -8, v45
	ds_read_b64 v[23:24], v23
	s_waitcnt lgkmcnt(0)
	v_add_co_u32_e32 v23, vcc, v23, v9
	v_addc_co_u32_e32 v24, vcc, v24, v10, vcc
.LBB151_41:
	s_or_b64 exec, exec, s[2:3]
	s_cbranch_execz .LBB151_44
; %bb.42:
	v_mov_b32_e32 v36, v12
	v_mov_b32_e32 v40, v14
	;; [unrolled: 1-line block ×18, first 2 shown]
	s_branch .LBB151_47
.LBB151_43:
                                        ; implicit-def: $vgpr23_vgpr24
.LBB151_44:
	v_mul_u32_u24_e32 v23, 11, v0
	v_add_u32_e32 v24, 10, v23
	v_cmp_gt_u32_e32 vcc, s14, v24
	v_add_u32_e32 v24, 9, v23
	v_cndmask_b32_e32 v30, 0, v4, vcc
	v_cndmask_b32_e32 v29, 0, v3, vcc
	v_cmp_gt_u32_e32 vcc, s14, v24
	v_add_u32_e32 v24, 8, v23
	v_cndmask_b32_e32 v26, 0, v2, vcc
	v_cndmask_b32_e32 v25, 0, v1, vcc
	;; [unrolled: 4-line block ×9, first 2 shown]
	v_cmp_gt_u32_e32 vcc, s14, v24
	v_cndmask_b32_e32 v42, 0, v10, vcc
	v_cndmask_b32_e32 v41, 0, v9, vcc
	v_cmp_ne_u32_e32 vcc, 0, v0
	v_cmp_gt_u32_e64 s[2:3], s14, v23
	s_and_b64 s[6:7], vcc, s[2:3]
	ds_write_b64 v45, v[21:22]
	s_waitcnt lgkmcnt(0)
	s_barrier
	s_and_saveexec_b64 s[2:3], s[6:7]
	s_cbranch_execz .LBB151_46
; %bb.45:
	v_add_u32_e32 v23, -8, v45
	ds_read_b64 v[23:24], v23
	s_waitcnt lgkmcnt(0)
	v_add_co_u32_e32 v9, vcc, v23, v9
	v_addc_co_u32_e32 v10, vcc, v24, v10, vcc
.LBB151_46:
	s_or_b64 exec, exec, s[2:3]
	v_mov_b32_e32 v24, v10
	v_mov_b32_e32 v23, v9
	;; [unrolled: 1-line block ×4, first 2 shown]
.LBB151_47:
	v_mov_b32_e32 v42, v10
	v_mov_b32_e32 v41, v9
.LBB151_48:
	v_add_co_u32_e32 v21, vcc, v29, v21
	v_addc_co_u32_e32 v22, vcc, v30, v22, vcc
	v_add_co_u32_e32 v41, vcc, v41, v11
	v_addc_co_u32_e32 v42, vcc, v42, v12, vcc
	v_add_co_u32_e32 v35, vcc, v35, v13
	v_addc_co_u32_e32 v36, vcc, v36, v14, vcc
	v_add_co_u32_e32 v39, vcc, v39, v15
	v_addc_co_u32_e32 v40, vcc, v40, v16, vcc
	v_add_co_u32_e32 v33, vcc, v33, v17
	v_addc_co_u32_e32 v34, vcc, v34, v18, vcc
	v_add_co_u32_e32 v37, vcc, v37, v19
	v_addc_co_u32_e32 v38, vcc, v38, v20, vcc
	v_add_co_u32_e32 v29, vcc, v43, v5
	v_addc_co_u32_e32 v30, vcc, v44, v6, vcc
	v_add_co_u32_e32 v31, vcc, v31, v7
	v_addc_co_u32_e32 v32, vcc, v32, v8, vcc
	v_add_co_u32_e32 v27, vcc, v27, v1
	v_addc_co_u32_e32 v28, vcc, v28, v2, vcc
	v_add_co_u32_e32 v25, vcc, v25, v3
	s_add_u32 s6, s12, s10
	v_addc_co_u32_e32 v26, vcc, v26, v4, vcc
	s_addc_u32 s7, s13, s11
	s_and_b64 vcc, exec, s[0:1]
	s_barrier
	s_cbranch_vccz .LBB151_70
; %bb.49:
	s_movk_i32 s2, 0x58
	v_mul_i32_i24_e32 v47, 0xffffffb0, v0
	v_mul_u32_u24_e32 v46, 0x58, v0
	v_mad_u32_u24 v1, v0, s2, v47
	ds_write2_b64 v46, v[23:24], v[41:42] offset1:1
	ds_write2_b64 v46, v[35:36], v[39:40] offset0:2 offset1:3
	ds_write2_b64 v46, v[33:34], v[37:38] offset0:4 offset1:5
	ds_write2_b64 v46, v[29:30], v[31:32] offset0:6 offset1:7
	ds_write2_b64 v46, v[27:28], v[25:26] offset0:8 offset1:9
	ds_write_b64 v46, v[21:22] offset:80
	s_waitcnt lgkmcnt(0)
	s_barrier
	ds_read2st64_b64 v[17:20], v1 offset0:2 offset1:4
	ds_read2st64_b64 v[13:16], v1 offset0:6 offset1:8
	ds_read2st64_b64 v[9:12], v1 offset0:10 offset1:12
	ds_read2st64_b64 v[5:8], v1 offset0:14 offset1:16
	ds_read2st64_b64 v[1:4], v1 offset0:18 offset1:20
	s_mov_b32 s5, 0
	s_add_i32 s15, s15, s14
	s_lshl_b64 s[0:1], s[4:5], 3
	s_add_u32 s0, s6, s0
	s_addc_u32 s1, s7, s1
	v_mov_b32_e32 v44, s1
	v_add_co_u32_e32 v43, vcc, s0, v45
	v_addc_co_u32_e32 v44, vcc, 0, v44, vcc
	v_cmp_gt_u32_e32 vcc, s15, v0
	s_and_saveexec_b64 s[0:1], vcc
	s_cbranch_execz .LBB151_51
; %bb.50:
	v_add_u32_e32 v46, v46, v47
	ds_read_b64 v[46:47], v46
	s_waitcnt lgkmcnt(0)
	global_store_dwordx2 v[43:44], v[46:47], off
.LBB151_51:
	s_or_b64 exec, exec, s[0:1]
	v_or_b32_e32 v46, 0x80, v0
	v_cmp_gt_u32_e32 vcc, s15, v46
	s_and_saveexec_b64 s[0:1], vcc
	s_cbranch_execz .LBB151_53
; %bb.52:
	s_waitcnt lgkmcnt(4)
	global_store_dwordx2 v[43:44], v[17:18], off offset:1024
.LBB151_53:
	s_or_b64 exec, exec, s[0:1]
	s_waitcnt lgkmcnt(4)
	v_or_b32_e32 v17, 0x100, v0
	v_cmp_gt_u32_e32 vcc, s15, v17
	s_and_saveexec_b64 s[0:1], vcc
	s_cbranch_execz .LBB151_55
; %bb.54:
	global_store_dwordx2 v[43:44], v[19:20], off offset:2048
.LBB151_55:
	s_or_b64 exec, exec, s[0:1]
	v_or_b32_e32 v17, 0x180, v0
	v_cmp_gt_u32_e32 vcc, s15, v17
	s_and_saveexec_b64 s[0:1], vcc
	s_cbranch_execz .LBB151_57
; %bb.56:
	s_waitcnt lgkmcnt(3)
	global_store_dwordx2 v[43:44], v[13:14], off offset:3072
.LBB151_57:
	s_or_b64 exec, exec, s[0:1]
	s_waitcnt lgkmcnt(3)
	v_or_b32_e32 v13, 0x200, v0
	v_cmp_gt_u32_e32 vcc, s15, v13
	s_and_saveexec_b64 s[0:1], vcc
	s_cbranch_execz .LBB151_59
; %bb.58:
	v_add_co_u32_e32 v13, vcc, 0x1000, v43
	v_addc_co_u32_e32 v14, vcc, 0, v44, vcc
	global_store_dwordx2 v[13:14], v[15:16], off
.LBB151_59:
	s_or_b64 exec, exec, s[0:1]
	v_or_b32_e32 v13, 0x280, v0
	v_cmp_gt_u32_e32 vcc, s15, v13
	s_and_saveexec_b64 s[0:1], vcc
	s_cbranch_execz .LBB151_61
; %bb.60:
	v_add_co_u32_e32 v13, vcc, 0x1000, v43
	v_addc_co_u32_e32 v14, vcc, 0, v44, vcc
	s_waitcnt lgkmcnt(2)
	global_store_dwordx2 v[13:14], v[9:10], off offset:1024
.LBB151_61:
	s_or_b64 exec, exec, s[0:1]
	s_waitcnt lgkmcnt(2)
	v_or_b32_e32 v9, 0x300, v0
	v_cmp_gt_u32_e32 vcc, s15, v9
	s_and_saveexec_b64 s[0:1], vcc
	s_cbranch_execz .LBB151_63
; %bb.62:
	v_add_co_u32_e32 v9, vcc, 0x1000, v43
	v_addc_co_u32_e32 v10, vcc, 0, v44, vcc
	global_store_dwordx2 v[9:10], v[11:12], off offset:2048
.LBB151_63:
	s_or_b64 exec, exec, s[0:1]
	v_or_b32_e32 v9, 0x380, v0
	v_cmp_gt_u32_e32 vcc, s15, v9
	s_and_saveexec_b64 s[0:1], vcc
	s_cbranch_execz .LBB151_65
; %bb.64:
	v_add_co_u32_e32 v9, vcc, 0x1000, v43
	v_addc_co_u32_e32 v10, vcc, 0, v44, vcc
	s_waitcnt lgkmcnt(1)
	global_store_dwordx2 v[9:10], v[5:6], off offset:3072
.LBB151_65:
	s_or_b64 exec, exec, s[0:1]
	s_waitcnt lgkmcnt(1)
	v_or_b32_e32 v5, 0x400, v0
	v_cmp_gt_u32_e32 vcc, s15, v5
	s_and_saveexec_b64 s[0:1], vcc
	s_cbranch_execz .LBB151_67
; %bb.66:
	v_add_co_u32_e32 v5, vcc, 0x2000, v43
	v_addc_co_u32_e32 v6, vcc, 0, v44, vcc
	global_store_dwordx2 v[5:6], v[7:8], off
.LBB151_67:
	s_or_b64 exec, exec, s[0:1]
	v_or_b32_e32 v5, 0x480, v0
	v_cmp_gt_u32_e32 vcc, s15, v5
	s_and_saveexec_b64 s[0:1], vcc
	s_cbranch_execz .LBB151_69
; %bb.68:
	v_add_co_u32_e32 v5, vcc, 0x2000, v43
	v_addc_co_u32_e32 v6, vcc, 0, v44, vcc
	s_waitcnt lgkmcnt(0)
	global_store_dwordx2 v[5:6], v[1:2], off offset:1024
.LBB151_69:
	s_or_b64 exec, exec, s[0:1]
	s_waitcnt lgkmcnt(0)
	v_or_b32_e32 v1, 0x500, v0
	v_cmp_gt_u32_e64 s[0:1], s15, v1
	s_branch .LBB151_72
.LBB151_70:
	s_mov_b64 s[0:1], 0
                                        ; implicit-def: $vgpr3_vgpr4
                                        ; implicit-def: $vgpr43_vgpr44
	s_cbranch_execz .LBB151_72
; %bb.71:
	s_mov_b32 s5, 0
	s_lshl_b64 s[2:3], s[4:5], 3
	v_mul_u32_u24_e32 v1, 0x58, v0
	s_add_u32 s2, s6, s2
	s_movk_i32 s4, 0x58
	ds_write2_b64 v1, v[23:24], v[41:42] offset1:1
	ds_write2_b64 v1, v[35:36], v[39:40] offset0:2 offset1:3
	ds_write2_b64 v1, v[33:34], v[37:38] offset0:4 offset1:5
	;; [unrolled: 1-line block ×4, first 2 shown]
	ds_write_b64 v1, v[21:22] offset:80
	v_mul_i32_i24_e32 v1, 0xffffffb0, v0
	s_addc_u32 s3, s7, s3
	v_mad_u32_u24 v0, v0, s4, v1
	s_waitcnt vmcnt(0) lgkmcnt(0)
	s_barrier
	ds_read2st64_b64 v[5:8], v0 offset1:2
	ds_read2st64_b64 v[9:12], v0 offset0:4 offset1:6
	ds_read2st64_b64 v[13:16], v0 offset0:8 offset1:10
	;; [unrolled: 1-line block ×4, first 2 shown]
	ds_read_b64 v[3:4], v0 offset:10240
	v_mov_b32_e32 v0, s3
	v_add_co_u32_e32 v43, vcc, s2, v45
	v_addc_co_u32_e32 v44, vcc, 0, v0, vcc
	s_waitcnt lgkmcnt(5)
	global_store_dwordx2 v45, v[5:6], s[2:3]
	global_store_dwordx2 v45, v[7:8], s[2:3] offset:1024
	s_waitcnt lgkmcnt(4)
	global_store_dwordx2 v45, v[9:10], s[2:3] offset:2048
	global_store_dwordx2 v45, v[11:12], s[2:3] offset:3072
	s_movk_i32 s2, 0x1000
	v_add_co_u32_e32 v0, vcc, s2, v43
	v_addc_co_u32_e32 v1, vcc, 0, v44, vcc
	s_waitcnt lgkmcnt(3)
	global_store_dwordx2 v[0:1], v[13:14], off
	global_store_dwordx2 v[0:1], v[15:16], off offset:1024
	s_waitcnt lgkmcnt(2)
	global_store_dwordx2 v[0:1], v[17:18], off offset:2048
	global_store_dwordx2 v[0:1], v[19:20], off offset:3072
	v_add_co_u32_e32 v0, vcc, 0x2000, v43
	v_addc_co_u32_e32 v1, vcc, 0, v44, vcc
	s_or_b64 s[0:1], s[0:1], exec
	s_waitcnt lgkmcnt(1)
	global_store_dwordx2 v[0:1], v[21:22], off
	global_store_dwordx2 v[0:1], v[23:24], off offset:1024
.LBB151_72:
	s_and_saveexec_b64 s[2:3], s[0:1]
	s_cbranch_execnz .LBB151_74
; %bb.73:
	s_endpgm
.LBB151_74:
	v_add_co_u32_e32 v0, vcc, 0x2000, v43
	v_addc_co_u32_e32 v1, vcc, 0, v44, vcc
	s_waitcnt lgkmcnt(0)
	global_store_dwordx2 v[0:1], v[3:4], off offset:2048
	s_endpgm
	.section	.rodata,"a",@progbits
	.p2align	6, 0x0
	.amdhsa_kernel _ZN7rocprim17ROCPRIM_400000_NS6detail17trampoline_kernelINS0_14default_configENS1_35adjacent_difference_config_selectorILb1EyEEZNS1_24adjacent_difference_implIS3_Lb1ELb0EPyS7_N6thrust23THRUST_200600_302600_NS4plusIyEEEE10hipError_tPvRmT2_T3_mT4_P12ihipStream_tbEUlT_E_NS1_11comp_targetILNS1_3genE2ELNS1_11target_archE906ELNS1_3gpuE6ELNS1_3repE0EEENS1_30default_config_static_selectorELNS0_4arch9wavefront6targetE1EEEvT1_
		.amdhsa_group_segment_fixed_size 11264
		.amdhsa_private_segment_fixed_size 0
		.amdhsa_kernarg_size 56
		.amdhsa_user_sgpr_count 6
		.amdhsa_user_sgpr_private_segment_buffer 1
		.amdhsa_user_sgpr_dispatch_ptr 0
		.amdhsa_user_sgpr_queue_ptr 0
		.amdhsa_user_sgpr_kernarg_segment_ptr 1
		.amdhsa_user_sgpr_dispatch_id 0
		.amdhsa_user_sgpr_flat_scratch_init 0
		.amdhsa_user_sgpr_private_segment_size 0
		.amdhsa_uses_dynamic_stack 0
		.amdhsa_system_sgpr_private_segment_wavefront_offset 0
		.amdhsa_system_sgpr_workgroup_id_x 1
		.amdhsa_system_sgpr_workgroup_id_y 0
		.amdhsa_system_sgpr_workgroup_id_z 0
		.amdhsa_system_sgpr_workgroup_info 0
		.amdhsa_system_vgpr_workitem_id 0
		.amdhsa_next_free_vgpr 65
		.amdhsa_next_free_sgpr 98
		.amdhsa_reserve_vcc 1
		.amdhsa_reserve_flat_scratch 0
		.amdhsa_float_round_mode_32 0
		.amdhsa_float_round_mode_16_64 0
		.amdhsa_float_denorm_mode_32 3
		.amdhsa_float_denorm_mode_16_64 3
		.amdhsa_dx10_clamp 1
		.amdhsa_ieee_mode 1
		.amdhsa_fp16_overflow 0
		.amdhsa_exception_fp_ieee_invalid_op 0
		.amdhsa_exception_fp_denorm_src 0
		.amdhsa_exception_fp_ieee_div_zero 0
		.amdhsa_exception_fp_ieee_overflow 0
		.amdhsa_exception_fp_ieee_underflow 0
		.amdhsa_exception_fp_ieee_inexact 0
		.amdhsa_exception_int_div_zero 0
	.end_amdhsa_kernel
	.section	.text._ZN7rocprim17ROCPRIM_400000_NS6detail17trampoline_kernelINS0_14default_configENS1_35adjacent_difference_config_selectorILb1EyEEZNS1_24adjacent_difference_implIS3_Lb1ELb0EPyS7_N6thrust23THRUST_200600_302600_NS4plusIyEEEE10hipError_tPvRmT2_T3_mT4_P12ihipStream_tbEUlT_E_NS1_11comp_targetILNS1_3genE2ELNS1_11target_archE906ELNS1_3gpuE6ELNS1_3repE0EEENS1_30default_config_static_selectorELNS0_4arch9wavefront6targetE1EEEvT1_,"axG",@progbits,_ZN7rocprim17ROCPRIM_400000_NS6detail17trampoline_kernelINS0_14default_configENS1_35adjacent_difference_config_selectorILb1EyEEZNS1_24adjacent_difference_implIS3_Lb1ELb0EPyS7_N6thrust23THRUST_200600_302600_NS4plusIyEEEE10hipError_tPvRmT2_T3_mT4_P12ihipStream_tbEUlT_E_NS1_11comp_targetILNS1_3genE2ELNS1_11target_archE906ELNS1_3gpuE6ELNS1_3repE0EEENS1_30default_config_static_selectorELNS0_4arch9wavefront6targetE1EEEvT1_,comdat
.Lfunc_end151:
	.size	_ZN7rocprim17ROCPRIM_400000_NS6detail17trampoline_kernelINS0_14default_configENS1_35adjacent_difference_config_selectorILb1EyEEZNS1_24adjacent_difference_implIS3_Lb1ELb0EPyS7_N6thrust23THRUST_200600_302600_NS4plusIyEEEE10hipError_tPvRmT2_T3_mT4_P12ihipStream_tbEUlT_E_NS1_11comp_targetILNS1_3genE2ELNS1_11target_archE906ELNS1_3gpuE6ELNS1_3repE0EEENS1_30default_config_static_selectorELNS0_4arch9wavefront6targetE1EEEvT1_, .Lfunc_end151-_ZN7rocprim17ROCPRIM_400000_NS6detail17trampoline_kernelINS0_14default_configENS1_35adjacent_difference_config_selectorILb1EyEEZNS1_24adjacent_difference_implIS3_Lb1ELb0EPyS7_N6thrust23THRUST_200600_302600_NS4plusIyEEEE10hipError_tPvRmT2_T3_mT4_P12ihipStream_tbEUlT_E_NS1_11comp_targetILNS1_3genE2ELNS1_11target_archE906ELNS1_3gpuE6ELNS1_3repE0EEENS1_30default_config_static_selectorELNS0_4arch9wavefront6targetE1EEEvT1_
                                        ; -- End function
	.set _ZN7rocprim17ROCPRIM_400000_NS6detail17trampoline_kernelINS0_14default_configENS1_35adjacent_difference_config_selectorILb1EyEEZNS1_24adjacent_difference_implIS3_Lb1ELb0EPyS7_N6thrust23THRUST_200600_302600_NS4plusIyEEEE10hipError_tPvRmT2_T3_mT4_P12ihipStream_tbEUlT_E_NS1_11comp_targetILNS1_3genE2ELNS1_11target_archE906ELNS1_3gpuE6ELNS1_3repE0EEENS1_30default_config_static_selectorELNS0_4arch9wavefront6targetE1EEEvT1_.num_vgpr, 48
	.set _ZN7rocprim17ROCPRIM_400000_NS6detail17trampoline_kernelINS0_14default_configENS1_35adjacent_difference_config_selectorILb1EyEEZNS1_24adjacent_difference_implIS3_Lb1ELb0EPyS7_N6thrust23THRUST_200600_302600_NS4plusIyEEEE10hipError_tPvRmT2_T3_mT4_P12ihipStream_tbEUlT_E_NS1_11comp_targetILNS1_3genE2ELNS1_11target_archE906ELNS1_3gpuE6ELNS1_3repE0EEENS1_30default_config_static_selectorELNS0_4arch9wavefront6targetE1EEEvT1_.num_agpr, 0
	.set _ZN7rocprim17ROCPRIM_400000_NS6detail17trampoline_kernelINS0_14default_configENS1_35adjacent_difference_config_selectorILb1EyEEZNS1_24adjacent_difference_implIS3_Lb1ELb0EPyS7_N6thrust23THRUST_200600_302600_NS4plusIyEEEE10hipError_tPvRmT2_T3_mT4_P12ihipStream_tbEUlT_E_NS1_11comp_targetILNS1_3genE2ELNS1_11target_archE906ELNS1_3gpuE6ELNS1_3repE0EEENS1_30default_config_static_selectorELNS0_4arch9wavefront6targetE1EEEvT1_.numbered_sgpr, 29
	.set _ZN7rocprim17ROCPRIM_400000_NS6detail17trampoline_kernelINS0_14default_configENS1_35adjacent_difference_config_selectorILb1EyEEZNS1_24adjacent_difference_implIS3_Lb1ELb0EPyS7_N6thrust23THRUST_200600_302600_NS4plusIyEEEE10hipError_tPvRmT2_T3_mT4_P12ihipStream_tbEUlT_E_NS1_11comp_targetILNS1_3genE2ELNS1_11target_archE906ELNS1_3gpuE6ELNS1_3repE0EEENS1_30default_config_static_selectorELNS0_4arch9wavefront6targetE1EEEvT1_.num_named_barrier, 0
	.set _ZN7rocprim17ROCPRIM_400000_NS6detail17trampoline_kernelINS0_14default_configENS1_35adjacent_difference_config_selectorILb1EyEEZNS1_24adjacent_difference_implIS3_Lb1ELb0EPyS7_N6thrust23THRUST_200600_302600_NS4plusIyEEEE10hipError_tPvRmT2_T3_mT4_P12ihipStream_tbEUlT_E_NS1_11comp_targetILNS1_3genE2ELNS1_11target_archE906ELNS1_3gpuE6ELNS1_3repE0EEENS1_30default_config_static_selectorELNS0_4arch9wavefront6targetE1EEEvT1_.private_seg_size, 0
	.set _ZN7rocprim17ROCPRIM_400000_NS6detail17trampoline_kernelINS0_14default_configENS1_35adjacent_difference_config_selectorILb1EyEEZNS1_24adjacent_difference_implIS3_Lb1ELb0EPyS7_N6thrust23THRUST_200600_302600_NS4plusIyEEEE10hipError_tPvRmT2_T3_mT4_P12ihipStream_tbEUlT_E_NS1_11comp_targetILNS1_3genE2ELNS1_11target_archE906ELNS1_3gpuE6ELNS1_3repE0EEENS1_30default_config_static_selectorELNS0_4arch9wavefront6targetE1EEEvT1_.uses_vcc, 1
	.set _ZN7rocprim17ROCPRIM_400000_NS6detail17trampoline_kernelINS0_14default_configENS1_35adjacent_difference_config_selectorILb1EyEEZNS1_24adjacent_difference_implIS3_Lb1ELb0EPyS7_N6thrust23THRUST_200600_302600_NS4plusIyEEEE10hipError_tPvRmT2_T3_mT4_P12ihipStream_tbEUlT_E_NS1_11comp_targetILNS1_3genE2ELNS1_11target_archE906ELNS1_3gpuE6ELNS1_3repE0EEENS1_30default_config_static_selectorELNS0_4arch9wavefront6targetE1EEEvT1_.uses_flat_scratch, 0
	.set _ZN7rocprim17ROCPRIM_400000_NS6detail17trampoline_kernelINS0_14default_configENS1_35adjacent_difference_config_selectorILb1EyEEZNS1_24adjacent_difference_implIS3_Lb1ELb0EPyS7_N6thrust23THRUST_200600_302600_NS4plusIyEEEE10hipError_tPvRmT2_T3_mT4_P12ihipStream_tbEUlT_E_NS1_11comp_targetILNS1_3genE2ELNS1_11target_archE906ELNS1_3gpuE6ELNS1_3repE0EEENS1_30default_config_static_selectorELNS0_4arch9wavefront6targetE1EEEvT1_.has_dyn_sized_stack, 0
	.set _ZN7rocprim17ROCPRIM_400000_NS6detail17trampoline_kernelINS0_14default_configENS1_35adjacent_difference_config_selectorILb1EyEEZNS1_24adjacent_difference_implIS3_Lb1ELb0EPyS7_N6thrust23THRUST_200600_302600_NS4plusIyEEEE10hipError_tPvRmT2_T3_mT4_P12ihipStream_tbEUlT_E_NS1_11comp_targetILNS1_3genE2ELNS1_11target_archE906ELNS1_3gpuE6ELNS1_3repE0EEENS1_30default_config_static_selectorELNS0_4arch9wavefront6targetE1EEEvT1_.has_recursion, 0
	.set _ZN7rocprim17ROCPRIM_400000_NS6detail17trampoline_kernelINS0_14default_configENS1_35adjacent_difference_config_selectorILb1EyEEZNS1_24adjacent_difference_implIS3_Lb1ELb0EPyS7_N6thrust23THRUST_200600_302600_NS4plusIyEEEE10hipError_tPvRmT2_T3_mT4_P12ihipStream_tbEUlT_E_NS1_11comp_targetILNS1_3genE2ELNS1_11target_archE906ELNS1_3gpuE6ELNS1_3repE0EEENS1_30default_config_static_selectorELNS0_4arch9wavefront6targetE1EEEvT1_.has_indirect_call, 0
	.section	.AMDGPU.csdata,"",@progbits
; Kernel info:
; codeLenInByte = 2968
; TotalNumSgprs: 33
; NumVgprs: 48
; ScratchSize: 0
; MemoryBound: 0
; FloatMode: 240
; IeeeMode: 1
; LDSByteSize: 11264 bytes/workgroup (compile time only)
; SGPRBlocks: 12
; VGPRBlocks: 16
; NumSGPRsForWavesPerEU: 102
; NumVGPRsForWavesPerEU: 65
; Occupancy: 3
; WaveLimiterHint : 1
; COMPUTE_PGM_RSRC2:SCRATCH_EN: 0
; COMPUTE_PGM_RSRC2:USER_SGPR: 6
; COMPUTE_PGM_RSRC2:TRAP_HANDLER: 0
; COMPUTE_PGM_RSRC2:TGID_X_EN: 1
; COMPUTE_PGM_RSRC2:TGID_Y_EN: 0
; COMPUTE_PGM_RSRC2:TGID_Z_EN: 0
; COMPUTE_PGM_RSRC2:TIDIG_COMP_CNT: 0
	.section	.text._ZN7rocprim17ROCPRIM_400000_NS6detail17trampoline_kernelINS0_14default_configENS1_35adjacent_difference_config_selectorILb1EyEEZNS1_24adjacent_difference_implIS3_Lb1ELb0EPyS7_N6thrust23THRUST_200600_302600_NS4plusIyEEEE10hipError_tPvRmT2_T3_mT4_P12ihipStream_tbEUlT_E_NS1_11comp_targetILNS1_3genE9ELNS1_11target_archE1100ELNS1_3gpuE3ELNS1_3repE0EEENS1_30default_config_static_selectorELNS0_4arch9wavefront6targetE1EEEvT1_,"axG",@progbits,_ZN7rocprim17ROCPRIM_400000_NS6detail17trampoline_kernelINS0_14default_configENS1_35adjacent_difference_config_selectorILb1EyEEZNS1_24adjacent_difference_implIS3_Lb1ELb0EPyS7_N6thrust23THRUST_200600_302600_NS4plusIyEEEE10hipError_tPvRmT2_T3_mT4_P12ihipStream_tbEUlT_E_NS1_11comp_targetILNS1_3genE9ELNS1_11target_archE1100ELNS1_3gpuE3ELNS1_3repE0EEENS1_30default_config_static_selectorELNS0_4arch9wavefront6targetE1EEEvT1_,comdat
	.protected	_ZN7rocprim17ROCPRIM_400000_NS6detail17trampoline_kernelINS0_14default_configENS1_35adjacent_difference_config_selectorILb1EyEEZNS1_24adjacent_difference_implIS3_Lb1ELb0EPyS7_N6thrust23THRUST_200600_302600_NS4plusIyEEEE10hipError_tPvRmT2_T3_mT4_P12ihipStream_tbEUlT_E_NS1_11comp_targetILNS1_3genE9ELNS1_11target_archE1100ELNS1_3gpuE3ELNS1_3repE0EEENS1_30default_config_static_selectorELNS0_4arch9wavefront6targetE1EEEvT1_ ; -- Begin function _ZN7rocprim17ROCPRIM_400000_NS6detail17trampoline_kernelINS0_14default_configENS1_35adjacent_difference_config_selectorILb1EyEEZNS1_24adjacent_difference_implIS3_Lb1ELb0EPyS7_N6thrust23THRUST_200600_302600_NS4plusIyEEEE10hipError_tPvRmT2_T3_mT4_P12ihipStream_tbEUlT_E_NS1_11comp_targetILNS1_3genE9ELNS1_11target_archE1100ELNS1_3gpuE3ELNS1_3repE0EEENS1_30default_config_static_selectorELNS0_4arch9wavefront6targetE1EEEvT1_
	.globl	_ZN7rocprim17ROCPRIM_400000_NS6detail17trampoline_kernelINS0_14default_configENS1_35adjacent_difference_config_selectorILb1EyEEZNS1_24adjacent_difference_implIS3_Lb1ELb0EPyS7_N6thrust23THRUST_200600_302600_NS4plusIyEEEE10hipError_tPvRmT2_T3_mT4_P12ihipStream_tbEUlT_E_NS1_11comp_targetILNS1_3genE9ELNS1_11target_archE1100ELNS1_3gpuE3ELNS1_3repE0EEENS1_30default_config_static_selectorELNS0_4arch9wavefront6targetE1EEEvT1_
	.p2align	8
	.type	_ZN7rocprim17ROCPRIM_400000_NS6detail17trampoline_kernelINS0_14default_configENS1_35adjacent_difference_config_selectorILb1EyEEZNS1_24adjacent_difference_implIS3_Lb1ELb0EPyS7_N6thrust23THRUST_200600_302600_NS4plusIyEEEE10hipError_tPvRmT2_T3_mT4_P12ihipStream_tbEUlT_E_NS1_11comp_targetILNS1_3genE9ELNS1_11target_archE1100ELNS1_3gpuE3ELNS1_3repE0EEENS1_30default_config_static_selectorELNS0_4arch9wavefront6targetE1EEEvT1_,@function
_ZN7rocprim17ROCPRIM_400000_NS6detail17trampoline_kernelINS0_14default_configENS1_35adjacent_difference_config_selectorILb1EyEEZNS1_24adjacent_difference_implIS3_Lb1ELb0EPyS7_N6thrust23THRUST_200600_302600_NS4plusIyEEEE10hipError_tPvRmT2_T3_mT4_P12ihipStream_tbEUlT_E_NS1_11comp_targetILNS1_3genE9ELNS1_11target_archE1100ELNS1_3gpuE3ELNS1_3repE0EEENS1_30default_config_static_selectorELNS0_4arch9wavefront6targetE1EEEvT1_: ; @_ZN7rocprim17ROCPRIM_400000_NS6detail17trampoline_kernelINS0_14default_configENS1_35adjacent_difference_config_selectorILb1EyEEZNS1_24adjacent_difference_implIS3_Lb1ELb0EPyS7_N6thrust23THRUST_200600_302600_NS4plusIyEEEE10hipError_tPvRmT2_T3_mT4_P12ihipStream_tbEUlT_E_NS1_11comp_targetILNS1_3genE9ELNS1_11target_archE1100ELNS1_3gpuE3ELNS1_3repE0EEENS1_30default_config_static_selectorELNS0_4arch9wavefront6targetE1EEEvT1_
; %bb.0:
	.section	.rodata,"a",@progbits
	.p2align	6, 0x0
	.amdhsa_kernel _ZN7rocprim17ROCPRIM_400000_NS6detail17trampoline_kernelINS0_14default_configENS1_35adjacent_difference_config_selectorILb1EyEEZNS1_24adjacent_difference_implIS3_Lb1ELb0EPyS7_N6thrust23THRUST_200600_302600_NS4plusIyEEEE10hipError_tPvRmT2_T3_mT4_P12ihipStream_tbEUlT_E_NS1_11comp_targetILNS1_3genE9ELNS1_11target_archE1100ELNS1_3gpuE3ELNS1_3repE0EEENS1_30default_config_static_selectorELNS0_4arch9wavefront6targetE1EEEvT1_
		.amdhsa_group_segment_fixed_size 0
		.amdhsa_private_segment_fixed_size 0
		.amdhsa_kernarg_size 56
		.amdhsa_user_sgpr_count 6
		.amdhsa_user_sgpr_private_segment_buffer 1
		.amdhsa_user_sgpr_dispatch_ptr 0
		.amdhsa_user_sgpr_queue_ptr 0
		.amdhsa_user_sgpr_kernarg_segment_ptr 1
		.amdhsa_user_sgpr_dispatch_id 0
		.amdhsa_user_sgpr_flat_scratch_init 0
		.amdhsa_user_sgpr_private_segment_size 0
		.amdhsa_uses_dynamic_stack 0
		.amdhsa_system_sgpr_private_segment_wavefront_offset 0
		.amdhsa_system_sgpr_workgroup_id_x 1
		.amdhsa_system_sgpr_workgroup_id_y 0
		.amdhsa_system_sgpr_workgroup_id_z 0
		.amdhsa_system_sgpr_workgroup_info 0
		.amdhsa_system_vgpr_workitem_id 0
		.amdhsa_next_free_vgpr 1
		.amdhsa_next_free_sgpr 0
		.amdhsa_reserve_vcc 0
		.amdhsa_reserve_flat_scratch 0
		.amdhsa_float_round_mode_32 0
		.amdhsa_float_round_mode_16_64 0
		.amdhsa_float_denorm_mode_32 3
		.amdhsa_float_denorm_mode_16_64 3
		.amdhsa_dx10_clamp 1
		.amdhsa_ieee_mode 1
		.amdhsa_fp16_overflow 0
		.amdhsa_exception_fp_ieee_invalid_op 0
		.amdhsa_exception_fp_denorm_src 0
		.amdhsa_exception_fp_ieee_div_zero 0
		.amdhsa_exception_fp_ieee_overflow 0
		.amdhsa_exception_fp_ieee_underflow 0
		.amdhsa_exception_fp_ieee_inexact 0
		.amdhsa_exception_int_div_zero 0
	.end_amdhsa_kernel
	.section	.text._ZN7rocprim17ROCPRIM_400000_NS6detail17trampoline_kernelINS0_14default_configENS1_35adjacent_difference_config_selectorILb1EyEEZNS1_24adjacent_difference_implIS3_Lb1ELb0EPyS7_N6thrust23THRUST_200600_302600_NS4plusIyEEEE10hipError_tPvRmT2_T3_mT4_P12ihipStream_tbEUlT_E_NS1_11comp_targetILNS1_3genE9ELNS1_11target_archE1100ELNS1_3gpuE3ELNS1_3repE0EEENS1_30default_config_static_selectorELNS0_4arch9wavefront6targetE1EEEvT1_,"axG",@progbits,_ZN7rocprim17ROCPRIM_400000_NS6detail17trampoline_kernelINS0_14default_configENS1_35adjacent_difference_config_selectorILb1EyEEZNS1_24adjacent_difference_implIS3_Lb1ELb0EPyS7_N6thrust23THRUST_200600_302600_NS4plusIyEEEE10hipError_tPvRmT2_T3_mT4_P12ihipStream_tbEUlT_E_NS1_11comp_targetILNS1_3genE9ELNS1_11target_archE1100ELNS1_3gpuE3ELNS1_3repE0EEENS1_30default_config_static_selectorELNS0_4arch9wavefront6targetE1EEEvT1_,comdat
.Lfunc_end152:
	.size	_ZN7rocprim17ROCPRIM_400000_NS6detail17trampoline_kernelINS0_14default_configENS1_35adjacent_difference_config_selectorILb1EyEEZNS1_24adjacent_difference_implIS3_Lb1ELb0EPyS7_N6thrust23THRUST_200600_302600_NS4plusIyEEEE10hipError_tPvRmT2_T3_mT4_P12ihipStream_tbEUlT_E_NS1_11comp_targetILNS1_3genE9ELNS1_11target_archE1100ELNS1_3gpuE3ELNS1_3repE0EEENS1_30default_config_static_selectorELNS0_4arch9wavefront6targetE1EEEvT1_, .Lfunc_end152-_ZN7rocprim17ROCPRIM_400000_NS6detail17trampoline_kernelINS0_14default_configENS1_35adjacent_difference_config_selectorILb1EyEEZNS1_24adjacent_difference_implIS3_Lb1ELb0EPyS7_N6thrust23THRUST_200600_302600_NS4plusIyEEEE10hipError_tPvRmT2_T3_mT4_P12ihipStream_tbEUlT_E_NS1_11comp_targetILNS1_3genE9ELNS1_11target_archE1100ELNS1_3gpuE3ELNS1_3repE0EEENS1_30default_config_static_selectorELNS0_4arch9wavefront6targetE1EEEvT1_
                                        ; -- End function
	.set _ZN7rocprim17ROCPRIM_400000_NS6detail17trampoline_kernelINS0_14default_configENS1_35adjacent_difference_config_selectorILb1EyEEZNS1_24adjacent_difference_implIS3_Lb1ELb0EPyS7_N6thrust23THRUST_200600_302600_NS4plusIyEEEE10hipError_tPvRmT2_T3_mT4_P12ihipStream_tbEUlT_E_NS1_11comp_targetILNS1_3genE9ELNS1_11target_archE1100ELNS1_3gpuE3ELNS1_3repE0EEENS1_30default_config_static_selectorELNS0_4arch9wavefront6targetE1EEEvT1_.num_vgpr, 0
	.set _ZN7rocprim17ROCPRIM_400000_NS6detail17trampoline_kernelINS0_14default_configENS1_35adjacent_difference_config_selectorILb1EyEEZNS1_24adjacent_difference_implIS3_Lb1ELb0EPyS7_N6thrust23THRUST_200600_302600_NS4plusIyEEEE10hipError_tPvRmT2_T3_mT4_P12ihipStream_tbEUlT_E_NS1_11comp_targetILNS1_3genE9ELNS1_11target_archE1100ELNS1_3gpuE3ELNS1_3repE0EEENS1_30default_config_static_selectorELNS0_4arch9wavefront6targetE1EEEvT1_.num_agpr, 0
	.set _ZN7rocprim17ROCPRIM_400000_NS6detail17trampoline_kernelINS0_14default_configENS1_35adjacent_difference_config_selectorILb1EyEEZNS1_24adjacent_difference_implIS3_Lb1ELb0EPyS7_N6thrust23THRUST_200600_302600_NS4plusIyEEEE10hipError_tPvRmT2_T3_mT4_P12ihipStream_tbEUlT_E_NS1_11comp_targetILNS1_3genE9ELNS1_11target_archE1100ELNS1_3gpuE3ELNS1_3repE0EEENS1_30default_config_static_selectorELNS0_4arch9wavefront6targetE1EEEvT1_.numbered_sgpr, 0
	.set _ZN7rocprim17ROCPRIM_400000_NS6detail17trampoline_kernelINS0_14default_configENS1_35adjacent_difference_config_selectorILb1EyEEZNS1_24adjacent_difference_implIS3_Lb1ELb0EPyS7_N6thrust23THRUST_200600_302600_NS4plusIyEEEE10hipError_tPvRmT2_T3_mT4_P12ihipStream_tbEUlT_E_NS1_11comp_targetILNS1_3genE9ELNS1_11target_archE1100ELNS1_3gpuE3ELNS1_3repE0EEENS1_30default_config_static_selectorELNS0_4arch9wavefront6targetE1EEEvT1_.num_named_barrier, 0
	.set _ZN7rocprim17ROCPRIM_400000_NS6detail17trampoline_kernelINS0_14default_configENS1_35adjacent_difference_config_selectorILb1EyEEZNS1_24adjacent_difference_implIS3_Lb1ELb0EPyS7_N6thrust23THRUST_200600_302600_NS4plusIyEEEE10hipError_tPvRmT2_T3_mT4_P12ihipStream_tbEUlT_E_NS1_11comp_targetILNS1_3genE9ELNS1_11target_archE1100ELNS1_3gpuE3ELNS1_3repE0EEENS1_30default_config_static_selectorELNS0_4arch9wavefront6targetE1EEEvT1_.private_seg_size, 0
	.set _ZN7rocprim17ROCPRIM_400000_NS6detail17trampoline_kernelINS0_14default_configENS1_35adjacent_difference_config_selectorILb1EyEEZNS1_24adjacent_difference_implIS3_Lb1ELb0EPyS7_N6thrust23THRUST_200600_302600_NS4plusIyEEEE10hipError_tPvRmT2_T3_mT4_P12ihipStream_tbEUlT_E_NS1_11comp_targetILNS1_3genE9ELNS1_11target_archE1100ELNS1_3gpuE3ELNS1_3repE0EEENS1_30default_config_static_selectorELNS0_4arch9wavefront6targetE1EEEvT1_.uses_vcc, 0
	.set _ZN7rocprim17ROCPRIM_400000_NS6detail17trampoline_kernelINS0_14default_configENS1_35adjacent_difference_config_selectorILb1EyEEZNS1_24adjacent_difference_implIS3_Lb1ELb0EPyS7_N6thrust23THRUST_200600_302600_NS4plusIyEEEE10hipError_tPvRmT2_T3_mT4_P12ihipStream_tbEUlT_E_NS1_11comp_targetILNS1_3genE9ELNS1_11target_archE1100ELNS1_3gpuE3ELNS1_3repE0EEENS1_30default_config_static_selectorELNS0_4arch9wavefront6targetE1EEEvT1_.uses_flat_scratch, 0
	.set _ZN7rocprim17ROCPRIM_400000_NS6detail17trampoline_kernelINS0_14default_configENS1_35adjacent_difference_config_selectorILb1EyEEZNS1_24adjacent_difference_implIS3_Lb1ELb0EPyS7_N6thrust23THRUST_200600_302600_NS4plusIyEEEE10hipError_tPvRmT2_T3_mT4_P12ihipStream_tbEUlT_E_NS1_11comp_targetILNS1_3genE9ELNS1_11target_archE1100ELNS1_3gpuE3ELNS1_3repE0EEENS1_30default_config_static_selectorELNS0_4arch9wavefront6targetE1EEEvT1_.has_dyn_sized_stack, 0
	.set _ZN7rocprim17ROCPRIM_400000_NS6detail17trampoline_kernelINS0_14default_configENS1_35adjacent_difference_config_selectorILb1EyEEZNS1_24adjacent_difference_implIS3_Lb1ELb0EPyS7_N6thrust23THRUST_200600_302600_NS4plusIyEEEE10hipError_tPvRmT2_T3_mT4_P12ihipStream_tbEUlT_E_NS1_11comp_targetILNS1_3genE9ELNS1_11target_archE1100ELNS1_3gpuE3ELNS1_3repE0EEENS1_30default_config_static_selectorELNS0_4arch9wavefront6targetE1EEEvT1_.has_recursion, 0
	.set _ZN7rocprim17ROCPRIM_400000_NS6detail17trampoline_kernelINS0_14default_configENS1_35adjacent_difference_config_selectorILb1EyEEZNS1_24adjacent_difference_implIS3_Lb1ELb0EPyS7_N6thrust23THRUST_200600_302600_NS4plusIyEEEE10hipError_tPvRmT2_T3_mT4_P12ihipStream_tbEUlT_E_NS1_11comp_targetILNS1_3genE9ELNS1_11target_archE1100ELNS1_3gpuE3ELNS1_3repE0EEENS1_30default_config_static_selectorELNS0_4arch9wavefront6targetE1EEEvT1_.has_indirect_call, 0
	.section	.AMDGPU.csdata,"",@progbits
; Kernel info:
; codeLenInByte = 0
; TotalNumSgprs: 4
; NumVgprs: 0
; ScratchSize: 0
; MemoryBound: 0
; FloatMode: 240
; IeeeMode: 1
; LDSByteSize: 0 bytes/workgroup (compile time only)
; SGPRBlocks: 0
; VGPRBlocks: 0
; NumSGPRsForWavesPerEU: 4
; NumVGPRsForWavesPerEU: 1
; Occupancy: 10
; WaveLimiterHint : 0
; COMPUTE_PGM_RSRC2:SCRATCH_EN: 0
; COMPUTE_PGM_RSRC2:USER_SGPR: 6
; COMPUTE_PGM_RSRC2:TRAP_HANDLER: 0
; COMPUTE_PGM_RSRC2:TGID_X_EN: 1
; COMPUTE_PGM_RSRC2:TGID_Y_EN: 0
; COMPUTE_PGM_RSRC2:TGID_Z_EN: 0
; COMPUTE_PGM_RSRC2:TIDIG_COMP_CNT: 0
	.section	.text._ZN7rocprim17ROCPRIM_400000_NS6detail17trampoline_kernelINS0_14default_configENS1_35adjacent_difference_config_selectorILb1EyEEZNS1_24adjacent_difference_implIS3_Lb1ELb0EPyS7_N6thrust23THRUST_200600_302600_NS4plusIyEEEE10hipError_tPvRmT2_T3_mT4_P12ihipStream_tbEUlT_E_NS1_11comp_targetILNS1_3genE8ELNS1_11target_archE1030ELNS1_3gpuE2ELNS1_3repE0EEENS1_30default_config_static_selectorELNS0_4arch9wavefront6targetE1EEEvT1_,"axG",@progbits,_ZN7rocprim17ROCPRIM_400000_NS6detail17trampoline_kernelINS0_14default_configENS1_35adjacent_difference_config_selectorILb1EyEEZNS1_24adjacent_difference_implIS3_Lb1ELb0EPyS7_N6thrust23THRUST_200600_302600_NS4plusIyEEEE10hipError_tPvRmT2_T3_mT4_P12ihipStream_tbEUlT_E_NS1_11comp_targetILNS1_3genE8ELNS1_11target_archE1030ELNS1_3gpuE2ELNS1_3repE0EEENS1_30default_config_static_selectorELNS0_4arch9wavefront6targetE1EEEvT1_,comdat
	.protected	_ZN7rocprim17ROCPRIM_400000_NS6detail17trampoline_kernelINS0_14default_configENS1_35adjacent_difference_config_selectorILb1EyEEZNS1_24adjacent_difference_implIS3_Lb1ELb0EPyS7_N6thrust23THRUST_200600_302600_NS4plusIyEEEE10hipError_tPvRmT2_T3_mT4_P12ihipStream_tbEUlT_E_NS1_11comp_targetILNS1_3genE8ELNS1_11target_archE1030ELNS1_3gpuE2ELNS1_3repE0EEENS1_30default_config_static_selectorELNS0_4arch9wavefront6targetE1EEEvT1_ ; -- Begin function _ZN7rocprim17ROCPRIM_400000_NS6detail17trampoline_kernelINS0_14default_configENS1_35adjacent_difference_config_selectorILb1EyEEZNS1_24adjacent_difference_implIS3_Lb1ELb0EPyS7_N6thrust23THRUST_200600_302600_NS4plusIyEEEE10hipError_tPvRmT2_T3_mT4_P12ihipStream_tbEUlT_E_NS1_11comp_targetILNS1_3genE8ELNS1_11target_archE1030ELNS1_3gpuE2ELNS1_3repE0EEENS1_30default_config_static_selectorELNS0_4arch9wavefront6targetE1EEEvT1_
	.globl	_ZN7rocprim17ROCPRIM_400000_NS6detail17trampoline_kernelINS0_14default_configENS1_35adjacent_difference_config_selectorILb1EyEEZNS1_24adjacent_difference_implIS3_Lb1ELb0EPyS7_N6thrust23THRUST_200600_302600_NS4plusIyEEEE10hipError_tPvRmT2_T3_mT4_P12ihipStream_tbEUlT_E_NS1_11comp_targetILNS1_3genE8ELNS1_11target_archE1030ELNS1_3gpuE2ELNS1_3repE0EEENS1_30default_config_static_selectorELNS0_4arch9wavefront6targetE1EEEvT1_
	.p2align	8
	.type	_ZN7rocprim17ROCPRIM_400000_NS6detail17trampoline_kernelINS0_14default_configENS1_35adjacent_difference_config_selectorILb1EyEEZNS1_24adjacent_difference_implIS3_Lb1ELb0EPyS7_N6thrust23THRUST_200600_302600_NS4plusIyEEEE10hipError_tPvRmT2_T3_mT4_P12ihipStream_tbEUlT_E_NS1_11comp_targetILNS1_3genE8ELNS1_11target_archE1030ELNS1_3gpuE2ELNS1_3repE0EEENS1_30default_config_static_selectorELNS0_4arch9wavefront6targetE1EEEvT1_,@function
_ZN7rocprim17ROCPRIM_400000_NS6detail17trampoline_kernelINS0_14default_configENS1_35adjacent_difference_config_selectorILb1EyEEZNS1_24adjacent_difference_implIS3_Lb1ELb0EPyS7_N6thrust23THRUST_200600_302600_NS4plusIyEEEE10hipError_tPvRmT2_T3_mT4_P12ihipStream_tbEUlT_E_NS1_11comp_targetILNS1_3genE8ELNS1_11target_archE1030ELNS1_3gpuE2ELNS1_3repE0EEENS1_30default_config_static_selectorELNS0_4arch9wavefront6targetE1EEEvT1_: ; @_ZN7rocprim17ROCPRIM_400000_NS6detail17trampoline_kernelINS0_14default_configENS1_35adjacent_difference_config_selectorILb1EyEEZNS1_24adjacent_difference_implIS3_Lb1ELb0EPyS7_N6thrust23THRUST_200600_302600_NS4plusIyEEEE10hipError_tPvRmT2_T3_mT4_P12ihipStream_tbEUlT_E_NS1_11comp_targetILNS1_3genE8ELNS1_11target_archE1030ELNS1_3gpuE2ELNS1_3repE0EEENS1_30default_config_static_selectorELNS0_4arch9wavefront6targetE1EEEvT1_
; %bb.0:
	.section	.rodata,"a",@progbits
	.p2align	6, 0x0
	.amdhsa_kernel _ZN7rocprim17ROCPRIM_400000_NS6detail17trampoline_kernelINS0_14default_configENS1_35adjacent_difference_config_selectorILb1EyEEZNS1_24adjacent_difference_implIS3_Lb1ELb0EPyS7_N6thrust23THRUST_200600_302600_NS4plusIyEEEE10hipError_tPvRmT2_T3_mT4_P12ihipStream_tbEUlT_E_NS1_11comp_targetILNS1_3genE8ELNS1_11target_archE1030ELNS1_3gpuE2ELNS1_3repE0EEENS1_30default_config_static_selectorELNS0_4arch9wavefront6targetE1EEEvT1_
		.amdhsa_group_segment_fixed_size 0
		.amdhsa_private_segment_fixed_size 0
		.amdhsa_kernarg_size 56
		.amdhsa_user_sgpr_count 6
		.amdhsa_user_sgpr_private_segment_buffer 1
		.amdhsa_user_sgpr_dispatch_ptr 0
		.amdhsa_user_sgpr_queue_ptr 0
		.amdhsa_user_sgpr_kernarg_segment_ptr 1
		.amdhsa_user_sgpr_dispatch_id 0
		.amdhsa_user_sgpr_flat_scratch_init 0
		.amdhsa_user_sgpr_private_segment_size 0
		.amdhsa_uses_dynamic_stack 0
		.amdhsa_system_sgpr_private_segment_wavefront_offset 0
		.amdhsa_system_sgpr_workgroup_id_x 1
		.amdhsa_system_sgpr_workgroup_id_y 0
		.amdhsa_system_sgpr_workgroup_id_z 0
		.amdhsa_system_sgpr_workgroup_info 0
		.amdhsa_system_vgpr_workitem_id 0
		.amdhsa_next_free_vgpr 1
		.amdhsa_next_free_sgpr 0
		.amdhsa_reserve_vcc 0
		.amdhsa_reserve_flat_scratch 0
		.amdhsa_float_round_mode_32 0
		.amdhsa_float_round_mode_16_64 0
		.amdhsa_float_denorm_mode_32 3
		.amdhsa_float_denorm_mode_16_64 3
		.amdhsa_dx10_clamp 1
		.amdhsa_ieee_mode 1
		.amdhsa_fp16_overflow 0
		.amdhsa_exception_fp_ieee_invalid_op 0
		.amdhsa_exception_fp_denorm_src 0
		.amdhsa_exception_fp_ieee_div_zero 0
		.amdhsa_exception_fp_ieee_overflow 0
		.amdhsa_exception_fp_ieee_underflow 0
		.amdhsa_exception_fp_ieee_inexact 0
		.amdhsa_exception_int_div_zero 0
	.end_amdhsa_kernel
	.section	.text._ZN7rocprim17ROCPRIM_400000_NS6detail17trampoline_kernelINS0_14default_configENS1_35adjacent_difference_config_selectorILb1EyEEZNS1_24adjacent_difference_implIS3_Lb1ELb0EPyS7_N6thrust23THRUST_200600_302600_NS4plusIyEEEE10hipError_tPvRmT2_T3_mT4_P12ihipStream_tbEUlT_E_NS1_11comp_targetILNS1_3genE8ELNS1_11target_archE1030ELNS1_3gpuE2ELNS1_3repE0EEENS1_30default_config_static_selectorELNS0_4arch9wavefront6targetE1EEEvT1_,"axG",@progbits,_ZN7rocprim17ROCPRIM_400000_NS6detail17trampoline_kernelINS0_14default_configENS1_35adjacent_difference_config_selectorILb1EyEEZNS1_24adjacent_difference_implIS3_Lb1ELb0EPyS7_N6thrust23THRUST_200600_302600_NS4plusIyEEEE10hipError_tPvRmT2_T3_mT4_P12ihipStream_tbEUlT_E_NS1_11comp_targetILNS1_3genE8ELNS1_11target_archE1030ELNS1_3gpuE2ELNS1_3repE0EEENS1_30default_config_static_selectorELNS0_4arch9wavefront6targetE1EEEvT1_,comdat
.Lfunc_end153:
	.size	_ZN7rocprim17ROCPRIM_400000_NS6detail17trampoline_kernelINS0_14default_configENS1_35adjacent_difference_config_selectorILb1EyEEZNS1_24adjacent_difference_implIS3_Lb1ELb0EPyS7_N6thrust23THRUST_200600_302600_NS4plusIyEEEE10hipError_tPvRmT2_T3_mT4_P12ihipStream_tbEUlT_E_NS1_11comp_targetILNS1_3genE8ELNS1_11target_archE1030ELNS1_3gpuE2ELNS1_3repE0EEENS1_30default_config_static_selectorELNS0_4arch9wavefront6targetE1EEEvT1_, .Lfunc_end153-_ZN7rocprim17ROCPRIM_400000_NS6detail17trampoline_kernelINS0_14default_configENS1_35adjacent_difference_config_selectorILb1EyEEZNS1_24adjacent_difference_implIS3_Lb1ELb0EPyS7_N6thrust23THRUST_200600_302600_NS4plusIyEEEE10hipError_tPvRmT2_T3_mT4_P12ihipStream_tbEUlT_E_NS1_11comp_targetILNS1_3genE8ELNS1_11target_archE1030ELNS1_3gpuE2ELNS1_3repE0EEENS1_30default_config_static_selectorELNS0_4arch9wavefront6targetE1EEEvT1_
                                        ; -- End function
	.set _ZN7rocprim17ROCPRIM_400000_NS6detail17trampoline_kernelINS0_14default_configENS1_35adjacent_difference_config_selectorILb1EyEEZNS1_24adjacent_difference_implIS3_Lb1ELb0EPyS7_N6thrust23THRUST_200600_302600_NS4plusIyEEEE10hipError_tPvRmT2_T3_mT4_P12ihipStream_tbEUlT_E_NS1_11comp_targetILNS1_3genE8ELNS1_11target_archE1030ELNS1_3gpuE2ELNS1_3repE0EEENS1_30default_config_static_selectorELNS0_4arch9wavefront6targetE1EEEvT1_.num_vgpr, 0
	.set _ZN7rocprim17ROCPRIM_400000_NS6detail17trampoline_kernelINS0_14default_configENS1_35adjacent_difference_config_selectorILb1EyEEZNS1_24adjacent_difference_implIS3_Lb1ELb0EPyS7_N6thrust23THRUST_200600_302600_NS4plusIyEEEE10hipError_tPvRmT2_T3_mT4_P12ihipStream_tbEUlT_E_NS1_11comp_targetILNS1_3genE8ELNS1_11target_archE1030ELNS1_3gpuE2ELNS1_3repE0EEENS1_30default_config_static_selectorELNS0_4arch9wavefront6targetE1EEEvT1_.num_agpr, 0
	.set _ZN7rocprim17ROCPRIM_400000_NS6detail17trampoline_kernelINS0_14default_configENS1_35adjacent_difference_config_selectorILb1EyEEZNS1_24adjacent_difference_implIS3_Lb1ELb0EPyS7_N6thrust23THRUST_200600_302600_NS4plusIyEEEE10hipError_tPvRmT2_T3_mT4_P12ihipStream_tbEUlT_E_NS1_11comp_targetILNS1_3genE8ELNS1_11target_archE1030ELNS1_3gpuE2ELNS1_3repE0EEENS1_30default_config_static_selectorELNS0_4arch9wavefront6targetE1EEEvT1_.numbered_sgpr, 0
	.set _ZN7rocprim17ROCPRIM_400000_NS6detail17trampoline_kernelINS0_14default_configENS1_35adjacent_difference_config_selectorILb1EyEEZNS1_24adjacent_difference_implIS3_Lb1ELb0EPyS7_N6thrust23THRUST_200600_302600_NS4plusIyEEEE10hipError_tPvRmT2_T3_mT4_P12ihipStream_tbEUlT_E_NS1_11comp_targetILNS1_3genE8ELNS1_11target_archE1030ELNS1_3gpuE2ELNS1_3repE0EEENS1_30default_config_static_selectorELNS0_4arch9wavefront6targetE1EEEvT1_.num_named_barrier, 0
	.set _ZN7rocprim17ROCPRIM_400000_NS6detail17trampoline_kernelINS0_14default_configENS1_35adjacent_difference_config_selectorILb1EyEEZNS1_24adjacent_difference_implIS3_Lb1ELb0EPyS7_N6thrust23THRUST_200600_302600_NS4plusIyEEEE10hipError_tPvRmT2_T3_mT4_P12ihipStream_tbEUlT_E_NS1_11comp_targetILNS1_3genE8ELNS1_11target_archE1030ELNS1_3gpuE2ELNS1_3repE0EEENS1_30default_config_static_selectorELNS0_4arch9wavefront6targetE1EEEvT1_.private_seg_size, 0
	.set _ZN7rocprim17ROCPRIM_400000_NS6detail17trampoline_kernelINS0_14default_configENS1_35adjacent_difference_config_selectorILb1EyEEZNS1_24adjacent_difference_implIS3_Lb1ELb0EPyS7_N6thrust23THRUST_200600_302600_NS4plusIyEEEE10hipError_tPvRmT2_T3_mT4_P12ihipStream_tbEUlT_E_NS1_11comp_targetILNS1_3genE8ELNS1_11target_archE1030ELNS1_3gpuE2ELNS1_3repE0EEENS1_30default_config_static_selectorELNS0_4arch9wavefront6targetE1EEEvT1_.uses_vcc, 0
	.set _ZN7rocprim17ROCPRIM_400000_NS6detail17trampoline_kernelINS0_14default_configENS1_35adjacent_difference_config_selectorILb1EyEEZNS1_24adjacent_difference_implIS3_Lb1ELb0EPyS7_N6thrust23THRUST_200600_302600_NS4plusIyEEEE10hipError_tPvRmT2_T3_mT4_P12ihipStream_tbEUlT_E_NS1_11comp_targetILNS1_3genE8ELNS1_11target_archE1030ELNS1_3gpuE2ELNS1_3repE0EEENS1_30default_config_static_selectorELNS0_4arch9wavefront6targetE1EEEvT1_.uses_flat_scratch, 0
	.set _ZN7rocprim17ROCPRIM_400000_NS6detail17trampoline_kernelINS0_14default_configENS1_35adjacent_difference_config_selectorILb1EyEEZNS1_24adjacent_difference_implIS3_Lb1ELb0EPyS7_N6thrust23THRUST_200600_302600_NS4plusIyEEEE10hipError_tPvRmT2_T3_mT4_P12ihipStream_tbEUlT_E_NS1_11comp_targetILNS1_3genE8ELNS1_11target_archE1030ELNS1_3gpuE2ELNS1_3repE0EEENS1_30default_config_static_selectorELNS0_4arch9wavefront6targetE1EEEvT1_.has_dyn_sized_stack, 0
	.set _ZN7rocprim17ROCPRIM_400000_NS6detail17trampoline_kernelINS0_14default_configENS1_35adjacent_difference_config_selectorILb1EyEEZNS1_24adjacent_difference_implIS3_Lb1ELb0EPyS7_N6thrust23THRUST_200600_302600_NS4plusIyEEEE10hipError_tPvRmT2_T3_mT4_P12ihipStream_tbEUlT_E_NS1_11comp_targetILNS1_3genE8ELNS1_11target_archE1030ELNS1_3gpuE2ELNS1_3repE0EEENS1_30default_config_static_selectorELNS0_4arch9wavefront6targetE1EEEvT1_.has_recursion, 0
	.set _ZN7rocprim17ROCPRIM_400000_NS6detail17trampoline_kernelINS0_14default_configENS1_35adjacent_difference_config_selectorILb1EyEEZNS1_24adjacent_difference_implIS3_Lb1ELb0EPyS7_N6thrust23THRUST_200600_302600_NS4plusIyEEEE10hipError_tPvRmT2_T3_mT4_P12ihipStream_tbEUlT_E_NS1_11comp_targetILNS1_3genE8ELNS1_11target_archE1030ELNS1_3gpuE2ELNS1_3repE0EEENS1_30default_config_static_selectorELNS0_4arch9wavefront6targetE1EEEvT1_.has_indirect_call, 0
	.section	.AMDGPU.csdata,"",@progbits
; Kernel info:
; codeLenInByte = 0
; TotalNumSgprs: 4
; NumVgprs: 0
; ScratchSize: 0
; MemoryBound: 0
; FloatMode: 240
; IeeeMode: 1
; LDSByteSize: 0 bytes/workgroup (compile time only)
; SGPRBlocks: 0
; VGPRBlocks: 0
; NumSGPRsForWavesPerEU: 4
; NumVGPRsForWavesPerEU: 1
; Occupancy: 10
; WaveLimiterHint : 0
; COMPUTE_PGM_RSRC2:SCRATCH_EN: 0
; COMPUTE_PGM_RSRC2:USER_SGPR: 6
; COMPUTE_PGM_RSRC2:TRAP_HANDLER: 0
; COMPUTE_PGM_RSRC2:TGID_X_EN: 1
; COMPUTE_PGM_RSRC2:TGID_Y_EN: 0
; COMPUTE_PGM_RSRC2:TGID_Z_EN: 0
; COMPUTE_PGM_RSRC2:TIDIG_COMP_CNT: 0
	.section	.text._ZN6thrust23THRUST_200600_302600_NS11hip_rocprim14__parallel_for6kernelILj256ENS1_20__uninitialized_fill7functorINS0_10device_ptrIjEEjEEmLj1EEEvT0_T1_SA_,"axG",@progbits,_ZN6thrust23THRUST_200600_302600_NS11hip_rocprim14__parallel_for6kernelILj256ENS1_20__uninitialized_fill7functorINS0_10device_ptrIjEEjEEmLj1EEEvT0_T1_SA_,comdat
	.protected	_ZN6thrust23THRUST_200600_302600_NS11hip_rocprim14__parallel_for6kernelILj256ENS1_20__uninitialized_fill7functorINS0_10device_ptrIjEEjEEmLj1EEEvT0_T1_SA_ ; -- Begin function _ZN6thrust23THRUST_200600_302600_NS11hip_rocprim14__parallel_for6kernelILj256ENS1_20__uninitialized_fill7functorINS0_10device_ptrIjEEjEEmLj1EEEvT0_T1_SA_
	.globl	_ZN6thrust23THRUST_200600_302600_NS11hip_rocprim14__parallel_for6kernelILj256ENS1_20__uninitialized_fill7functorINS0_10device_ptrIjEEjEEmLj1EEEvT0_T1_SA_
	.p2align	8
	.type	_ZN6thrust23THRUST_200600_302600_NS11hip_rocprim14__parallel_for6kernelILj256ENS1_20__uninitialized_fill7functorINS0_10device_ptrIjEEjEEmLj1EEEvT0_T1_SA_,@function
_ZN6thrust23THRUST_200600_302600_NS11hip_rocprim14__parallel_for6kernelILj256ENS1_20__uninitialized_fill7functorINS0_10device_ptrIjEEjEEmLj1EEEvT0_T1_SA_: ; @_ZN6thrust23THRUST_200600_302600_NS11hip_rocprim14__parallel_for6kernelILj256ENS1_20__uninitialized_fill7functorINS0_10device_ptrIjEEjEEmLj1EEEvT0_T1_SA_
; %bb.0:
	s_load_dwordx4 s[12:15], s[4:5], 0x10
	s_load_dwordx2 s[0:1], s[4:5], 0x0
	s_load_dword s8, s[4:5], 0x8
	s_lshl_b32 s2, s6, 8
	v_mov_b32_e32 v1, 0xff
	s_waitcnt lgkmcnt(0)
	s_add_u32 s2, s14, s2
	s_addc_u32 s3, s15, 0
	s_sub_u32 s4, s12, s2
	v_mov_b32_e32 v2, 0
	s_subb_u32 s5, s13, s3
	v_cmp_gt_u64_e32 vcc, s[4:5], v[1:2]
	s_mov_b64 s[6:7], -1
	s_cbranch_vccz .LBB154_3
; %bb.1:
	s_andn2_b64 vcc, exec, s[6:7]
	s_cbranch_vccz .LBB154_6
.LBB154_2:
	s_endpgm
.LBB154_3:
	v_cmp_gt_u32_e32 vcc, s4, v0
	s_and_saveexec_b64 s[4:5], vcc
	s_cbranch_execz .LBB154_5
; %bb.4:
	s_lshl_b64 s[6:7], s[2:3], 2
	s_add_u32 s6, s0, s6
	s_addc_u32 s7, s1, s7
	v_lshlrev_b32_e32 v1, 2, v0
	v_mov_b32_e32 v2, s7
	v_add_co_u32_e32 v1, vcc, s6, v1
	v_addc_co_u32_e32 v2, vcc, 0, v2, vcc
	v_mov_b32_e32 v3, s8
	flat_store_dword v[1:2], v3
.LBB154_5:
	s_or_b64 exec, exec, s[4:5]
	s_cbranch_execnz .LBB154_2
.LBB154_6:
	s_lshl_b64 s[2:3], s[2:3], 2
	s_add_u32 s0, s0, s2
	s_addc_u32 s1, s1, s3
	v_lshlrev_b32_e32 v0, 2, v0
	v_mov_b32_e32 v1, s1
	v_add_co_u32_e32 v0, vcc, s0, v0
	v_addc_co_u32_e32 v1, vcc, 0, v1, vcc
	v_mov_b32_e32 v2, s8
	flat_store_dword v[0:1], v2
	s_endpgm
	.section	.rodata,"a",@progbits
	.p2align	6, 0x0
	.amdhsa_kernel _ZN6thrust23THRUST_200600_302600_NS11hip_rocprim14__parallel_for6kernelILj256ENS1_20__uninitialized_fill7functorINS0_10device_ptrIjEEjEEmLj1EEEvT0_T1_SA_
		.amdhsa_group_segment_fixed_size 0
		.amdhsa_private_segment_fixed_size 0
		.amdhsa_kernarg_size 32
		.amdhsa_user_sgpr_count 6
		.amdhsa_user_sgpr_private_segment_buffer 1
		.amdhsa_user_sgpr_dispatch_ptr 0
		.amdhsa_user_sgpr_queue_ptr 0
		.amdhsa_user_sgpr_kernarg_segment_ptr 1
		.amdhsa_user_sgpr_dispatch_id 0
		.amdhsa_user_sgpr_flat_scratch_init 0
		.amdhsa_user_sgpr_private_segment_size 0
		.amdhsa_uses_dynamic_stack 0
		.amdhsa_system_sgpr_private_segment_wavefront_offset 0
		.amdhsa_system_sgpr_workgroup_id_x 1
		.amdhsa_system_sgpr_workgroup_id_y 0
		.amdhsa_system_sgpr_workgroup_id_z 0
		.amdhsa_system_sgpr_workgroup_info 0
		.amdhsa_system_vgpr_workitem_id 0
		.amdhsa_next_free_vgpr 4
		.amdhsa_next_free_sgpr 16
		.amdhsa_reserve_vcc 1
		.amdhsa_reserve_flat_scratch 0
		.amdhsa_float_round_mode_32 0
		.amdhsa_float_round_mode_16_64 0
		.amdhsa_float_denorm_mode_32 3
		.amdhsa_float_denorm_mode_16_64 3
		.amdhsa_dx10_clamp 1
		.amdhsa_ieee_mode 1
		.amdhsa_fp16_overflow 0
		.amdhsa_exception_fp_ieee_invalid_op 0
		.amdhsa_exception_fp_denorm_src 0
		.amdhsa_exception_fp_ieee_div_zero 0
		.amdhsa_exception_fp_ieee_overflow 0
		.amdhsa_exception_fp_ieee_underflow 0
		.amdhsa_exception_fp_ieee_inexact 0
		.amdhsa_exception_int_div_zero 0
	.end_amdhsa_kernel
	.section	.text._ZN6thrust23THRUST_200600_302600_NS11hip_rocprim14__parallel_for6kernelILj256ENS1_20__uninitialized_fill7functorINS0_10device_ptrIjEEjEEmLj1EEEvT0_T1_SA_,"axG",@progbits,_ZN6thrust23THRUST_200600_302600_NS11hip_rocprim14__parallel_for6kernelILj256ENS1_20__uninitialized_fill7functorINS0_10device_ptrIjEEjEEmLj1EEEvT0_T1_SA_,comdat
.Lfunc_end154:
	.size	_ZN6thrust23THRUST_200600_302600_NS11hip_rocprim14__parallel_for6kernelILj256ENS1_20__uninitialized_fill7functorINS0_10device_ptrIjEEjEEmLj1EEEvT0_T1_SA_, .Lfunc_end154-_ZN6thrust23THRUST_200600_302600_NS11hip_rocprim14__parallel_for6kernelILj256ENS1_20__uninitialized_fill7functorINS0_10device_ptrIjEEjEEmLj1EEEvT0_T1_SA_
                                        ; -- End function
	.set _ZN6thrust23THRUST_200600_302600_NS11hip_rocprim14__parallel_for6kernelILj256ENS1_20__uninitialized_fill7functorINS0_10device_ptrIjEEjEEmLj1EEEvT0_T1_SA_.num_vgpr, 4
	.set _ZN6thrust23THRUST_200600_302600_NS11hip_rocprim14__parallel_for6kernelILj256ENS1_20__uninitialized_fill7functorINS0_10device_ptrIjEEjEEmLj1EEEvT0_T1_SA_.num_agpr, 0
	.set _ZN6thrust23THRUST_200600_302600_NS11hip_rocprim14__parallel_for6kernelILj256ENS1_20__uninitialized_fill7functorINS0_10device_ptrIjEEjEEmLj1EEEvT0_T1_SA_.numbered_sgpr, 16
	.set _ZN6thrust23THRUST_200600_302600_NS11hip_rocprim14__parallel_for6kernelILj256ENS1_20__uninitialized_fill7functorINS0_10device_ptrIjEEjEEmLj1EEEvT0_T1_SA_.num_named_barrier, 0
	.set _ZN6thrust23THRUST_200600_302600_NS11hip_rocprim14__parallel_for6kernelILj256ENS1_20__uninitialized_fill7functorINS0_10device_ptrIjEEjEEmLj1EEEvT0_T1_SA_.private_seg_size, 0
	.set _ZN6thrust23THRUST_200600_302600_NS11hip_rocprim14__parallel_for6kernelILj256ENS1_20__uninitialized_fill7functorINS0_10device_ptrIjEEjEEmLj1EEEvT0_T1_SA_.uses_vcc, 1
	.set _ZN6thrust23THRUST_200600_302600_NS11hip_rocprim14__parallel_for6kernelILj256ENS1_20__uninitialized_fill7functorINS0_10device_ptrIjEEjEEmLj1EEEvT0_T1_SA_.uses_flat_scratch, 0
	.set _ZN6thrust23THRUST_200600_302600_NS11hip_rocprim14__parallel_for6kernelILj256ENS1_20__uninitialized_fill7functorINS0_10device_ptrIjEEjEEmLj1EEEvT0_T1_SA_.has_dyn_sized_stack, 0
	.set _ZN6thrust23THRUST_200600_302600_NS11hip_rocprim14__parallel_for6kernelILj256ENS1_20__uninitialized_fill7functorINS0_10device_ptrIjEEjEEmLj1EEEvT0_T1_SA_.has_recursion, 0
	.set _ZN6thrust23THRUST_200600_302600_NS11hip_rocprim14__parallel_for6kernelILj256ENS1_20__uninitialized_fill7functorINS0_10device_ptrIjEEjEEmLj1EEEvT0_T1_SA_.has_indirect_call, 0
	.section	.AMDGPU.csdata,"",@progbits
; Kernel info:
; codeLenInByte = 188
; TotalNumSgprs: 20
; NumVgprs: 4
; ScratchSize: 0
; MemoryBound: 0
; FloatMode: 240
; IeeeMode: 1
; LDSByteSize: 0 bytes/workgroup (compile time only)
; SGPRBlocks: 2
; VGPRBlocks: 0
; NumSGPRsForWavesPerEU: 20
; NumVGPRsForWavesPerEU: 4
; Occupancy: 10
; WaveLimiterHint : 0
; COMPUTE_PGM_RSRC2:SCRATCH_EN: 0
; COMPUTE_PGM_RSRC2:USER_SGPR: 6
; COMPUTE_PGM_RSRC2:TRAP_HANDLER: 0
; COMPUTE_PGM_RSRC2:TGID_X_EN: 1
; COMPUTE_PGM_RSRC2:TGID_Y_EN: 0
; COMPUTE_PGM_RSRC2:TGID_Z_EN: 0
; COMPUTE_PGM_RSRC2:TIDIG_COMP_CNT: 0
	.section	.text._ZN7rocprim17ROCPRIM_400000_NS6detail17trampoline_kernelINS0_14default_configENS1_35adjacent_difference_config_selectorILb0EjEEZNS1_24adjacent_difference_implIS3_Lb0ELb0EPjS7_N6thrust23THRUST_200600_302600_NS5minusIjEEEE10hipError_tPvRmT2_T3_mT4_P12ihipStream_tbEUlT_E_NS1_11comp_targetILNS1_3genE0ELNS1_11target_archE4294967295ELNS1_3gpuE0ELNS1_3repE0EEENS1_30default_config_static_selectorELNS0_4arch9wavefront6targetE1EEEvT1_,"axG",@progbits,_ZN7rocprim17ROCPRIM_400000_NS6detail17trampoline_kernelINS0_14default_configENS1_35adjacent_difference_config_selectorILb0EjEEZNS1_24adjacent_difference_implIS3_Lb0ELb0EPjS7_N6thrust23THRUST_200600_302600_NS5minusIjEEEE10hipError_tPvRmT2_T3_mT4_P12ihipStream_tbEUlT_E_NS1_11comp_targetILNS1_3genE0ELNS1_11target_archE4294967295ELNS1_3gpuE0ELNS1_3repE0EEENS1_30default_config_static_selectorELNS0_4arch9wavefront6targetE1EEEvT1_,comdat
	.protected	_ZN7rocprim17ROCPRIM_400000_NS6detail17trampoline_kernelINS0_14default_configENS1_35adjacent_difference_config_selectorILb0EjEEZNS1_24adjacent_difference_implIS3_Lb0ELb0EPjS7_N6thrust23THRUST_200600_302600_NS5minusIjEEEE10hipError_tPvRmT2_T3_mT4_P12ihipStream_tbEUlT_E_NS1_11comp_targetILNS1_3genE0ELNS1_11target_archE4294967295ELNS1_3gpuE0ELNS1_3repE0EEENS1_30default_config_static_selectorELNS0_4arch9wavefront6targetE1EEEvT1_ ; -- Begin function _ZN7rocprim17ROCPRIM_400000_NS6detail17trampoline_kernelINS0_14default_configENS1_35adjacent_difference_config_selectorILb0EjEEZNS1_24adjacent_difference_implIS3_Lb0ELb0EPjS7_N6thrust23THRUST_200600_302600_NS5minusIjEEEE10hipError_tPvRmT2_T3_mT4_P12ihipStream_tbEUlT_E_NS1_11comp_targetILNS1_3genE0ELNS1_11target_archE4294967295ELNS1_3gpuE0ELNS1_3repE0EEENS1_30default_config_static_selectorELNS0_4arch9wavefront6targetE1EEEvT1_
	.globl	_ZN7rocprim17ROCPRIM_400000_NS6detail17trampoline_kernelINS0_14default_configENS1_35adjacent_difference_config_selectorILb0EjEEZNS1_24adjacent_difference_implIS3_Lb0ELb0EPjS7_N6thrust23THRUST_200600_302600_NS5minusIjEEEE10hipError_tPvRmT2_T3_mT4_P12ihipStream_tbEUlT_E_NS1_11comp_targetILNS1_3genE0ELNS1_11target_archE4294967295ELNS1_3gpuE0ELNS1_3repE0EEENS1_30default_config_static_selectorELNS0_4arch9wavefront6targetE1EEEvT1_
	.p2align	8
	.type	_ZN7rocprim17ROCPRIM_400000_NS6detail17trampoline_kernelINS0_14default_configENS1_35adjacent_difference_config_selectorILb0EjEEZNS1_24adjacent_difference_implIS3_Lb0ELb0EPjS7_N6thrust23THRUST_200600_302600_NS5minusIjEEEE10hipError_tPvRmT2_T3_mT4_P12ihipStream_tbEUlT_E_NS1_11comp_targetILNS1_3genE0ELNS1_11target_archE4294967295ELNS1_3gpuE0ELNS1_3repE0EEENS1_30default_config_static_selectorELNS0_4arch9wavefront6targetE1EEEvT1_,@function
_ZN7rocprim17ROCPRIM_400000_NS6detail17trampoline_kernelINS0_14default_configENS1_35adjacent_difference_config_selectorILb0EjEEZNS1_24adjacent_difference_implIS3_Lb0ELb0EPjS7_N6thrust23THRUST_200600_302600_NS5minusIjEEEE10hipError_tPvRmT2_T3_mT4_P12ihipStream_tbEUlT_E_NS1_11comp_targetILNS1_3genE0ELNS1_11target_archE4294967295ELNS1_3gpuE0ELNS1_3repE0EEENS1_30default_config_static_selectorELNS0_4arch9wavefront6targetE1EEEvT1_: ; @_ZN7rocprim17ROCPRIM_400000_NS6detail17trampoline_kernelINS0_14default_configENS1_35adjacent_difference_config_selectorILb0EjEEZNS1_24adjacent_difference_implIS3_Lb0ELb0EPjS7_N6thrust23THRUST_200600_302600_NS5minusIjEEEE10hipError_tPvRmT2_T3_mT4_P12ihipStream_tbEUlT_E_NS1_11comp_targetILNS1_3genE0ELNS1_11target_archE4294967295ELNS1_3gpuE0ELNS1_3repE0EEENS1_30default_config_static_selectorELNS0_4arch9wavefront6targetE1EEEvT1_
; %bb.0:
	.section	.rodata,"a",@progbits
	.p2align	6, 0x0
	.amdhsa_kernel _ZN7rocprim17ROCPRIM_400000_NS6detail17trampoline_kernelINS0_14default_configENS1_35adjacent_difference_config_selectorILb0EjEEZNS1_24adjacent_difference_implIS3_Lb0ELb0EPjS7_N6thrust23THRUST_200600_302600_NS5minusIjEEEE10hipError_tPvRmT2_T3_mT4_P12ihipStream_tbEUlT_E_NS1_11comp_targetILNS1_3genE0ELNS1_11target_archE4294967295ELNS1_3gpuE0ELNS1_3repE0EEENS1_30default_config_static_selectorELNS0_4arch9wavefront6targetE1EEEvT1_
		.amdhsa_group_segment_fixed_size 0
		.amdhsa_private_segment_fixed_size 0
		.amdhsa_kernarg_size 56
		.amdhsa_user_sgpr_count 6
		.amdhsa_user_sgpr_private_segment_buffer 1
		.amdhsa_user_sgpr_dispatch_ptr 0
		.amdhsa_user_sgpr_queue_ptr 0
		.amdhsa_user_sgpr_kernarg_segment_ptr 1
		.amdhsa_user_sgpr_dispatch_id 0
		.amdhsa_user_sgpr_flat_scratch_init 0
		.amdhsa_user_sgpr_private_segment_size 0
		.amdhsa_uses_dynamic_stack 0
		.amdhsa_system_sgpr_private_segment_wavefront_offset 0
		.amdhsa_system_sgpr_workgroup_id_x 1
		.amdhsa_system_sgpr_workgroup_id_y 0
		.amdhsa_system_sgpr_workgroup_id_z 0
		.amdhsa_system_sgpr_workgroup_info 0
		.amdhsa_system_vgpr_workitem_id 0
		.amdhsa_next_free_vgpr 1
		.amdhsa_next_free_sgpr 0
		.amdhsa_reserve_vcc 0
		.amdhsa_reserve_flat_scratch 0
		.amdhsa_float_round_mode_32 0
		.amdhsa_float_round_mode_16_64 0
		.amdhsa_float_denorm_mode_32 3
		.amdhsa_float_denorm_mode_16_64 3
		.amdhsa_dx10_clamp 1
		.amdhsa_ieee_mode 1
		.amdhsa_fp16_overflow 0
		.amdhsa_exception_fp_ieee_invalid_op 0
		.amdhsa_exception_fp_denorm_src 0
		.amdhsa_exception_fp_ieee_div_zero 0
		.amdhsa_exception_fp_ieee_overflow 0
		.amdhsa_exception_fp_ieee_underflow 0
		.amdhsa_exception_fp_ieee_inexact 0
		.amdhsa_exception_int_div_zero 0
	.end_amdhsa_kernel
	.section	.text._ZN7rocprim17ROCPRIM_400000_NS6detail17trampoline_kernelINS0_14default_configENS1_35adjacent_difference_config_selectorILb0EjEEZNS1_24adjacent_difference_implIS3_Lb0ELb0EPjS7_N6thrust23THRUST_200600_302600_NS5minusIjEEEE10hipError_tPvRmT2_T3_mT4_P12ihipStream_tbEUlT_E_NS1_11comp_targetILNS1_3genE0ELNS1_11target_archE4294967295ELNS1_3gpuE0ELNS1_3repE0EEENS1_30default_config_static_selectorELNS0_4arch9wavefront6targetE1EEEvT1_,"axG",@progbits,_ZN7rocprim17ROCPRIM_400000_NS6detail17trampoline_kernelINS0_14default_configENS1_35adjacent_difference_config_selectorILb0EjEEZNS1_24adjacent_difference_implIS3_Lb0ELb0EPjS7_N6thrust23THRUST_200600_302600_NS5minusIjEEEE10hipError_tPvRmT2_T3_mT4_P12ihipStream_tbEUlT_E_NS1_11comp_targetILNS1_3genE0ELNS1_11target_archE4294967295ELNS1_3gpuE0ELNS1_3repE0EEENS1_30default_config_static_selectorELNS0_4arch9wavefront6targetE1EEEvT1_,comdat
.Lfunc_end155:
	.size	_ZN7rocprim17ROCPRIM_400000_NS6detail17trampoline_kernelINS0_14default_configENS1_35adjacent_difference_config_selectorILb0EjEEZNS1_24adjacent_difference_implIS3_Lb0ELb0EPjS7_N6thrust23THRUST_200600_302600_NS5minusIjEEEE10hipError_tPvRmT2_T3_mT4_P12ihipStream_tbEUlT_E_NS1_11comp_targetILNS1_3genE0ELNS1_11target_archE4294967295ELNS1_3gpuE0ELNS1_3repE0EEENS1_30default_config_static_selectorELNS0_4arch9wavefront6targetE1EEEvT1_, .Lfunc_end155-_ZN7rocprim17ROCPRIM_400000_NS6detail17trampoline_kernelINS0_14default_configENS1_35adjacent_difference_config_selectorILb0EjEEZNS1_24adjacent_difference_implIS3_Lb0ELb0EPjS7_N6thrust23THRUST_200600_302600_NS5minusIjEEEE10hipError_tPvRmT2_T3_mT4_P12ihipStream_tbEUlT_E_NS1_11comp_targetILNS1_3genE0ELNS1_11target_archE4294967295ELNS1_3gpuE0ELNS1_3repE0EEENS1_30default_config_static_selectorELNS0_4arch9wavefront6targetE1EEEvT1_
                                        ; -- End function
	.set _ZN7rocprim17ROCPRIM_400000_NS6detail17trampoline_kernelINS0_14default_configENS1_35adjacent_difference_config_selectorILb0EjEEZNS1_24adjacent_difference_implIS3_Lb0ELb0EPjS7_N6thrust23THRUST_200600_302600_NS5minusIjEEEE10hipError_tPvRmT2_T3_mT4_P12ihipStream_tbEUlT_E_NS1_11comp_targetILNS1_3genE0ELNS1_11target_archE4294967295ELNS1_3gpuE0ELNS1_3repE0EEENS1_30default_config_static_selectorELNS0_4arch9wavefront6targetE1EEEvT1_.num_vgpr, 0
	.set _ZN7rocprim17ROCPRIM_400000_NS6detail17trampoline_kernelINS0_14default_configENS1_35adjacent_difference_config_selectorILb0EjEEZNS1_24adjacent_difference_implIS3_Lb0ELb0EPjS7_N6thrust23THRUST_200600_302600_NS5minusIjEEEE10hipError_tPvRmT2_T3_mT4_P12ihipStream_tbEUlT_E_NS1_11comp_targetILNS1_3genE0ELNS1_11target_archE4294967295ELNS1_3gpuE0ELNS1_3repE0EEENS1_30default_config_static_selectorELNS0_4arch9wavefront6targetE1EEEvT1_.num_agpr, 0
	.set _ZN7rocprim17ROCPRIM_400000_NS6detail17trampoline_kernelINS0_14default_configENS1_35adjacent_difference_config_selectorILb0EjEEZNS1_24adjacent_difference_implIS3_Lb0ELb0EPjS7_N6thrust23THRUST_200600_302600_NS5minusIjEEEE10hipError_tPvRmT2_T3_mT4_P12ihipStream_tbEUlT_E_NS1_11comp_targetILNS1_3genE0ELNS1_11target_archE4294967295ELNS1_3gpuE0ELNS1_3repE0EEENS1_30default_config_static_selectorELNS0_4arch9wavefront6targetE1EEEvT1_.numbered_sgpr, 0
	.set _ZN7rocprim17ROCPRIM_400000_NS6detail17trampoline_kernelINS0_14default_configENS1_35adjacent_difference_config_selectorILb0EjEEZNS1_24adjacent_difference_implIS3_Lb0ELb0EPjS7_N6thrust23THRUST_200600_302600_NS5minusIjEEEE10hipError_tPvRmT2_T3_mT4_P12ihipStream_tbEUlT_E_NS1_11comp_targetILNS1_3genE0ELNS1_11target_archE4294967295ELNS1_3gpuE0ELNS1_3repE0EEENS1_30default_config_static_selectorELNS0_4arch9wavefront6targetE1EEEvT1_.num_named_barrier, 0
	.set _ZN7rocprim17ROCPRIM_400000_NS6detail17trampoline_kernelINS0_14default_configENS1_35adjacent_difference_config_selectorILb0EjEEZNS1_24adjacent_difference_implIS3_Lb0ELb0EPjS7_N6thrust23THRUST_200600_302600_NS5minusIjEEEE10hipError_tPvRmT2_T3_mT4_P12ihipStream_tbEUlT_E_NS1_11comp_targetILNS1_3genE0ELNS1_11target_archE4294967295ELNS1_3gpuE0ELNS1_3repE0EEENS1_30default_config_static_selectorELNS0_4arch9wavefront6targetE1EEEvT1_.private_seg_size, 0
	.set _ZN7rocprim17ROCPRIM_400000_NS6detail17trampoline_kernelINS0_14default_configENS1_35adjacent_difference_config_selectorILb0EjEEZNS1_24adjacent_difference_implIS3_Lb0ELb0EPjS7_N6thrust23THRUST_200600_302600_NS5minusIjEEEE10hipError_tPvRmT2_T3_mT4_P12ihipStream_tbEUlT_E_NS1_11comp_targetILNS1_3genE0ELNS1_11target_archE4294967295ELNS1_3gpuE0ELNS1_3repE0EEENS1_30default_config_static_selectorELNS0_4arch9wavefront6targetE1EEEvT1_.uses_vcc, 0
	.set _ZN7rocprim17ROCPRIM_400000_NS6detail17trampoline_kernelINS0_14default_configENS1_35adjacent_difference_config_selectorILb0EjEEZNS1_24adjacent_difference_implIS3_Lb0ELb0EPjS7_N6thrust23THRUST_200600_302600_NS5minusIjEEEE10hipError_tPvRmT2_T3_mT4_P12ihipStream_tbEUlT_E_NS1_11comp_targetILNS1_3genE0ELNS1_11target_archE4294967295ELNS1_3gpuE0ELNS1_3repE0EEENS1_30default_config_static_selectorELNS0_4arch9wavefront6targetE1EEEvT1_.uses_flat_scratch, 0
	.set _ZN7rocprim17ROCPRIM_400000_NS6detail17trampoline_kernelINS0_14default_configENS1_35adjacent_difference_config_selectorILb0EjEEZNS1_24adjacent_difference_implIS3_Lb0ELb0EPjS7_N6thrust23THRUST_200600_302600_NS5minusIjEEEE10hipError_tPvRmT2_T3_mT4_P12ihipStream_tbEUlT_E_NS1_11comp_targetILNS1_3genE0ELNS1_11target_archE4294967295ELNS1_3gpuE0ELNS1_3repE0EEENS1_30default_config_static_selectorELNS0_4arch9wavefront6targetE1EEEvT1_.has_dyn_sized_stack, 0
	.set _ZN7rocprim17ROCPRIM_400000_NS6detail17trampoline_kernelINS0_14default_configENS1_35adjacent_difference_config_selectorILb0EjEEZNS1_24adjacent_difference_implIS3_Lb0ELb0EPjS7_N6thrust23THRUST_200600_302600_NS5minusIjEEEE10hipError_tPvRmT2_T3_mT4_P12ihipStream_tbEUlT_E_NS1_11comp_targetILNS1_3genE0ELNS1_11target_archE4294967295ELNS1_3gpuE0ELNS1_3repE0EEENS1_30default_config_static_selectorELNS0_4arch9wavefront6targetE1EEEvT1_.has_recursion, 0
	.set _ZN7rocprim17ROCPRIM_400000_NS6detail17trampoline_kernelINS0_14default_configENS1_35adjacent_difference_config_selectorILb0EjEEZNS1_24adjacent_difference_implIS3_Lb0ELb0EPjS7_N6thrust23THRUST_200600_302600_NS5minusIjEEEE10hipError_tPvRmT2_T3_mT4_P12ihipStream_tbEUlT_E_NS1_11comp_targetILNS1_3genE0ELNS1_11target_archE4294967295ELNS1_3gpuE0ELNS1_3repE0EEENS1_30default_config_static_selectorELNS0_4arch9wavefront6targetE1EEEvT1_.has_indirect_call, 0
	.section	.AMDGPU.csdata,"",@progbits
; Kernel info:
; codeLenInByte = 0
; TotalNumSgprs: 4
; NumVgprs: 0
; ScratchSize: 0
; MemoryBound: 0
; FloatMode: 240
; IeeeMode: 1
; LDSByteSize: 0 bytes/workgroup (compile time only)
; SGPRBlocks: 0
; VGPRBlocks: 0
; NumSGPRsForWavesPerEU: 4
; NumVGPRsForWavesPerEU: 1
; Occupancy: 10
; WaveLimiterHint : 0
; COMPUTE_PGM_RSRC2:SCRATCH_EN: 0
; COMPUTE_PGM_RSRC2:USER_SGPR: 6
; COMPUTE_PGM_RSRC2:TRAP_HANDLER: 0
; COMPUTE_PGM_RSRC2:TGID_X_EN: 1
; COMPUTE_PGM_RSRC2:TGID_Y_EN: 0
; COMPUTE_PGM_RSRC2:TGID_Z_EN: 0
; COMPUTE_PGM_RSRC2:TIDIG_COMP_CNT: 0
	.section	.text._ZN7rocprim17ROCPRIM_400000_NS6detail17trampoline_kernelINS0_14default_configENS1_35adjacent_difference_config_selectorILb0EjEEZNS1_24adjacent_difference_implIS3_Lb0ELb0EPjS7_N6thrust23THRUST_200600_302600_NS5minusIjEEEE10hipError_tPvRmT2_T3_mT4_P12ihipStream_tbEUlT_E_NS1_11comp_targetILNS1_3genE10ELNS1_11target_archE1201ELNS1_3gpuE5ELNS1_3repE0EEENS1_30default_config_static_selectorELNS0_4arch9wavefront6targetE1EEEvT1_,"axG",@progbits,_ZN7rocprim17ROCPRIM_400000_NS6detail17trampoline_kernelINS0_14default_configENS1_35adjacent_difference_config_selectorILb0EjEEZNS1_24adjacent_difference_implIS3_Lb0ELb0EPjS7_N6thrust23THRUST_200600_302600_NS5minusIjEEEE10hipError_tPvRmT2_T3_mT4_P12ihipStream_tbEUlT_E_NS1_11comp_targetILNS1_3genE10ELNS1_11target_archE1201ELNS1_3gpuE5ELNS1_3repE0EEENS1_30default_config_static_selectorELNS0_4arch9wavefront6targetE1EEEvT1_,comdat
	.protected	_ZN7rocprim17ROCPRIM_400000_NS6detail17trampoline_kernelINS0_14default_configENS1_35adjacent_difference_config_selectorILb0EjEEZNS1_24adjacent_difference_implIS3_Lb0ELb0EPjS7_N6thrust23THRUST_200600_302600_NS5minusIjEEEE10hipError_tPvRmT2_T3_mT4_P12ihipStream_tbEUlT_E_NS1_11comp_targetILNS1_3genE10ELNS1_11target_archE1201ELNS1_3gpuE5ELNS1_3repE0EEENS1_30default_config_static_selectorELNS0_4arch9wavefront6targetE1EEEvT1_ ; -- Begin function _ZN7rocprim17ROCPRIM_400000_NS6detail17trampoline_kernelINS0_14default_configENS1_35adjacent_difference_config_selectorILb0EjEEZNS1_24adjacent_difference_implIS3_Lb0ELb0EPjS7_N6thrust23THRUST_200600_302600_NS5minusIjEEEE10hipError_tPvRmT2_T3_mT4_P12ihipStream_tbEUlT_E_NS1_11comp_targetILNS1_3genE10ELNS1_11target_archE1201ELNS1_3gpuE5ELNS1_3repE0EEENS1_30default_config_static_selectorELNS0_4arch9wavefront6targetE1EEEvT1_
	.globl	_ZN7rocprim17ROCPRIM_400000_NS6detail17trampoline_kernelINS0_14default_configENS1_35adjacent_difference_config_selectorILb0EjEEZNS1_24adjacent_difference_implIS3_Lb0ELb0EPjS7_N6thrust23THRUST_200600_302600_NS5minusIjEEEE10hipError_tPvRmT2_T3_mT4_P12ihipStream_tbEUlT_E_NS1_11comp_targetILNS1_3genE10ELNS1_11target_archE1201ELNS1_3gpuE5ELNS1_3repE0EEENS1_30default_config_static_selectorELNS0_4arch9wavefront6targetE1EEEvT1_
	.p2align	8
	.type	_ZN7rocprim17ROCPRIM_400000_NS6detail17trampoline_kernelINS0_14default_configENS1_35adjacent_difference_config_selectorILb0EjEEZNS1_24adjacent_difference_implIS3_Lb0ELb0EPjS7_N6thrust23THRUST_200600_302600_NS5minusIjEEEE10hipError_tPvRmT2_T3_mT4_P12ihipStream_tbEUlT_E_NS1_11comp_targetILNS1_3genE10ELNS1_11target_archE1201ELNS1_3gpuE5ELNS1_3repE0EEENS1_30default_config_static_selectorELNS0_4arch9wavefront6targetE1EEEvT1_,@function
_ZN7rocprim17ROCPRIM_400000_NS6detail17trampoline_kernelINS0_14default_configENS1_35adjacent_difference_config_selectorILb0EjEEZNS1_24adjacent_difference_implIS3_Lb0ELb0EPjS7_N6thrust23THRUST_200600_302600_NS5minusIjEEEE10hipError_tPvRmT2_T3_mT4_P12ihipStream_tbEUlT_E_NS1_11comp_targetILNS1_3genE10ELNS1_11target_archE1201ELNS1_3gpuE5ELNS1_3repE0EEENS1_30default_config_static_selectorELNS0_4arch9wavefront6targetE1EEEvT1_: ; @_ZN7rocprim17ROCPRIM_400000_NS6detail17trampoline_kernelINS0_14default_configENS1_35adjacent_difference_config_selectorILb0EjEEZNS1_24adjacent_difference_implIS3_Lb0ELb0EPjS7_N6thrust23THRUST_200600_302600_NS5minusIjEEEE10hipError_tPvRmT2_T3_mT4_P12ihipStream_tbEUlT_E_NS1_11comp_targetILNS1_3genE10ELNS1_11target_archE1201ELNS1_3gpuE5ELNS1_3repE0EEENS1_30default_config_static_selectorELNS0_4arch9wavefront6targetE1EEEvT1_
; %bb.0:
	.section	.rodata,"a",@progbits
	.p2align	6, 0x0
	.amdhsa_kernel _ZN7rocprim17ROCPRIM_400000_NS6detail17trampoline_kernelINS0_14default_configENS1_35adjacent_difference_config_selectorILb0EjEEZNS1_24adjacent_difference_implIS3_Lb0ELb0EPjS7_N6thrust23THRUST_200600_302600_NS5minusIjEEEE10hipError_tPvRmT2_T3_mT4_P12ihipStream_tbEUlT_E_NS1_11comp_targetILNS1_3genE10ELNS1_11target_archE1201ELNS1_3gpuE5ELNS1_3repE0EEENS1_30default_config_static_selectorELNS0_4arch9wavefront6targetE1EEEvT1_
		.amdhsa_group_segment_fixed_size 0
		.amdhsa_private_segment_fixed_size 0
		.amdhsa_kernarg_size 56
		.amdhsa_user_sgpr_count 6
		.amdhsa_user_sgpr_private_segment_buffer 1
		.amdhsa_user_sgpr_dispatch_ptr 0
		.amdhsa_user_sgpr_queue_ptr 0
		.amdhsa_user_sgpr_kernarg_segment_ptr 1
		.amdhsa_user_sgpr_dispatch_id 0
		.amdhsa_user_sgpr_flat_scratch_init 0
		.amdhsa_user_sgpr_private_segment_size 0
		.amdhsa_uses_dynamic_stack 0
		.amdhsa_system_sgpr_private_segment_wavefront_offset 0
		.amdhsa_system_sgpr_workgroup_id_x 1
		.amdhsa_system_sgpr_workgroup_id_y 0
		.amdhsa_system_sgpr_workgroup_id_z 0
		.amdhsa_system_sgpr_workgroup_info 0
		.amdhsa_system_vgpr_workitem_id 0
		.amdhsa_next_free_vgpr 1
		.amdhsa_next_free_sgpr 0
		.amdhsa_reserve_vcc 0
		.amdhsa_reserve_flat_scratch 0
		.amdhsa_float_round_mode_32 0
		.amdhsa_float_round_mode_16_64 0
		.amdhsa_float_denorm_mode_32 3
		.amdhsa_float_denorm_mode_16_64 3
		.amdhsa_dx10_clamp 1
		.amdhsa_ieee_mode 1
		.amdhsa_fp16_overflow 0
		.amdhsa_exception_fp_ieee_invalid_op 0
		.amdhsa_exception_fp_denorm_src 0
		.amdhsa_exception_fp_ieee_div_zero 0
		.amdhsa_exception_fp_ieee_overflow 0
		.amdhsa_exception_fp_ieee_underflow 0
		.amdhsa_exception_fp_ieee_inexact 0
		.amdhsa_exception_int_div_zero 0
	.end_amdhsa_kernel
	.section	.text._ZN7rocprim17ROCPRIM_400000_NS6detail17trampoline_kernelINS0_14default_configENS1_35adjacent_difference_config_selectorILb0EjEEZNS1_24adjacent_difference_implIS3_Lb0ELb0EPjS7_N6thrust23THRUST_200600_302600_NS5minusIjEEEE10hipError_tPvRmT2_T3_mT4_P12ihipStream_tbEUlT_E_NS1_11comp_targetILNS1_3genE10ELNS1_11target_archE1201ELNS1_3gpuE5ELNS1_3repE0EEENS1_30default_config_static_selectorELNS0_4arch9wavefront6targetE1EEEvT1_,"axG",@progbits,_ZN7rocprim17ROCPRIM_400000_NS6detail17trampoline_kernelINS0_14default_configENS1_35adjacent_difference_config_selectorILb0EjEEZNS1_24adjacent_difference_implIS3_Lb0ELb0EPjS7_N6thrust23THRUST_200600_302600_NS5minusIjEEEE10hipError_tPvRmT2_T3_mT4_P12ihipStream_tbEUlT_E_NS1_11comp_targetILNS1_3genE10ELNS1_11target_archE1201ELNS1_3gpuE5ELNS1_3repE0EEENS1_30default_config_static_selectorELNS0_4arch9wavefront6targetE1EEEvT1_,comdat
.Lfunc_end156:
	.size	_ZN7rocprim17ROCPRIM_400000_NS6detail17trampoline_kernelINS0_14default_configENS1_35adjacent_difference_config_selectorILb0EjEEZNS1_24adjacent_difference_implIS3_Lb0ELb0EPjS7_N6thrust23THRUST_200600_302600_NS5minusIjEEEE10hipError_tPvRmT2_T3_mT4_P12ihipStream_tbEUlT_E_NS1_11comp_targetILNS1_3genE10ELNS1_11target_archE1201ELNS1_3gpuE5ELNS1_3repE0EEENS1_30default_config_static_selectorELNS0_4arch9wavefront6targetE1EEEvT1_, .Lfunc_end156-_ZN7rocprim17ROCPRIM_400000_NS6detail17trampoline_kernelINS0_14default_configENS1_35adjacent_difference_config_selectorILb0EjEEZNS1_24adjacent_difference_implIS3_Lb0ELb0EPjS7_N6thrust23THRUST_200600_302600_NS5minusIjEEEE10hipError_tPvRmT2_T3_mT4_P12ihipStream_tbEUlT_E_NS1_11comp_targetILNS1_3genE10ELNS1_11target_archE1201ELNS1_3gpuE5ELNS1_3repE0EEENS1_30default_config_static_selectorELNS0_4arch9wavefront6targetE1EEEvT1_
                                        ; -- End function
	.set _ZN7rocprim17ROCPRIM_400000_NS6detail17trampoline_kernelINS0_14default_configENS1_35adjacent_difference_config_selectorILb0EjEEZNS1_24adjacent_difference_implIS3_Lb0ELb0EPjS7_N6thrust23THRUST_200600_302600_NS5minusIjEEEE10hipError_tPvRmT2_T3_mT4_P12ihipStream_tbEUlT_E_NS1_11comp_targetILNS1_3genE10ELNS1_11target_archE1201ELNS1_3gpuE5ELNS1_3repE0EEENS1_30default_config_static_selectorELNS0_4arch9wavefront6targetE1EEEvT1_.num_vgpr, 0
	.set _ZN7rocprim17ROCPRIM_400000_NS6detail17trampoline_kernelINS0_14default_configENS1_35adjacent_difference_config_selectorILb0EjEEZNS1_24adjacent_difference_implIS3_Lb0ELb0EPjS7_N6thrust23THRUST_200600_302600_NS5minusIjEEEE10hipError_tPvRmT2_T3_mT4_P12ihipStream_tbEUlT_E_NS1_11comp_targetILNS1_3genE10ELNS1_11target_archE1201ELNS1_3gpuE5ELNS1_3repE0EEENS1_30default_config_static_selectorELNS0_4arch9wavefront6targetE1EEEvT1_.num_agpr, 0
	.set _ZN7rocprim17ROCPRIM_400000_NS6detail17trampoline_kernelINS0_14default_configENS1_35adjacent_difference_config_selectorILb0EjEEZNS1_24adjacent_difference_implIS3_Lb0ELb0EPjS7_N6thrust23THRUST_200600_302600_NS5minusIjEEEE10hipError_tPvRmT2_T3_mT4_P12ihipStream_tbEUlT_E_NS1_11comp_targetILNS1_3genE10ELNS1_11target_archE1201ELNS1_3gpuE5ELNS1_3repE0EEENS1_30default_config_static_selectorELNS0_4arch9wavefront6targetE1EEEvT1_.numbered_sgpr, 0
	.set _ZN7rocprim17ROCPRIM_400000_NS6detail17trampoline_kernelINS0_14default_configENS1_35adjacent_difference_config_selectorILb0EjEEZNS1_24adjacent_difference_implIS3_Lb0ELb0EPjS7_N6thrust23THRUST_200600_302600_NS5minusIjEEEE10hipError_tPvRmT2_T3_mT4_P12ihipStream_tbEUlT_E_NS1_11comp_targetILNS1_3genE10ELNS1_11target_archE1201ELNS1_3gpuE5ELNS1_3repE0EEENS1_30default_config_static_selectorELNS0_4arch9wavefront6targetE1EEEvT1_.num_named_barrier, 0
	.set _ZN7rocprim17ROCPRIM_400000_NS6detail17trampoline_kernelINS0_14default_configENS1_35adjacent_difference_config_selectorILb0EjEEZNS1_24adjacent_difference_implIS3_Lb0ELb0EPjS7_N6thrust23THRUST_200600_302600_NS5minusIjEEEE10hipError_tPvRmT2_T3_mT4_P12ihipStream_tbEUlT_E_NS1_11comp_targetILNS1_3genE10ELNS1_11target_archE1201ELNS1_3gpuE5ELNS1_3repE0EEENS1_30default_config_static_selectorELNS0_4arch9wavefront6targetE1EEEvT1_.private_seg_size, 0
	.set _ZN7rocprim17ROCPRIM_400000_NS6detail17trampoline_kernelINS0_14default_configENS1_35adjacent_difference_config_selectorILb0EjEEZNS1_24adjacent_difference_implIS3_Lb0ELb0EPjS7_N6thrust23THRUST_200600_302600_NS5minusIjEEEE10hipError_tPvRmT2_T3_mT4_P12ihipStream_tbEUlT_E_NS1_11comp_targetILNS1_3genE10ELNS1_11target_archE1201ELNS1_3gpuE5ELNS1_3repE0EEENS1_30default_config_static_selectorELNS0_4arch9wavefront6targetE1EEEvT1_.uses_vcc, 0
	.set _ZN7rocprim17ROCPRIM_400000_NS6detail17trampoline_kernelINS0_14default_configENS1_35adjacent_difference_config_selectorILb0EjEEZNS1_24adjacent_difference_implIS3_Lb0ELb0EPjS7_N6thrust23THRUST_200600_302600_NS5minusIjEEEE10hipError_tPvRmT2_T3_mT4_P12ihipStream_tbEUlT_E_NS1_11comp_targetILNS1_3genE10ELNS1_11target_archE1201ELNS1_3gpuE5ELNS1_3repE0EEENS1_30default_config_static_selectorELNS0_4arch9wavefront6targetE1EEEvT1_.uses_flat_scratch, 0
	.set _ZN7rocprim17ROCPRIM_400000_NS6detail17trampoline_kernelINS0_14default_configENS1_35adjacent_difference_config_selectorILb0EjEEZNS1_24adjacent_difference_implIS3_Lb0ELb0EPjS7_N6thrust23THRUST_200600_302600_NS5minusIjEEEE10hipError_tPvRmT2_T3_mT4_P12ihipStream_tbEUlT_E_NS1_11comp_targetILNS1_3genE10ELNS1_11target_archE1201ELNS1_3gpuE5ELNS1_3repE0EEENS1_30default_config_static_selectorELNS0_4arch9wavefront6targetE1EEEvT1_.has_dyn_sized_stack, 0
	.set _ZN7rocprim17ROCPRIM_400000_NS6detail17trampoline_kernelINS0_14default_configENS1_35adjacent_difference_config_selectorILb0EjEEZNS1_24adjacent_difference_implIS3_Lb0ELb0EPjS7_N6thrust23THRUST_200600_302600_NS5minusIjEEEE10hipError_tPvRmT2_T3_mT4_P12ihipStream_tbEUlT_E_NS1_11comp_targetILNS1_3genE10ELNS1_11target_archE1201ELNS1_3gpuE5ELNS1_3repE0EEENS1_30default_config_static_selectorELNS0_4arch9wavefront6targetE1EEEvT1_.has_recursion, 0
	.set _ZN7rocprim17ROCPRIM_400000_NS6detail17trampoline_kernelINS0_14default_configENS1_35adjacent_difference_config_selectorILb0EjEEZNS1_24adjacent_difference_implIS3_Lb0ELb0EPjS7_N6thrust23THRUST_200600_302600_NS5minusIjEEEE10hipError_tPvRmT2_T3_mT4_P12ihipStream_tbEUlT_E_NS1_11comp_targetILNS1_3genE10ELNS1_11target_archE1201ELNS1_3gpuE5ELNS1_3repE0EEENS1_30default_config_static_selectorELNS0_4arch9wavefront6targetE1EEEvT1_.has_indirect_call, 0
	.section	.AMDGPU.csdata,"",@progbits
; Kernel info:
; codeLenInByte = 0
; TotalNumSgprs: 4
; NumVgprs: 0
; ScratchSize: 0
; MemoryBound: 0
; FloatMode: 240
; IeeeMode: 1
; LDSByteSize: 0 bytes/workgroup (compile time only)
; SGPRBlocks: 0
; VGPRBlocks: 0
; NumSGPRsForWavesPerEU: 4
; NumVGPRsForWavesPerEU: 1
; Occupancy: 10
; WaveLimiterHint : 0
; COMPUTE_PGM_RSRC2:SCRATCH_EN: 0
; COMPUTE_PGM_RSRC2:USER_SGPR: 6
; COMPUTE_PGM_RSRC2:TRAP_HANDLER: 0
; COMPUTE_PGM_RSRC2:TGID_X_EN: 1
; COMPUTE_PGM_RSRC2:TGID_Y_EN: 0
; COMPUTE_PGM_RSRC2:TGID_Z_EN: 0
; COMPUTE_PGM_RSRC2:TIDIG_COMP_CNT: 0
	.section	.text._ZN7rocprim17ROCPRIM_400000_NS6detail17trampoline_kernelINS0_14default_configENS1_35adjacent_difference_config_selectorILb0EjEEZNS1_24adjacent_difference_implIS3_Lb0ELb0EPjS7_N6thrust23THRUST_200600_302600_NS5minusIjEEEE10hipError_tPvRmT2_T3_mT4_P12ihipStream_tbEUlT_E_NS1_11comp_targetILNS1_3genE5ELNS1_11target_archE942ELNS1_3gpuE9ELNS1_3repE0EEENS1_30default_config_static_selectorELNS0_4arch9wavefront6targetE1EEEvT1_,"axG",@progbits,_ZN7rocprim17ROCPRIM_400000_NS6detail17trampoline_kernelINS0_14default_configENS1_35adjacent_difference_config_selectorILb0EjEEZNS1_24adjacent_difference_implIS3_Lb0ELb0EPjS7_N6thrust23THRUST_200600_302600_NS5minusIjEEEE10hipError_tPvRmT2_T3_mT4_P12ihipStream_tbEUlT_E_NS1_11comp_targetILNS1_3genE5ELNS1_11target_archE942ELNS1_3gpuE9ELNS1_3repE0EEENS1_30default_config_static_selectorELNS0_4arch9wavefront6targetE1EEEvT1_,comdat
	.protected	_ZN7rocprim17ROCPRIM_400000_NS6detail17trampoline_kernelINS0_14default_configENS1_35adjacent_difference_config_selectorILb0EjEEZNS1_24adjacent_difference_implIS3_Lb0ELb0EPjS7_N6thrust23THRUST_200600_302600_NS5minusIjEEEE10hipError_tPvRmT2_T3_mT4_P12ihipStream_tbEUlT_E_NS1_11comp_targetILNS1_3genE5ELNS1_11target_archE942ELNS1_3gpuE9ELNS1_3repE0EEENS1_30default_config_static_selectorELNS0_4arch9wavefront6targetE1EEEvT1_ ; -- Begin function _ZN7rocprim17ROCPRIM_400000_NS6detail17trampoline_kernelINS0_14default_configENS1_35adjacent_difference_config_selectorILb0EjEEZNS1_24adjacent_difference_implIS3_Lb0ELb0EPjS7_N6thrust23THRUST_200600_302600_NS5minusIjEEEE10hipError_tPvRmT2_T3_mT4_P12ihipStream_tbEUlT_E_NS1_11comp_targetILNS1_3genE5ELNS1_11target_archE942ELNS1_3gpuE9ELNS1_3repE0EEENS1_30default_config_static_selectorELNS0_4arch9wavefront6targetE1EEEvT1_
	.globl	_ZN7rocprim17ROCPRIM_400000_NS6detail17trampoline_kernelINS0_14default_configENS1_35adjacent_difference_config_selectorILb0EjEEZNS1_24adjacent_difference_implIS3_Lb0ELb0EPjS7_N6thrust23THRUST_200600_302600_NS5minusIjEEEE10hipError_tPvRmT2_T3_mT4_P12ihipStream_tbEUlT_E_NS1_11comp_targetILNS1_3genE5ELNS1_11target_archE942ELNS1_3gpuE9ELNS1_3repE0EEENS1_30default_config_static_selectorELNS0_4arch9wavefront6targetE1EEEvT1_
	.p2align	8
	.type	_ZN7rocprim17ROCPRIM_400000_NS6detail17trampoline_kernelINS0_14default_configENS1_35adjacent_difference_config_selectorILb0EjEEZNS1_24adjacent_difference_implIS3_Lb0ELb0EPjS7_N6thrust23THRUST_200600_302600_NS5minusIjEEEE10hipError_tPvRmT2_T3_mT4_P12ihipStream_tbEUlT_E_NS1_11comp_targetILNS1_3genE5ELNS1_11target_archE942ELNS1_3gpuE9ELNS1_3repE0EEENS1_30default_config_static_selectorELNS0_4arch9wavefront6targetE1EEEvT1_,@function
_ZN7rocprim17ROCPRIM_400000_NS6detail17trampoline_kernelINS0_14default_configENS1_35adjacent_difference_config_selectorILb0EjEEZNS1_24adjacent_difference_implIS3_Lb0ELb0EPjS7_N6thrust23THRUST_200600_302600_NS5minusIjEEEE10hipError_tPvRmT2_T3_mT4_P12ihipStream_tbEUlT_E_NS1_11comp_targetILNS1_3genE5ELNS1_11target_archE942ELNS1_3gpuE9ELNS1_3repE0EEENS1_30default_config_static_selectorELNS0_4arch9wavefront6targetE1EEEvT1_: ; @_ZN7rocprim17ROCPRIM_400000_NS6detail17trampoline_kernelINS0_14default_configENS1_35adjacent_difference_config_selectorILb0EjEEZNS1_24adjacent_difference_implIS3_Lb0ELb0EPjS7_N6thrust23THRUST_200600_302600_NS5minusIjEEEE10hipError_tPvRmT2_T3_mT4_P12ihipStream_tbEUlT_E_NS1_11comp_targetILNS1_3genE5ELNS1_11target_archE942ELNS1_3gpuE9ELNS1_3repE0EEENS1_30default_config_static_selectorELNS0_4arch9wavefront6targetE1EEEvT1_
; %bb.0:
	.section	.rodata,"a",@progbits
	.p2align	6, 0x0
	.amdhsa_kernel _ZN7rocprim17ROCPRIM_400000_NS6detail17trampoline_kernelINS0_14default_configENS1_35adjacent_difference_config_selectorILb0EjEEZNS1_24adjacent_difference_implIS3_Lb0ELb0EPjS7_N6thrust23THRUST_200600_302600_NS5minusIjEEEE10hipError_tPvRmT2_T3_mT4_P12ihipStream_tbEUlT_E_NS1_11comp_targetILNS1_3genE5ELNS1_11target_archE942ELNS1_3gpuE9ELNS1_3repE0EEENS1_30default_config_static_selectorELNS0_4arch9wavefront6targetE1EEEvT1_
		.amdhsa_group_segment_fixed_size 0
		.amdhsa_private_segment_fixed_size 0
		.amdhsa_kernarg_size 56
		.amdhsa_user_sgpr_count 6
		.amdhsa_user_sgpr_private_segment_buffer 1
		.amdhsa_user_sgpr_dispatch_ptr 0
		.amdhsa_user_sgpr_queue_ptr 0
		.amdhsa_user_sgpr_kernarg_segment_ptr 1
		.amdhsa_user_sgpr_dispatch_id 0
		.amdhsa_user_sgpr_flat_scratch_init 0
		.amdhsa_user_sgpr_private_segment_size 0
		.amdhsa_uses_dynamic_stack 0
		.amdhsa_system_sgpr_private_segment_wavefront_offset 0
		.amdhsa_system_sgpr_workgroup_id_x 1
		.amdhsa_system_sgpr_workgroup_id_y 0
		.amdhsa_system_sgpr_workgroup_id_z 0
		.amdhsa_system_sgpr_workgroup_info 0
		.amdhsa_system_vgpr_workitem_id 0
		.amdhsa_next_free_vgpr 1
		.amdhsa_next_free_sgpr 0
		.amdhsa_reserve_vcc 0
		.amdhsa_reserve_flat_scratch 0
		.amdhsa_float_round_mode_32 0
		.amdhsa_float_round_mode_16_64 0
		.amdhsa_float_denorm_mode_32 3
		.amdhsa_float_denorm_mode_16_64 3
		.amdhsa_dx10_clamp 1
		.amdhsa_ieee_mode 1
		.amdhsa_fp16_overflow 0
		.amdhsa_exception_fp_ieee_invalid_op 0
		.amdhsa_exception_fp_denorm_src 0
		.amdhsa_exception_fp_ieee_div_zero 0
		.amdhsa_exception_fp_ieee_overflow 0
		.amdhsa_exception_fp_ieee_underflow 0
		.amdhsa_exception_fp_ieee_inexact 0
		.amdhsa_exception_int_div_zero 0
	.end_amdhsa_kernel
	.section	.text._ZN7rocprim17ROCPRIM_400000_NS6detail17trampoline_kernelINS0_14default_configENS1_35adjacent_difference_config_selectorILb0EjEEZNS1_24adjacent_difference_implIS3_Lb0ELb0EPjS7_N6thrust23THRUST_200600_302600_NS5minusIjEEEE10hipError_tPvRmT2_T3_mT4_P12ihipStream_tbEUlT_E_NS1_11comp_targetILNS1_3genE5ELNS1_11target_archE942ELNS1_3gpuE9ELNS1_3repE0EEENS1_30default_config_static_selectorELNS0_4arch9wavefront6targetE1EEEvT1_,"axG",@progbits,_ZN7rocprim17ROCPRIM_400000_NS6detail17trampoline_kernelINS0_14default_configENS1_35adjacent_difference_config_selectorILb0EjEEZNS1_24adjacent_difference_implIS3_Lb0ELb0EPjS7_N6thrust23THRUST_200600_302600_NS5minusIjEEEE10hipError_tPvRmT2_T3_mT4_P12ihipStream_tbEUlT_E_NS1_11comp_targetILNS1_3genE5ELNS1_11target_archE942ELNS1_3gpuE9ELNS1_3repE0EEENS1_30default_config_static_selectorELNS0_4arch9wavefront6targetE1EEEvT1_,comdat
.Lfunc_end157:
	.size	_ZN7rocprim17ROCPRIM_400000_NS6detail17trampoline_kernelINS0_14default_configENS1_35adjacent_difference_config_selectorILb0EjEEZNS1_24adjacent_difference_implIS3_Lb0ELb0EPjS7_N6thrust23THRUST_200600_302600_NS5minusIjEEEE10hipError_tPvRmT2_T3_mT4_P12ihipStream_tbEUlT_E_NS1_11comp_targetILNS1_3genE5ELNS1_11target_archE942ELNS1_3gpuE9ELNS1_3repE0EEENS1_30default_config_static_selectorELNS0_4arch9wavefront6targetE1EEEvT1_, .Lfunc_end157-_ZN7rocprim17ROCPRIM_400000_NS6detail17trampoline_kernelINS0_14default_configENS1_35adjacent_difference_config_selectorILb0EjEEZNS1_24adjacent_difference_implIS3_Lb0ELb0EPjS7_N6thrust23THRUST_200600_302600_NS5minusIjEEEE10hipError_tPvRmT2_T3_mT4_P12ihipStream_tbEUlT_E_NS1_11comp_targetILNS1_3genE5ELNS1_11target_archE942ELNS1_3gpuE9ELNS1_3repE0EEENS1_30default_config_static_selectorELNS0_4arch9wavefront6targetE1EEEvT1_
                                        ; -- End function
	.set _ZN7rocprim17ROCPRIM_400000_NS6detail17trampoline_kernelINS0_14default_configENS1_35adjacent_difference_config_selectorILb0EjEEZNS1_24adjacent_difference_implIS3_Lb0ELb0EPjS7_N6thrust23THRUST_200600_302600_NS5minusIjEEEE10hipError_tPvRmT2_T3_mT4_P12ihipStream_tbEUlT_E_NS1_11comp_targetILNS1_3genE5ELNS1_11target_archE942ELNS1_3gpuE9ELNS1_3repE0EEENS1_30default_config_static_selectorELNS0_4arch9wavefront6targetE1EEEvT1_.num_vgpr, 0
	.set _ZN7rocprim17ROCPRIM_400000_NS6detail17trampoline_kernelINS0_14default_configENS1_35adjacent_difference_config_selectorILb0EjEEZNS1_24adjacent_difference_implIS3_Lb0ELb0EPjS7_N6thrust23THRUST_200600_302600_NS5minusIjEEEE10hipError_tPvRmT2_T3_mT4_P12ihipStream_tbEUlT_E_NS1_11comp_targetILNS1_3genE5ELNS1_11target_archE942ELNS1_3gpuE9ELNS1_3repE0EEENS1_30default_config_static_selectorELNS0_4arch9wavefront6targetE1EEEvT1_.num_agpr, 0
	.set _ZN7rocprim17ROCPRIM_400000_NS6detail17trampoline_kernelINS0_14default_configENS1_35adjacent_difference_config_selectorILb0EjEEZNS1_24adjacent_difference_implIS3_Lb0ELb0EPjS7_N6thrust23THRUST_200600_302600_NS5minusIjEEEE10hipError_tPvRmT2_T3_mT4_P12ihipStream_tbEUlT_E_NS1_11comp_targetILNS1_3genE5ELNS1_11target_archE942ELNS1_3gpuE9ELNS1_3repE0EEENS1_30default_config_static_selectorELNS0_4arch9wavefront6targetE1EEEvT1_.numbered_sgpr, 0
	.set _ZN7rocprim17ROCPRIM_400000_NS6detail17trampoline_kernelINS0_14default_configENS1_35adjacent_difference_config_selectorILb0EjEEZNS1_24adjacent_difference_implIS3_Lb0ELb0EPjS7_N6thrust23THRUST_200600_302600_NS5minusIjEEEE10hipError_tPvRmT2_T3_mT4_P12ihipStream_tbEUlT_E_NS1_11comp_targetILNS1_3genE5ELNS1_11target_archE942ELNS1_3gpuE9ELNS1_3repE0EEENS1_30default_config_static_selectorELNS0_4arch9wavefront6targetE1EEEvT1_.num_named_barrier, 0
	.set _ZN7rocprim17ROCPRIM_400000_NS6detail17trampoline_kernelINS0_14default_configENS1_35adjacent_difference_config_selectorILb0EjEEZNS1_24adjacent_difference_implIS3_Lb0ELb0EPjS7_N6thrust23THRUST_200600_302600_NS5minusIjEEEE10hipError_tPvRmT2_T3_mT4_P12ihipStream_tbEUlT_E_NS1_11comp_targetILNS1_3genE5ELNS1_11target_archE942ELNS1_3gpuE9ELNS1_3repE0EEENS1_30default_config_static_selectorELNS0_4arch9wavefront6targetE1EEEvT1_.private_seg_size, 0
	.set _ZN7rocprim17ROCPRIM_400000_NS6detail17trampoline_kernelINS0_14default_configENS1_35adjacent_difference_config_selectorILb0EjEEZNS1_24adjacent_difference_implIS3_Lb0ELb0EPjS7_N6thrust23THRUST_200600_302600_NS5minusIjEEEE10hipError_tPvRmT2_T3_mT4_P12ihipStream_tbEUlT_E_NS1_11comp_targetILNS1_3genE5ELNS1_11target_archE942ELNS1_3gpuE9ELNS1_3repE0EEENS1_30default_config_static_selectorELNS0_4arch9wavefront6targetE1EEEvT1_.uses_vcc, 0
	.set _ZN7rocprim17ROCPRIM_400000_NS6detail17trampoline_kernelINS0_14default_configENS1_35adjacent_difference_config_selectorILb0EjEEZNS1_24adjacent_difference_implIS3_Lb0ELb0EPjS7_N6thrust23THRUST_200600_302600_NS5minusIjEEEE10hipError_tPvRmT2_T3_mT4_P12ihipStream_tbEUlT_E_NS1_11comp_targetILNS1_3genE5ELNS1_11target_archE942ELNS1_3gpuE9ELNS1_3repE0EEENS1_30default_config_static_selectorELNS0_4arch9wavefront6targetE1EEEvT1_.uses_flat_scratch, 0
	.set _ZN7rocprim17ROCPRIM_400000_NS6detail17trampoline_kernelINS0_14default_configENS1_35adjacent_difference_config_selectorILb0EjEEZNS1_24adjacent_difference_implIS3_Lb0ELb0EPjS7_N6thrust23THRUST_200600_302600_NS5minusIjEEEE10hipError_tPvRmT2_T3_mT4_P12ihipStream_tbEUlT_E_NS1_11comp_targetILNS1_3genE5ELNS1_11target_archE942ELNS1_3gpuE9ELNS1_3repE0EEENS1_30default_config_static_selectorELNS0_4arch9wavefront6targetE1EEEvT1_.has_dyn_sized_stack, 0
	.set _ZN7rocprim17ROCPRIM_400000_NS6detail17trampoline_kernelINS0_14default_configENS1_35adjacent_difference_config_selectorILb0EjEEZNS1_24adjacent_difference_implIS3_Lb0ELb0EPjS7_N6thrust23THRUST_200600_302600_NS5minusIjEEEE10hipError_tPvRmT2_T3_mT4_P12ihipStream_tbEUlT_E_NS1_11comp_targetILNS1_3genE5ELNS1_11target_archE942ELNS1_3gpuE9ELNS1_3repE0EEENS1_30default_config_static_selectorELNS0_4arch9wavefront6targetE1EEEvT1_.has_recursion, 0
	.set _ZN7rocprim17ROCPRIM_400000_NS6detail17trampoline_kernelINS0_14default_configENS1_35adjacent_difference_config_selectorILb0EjEEZNS1_24adjacent_difference_implIS3_Lb0ELb0EPjS7_N6thrust23THRUST_200600_302600_NS5minusIjEEEE10hipError_tPvRmT2_T3_mT4_P12ihipStream_tbEUlT_E_NS1_11comp_targetILNS1_3genE5ELNS1_11target_archE942ELNS1_3gpuE9ELNS1_3repE0EEENS1_30default_config_static_selectorELNS0_4arch9wavefront6targetE1EEEvT1_.has_indirect_call, 0
	.section	.AMDGPU.csdata,"",@progbits
; Kernel info:
; codeLenInByte = 0
; TotalNumSgprs: 4
; NumVgprs: 0
; ScratchSize: 0
; MemoryBound: 0
; FloatMode: 240
; IeeeMode: 1
; LDSByteSize: 0 bytes/workgroup (compile time only)
; SGPRBlocks: 0
; VGPRBlocks: 0
; NumSGPRsForWavesPerEU: 4
; NumVGPRsForWavesPerEU: 1
; Occupancy: 10
; WaveLimiterHint : 0
; COMPUTE_PGM_RSRC2:SCRATCH_EN: 0
; COMPUTE_PGM_RSRC2:USER_SGPR: 6
; COMPUTE_PGM_RSRC2:TRAP_HANDLER: 0
; COMPUTE_PGM_RSRC2:TGID_X_EN: 1
; COMPUTE_PGM_RSRC2:TGID_Y_EN: 0
; COMPUTE_PGM_RSRC2:TGID_Z_EN: 0
; COMPUTE_PGM_RSRC2:TIDIG_COMP_CNT: 0
	.section	.text._ZN7rocprim17ROCPRIM_400000_NS6detail17trampoline_kernelINS0_14default_configENS1_35adjacent_difference_config_selectorILb0EjEEZNS1_24adjacent_difference_implIS3_Lb0ELb0EPjS7_N6thrust23THRUST_200600_302600_NS5minusIjEEEE10hipError_tPvRmT2_T3_mT4_P12ihipStream_tbEUlT_E_NS1_11comp_targetILNS1_3genE4ELNS1_11target_archE910ELNS1_3gpuE8ELNS1_3repE0EEENS1_30default_config_static_selectorELNS0_4arch9wavefront6targetE1EEEvT1_,"axG",@progbits,_ZN7rocprim17ROCPRIM_400000_NS6detail17trampoline_kernelINS0_14default_configENS1_35adjacent_difference_config_selectorILb0EjEEZNS1_24adjacent_difference_implIS3_Lb0ELb0EPjS7_N6thrust23THRUST_200600_302600_NS5minusIjEEEE10hipError_tPvRmT2_T3_mT4_P12ihipStream_tbEUlT_E_NS1_11comp_targetILNS1_3genE4ELNS1_11target_archE910ELNS1_3gpuE8ELNS1_3repE0EEENS1_30default_config_static_selectorELNS0_4arch9wavefront6targetE1EEEvT1_,comdat
	.protected	_ZN7rocprim17ROCPRIM_400000_NS6detail17trampoline_kernelINS0_14default_configENS1_35adjacent_difference_config_selectorILb0EjEEZNS1_24adjacent_difference_implIS3_Lb0ELb0EPjS7_N6thrust23THRUST_200600_302600_NS5minusIjEEEE10hipError_tPvRmT2_T3_mT4_P12ihipStream_tbEUlT_E_NS1_11comp_targetILNS1_3genE4ELNS1_11target_archE910ELNS1_3gpuE8ELNS1_3repE0EEENS1_30default_config_static_selectorELNS0_4arch9wavefront6targetE1EEEvT1_ ; -- Begin function _ZN7rocprim17ROCPRIM_400000_NS6detail17trampoline_kernelINS0_14default_configENS1_35adjacent_difference_config_selectorILb0EjEEZNS1_24adjacent_difference_implIS3_Lb0ELb0EPjS7_N6thrust23THRUST_200600_302600_NS5minusIjEEEE10hipError_tPvRmT2_T3_mT4_P12ihipStream_tbEUlT_E_NS1_11comp_targetILNS1_3genE4ELNS1_11target_archE910ELNS1_3gpuE8ELNS1_3repE0EEENS1_30default_config_static_selectorELNS0_4arch9wavefront6targetE1EEEvT1_
	.globl	_ZN7rocprim17ROCPRIM_400000_NS6detail17trampoline_kernelINS0_14default_configENS1_35adjacent_difference_config_selectorILb0EjEEZNS1_24adjacent_difference_implIS3_Lb0ELb0EPjS7_N6thrust23THRUST_200600_302600_NS5minusIjEEEE10hipError_tPvRmT2_T3_mT4_P12ihipStream_tbEUlT_E_NS1_11comp_targetILNS1_3genE4ELNS1_11target_archE910ELNS1_3gpuE8ELNS1_3repE0EEENS1_30default_config_static_selectorELNS0_4arch9wavefront6targetE1EEEvT1_
	.p2align	8
	.type	_ZN7rocprim17ROCPRIM_400000_NS6detail17trampoline_kernelINS0_14default_configENS1_35adjacent_difference_config_selectorILb0EjEEZNS1_24adjacent_difference_implIS3_Lb0ELb0EPjS7_N6thrust23THRUST_200600_302600_NS5minusIjEEEE10hipError_tPvRmT2_T3_mT4_P12ihipStream_tbEUlT_E_NS1_11comp_targetILNS1_3genE4ELNS1_11target_archE910ELNS1_3gpuE8ELNS1_3repE0EEENS1_30default_config_static_selectorELNS0_4arch9wavefront6targetE1EEEvT1_,@function
_ZN7rocprim17ROCPRIM_400000_NS6detail17trampoline_kernelINS0_14default_configENS1_35adjacent_difference_config_selectorILb0EjEEZNS1_24adjacent_difference_implIS3_Lb0ELb0EPjS7_N6thrust23THRUST_200600_302600_NS5minusIjEEEE10hipError_tPvRmT2_T3_mT4_P12ihipStream_tbEUlT_E_NS1_11comp_targetILNS1_3genE4ELNS1_11target_archE910ELNS1_3gpuE8ELNS1_3repE0EEENS1_30default_config_static_selectorELNS0_4arch9wavefront6targetE1EEEvT1_: ; @_ZN7rocprim17ROCPRIM_400000_NS6detail17trampoline_kernelINS0_14default_configENS1_35adjacent_difference_config_selectorILb0EjEEZNS1_24adjacent_difference_implIS3_Lb0ELb0EPjS7_N6thrust23THRUST_200600_302600_NS5minusIjEEEE10hipError_tPvRmT2_T3_mT4_P12ihipStream_tbEUlT_E_NS1_11comp_targetILNS1_3genE4ELNS1_11target_archE910ELNS1_3gpuE8ELNS1_3repE0EEENS1_30default_config_static_selectorELNS0_4arch9wavefront6targetE1EEEvT1_
; %bb.0:
	.section	.rodata,"a",@progbits
	.p2align	6, 0x0
	.amdhsa_kernel _ZN7rocprim17ROCPRIM_400000_NS6detail17trampoline_kernelINS0_14default_configENS1_35adjacent_difference_config_selectorILb0EjEEZNS1_24adjacent_difference_implIS3_Lb0ELb0EPjS7_N6thrust23THRUST_200600_302600_NS5minusIjEEEE10hipError_tPvRmT2_T3_mT4_P12ihipStream_tbEUlT_E_NS1_11comp_targetILNS1_3genE4ELNS1_11target_archE910ELNS1_3gpuE8ELNS1_3repE0EEENS1_30default_config_static_selectorELNS0_4arch9wavefront6targetE1EEEvT1_
		.amdhsa_group_segment_fixed_size 0
		.amdhsa_private_segment_fixed_size 0
		.amdhsa_kernarg_size 56
		.amdhsa_user_sgpr_count 6
		.amdhsa_user_sgpr_private_segment_buffer 1
		.amdhsa_user_sgpr_dispatch_ptr 0
		.amdhsa_user_sgpr_queue_ptr 0
		.amdhsa_user_sgpr_kernarg_segment_ptr 1
		.amdhsa_user_sgpr_dispatch_id 0
		.amdhsa_user_sgpr_flat_scratch_init 0
		.amdhsa_user_sgpr_private_segment_size 0
		.amdhsa_uses_dynamic_stack 0
		.amdhsa_system_sgpr_private_segment_wavefront_offset 0
		.amdhsa_system_sgpr_workgroup_id_x 1
		.amdhsa_system_sgpr_workgroup_id_y 0
		.amdhsa_system_sgpr_workgroup_id_z 0
		.amdhsa_system_sgpr_workgroup_info 0
		.amdhsa_system_vgpr_workitem_id 0
		.amdhsa_next_free_vgpr 1
		.amdhsa_next_free_sgpr 0
		.amdhsa_reserve_vcc 0
		.amdhsa_reserve_flat_scratch 0
		.amdhsa_float_round_mode_32 0
		.amdhsa_float_round_mode_16_64 0
		.amdhsa_float_denorm_mode_32 3
		.amdhsa_float_denorm_mode_16_64 3
		.amdhsa_dx10_clamp 1
		.amdhsa_ieee_mode 1
		.amdhsa_fp16_overflow 0
		.amdhsa_exception_fp_ieee_invalid_op 0
		.amdhsa_exception_fp_denorm_src 0
		.amdhsa_exception_fp_ieee_div_zero 0
		.amdhsa_exception_fp_ieee_overflow 0
		.amdhsa_exception_fp_ieee_underflow 0
		.amdhsa_exception_fp_ieee_inexact 0
		.amdhsa_exception_int_div_zero 0
	.end_amdhsa_kernel
	.section	.text._ZN7rocprim17ROCPRIM_400000_NS6detail17trampoline_kernelINS0_14default_configENS1_35adjacent_difference_config_selectorILb0EjEEZNS1_24adjacent_difference_implIS3_Lb0ELb0EPjS7_N6thrust23THRUST_200600_302600_NS5minusIjEEEE10hipError_tPvRmT2_T3_mT4_P12ihipStream_tbEUlT_E_NS1_11comp_targetILNS1_3genE4ELNS1_11target_archE910ELNS1_3gpuE8ELNS1_3repE0EEENS1_30default_config_static_selectorELNS0_4arch9wavefront6targetE1EEEvT1_,"axG",@progbits,_ZN7rocprim17ROCPRIM_400000_NS6detail17trampoline_kernelINS0_14default_configENS1_35adjacent_difference_config_selectorILb0EjEEZNS1_24adjacent_difference_implIS3_Lb0ELb0EPjS7_N6thrust23THRUST_200600_302600_NS5minusIjEEEE10hipError_tPvRmT2_T3_mT4_P12ihipStream_tbEUlT_E_NS1_11comp_targetILNS1_3genE4ELNS1_11target_archE910ELNS1_3gpuE8ELNS1_3repE0EEENS1_30default_config_static_selectorELNS0_4arch9wavefront6targetE1EEEvT1_,comdat
.Lfunc_end158:
	.size	_ZN7rocprim17ROCPRIM_400000_NS6detail17trampoline_kernelINS0_14default_configENS1_35adjacent_difference_config_selectorILb0EjEEZNS1_24adjacent_difference_implIS3_Lb0ELb0EPjS7_N6thrust23THRUST_200600_302600_NS5minusIjEEEE10hipError_tPvRmT2_T3_mT4_P12ihipStream_tbEUlT_E_NS1_11comp_targetILNS1_3genE4ELNS1_11target_archE910ELNS1_3gpuE8ELNS1_3repE0EEENS1_30default_config_static_selectorELNS0_4arch9wavefront6targetE1EEEvT1_, .Lfunc_end158-_ZN7rocprim17ROCPRIM_400000_NS6detail17trampoline_kernelINS0_14default_configENS1_35adjacent_difference_config_selectorILb0EjEEZNS1_24adjacent_difference_implIS3_Lb0ELb0EPjS7_N6thrust23THRUST_200600_302600_NS5minusIjEEEE10hipError_tPvRmT2_T3_mT4_P12ihipStream_tbEUlT_E_NS1_11comp_targetILNS1_3genE4ELNS1_11target_archE910ELNS1_3gpuE8ELNS1_3repE0EEENS1_30default_config_static_selectorELNS0_4arch9wavefront6targetE1EEEvT1_
                                        ; -- End function
	.set _ZN7rocprim17ROCPRIM_400000_NS6detail17trampoline_kernelINS0_14default_configENS1_35adjacent_difference_config_selectorILb0EjEEZNS1_24adjacent_difference_implIS3_Lb0ELb0EPjS7_N6thrust23THRUST_200600_302600_NS5minusIjEEEE10hipError_tPvRmT2_T3_mT4_P12ihipStream_tbEUlT_E_NS1_11comp_targetILNS1_3genE4ELNS1_11target_archE910ELNS1_3gpuE8ELNS1_3repE0EEENS1_30default_config_static_selectorELNS0_4arch9wavefront6targetE1EEEvT1_.num_vgpr, 0
	.set _ZN7rocprim17ROCPRIM_400000_NS6detail17trampoline_kernelINS0_14default_configENS1_35adjacent_difference_config_selectorILb0EjEEZNS1_24adjacent_difference_implIS3_Lb0ELb0EPjS7_N6thrust23THRUST_200600_302600_NS5minusIjEEEE10hipError_tPvRmT2_T3_mT4_P12ihipStream_tbEUlT_E_NS1_11comp_targetILNS1_3genE4ELNS1_11target_archE910ELNS1_3gpuE8ELNS1_3repE0EEENS1_30default_config_static_selectorELNS0_4arch9wavefront6targetE1EEEvT1_.num_agpr, 0
	.set _ZN7rocprim17ROCPRIM_400000_NS6detail17trampoline_kernelINS0_14default_configENS1_35adjacent_difference_config_selectorILb0EjEEZNS1_24adjacent_difference_implIS3_Lb0ELb0EPjS7_N6thrust23THRUST_200600_302600_NS5minusIjEEEE10hipError_tPvRmT2_T3_mT4_P12ihipStream_tbEUlT_E_NS1_11comp_targetILNS1_3genE4ELNS1_11target_archE910ELNS1_3gpuE8ELNS1_3repE0EEENS1_30default_config_static_selectorELNS0_4arch9wavefront6targetE1EEEvT1_.numbered_sgpr, 0
	.set _ZN7rocprim17ROCPRIM_400000_NS6detail17trampoline_kernelINS0_14default_configENS1_35adjacent_difference_config_selectorILb0EjEEZNS1_24adjacent_difference_implIS3_Lb0ELb0EPjS7_N6thrust23THRUST_200600_302600_NS5minusIjEEEE10hipError_tPvRmT2_T3_mT4_P12ihipStream_tbEUlT_E_NS1_11comp_targetILNS1_3genE4ELNS1_11target_archE910ELNS1_3gpuE8ELNS1_3repE0EEENS1_30default_config_static_selectorELNS0_4arch9wavefront6targetE1EEEvT1_.num_named_barrier, 0
	.set _ZN7rocprim17ROCPRIM_400000_NS6detail17trampoline_kernelINS0_14default_configENS1_35adjacent_difference_config_selectorILb0EjEEZNS1_24adjacent_difference_implIS3_Lb0ELb0EPjS7_N6thrust23THRUST_200600_302600_NS5minusIjEEEE10hipError_tPvRmT2_T3_mT4_P12ihipStream_tbEUlT_E_NS1_11comp_targetILNS1_3genE4ELNS1_11target_archE910ELNS1_3gpuE8ELNS1_3repE0EEENS1_30default_config_static_selectorELNS0_4arch9wavefront6targetE1EEEvT1_.private_seg_size, 0
	.set _ZN7rocprim17ROCPRIM_400000_NS6detail17trampoline_kernelINS0_14default_configENS1_35adjacent_difference_config_selectorILb0EjEEZNS1_24adjacent_difference_implIS3_Lb0ELb0EPjS7_N6thrust23THRUST_200600_302600_NS5minusIjEEEE10hipError_tPvRmT2_T3_mT4_P12ihipStream_tbEUlT_E_NS1_11comp_targetILNS1_3genE4ELNS1_11target_archE910ELNS1_3gpuE8ELNS1_3repE0EEENS1_30default_config_static_selectorELNS0_4arch9wavefront6targetE1EEEvT1_.uses_vcc, 0
	.set _ZN7rocprim17ROCPRIM_400000_NS6detail17trampoline_kernelINS0_14default_configENS1_35adjacent_difference_config_selectorILb0EjEEZNS1_24adjacent_difference_implIS3_Lb0ELb0EPjS7_N6thrust23THRUST_200600_302600_NS5minusIjEEEE10hipError_tPvRmT2_T3_mT4_P12ihipStream_tbEUlT_E_NS1_11comp_targetILNS1_3genE4ELNS1_11target_archE910ELNS1_3gpuE8ELNS1_3repE0EEENS1_30default_config_static_selectorELNS0_4arch9wavefront6targetE1EEEvT1_.uses_flat_scratch, 0
	.set _ZN7rocprim17ROCPRIM_400000_NS6detail17trampoline_kernelINS0_14default_configENS1_35adjacent_difference_config_selectorILb0EjEEZNS1_24adjacent_difference_implIS3_Lb0ELb0EPjS7_N6thrust23THRUST_200600_302600_NS5minusIjEEEE10hipError_tPvRmT2_T3_mT4_P12ihipStream_tbEUlT_E_NS1_11comp_targetILNS1_3genE4ELNS1_11target_archE910ELNS1_3gpuE8ELNS1_3repE0EEENS1_30default_config_static_selectorELNS0_4arch9wavefront6targetE1EEEvT1_.has_dyn_sized_stack, 0
	.set _ZN7rocprim17ROCPRIM_400000_NS6detail17trampoline_kernelINS0_14default_configENS1_35adjacent_difference_config_selectorILb0EjEEZNS1_24adjacent_difference_implIS3_Lb0ELb0EPjS7_N6thrust23THRUST_200600_302600_NS5minusIjEEEE10hipError_tPvRmT2_T3_mT4_P12ihipStream_tbEUlT_E_NS1_11comp_targetILNS1_3genE4ELNS1_11target_archE910ELNS1_3gpuE8ELNS1_3repE0EEENS1_30default_config_static_selectorELNS0_4arch9wavefront6targetE1EEEvT1_.has_recursion, 0
	.set _ZN7rocprim17ROCPRIM_400000_NS6detail17trampoline_kernelINS0_14default_configENS1_35adjacent_difference_config_selectorILb0EjEEZNS1_24adjacent_difference_implIS3_Lb0ELb0EPjS7_N6thrust23THRUST_200600_302600_NS5minusIjEEEE10hipError_tPvRmT2_T3_mT4_P12ihipStream_tbEUlT_E_NS1_11comp_targetILNS1_3genE4ELNS1_11target_archE910ELNS1_3gpuE8ELNS1_3repE0EEENS1_30default_config_static_selectorELNS0_4arch9wavefront6targetE1EEEvT1_.has_indirect_call, 0
	.section	.AMDGPU.csdata,"",@progbits
; Kernel info:
; codeLenInByte = 0
; TotalNumSgprs: 4
; NumVgprs: 0
; ScratchSize: 0
; MemoryBound: 0
; FloatMode: 240
; IeeeMode: 1
; LDSByteSize: 0 bytes/workgroup (compile time only)
; SGPRBlocks: 0
; VGPRBlocks: 0
; NumSGPRsForWavesPerEU: 4
; NumVGPRsForWavesPerEU: 1
; Occupancy: 10
; WaveLimiterHint : 0
; COMPUTE_PGM_RSRC2:SCRATCH_EN: 0
; COMPUTE_PGM_RSRC2:USER_SGPR: 6
; COMPUTE_PGM_RSRC2:TRAP_HANDLER: 0
; COMPUTE_PGM_RSRC2:TGID_X_EN: 1
; COMPUTE_PGM_RSRC2:TGID_Y_EN: 0
; COMPUTE_PGM_RSRC2:TGID_Z_EN: 0
; COMPUTE_PGM_RSRC2:TIDIG_COMP_CNT: 0
	.section	.text._ZN7rocprim17ROCPRIM_400000_NS6detail17trampoline_kernelINS0_14default_configENS1_35adjacent_difference_config_selectorILb0EjEEZNS1_24adjacent_difference_implIS3_Lb0ELb0EPjS7_N6thrust23THRUST_200600_302600_NS5minusIjEEEE10hipError_tPvRmT2_T3_mT4_P12ihipStream_tbEUlT_E_NS1_11comp_targetILNS1_3genE3ELNS1_11target_archE908ELNS1_3gpuE7ELNS1_3repE0EEENS1_30default_config_static_selectorELNS0_4arch9wavefront6targetE1EEEvT1_,"axG",@progbits,_ZN7rocprim17ROCPRIM_400000_NS6detail17trampoline_kernelINS0_14default_configENS1_35adjacent_difference_config_selectorILb0EjEEZNS1_24adjacent_difference_implIS3_Lb0ELb0EPjS7_N6thrust23THRUST_200600_302600_NS5minusIjEEEE10hipError_tPvRmT2_T3_mT4_P12ihipStream_tbEUlT_E_NS1_11comp_targetILNS1_3genE3ELNS1_11target_archE908ELNS1_3gpuE7ELNS1_3repE0EEENS1_30default_config_static_selectorELNS0_4arch9wavefront6targetE1EEEvT1_,comdat
	.protected	_ZN7rocprim17ROCPRIM_400000_NS6detail17trampoline_kernelINS0_14default_configENS1_35adjacent_difference_config_selectorILb0EjEEZNS1_24adjacent_difference_implIS3_Lb0ELb0EPjS7_N6thrust23THRUST_200600_302600_NS5minusIjEEEE10hipError_tPvRmT2_T3_mT4_P12ihipStream_tbEUlT_E_NS1_11comp_targetILNS1_3genE3ELNS1_11target_archE908ELNS1_3gpuE7ELNS1_3repE0EEENS1_30default_config_static_selectorELNS0_4arch9wavefront6targetE1EEEvT1_ ; -- Begin function _ZN7rocprim17ROCPRIM_400000_NS6detail17trampoline_kernelINS0_14default_configENS1_35adjacent_difference_config_selectorILb0EjEEZNS1_24adjacent_difference_implIS3_Lb0ELb0EPjS7_N6thrust23THRUST_200600_302600_NS5minusIjEEEE10hipError_tPvRmT2_T3_mT4_P12ihipStream_tbEUlT_E_NS1_11comp_targetILNS1_3genE3ELNS1_11target_archE908ELNS1_3gpuE7ELNS1_3repE0EEENS1_30default_config_static_selectorELNS0_4arch9wavefront6targetE1EEEvT1_
	.globl	_ZN7rocprim17ROCPRIM_400000_NS6detail17trampoline_kernelINS0_14default_configENS1_35adjacent_difference_config_selectorILb0EjEEZNS1_24adjacent_difference_implIS3_Lb0ELb0EPjS7_N6thrust23THRUST_200600_302600_NS5minusIjEEEE10hipError_tPvRmT2_T3_mT4_P12ihipStream_tbEUlT_E_NS1_11comp_targetILNS1_3genE3ELNS1_11target_archE908ELNS1_3gpuE7ELNS1_3repE0EEENS1_30default_config_static_selectorELNS0_4arch9wavefront6targetE1EEEvT1_
	.p2align	8
	.type	_ZN7rocprim17ROCPRIM_400000_NS6detail17trampoline_kernelINS0_14default_configENS1_35adjacent_difference_config_selectorILb0EjEEZNS1_24adjacent_difference_implIS3_Lb0ELb0EPjS7_N6thrust23THRUST_200600_302600_NS5minusIjEEEE10hipError_tPvRmT2_T3_mT4_P12ihipStream_tbEUlT_E_NS1_11comp_targetILNS1_3genE3ELNS1_11target_archE908ELNS1_3gpuE7ELNS1_3repE0EEENS1_30default_config_static_selectorELNS0_4arch9wavefront6targetE1EEEvT1_,@function
_ZN7rocprim17ROCPRIM_400000_NS6detail17trampoline_kernelINS0_14default_configENS1_35adjacent_difference_config_selectorILb0EjEEZNS1_24adjacent_difference_implIS3_Lb0ELb0EPjS7_N6thrust23THRUST_200600_302600_NS5minusIjEEEE10hipError_tPvRmT2_T3_mT4_P12ihipStream_tbEUlT_E_NS1_11comp_targetILNS1_3genE3ELNS1_11target_archE908ELNS1_3gpuE7ELNS1_3repE0EEENS1_30default_config_static_selectorELNS0_4arch9wavefront6targetE1EEEvT1_: ; @_ZN7rocprim17ROCPRIM_400000_NS6detail17trampoline_kernelINS0_14default_configENS1_35adjacent_difference_config_selectorILb0EjEEZNS1_24adjacent_difference_implIS3_Lb0ELb0EPjS7_N6thrust23THRUST_200600_302600_NS5minusIjEEEE10hipError_tPvRmT2_T3_mT4_P12ihipStream_tbEUlT_E_NS1_11comp_targetILNS1_3genE3ELNS1_11target_archE908ELNS1_3gpuE7ELNS1_3repE0EEENS1_30default_config_static_selectorELNS0_4arch9wavefront6targetE1EEEvT1_
; %bb.0:
	.section	.rodata,"a",@progbits
	.p2align	6, 0x0
	.amdhsa_kernel _ZN7rocprim17ROCPRIM_400000_NS6detail17trampoline_kernelINS0_14default_configENS1_35adjacent_difference_config_selectorILb0EjEEZNS1_24adjacent_difference_implIS3_Lb0ELb0EPjS7_N6thrust23THRUST_200600_302600_NS5minusIjEEEE10hipError_tPvRmT2_T3_mT4_P12ihipStream_tbEUlT_E_NS1_11comp_targetILNS1_3genE3ELNS1_11target_archE908ELNS1_3gpuE7ELNS1_3repE0EEENS1_30default_config_static_selectorELNS0_4arch9wavefront6targetE1EEEvT1_
		.amdhsa_group_segment_fixed_size 0
		.amdhsa_private_segment_fixed_size 0
		.amdhsa_kernarg_size 56
		.amdhsa_user_sgpr_count 6
		.amdhsa_user_sgpr_private_segment_buffer 1
		.amdhsa_user_sgpr_dispatch_ptr 0
		.amdhsa_user_sgpr_queue_ptr 0
		.amdhsa_user_sgpr_kernarg_segment_ptr 1
		.amdhsa_user_sgpr_dispatch_id 0
		.amdhsa_user_sgpr_flat_scratch_init 0
		.amdhsa_user_sgpr_private_segment_size 0
		.amdhsa_uses_dynamic_stack 0
		.amdhsa_system_sgpr_private_segment_wavefront_offset 0
		.amdhsa_system_sgpr_workgroup_id_x 1
		.amdhsa_system_sgpr_workgroup_id_y 0
		.amdhsa_system_sgpr_workgroup_id_z 0
		.amdhsa_system_sgpr_workgroup_info 0
		.amdhsa_system_vgpr_workitem_id 0
		.amdhsa_next_free_vgpr 1
		.amdhsa_next_free_sgpr 0
		.amdhsa_reserve_vcc 0
		.amdhsa_reserve_flat_scratch 0
		.amdhsa_float_round_mode_32 0
		.amdhsa_float_round_mode_16_64 0
		.amdhsa_float_denorm_mode_32 3
		.amdhsa_float_denorm_mode_16_64 3
		.amdhsa_dx10_clamp 1
		.amdhsa_ieee_mode 1
		.amdhsa_fp16_overflow 0
		.amdhsa_exception_fp_ieee_invalid_op 0
		.amdhsa_exception_fp_denorm_src 0
		.amdhsa_exception_fp_ieee_div_zero 0
		.amdhsa_exception_fp_ieee_overflow 0
		.amdhsa_exception_fp_ieee_underflow 0
		.amdhsa_exception_fp_ieee_inexact 0
		.amdhsa_exception_int_div_zero 0
	.end_amdhsa_kernel
	.section	.text._ZN7rocprim17ROCPRIM_400000_NS6detail17trampoline_kernelINS0_14default_configENS1_35adjacent_difference_config_selectorILb0EjEEZNS1_24adjacent_difference_implIS3_Lb0ELb0EPjS7_N6thrust23THRUST_200600_302600_NS5minusIjEEEE10hipError_tPvRmT2_T3_mT4_P12ihipStream_tbEUlT_E_NS1_11comp_targetILNS1_3genE3ELNS1_11target_archE908ELNS1_3gpuE7ELNS1_3repE0EEENS1_30default_config_static_selectorELNS0_4arch9wavefront6targetE1EEEvT1_,"axG",@progbits,_ZN7rocprim17ROCPRIM_400000_NS6detail17trampoline_kernelINS0_14default_configENS1_35adjacent_difference_config_selectorILb0EjEEZNS1_24adjacent_difference_implIS3_Lb0ELb0EPjS7_N6thrust23THRUST_200600_302600_NS5minusIjEEEE10hipError_tPvRmT2_T3_mT4_P12ihipStream_tbEUlT_E_NS1_11comp_targetILNS1_3genE3ELNS1_11target_archE908ELNS1_3gpuE7ELNS1_3repE0EEENS1_30default_config_static_selectorELNS0_4arch9wavefront6targetE1EEEvT1_,comdat
.Lfunc_end159:
	.size	_ZN7rocprim17ROCPRIM_400000_NS6detail17trampoline_kernelINS0_14default_configENS1_35adjacent_difference_config_selectorILb0EjEEZNS1_24adjacent_difference_implIS3_Lb0ELb0EPjS7_N6thrust23THRUST_200600_302600_NS5minusIjEEEE10hipError_tPvRmT2_T3_mT4_P12ihipStream_tbEUlT_E_NS1_11comp_targetILNS1_3genE3ELNS1_11target_archE908ELNS1_3gpuE7ELNS1_3repE0EEENS1_30default_config_static_selectorELNS0_4arch9wavefront6targetE1EEEvT1_, .Lfunc_end159-_ZN7rocprim17ROCPRIM_400000_NS6detail17trampoline_kernelINS0_14default_configENS1_35adjacent_difference_config_selectorILb0EjEEZNS1_24adjacent_difference_implIS3_Lb0ELb0EPjS7_N6thrust23THRUST_200600_302600_NS5minusIjEEEE10hipError_tPvRmT2_T3_mT4_P12ihipStream_tbEUlT_E_NS1_11comp_targetILNS1_3genE3ELNS1_11target_archE908ELNS1_3gpuE7ELNS1_3repE0EEENS1_30default_config_static_selectorELNS0_4arch9wavefront6targetE1EEEvT1_
                                        ; -- End function
	.set _ZN7rocprim17ROCPRIM_400000_NS6detail17trampoline_kernelINS0_14default_configENS1_35adjacent_difference_config_selectorILb0EjEEZNS1_24adjacent_difference_implIS3_Lb0ELb0EPjS7_N6thrust23THRUST_200600_302600_NS5minusIjEEEE10hipError_tPvRmT2_T3_mT4_P12ihipStream_tbEUlT_E_NS1_11comp_targetILNS1_3genE3ELNS1_11target_archE908ELNS1_3gpuE7ELNS1_3repE0EEENS1_30default_config_static_selectorELNS0_4arch9wavefront6targetE1EEEvT1_.num_vgpr, 0
	.set _ZN7rocprim17ROCPRIM_400000_NS6detail17trampoline_kernelINS0_14default_configENS1_35adjacent_difference_config_selectorILb0EjEEZNS1_24adjacent_difference_implIS3_Lb0ELb0EPjS7_N6thrust23THRUST_200600_302600_NS5minusIjEEEE10hipError_tPvRmT2_T3_mT4_P12ihipStream_tbEUlT_E_NS1_11comp_targetILNS1_3genE3ELNS1_11target_archE908ELNS1_3gpuE7ELNS1_3repE0EEENS1_30default_config_static_selectorELNS0_4arch9wavefront6targetE1EEEvT1_.num_agpr, 0
	.set _ZN7rocprim17ROCPRIM_400000_NS6detail17trampoline_kernelINS0_14default_configENS1_35adjacent_difference_config_selectorILb0EjEEZNS1_24adjacent_difference_implIS3_Lb0ELb0EPjS7_N6thrust23THRUST_200600_302600_NS5minusIjEEEE10hipError_tPvRmT2_T3_mT4_P12ihipStream_tbEUlT_E_NS1_11comp_targetILNS1_3genE3ELNS1_11target_archE908ELNS1_3gpuE7ELNS1_3repE0EEENS1_30default_config_static_selectorELNS0_4arch9wavefront6targetE1EEEvT1_.numbered_sgpr, 0
	.set _ZN7rocprim17ROCPRIM_400000_NS6detail17trampoline_kernelINS0_14default_configENS1_35adjacent_difference_config_selectorILb0EjEEZNS1_24adjacent_difference_implIS3_Lb0ELb0EPjS7_N6thrust23THRUST_200600_302600_NS5minusIjEEEE10hipError_tPvRmT2_T3_mT4_P12ihipStream_tbEUlT_E_NS1_11comp_targetILNS1_3genE3ELNS1_11target_archE908ELNS1_3gpuE7ELNS1_3repE0EEENS1_30default_config_static_selectorELNS0_4arch9wavefront6targetE1EEEvT1_.num_named_barrier, 0
	.set _ZN7rocprim17ROCPRIM_400000_NS6detail17trampoline_kernelINS0_14default_configENS1_35adjacent_difference_config_selectorILb0EjEEZNS1_24adjacent_difference_implIS3_Lb0ELb0EPjS7_N6thrust23THRUST_200600_302600_NS5minusIjEEEE10hipError_tPvRmT2_T3_mT4_P12ihipStream_tbEUlT_E_NS1_11comp_targetILNS1_3genE3ELNS1_11target_archE908ELNS1_3gpuE7ELNS1_3repE0EEENS1_30default_config_static_selectorELNS0_4arch9wavefront6targetE1EEEvT1_.private_seg_size, 0
	.set _ZN7rocprim17ROCPRIM_400000_NS6detail17trampoline_kernelINS0_14default_configENS1_35adjacent_difference_config_selectorILb0EjEEZNS1_24adjacent_difference_implIS3_Lb0ELb0EPjS7_N6thrust23THRUST_200600_302600_NS5minusIjEEEE10hipError_tPvRmT2_T3_mT4_P12ihipStream_tbEUlT_E_NS1_11comp_targetILNS1_3genE3ELNS1_11target_archE908ELNS1_3gpuE7ELNS1_3repE0EEENS1_30default_config_static_selectorELNS0_4arch9wavefront6targetE1EEEvT1_.uses_vcc, 0
	.set _ZN7rocprim17ROCPRIM_400000_NS6detail17trampoline_kernelINS0_14default_configENS1_35adjacent_difference_config_selectorILb0EjEEZNS1_24adjacent_difference_implIS3_Lb0ELb0EPjS7_N6thrust23THRUST_200600_302600_NS5minusIjEEEE10hipError_tPvRmT2_T3_mT4_P12ihipStream_tbEUlT_E_NS1_11comp_targetILNS1_3genE3ELNS1_11target_archE908ELNS1_3gpuE7ELNS1_3repE0EEENS1_30default_config_static_selectorELNS0_4arch9wavefront6targetE1EEEvT1_.uses_flat_scratch, 0
	.set _ZN7rocprim17ROCPRIM_400000_NS6detail17trampoline_kernelINS0_14default_configENS1_35adjacent_difference_config_selectorILb0EjEEZNS1_24adjacent_difference_implIS3_Lb0ELb0EPjS7_N6thrust23THRUST_200600_302600_NS5minusIjEEEE10hipError_tPvRmT2_T3_mT4_P12ihipStream_tbEUlT_E_NS1_11comp_targetILNS1_3genE3ELNS1_11target_archE908ELNS1_3gpuE7ELNS1_3repE0EEENS1_30default_config_static_selectorELNS0_4arch9wavefront6targetE1EEEvT1_.has_dyn_sized_stack, 0
	.set _ZN7rocprim17ROCPRIM_400000_NS6detail17trampoline_kernelINS0_14default_configENS1_35adjacent_difference_config_selectorILb0EjEEZNS1_24adjacent_difference_implIS3_Lb0ELb0EPjS7_N6thrust23THRUST_200600_302600_NS5minusIjEEEE10hipError_tPvRmT2_T3_mT4_P12ihipStream_tbEUlT_E_NS1_11comp_targetILNS1_3genE3ELNS1_11target_archE908ELNS1_3gpuE7ELNS1_3repE0EEENS1_30default_config_static_selectorELNS0_4arch9wavefront6targetE1EEEvT1_.has_recursion, 0
	.set _ZN7rocprim17ROCPRIM_400000_NS6detail17trampoline_kernelINS0_14default_configENS1_35adjacent_difference_config_selectorILb0EjEEZNS1_24adjacent_difference_implIS3_Lb0ELb0EPjS7_N6thrust23THRUST_200600_302600_NS5minusIjEEEE10hipError_tPvRmT2_T3_mT4_P12ihipStream_tbEUlT_E_NS1_11comp_targetILNS1_3genE3ELNS1_11target_archE908ELNS1_3gpuE7ELNS1_3repE0EEENS1_30default_config_static_selectorELNS0_4arch9wavefront6targetE1EEEvT1_.has_indirect_call, 0
	.section	.AMDGPU.csdata,"",@progbits
; Kernel info:
; codeLenInByte = 0
; TotalNumSgprs: 4
; NumVgprs: 0
; ScratchSize: 0
; MemoryBound: 0
; FloatMode: 240
; IeeeMode: 1
; LDSByteSize: 0 bytes/workgroup (compile time only)
; SGPRBlocks: 0
; VGPRBlocks: 0
; NumSGPRsForWavesPerEU: 4
; NumVGPRsForWavesPerEU: 1
; Occupancy: 10
; WaveLimiterHint : 0
; COMPUTE_PGM_RSRC2:SCRATCH_EN: 0
; COMPUTE_PGM_RSRC2:USER_SGPR: 6
; COMPUTE_PGM_RSRC2:TRAP_HANDLER: 0
; COMPUTE_PGM_RSRC2:TGID_X_EN: 1
; COMPUTE_PGM_RSRC2:TGID_Y_EN: 0
; COMPUTE_PGM_RSRC2:TGID_Z_EN: 0
; COMPUTE_PGM_RSRC2:TIDIG_COMP_CNT: 0
	.section	.text._ZN7rocprim17ROCPRIM_400000_NS6detail17trampoline_kernelINS0_14default_configENS1_35adjacent_difference_config_selectorILb0EjEEZNS1_24adjacent_difference_implIS3_Lb0ELb0EPjS7_N6thrust23THRUST_200600_302600_NS5minusIjEEEE10hipError_tPvRmT2_T3_mT4_P12ihipStream_tbEUlT_E_NS1_11comp_targetILNS1_3genE2ELNS1_11target_archE906ELNS1_3gpuE6ELNS1_3repE0EEENS1_30default_config_static_selectorELNS0_4arch9wavefront6targetE1EEEvT1_,"axG",@progbits,_ZN7rocprim17ROCPRIM_400000_NS6detail17trampoline_kernelINS0_14default_configENS1_35adjacent_difference_config_selectorILb0EjEEZNS1_24adjacent_difference_implIS3_Lb0ELb0EPjS7_N6thrust23THRUST_200600_302600_NS5minusIjEEEE10hipError_tPvRmT2_T3_mT4_P12ihipStream_tbEUlT_E_NS1_11comp_targetILNS1_3genE2ELNS1_11target_archE906ELNS1_3gpuE6ELNS1_3repE0EEENS1_30default_config_static_selectorELNS0_4arch9wavefront6targetE1EEEvT1_,comdat
	.protected	_ZN7rocprim17ROCPRIM_400000_NS6detail17trampoline_kernelINS0_14default_configENS1_35adjacent_difference_config_selectorILb0EjEEZNS1_24adjacent_difference_implIS3_Lb0ELb0EPjS7_N6thrust23THRUST_200600_302600_NS5minusIjEEEE10hipError_tPvRmT2_T3_mT4_P12ihipStream_tbEUlT_E_NS1_11comp_targetILNS1_3genE2ELNS1_11target_archE906ELNS1_3gpuE6ELNS1_3repE0EEENS1_30default_config_static_selectorELNS0_4arch9wavefront6targetE1EEEvT1_ ; -- Begin function _ZN7rocprim17ROCPRIM_400000_NS6detail17trampoline_kernelINS0_14default_configENS1_35adjacent_difference_config_selectorILb0EjEEZNS1_24adjacent_difference_implIS3_Lb0ELb0EPjS7_N6thrust23THRUST_200600_302600_NS5minusIjEEEE10hipError_tPvRmT2_T3_mT4_P12ihipStream_tbEUlT_E_NS1_11comp_targetILNS1_3genE2ELNS1_11target_archE906ELNS1_3gpuE6ELNS1_3repE0EEENS1_30default_config_static_selectorELNS0_4arch9wavefront6targetE1EEEvT1_
	.globl	_ZN7rocprim17ROCPRIM_400000_NS6detail17trampoline_kernelINS0_14default_configENS1_35adjacent_difference_config_selectorILb0EjEEZNS1_24adjacent_difference_implIS3_Lb0ELb0EPjS7_N6thrust23THRUST_200600_302600_NS5minusIjEEEE10hipError_tPvRmT2_T3_mT4_P12ihipStream_tbEUlT_E_NS1_11comp_targetILNS1_3genE2ELNS1_11target_archE906ELNS1_3gpuE6ELNS1_3repE0EEENS1_30default_config_static_selectorELNS0_4arch9wavefront6targetE1EEEvT1_
	.p2align	8
	.type	_ZN7rocprim17ROCPRIM_400000_NS6detail17trampoline_kernelINS0_14default_configENS1_35adjacent_difference_config_selectorILb0EjEEZNS1_24adjacent_difference_implIS3_Lb0ELb0EPjS7_N6thrust23THRUST_200600_302600_NS5minusIjEEEE10hipError_tPvRmT2_T3_mT4_P12ihipStream_tbEUlT_E_NS1_11comp_targetILNS1_3genE2ELNS1_11target_archE906ELNS1_3gpuE6ELNS1_3repE0EEENS1_30default_config_static_selectorELNS0_4arch9wavefront6targetE1EEEvT1_,@function
_ZN7rocprim17ROCPRIM_400000_NS6detail17trampoline_kernelINS0_14default_configENS1_35adjacent_difference_config_selectorILb0EjEEZNS1_24adjacent_difference_implIS3_Lb0ELb0EPjS7_N6thrust23THRUST_200600_302600_NS5minusIjEEEE10hipError_tPvRmT2_T3_mT4_P12ihipStream_tbEUlT_E_NS1_11comp_targetILNS1_3genE2ELNS1_11target_archE906ELNS1_3gpuE6ELNS1_3repE0EEENS1_30default_config_static_selectorELNS0_4arch9wavefront6targetE1EEEvT1_: ; @_ZN7rocprim17ROCPRIM_400000_NS6detail17trampoline_kernelINS0_14default_configENS1_35adjacent_difference_config_selectorILb0EjEEZNS1_24adjacent_difference_implIS3_Lb0ELb0EPjS7_N6thrust23THRUST_200600_302600_NS5minusIjEEEE10hipError_tPvRmT2_T3_mT4_P12ihipStream_tbEUlT_E_NS1_11comp_targetILNS1_3genE2ELNS1_11target_archE906ELNS1_3gpuE6ELNS1_3repE0EEENS1_30default_config_static_selectorELNS0_4arch9wavefront6targetE1EEEvT1_
; %bb.0:
	s_load_dwordx8 s[8:15], s[4:5], 0x0
	s_load_dwordx2 s[0:1], s[4:5], 0x30
	s_mul_i32 s16, s6, 0x1400
	s_mov_b32 s17, 0
	s_waitcnt lgkmcnt(0)
	s_lshl_b64 s[18:19], s[10:11], 2
	s_add_u32 s20, s8, s18
	s_addc_u32 s21, s9, s19
	s_mul_i32 s5, s15, 0xcccccccd
	s_mul_hi_u32 s7, s14, 0xcccccccd
	s_mul_hi_u32 s4, s15, 0xcccccccd
	s_add_u32 s5, s5, s7
	s_mul_i32 s3, s14, 0xcccccccc
	s_addc_u32 s4, s4, 0
	s_mul_hi_u32 s2, s14, 0xcccccccc
	s_add_u32 s3, s3, s5
	s_addc_u32 s2, s2, 0
	s_add_u32 s2, s4, s2
	s_addc_u32 s3, 0, 0
	s_mul_i32 s5, s15, 0xcccccccc
	s_mul_hi_u32 s4, s15, 0xcccccccc
	s_add_u32 s2, s5, s2
	s_addc_u32 s3, s4, s3
	s_lshr_b64 s[4:5], s[2:3], 12
	s_lshr_b32 s2, s3, 12
	s_mulk_i32 s2, 0x1400
	s_mul_hi_u32 s3, s4, 0x1400
	s_add_i32 s3, s3, s2
	s_mul_i32 s2, s4, 0x1400
	s_sub_u32 s2, s14, s2
	s_subb_u32 s3, s15, s3
	s_cmp_lg_u64 s[2:3], 0
	s_cselect_b64 s[2:3], -1, 0
	v_cndmask_b32_e64 v1, 0, 1, s[2:3]
	v_readfirstlane_b32 s2, v1
	s_add_u32 s2, s4, s2
	s_addc_u32 s3, s5, 0
	s_add_u32 s4, s0, s6
	s_addc_u32 s5, s1, 0
	s_add_u32 s6, s2, -1
	s_addc_u32 s7, s3, -1
	v_mov_b32_e32 v1, s6
	v_mov_b32_e32 v2, s7
	v_cmp_ge_u64_e64 s[0:1], s[4:5], v[1:2]
	s_mov_b64 s[8:9], -1
	s_and_b64 vcc, exec, s[0:1]
	s_mul_i32 s15, s6, 0xffffec00
	s_cbranch_vccz .LBB160_12
; %bb.1:
	s_add_i32 s22, s15, s14
	s_lshl_b64 s[8:9], s[16:17], 2
	s_add_u32 s8, s20, s8
	v_mov_b32_e32 v1, 0
	s_addc_u32 s9, s21, s9
	v_cmp_gt_u32_e32 vcc, s22, v0
	v_mov_b32_e32 v2, v1
	v_mov_b32_e32 v3, v1
	;; [unrolled: 1-line block ×4, first 2 shown]
	s_and_saveexec_b64 s[10:11], vcc
	s_cbranch_execz .LBB160_3
; %bb.2:
	v_lshlrev_b32_e32 v2, 2, v0
	global_load_dword v2, v2, s[8:9]
	v_mov_b32_e32 v3, v1
	v_mov_b32_e32 v4, v1
	;; [unrolled: 1-line block ×4, first 2 shown]
	s_waitcnt vmcnt(0)
	v_mov_b32_e32 v1, v2
	v_mov_b32_e32 v2, v3
	v_mov_b32_e32 v3, v4
	v_mov_b32_e32 v4, v5
	v_mov_b32_e32 v5, v6
.LBB160_3:
	s_or_b64 exec, exec, s[10:11]
	v_or_b32_e32 v6, 0x400, v0
	v_cmp_gt_u32_e32 vcc, s22, v6
	s_and_saveexec_b64 s[10:11], vcc
	s_cbranch_execz .LBB160_5
; %bb.4:
	v_lshlrev_b32_e32 v2, 2, v6
	global_load_dword v2, v2, s[8:9]
.LBB160_5:
	s_or_b64 exec, exec, s[10:11]
	v_or_b32_e32 v6, 0x800, v0
	v_cmp_gt_u32_e32 vcc, s22, v6
	s_and_saveexec_b64 s[10:11], vcc
	s_cbranch_execz .LBB160_7
; %bb.6:
	v_lshlrev_b32_e32 v3, 2, v6
	global_load_dword v3, v3, s[8:9]
.LBB160_7:
	;; [unrolled: 9-line block ×4, first 2 shown]
	s_or_b64 exec, exec, s[10:11]
	v_lshlrev_b32_e32 v6, 2, v0
	s_mov_b64 s[8:9], 0
	s_waitcnt vmcnt(0)
	ds_write2st64_b32 v6, v1, v2 offset1:16
	ds_write2st64_b32 v6, v3, v4 offset0:32 offset1:48
	ds_write_b32 v6, v5 offset:16384
	s_waitcnt lgkmcnt(0)
	s_barrier
.LBB160_12:
	s_and_b64 vcc, exec, s[8:9]
	v_lshlrev_b32_e32 v8, 2, v0
	s_cbranch_vccz .LBB160_14
; %bb.13:
	s_lshl_b64 s[8:9], s[16:17], 2
	s_add_u32 s8, s20, s8
	s_addc_u32 s9, s21, s9
	v_mov_b32_e32 v1, s9
	v_add_co_u32_e32 v7, vcc, s8, v8
	v_addc_co_u32_e32 v10, vcc, 0, v1, vcc
	v_add_co_u32_e32 v1, vcc, 0x1000, v7
	v_addc_co_u32_e32 v2, vcc, 0, v10, vcc
	;; [unrolled: 2-line block ×5, first 2 shown]
	global_load_dword v7, v8, s[8:9]
	global_load_dword v11, v[1:2], off
	global_load_dword v12, v[3:4], off
	;; [unrolled: 1-line block ×4, first 2 shown]
	s_waitcnt vmcnt(3)
	ds_write2st64_b32 v8, v7, v11 offset1:16
	s_waitcnt vmcnt(1)
	ds_write2st64_b32 v8, v12, v13 offset0:32 offset1:48
	s_waitcnt vmcnt(0)
	ds_write_b32 v8, v14 offset:16384
	s_waitcnt lgkmcnt(0)
	s_barrier
.LBB160_14:
	v_mul_u32_u24_e32 v9, 20, v0
	ds_read2_b32 v[1:2], v9 offset1:1
	ds_read2_b32 v[3:4], v9 offset0:2 offset1:3
	ds_read_b32 v5, v9 offset:16
	s_cmp_eq_u64 s[4:5], 0
	s_waitcnt lgkmcnt(0)
	s_barrier
	s_cbranch_scc1 .LBB160_19
; %bb.15:
	s_lshl_b64 s[8:9], s[16:17], 2
	s_add_u32 s8, s20, s8
	s_addc_u32 s9, s21, s9
	s_add_u32 s8, s8, -4
	s_addc_u32 s9, s9, -1
	s_load_dword s8, s[8:9], 0x0
	s_cmp_eq_u64 s[4:5], s[6:7]
	s_cbranch_scc1 .LBB160_20
; %bb.16:
	v_cmp_ne_u32_e32 vcc, 0, v0
	s_waitcnt lgkmcnt(0)
	v_mov_b32_e32 v6, s8
	ds_write_b32 v8, v5
	s_waitcnt lgkmcnt(0)
	s_barrier
	s_and_saveexec_b64 s[6:7], vcc
; %bb.17:
	v_add_u32_e32 v6, -4, v8
	ds_read_b32 v6, v6
; %bb.18:
	s_or_b64 exec, exec, s[6:7]
	v_sub_u32_e32 v10, v5, v4
	v_sub_u32_e32 v11, v4, v3
	;; [unrolled: 1-line block ×4, first 2 shown]
	s_cbranch_execz .LBB160_21
	s_branch .LBB160_24
.LBB160_19:
	s_mov_b64 s[20:21], 0
                                        ; implicit-def: $vgpr6
                                        ; implicit-def: $vgpr10
                                        ; implicit-def: $vgpr11
                                        ; implicit-def: $vgpr12
                                        ; implicit-def: $vgpr13
	s_branch .LBB160_25
.LBB160_20:
                                        ; implicit-def: $vgpr10
                                        ; implicit-def: $vgpr11
                                        ; implicit-def: $vgpr12
                                        ; implicit-def: $vgpr13
                                        ; implicit-def: $vgpr6
.LBB160_21:
	s_waitcnt lgkmcnt(0)
	v_mul_u32_u24_e32 v6, 5, v0
	v_cmp_ne_u32_e32 vcc, 0, v0
	v_mov_b32_e32 v7, s8
	ds_write_b32 v8, v5
	s_waitcnt lgkmcnt(0)
	s_barrier
	s_and_saveexec_b64 s[6:7], vcc
; %bb.22:
	v_add_u32_e32 v7, -4, v8
	ds_read_b32 v7, v7
; %bb.23:
	s_or_b64 exec, exec, s[6:7]
	s_mulk_i32 s4, 0xec00
	s_add_i32 s4, s4, s14
	v_add_u32_e32 v10, 4, v6
	v_sub_u32_e32 v11, v5, v4
	v_cmp_gt_u32_e32 vcc, s4, v10
	v_cndmask_b32_e32 v10, v5, v11, vcc
	v_add_u32_e32 v11, 3, v6
	v_sub_u32_e32 v12, v4, v3
	v_cmp_gt_u32_e32 vcc, s4, v11
	v_cndmask_b32_e32 v11, v4, v12, vcc
	;; [unrolled: 4-line block ×4, first 2 shown]
	v_cmp_gt_u32_e32 vcc, s4, v6
	s_waitcnt lgkmcnt(0)
	v_cndmask_b32_e32 v6, 0, v7, vcc
.LBB160_24:
	s_mov_b64 s[20:21], -1
	s_cbranch_execnz .LBB160_33
.LBB160_25:
	s_cmp_lg_u64 s[2:3], 1
	v_sub_u32_e32 v10, v5, v4
	v_sub_u32_e32 v11, v4, v3
	;; [unrolled: 1-line block ×4, first 2 shown]
	v_cmp_ne_u32_e32 vcc, 0, v0
	s_cbranch_scc0 .LBB160_29
; %bb.26:
	ds_write_b32 v8, v5
	s_waitcnt lgkmcnt(0)
	s_barrier
                                        ; implicit-def: $vgpr6
	s_and_saveexec_b64 s[2:3], vcc
; %bb.27:
	v_add_u32_e32 v6, -4, v8
	ds_read_b32 v6, v6
	s_or_b64 s[20:21], s[20:21], exec
; %bb.28:
	s_or_b64 exec, exec, s[2:3]
	s_branch .LBB160_33
.LBB160_29:
                                        ; implicit-def: $vgpr6
	s_cbranch_execz .LBB160_33
; %bb.30:
	v_mad_u32_u24 v7, v0, 5, 4
	v_cmp_gt_u32_e32 vcc, s14, v7
	v_mad_u32_u24 v7, v0, 5, 3
	s_waitcnt lgkmcnt(0)
	v_mul_u32_u24_e32 v6, 5, v0
	v_cmp_gt_u32_e64 s[2:3], s14, v7
	v_mad_u32_u24 v7, v0, 5, 2
	v_cmp_gt_u32_e64 s[4:5], s14, v7
	v_mad_u32_u24 v7, v0, 5, 1
	v_cmp_ne_u32_e64 s[8:9], 0, v0
	v_cmp_gt_u32_e64 s[10:11], s14, v6
	v_cmp_gt_u32_e64 s[6:7], s14, v7
	s_and_b64 s[10:11], s[8:9], s[10:11]
	ds_write_b32 v8, v5
	s_waitcnt lgkmcnt(0)
	s_barrier
                                        ; implicit-def: $vgpr6
	s_and_saveexec_b64 s[8:9], s[10:11]
; %bb.31:
	v_add_u32_e32 v6, -4, v8
	ds_read_b32 v6, v6
	s_or_b64 s[20:21], s[20:21], exec
; %bb.32:
	s_or_b64 exec, exec, s[8:9]
	v_cndmask_b32_e32 v10, v5, v10, vcc
	v_cndmask_b32_e64 v11, v4, v11, s[2:3]
	v_cndmask_b32_e64 v12, v3, v12, s[4:5]
	;; [unrolled: 1-line block ×3, first 2 shown]
.LBB160_33:
	s_and_saveexec_b64 s[2:3], s[20:21]
	s_cbranch_execz .LBB160_35
; %bb.34:
	s_waitcnt lgkmcnt(0)
	v_sub_u32_e32 v1, v1, v6
.LBB160_35:
	s_or_b64 exec, exec, s[2:3]
	s_add_u32 s4, s12, s18
	s_addc_u32 s5, s13, s19
	s_and_b64 vcc, exec, s[0:1]
	v_lshlrev_b32_e32 v14, 4, v0
	s_waitcnt lgkmcnt(0)
	s_barrier
	s_cbranch_vccz .LBB160_45
; %bb.36:
	s_add_i32 s15, s15, s14
	s_lshl_b64 s[0:1], s[16:17], 2
	v_sub_u32_e32 v2, v9, v14
	s_add_u32 s0, s4, s0
	ds_write2_b32 v9, v1, v13 offset1:1
	ds_write2_b32 v9, v12, v11 offset0:2 offset1:3
	ds_write_b32 v9, v10 offset:16
	s_waitcnt lgkmcnt(0)
	s_barrier
	ds_read2st64_b32 v[6:7], v2 offset0:16 offset1:32
	ds_read2st64_b32 v[2:3], v2 offset0:48 offset1:64
	s_addc_u32 s1, s5, s1
	v_mov_b32_e32 v5, s1
	v_add_co_u32_e32 v4, vcc, s0, v8
	v_addc_co_u32_e32 v5, vcc, 0, v5, vcc
	v_cmp_gt_u32_e32 vcc, s15, v0
	s_and_saveexec_b64 s[0:1], vcc
	s_cbranch_execz .LBB160_38
; %bb.37:
	v_sub_u32_e32 v15, 0, v14
	v_add_u32_e32 v15, v9, v15
	ds_read_b32 v15, v15
	s_waitcnt lgkmcnt(0)
	global_store_dword v[4:5], v15, off
.LBB160_38:
	s_or_b64 exec, exec, s[0:1]
	v_or_b32_e32 v15, 0x400, v0
	v_cmp_gt_u32_e32 vcc, s15, v15
	s_and_saveexec_b64 s[0:1], vcc
	s_cbranch_execz .LBB160_40
; %bb.39:
	v_add_co_u32_e32 v15, vcc, 0x1000, v4
	v_addc_co_u32_e32 v16, vcc, 0, v5, vcc
	s_waitcnt lgkmcnt(1)
	global_store_dword v[15:16], v6, off
.LBB160_40:
	s_or_b64 exec, exec, s[0:1]
	s_waitcnt lgkmcnt(1)
	v_or_b32_e32 v6, 0x800, v0
	v_cmp_gt_u32_e32 vcc, s15, v6
	s_and_saveexec_b64 s[0:1], vcc
	s_cbranch_execz .LBB160_42
; %bb.41:
	v_add_co_u32_e32 v15, vcc, 0x2000, v4
	v_addc_co_u32_e32 v16, vcc, 0, v5, vcc
	global_store_dword v[15:16], v7, off
.LBB160_42:
	s_or_b64 exec, exec, s[0:1]
	v_or_b32_e32 v6, 0xc00, v0
	v_cmp_gt_u32_e32 vcc, s15, v6
	s_and_saveexec_b64 s[0:1], vcc
	s_cbranch_execz .LBB160_44
; %bb.43:
	v_add_co_u32_e32 v6, vcc, 0x3000, v4
	v_addc_co_u32_e32 v7, vcc, 0, v5, vcc
	s_waitcnt lgkmcnt(0)
	global_store_dword v[6:7], v2, off
.LBB160_44:
	s_or_b64 exec, exec, s[0:1]
	v_or_b32_e32 v0, 0x1000, v0
	v_cmp_gt_u32_e64 s[0:1], s15, v0
	s_branch .LBB160_47
.LBB160_45:
	s_mov_b64 s[0:1], 0
                                        ; implicit-def: $vgpr3
                                        ; implicit-def: $vgpr4_vgpr5
	s_cbranch_execz .LBB160_47
; %bb.46:
	s_lshl_b64 s[2:3], s[16:17], 2
	s_waitcnt lgkmcnt(0)
	v_sub_u32_e32 v2, v9, v14
	s_add_u32 s2, s4, s2
	ds_write2_b32 v9, v1, v13 offset1:1
	ds_write2_b32 v9, v12, v11 offset0:2 offset1:3
	ds_write_b32 v9, v10 offset:16
	s_waitcnt vmcnt(0) lgkmcnt(0)
	s_barrier
	ds_read2st64_b32 v[0:1], v2 offset1:16
	ds_read2st64_b32 v[6:7], v2 offset0:32 offset1:48
	ds_read_b32 v3, v2 offset:16384
	s_addc_u32 s3, s5, s3
	v_mov_b32_e32 v2, s3
	v_add_co_u32_e32 v4, vcc, s2, v8
	v_addc_co_u32_e32 v5, vcc, 0, v2, vcc
	s_waitcnt lgkmcnt(2)
	global_store_dword v8, v0, s[2:3]
	s_movk_i32 s2, 0x1000
	v_add_co_u32_e32 v8, vcc, s2, v4
	v_addc_co_u32_e32 v9, vcc, 0, v5, vcc
	v_add_co_u32_e32 v0, vcc, 0x2000, v4
	global_store_dword v[8:9], v1, off
	v_addc_co_u32_e32 v1, vcc, 0, v5, vcc
	s_waitcnt lgkmcnt(1)
	global_store_dword v[0:1], v6, off
	v_add_co_u32_e32 v0, vcc, 0x3000, v4
	v_addc_co_u32_e32 v1, vcc, 0, v5, vcc
	s_or_b64 s[0:1], s[0:1], exec
	global_store_dword v[0:1], v7, off
.LBB160_47:
	s_and_saveexec_b64 s[2:3], s[0:1]
	s_cbranch_execnz .LBB160_49
; %bb.48:
	s_endpgm
.LBB160_49:
	v_add_co_u32_e32 v0, vcc, 0x4000, v4
	v_addc_co_u32_e32 v1, vcc, 0, v5, vcc
	s_waitcnt lgkmcnt(0)
	global_store_dword v[0:1], v3, off
	s_endpgm
	.section	.rodata,"a",@progbits
	.p2align	6, 0x0
	.amdhsa_kernel _ZN7rocprim17ROCPRIM_400000_NS6detail17trampoline_kernelINS0_14default_configENS1_35adjacent_difference_config_selectorILb0EjEEZNS1_24adjacent_difference_implIS3_Lb0ELb0EPjS7_N6thrust23THRUST_200600_302600_NS5minusIjEEEE10hipError_tPvRmT2_T3_mT4_P12ihipStream_tbEUlT_E_NS1_11comp_targetILNS1_3genE2ELNS1_11target_archE906ELNS1_3gpuE6ELNS1_3repE0EEENS1_30default_config_static_selectorELNS0_4arch9wavefront6targetE1EEEvT1_
		.amdhsa_group_segment_fixed_size 20480
		.amdhsa_private_segment_fixed_size 0
		.amdhsa_kernarg_size 56
		.amdhsa_user_sgpr_count 6
		.amdhsa_user_sgpr_private_segment_buffer 1
		.amdhsa_user_sgpr_dispatch_ptr 0
		.amdhsa_user_sgpr_queue_ptr 0
		.amdhsa_user_sgpr_kernarg_segment_ptr 1
		.amdhsa_user_sgpr_dispatch_id 0
		.amdhsa_user_sgpr_flat_scratch_init 0
		.amdhsa_user_sgpr_private_segment_size 0
		.amdhsa_uses_dynamic_stack 0
		.amdhsa_system_sgpr_private_segment_wavefront_offset 0
		.amdhsa_system_sgpr_workgroup_id_x 1
		.amdhsa_system_sgpr_workgroup_id_y 0
		.amdhsa_system_sgpr_workgroup_id_z 0
		.amdhsa_system_sgpr_workgroup_info 0
		.amdhsa_system_vgpr_workitem_id 0
		.amdhsa_next_free_vgpr 29
		.amdhsa_next_free_sgpr 61
		.amdhsa_reserve_vcc 1
		.amdhsa_reserve_flat_scratch 0
		.amdhsa_float_round_mode_32 0
		.amdhsa_float_round_mode_16_64 0
		.amdhsa_float_denorm_mode_32 3
		.amdhsa_float_denorm_mode_16_64 3
		.amdhsa_dx10_clamp 1
		.amdhsa_ieee_mode 1
		.amdhsa_fp16_overflow 0
		.amdhsa_exception_fp_ieee_invalid_op 0
		.amdhsa_exception_fp_denorm_src 0
		.amdhsa_exception_fp_ieee_div_zero 0
		.amdhsa_exception_fp_ieee_overflow 0
		.amdhsa_exception_fp_ieee_underflow 0
		.amdhsa_exception_fp_ieee_inexact 0
		.amdhsa_exception_int_div_zero 0
	.end_amdhsa_kernel
	.section	.text._ZN7rocprim17ROCPRIM_400000_NS6detail17trampoline_kernelINS0_14default_configENS1_35adjacent_difference_config_selectorILb0EjEEZNS1_24adjacent_difference_implIS3_Lb0ELb0EPjS7_N6thrust23THRUST_200600_302600_NS5minusIjEEEE10hipError_tPvRmT2_T3_mT4_P12ihipStream_tbEUlT_E_NS1_11comp_targetILNS1_3genE2ELNS1_11target_archE906ELNS1_3gpuE6ELNS1_3repE0EEENS1_30default_config_static_selectorELNS0_4arch9wavefront6targetE1EEEvT1_,"axG",@progbits,_ZN7rocprim17ROCPRIM_400000_NS6detail17trampoline_kernelINS0_14default_configENS1_35adjacent_difference_config_selectorILb0EjEEZNS1_24adjacent_difference_implIS3_Lb0ELb0EPjS7_N6thrust23THRUST_200600_302600_NS5minusIjEEEE10hipError_tPvRmT2_T3_mT4_P12ihipStream_tbEUlT_E_NS1_11comp_targetILNS1_3genE2ELNS1_11target_archE906ELNS1_3gpuE6ELNS1_3repE0EEENS1_30default_config_static_selectorELNS0_4arch9wavefront6targetE1EEEvT1_,comdat
.Lfunc_end160:
	.size	_ZN7rocprim17ROCPRIM_400000_NS6detail17trampoline_kernelINS0_14default_configENS1_35adjacent_difference_config_selectorILb0EjEEZNS1_24adjacent_difference_implIS3_Lb0ELb0EPjS7_N6thrust23THRUST_200600_302600_NS5minusIjEEEE10hipError_tPvRmT2_T3_mT4_P12ihipStream_tbEUlT_E_NS1_11comp_targetILNS1_3genE2ELNS1_11target_archE906ELNS1_3gpuE6ELNS1_3repE0EEENS1_30default_config_static_selectorELNS0_4arch9wavefront6targetE1EEEvT1_, .Lfunc_end160-_ZN7rocprim17ROCPRIM_400000_NS6detail17trampoline_kernelINS0_14default_configENS1_35adjacent_difference_config_selectorILb0EjEEZNS1_24adjacent_difference_implIS3_Lb0ELb0EPjS7_N6thrust23THRUST_200600_302600_NS5minusIjEEEE10hipError_tPvRmT2_T3_mT4_P12ihipStream_tbEUlT_E_NS1_11comp_targetILNS1_3genE2ELNS1_11target_archE906ELNS1_3gpuE6ELNS1_3repE0EEENS1_30default_config_static_selectorELNS0_4arch9wavefront6targetE1EEEvT1_
                                        ; -- End function
	.set _ZN7rocprim17ROCPRIM_400000_NS6detail17trampoline_kernelINS0_14default_configENS1_35adjacent_difference_config_selectorILb0EjEEZNS1_24adjacent_difference_implIS3_Lb0ELb0EPjS7_N6thrust23THRUST_200600_302600_NS5minusIjEEEE10hipError_tPvRmT2_T3_mT4_P12ihipStream_tbEUlT_E_NS1_11comp_targetILNS1_3genE2ELNS1_11target_archE906ELNS1_3gpuE6ELNS1_3repE0EEENS1_30default_config_static_selectorELNS0_4arch9wavefront6targetE1EEEvT1_.num_vgpr, 17
	.set _ZN7rocprim17ROCPRIM_400000_NS6detail17trampoline_kernelINS0_14default_configENS1_35adjacent_difference_config_selectorILb0EjEEZNS1_24adjacent_difference_implIS3_Lb0ELb0EPjS7_N6thrust23THRUST_200600_302600_NS5minusIjEEEE10hipError_tPvRmT2_T3_mT4_P12ihipStream_tbEUlT_E_NS1_11comp_targetILNS1_3genE2ELNS1_11target_archE906ELNS1_3gpuE6ELNS1_3repE0EEENS1_30default_config_static_selectorELNS0_4arch9wavefront6targetE1EEEvT1_.num_agpr, 0
	.set _ZN7rocprim17ROCPRIM_400000_NS6detail17trampoline_kernelINS0_14default_configENS1_35adjacent_difference_config_selectorILb0EjEEZNS1_24adjacent_difference_implIS3_Lb0ELb0EPjS7_N6thrust23THRUST_200600_302600_NS5minusIjEEEE10hipError_tPvRmT2_T3_mT4_P12ihipStream_tbEUlT_E_NS1_11comp_targetILNS1_3genE2ELNS1_11target_archE906ELNS1_3gpuE6ELNS1_3repE0EEENS1_30default_config_static_selectorELNS0_4arch9wavefront6targetE1EEEvT1_.numbered_sgpr, 23
	.set _ZN7rocprim17ROCPRIM_400000_NS6detail17trampoline_kernelINS0_14default_configENS1_35adjacent_difference_config_selectorILb0EjEEZNS1_24adjacent_difference_implIS3_Lb0ELb0EPjS7_N6thrust23THRUST_200600_302600_NS5minusIjEEEE10hipError_tPvRmT2_T3_mT4_P12ihipStream_tbEUlT_E_NS1_11comp_targetILNS1_3genE2ELNS1_11target_archE906ELNS1_3gpuE6ELNS1_3repE0EEENS1_30default_config_static_selectorELNS0_4arch9wavefront6targetE1EEEvT1_.num_named_barrier, 0
	.set _ZN7rocprim17ROCPRIM_400000_NS6detail17trampoline_kernelINS0_14default_configENS1_35adjacent_difference_config_selectorILb0EjEEZNS1_24adjacent_difference_implIS3_Lb0ELb0EPjS7_N6thrust23THRUST_200600_302600_NS5minusIjEEEE10hipError_tPvRmT2_T3_mT4_P12ihipStream_tbEUlT_E_NS1_11comp_targetILNS1_3genE2ELNS1_11target_archE906ELNS1_3gpuE6ELNS1_3repE0EEENS1_30default_config_static_selectorELNS0_4arch9wavefront6targetE1EEEvT1_.private_seg_size, 0
	.set _ZN7rocprim17ROCPRIM_400000_NS6detail17trampoline_kernelINS0_14default_configENS1_35adjacent_difference_config_selectorILb0EjEEZNS1_24adjacent_difference_implIS3_Lb0ELb0EPjS7_N6thrust23THRUST_200600_302600_NS5minusIjEEEE10hipError_tPvRmT2_T3_mT4_P12ihipStream_tbEUlT_E_NS1_11comp_targetILNS1_3genE2ELNS1_11target_archE906ELNS1_3gpuE6ELNS1_3repE0EEENS1_30default_config_static_selectorELNS0_4arch9wavefront6targetE1EEEvT1_.uses_vcc, 1
	.set _ZN7rocprim17ROCPRIM_400000_NS6detail17trampoline_kernelINS0_14default_configENS1_35adjacent_difference_config_selectorILb0EjEEZNS1_24adjacent_difference_implIS3_Lb0ELb0EPjS7_N6thrust23THRUST_200600_302600_NS5minusIjEEEE10hipError_tPvRmT2_T3_mT4_P12ihipStream_tbEUlT_E_NS1_11comp_targetILNS1_3genE2ELNS1_11target_archE906ELNS1_3gpuE6ELNS1_3repE0EEENS1_30default_config_static_selectorELNS0_4arch9wavefront6targetE1EEEvT1_.uses_flat_scratch, 0
	.set _ZN7rocprim17ROCPRIM_400000_NS6detail17trampoline_kernelINS0_14default_configENS1_35adjacent_difference_config_selectorILb0EjEEZNS1_24adjacent_difference_implIS3_Lb0ELb0EPjS7_N6thrust23THRUST_200600_302600_NS5minusIjEEEE10hipError_tPvRmT2_T3_mT4_P12ihipStream_tbEUlT_E_NS1_11comp_targetILNS1_3genE2ELNS1_11target_archE906ELNS1_3gpuE6ELNS1_3repE0EEENS1_30default_config_static_selectorELNS0_4arch9wavefront6targetE1EEEvT1_.has_dyn_sized_stack, 0
	.set _ZN7rocprim17ROCPRIM_400000_NS6detail17trampoline_kernelINS0_14default_configENS1_35adjacent_difference_config_selectorILb0EjEEZNS1_24adjacent_difference_implIS3_Lb0ELb0EPjS7_N6thrust23THRUST_200600_302600_NS5minusIjEEEE10hipError_tPvRmT2_T3_mT4_P12ihipStream_tbEUlT_E_NS1_11comp_targetILNS1_3genE2ELNS1_11target_archE906ELNS1_3gpuE6ELNS1_3repE0EEENS1_30default_config_static_selectorELNS0_4arch9wavefront6targetE1EEEvT1_.has_recursion, 0
	.set _ZN7rocprim17ROCPRIM_400000_NS6detail17trampoline_kernelINS0_14default_configENS1_35adjacent_difference_config_selectorILb0EjEEZNS1_24adjacent_difference_implIS3_Lb0ELb0EPjS7_N6thrust23THRUST_200600_302600_NS5minusIjEEEE10hipError_tPvRmT2_T3_mT4_P12ihipStream_tbEUlT_E_NS1_11comp_targetILNS1_3genE2ELNS1_11target_archE906ELNS1_3gpuE6ELNS1_3repE0EEENS1_30default_config_static_selectorELNS0_4arch9wavefront6targetE1EEEvT1_.has_indirect_call, 0
	.section	.AMDGPU.csdata,"",@progbits
; Kernel info:
; codeLenInByte = 1800
; TotalNumSgprs: 27
; NumVgprs: 17
; ScratchSize: 0
; MemoryBound: 0
; FloatMode: 240
; IeeeMode: 1
; LDSByteSize: 20480 bytes/workgroup (compile time only)
; SGPRBlocks: 8
; VGPRBlocks: 7
; NumSGPRsForWavesPerEU: 65
; NumVGPRsForWavesPerEU: 29
; Occupancy: 8
; WaveLimiterHint : 1
; COMPUTE_PGM_RSRC2:SCRATCH_EN: 0
; COMPUTE_PGM_RSRC2:USER_SGPR: 6
; COMPUTE_PGM_RSRC2:TRAP_HANDLER: 0
; COMPUTE_PGM_RSRC2:TGID_X_EN: 1
; COMPUTE_PGM_RSRC2:TGID_Y_EN: 0
; COMPUTE_PGM_RSRC2:TGID_Z_EN: 0
; COMPUTE_PGM_RSRC2:TIDIG_COMP_CNT: 0
	.section	.text._ZN7rocprim17ROCPRIM_400000_NS6detail17trampoline_kernelINS0_14default_configENS1_35adjacent_difference_config_selectorILb0EjEEZNS1_24adjacent_difference_implIS3_Lb0ELb0EPjS7_N6thrust23THRUST_200600_302600_NS5minusIjEEEE10hipError_tPvRmT2_T3_mT4_P12ihipStream_tbEUlT_E_NS1_11comp_targetILNS1_3genE9ELNS1_11target_archE1100ELNS1_3gpuE3ELNS1_3repE0EEENS1_30default_config_static_selectorELNS0_4arch9wavefront6targetE1EEEvT1_,"axG",@progbits,_ZN7rocprim17ROCPRIM_400000_NS6detail17trampoline_kernelINS0_14default_configENS1_35adjacent_difference_config_selectorILb0EjEEZNS1_24adjacent_difference_implIS3_Lb0ELb0EPjS7_N6thrust23THRUST_200600_302600_NS5minusIjEEEE10hipError_tPvRmT2_T3_mT4_P12ihipStream_tbEUlT_E_NS1_11comp_targetILNS1_3genE9ELNS1_11target_archE1100ELNS1_3gpuE3ELNS1_3repE0EEENS1_30default_config_static_selectorELNS0_4arch9wavefront6targetE1EEEvT1_,comdat
	.protected	_ZN7rocprim17ROCPRIM_400000_NS6detail17trampoline_kernelINS0_14default_configENS1_35adjacent_difference_config_selectorILb0EjEEZNS1_24adjacent_difference_implIS3_Lb0ELb0EPjS7_N6thrust23THRUST_200600_302600_NS5minusIjEEEE10hipError_tPvRmT2_T3_mT4_P12ihipStream_tbEUlT_E_NS1_11comp_targetILNS1_3genE9ELNS1_11target_archE1100ELNS1_3gpuE3ELNS1_3repE0EEENS1_30default_config_static_selectorELNS0_4arch9wavefront6targetE1EEEvT1_ ; -- Begin function _ZN7rocprim17ROCPRIM_400000_NS6detail17trampoline_kernelINS0_14default_configENS1_35adjacent_difference_config_selectorILb0EjEEZNS1_24adjacent_difference_implIS3_Lb0ELb0EPjS7_N6thrust23THRUST_200600_302600_NS5minusIjEEEE10hipError_tPvRmT2_T3_mT4_P12ihipStream_tbEUlT_E_NS1_11comp_targetILNS1_3genE9ELNS1_11target_archE1100ELNS1_3gpuE3ELNS1_3repE0EEENS1_30default_config_static_selectorELNS0_4arch9wavefront6targetE1EEEvT1_
	.globl	_ZN7rocprim17ROCPRIM_400000_NS6detail17trampoline_kernelINS0_14default_configENS1_35adjacent_difference_config_selectorILb0EjEEZNS1_24adjacent_difference_implIS3_Lb0ELb0EPjS7_N6thrust23THRUST_200600_302600_NS5minusIjEEEE10hipError_tPvRmT2_T3_mT4_P12ihipStream_tbEUlT_E_NS1_11comp_targetILNS1_3genE9ELNS1_11target_archE1100ELNS1_3gpuE3ELNS1_3repE0EEENS1_30default_config_static_selectorELNS0_4arch9wavefront6targetE1EEEvT1_
	.p2align	8
	.type	_ZN7rocprim17ROCPRIM_400000_NS6detail17trampoline_kernelINS0_14default_configENS1_35adjacent_difference_config_selectorILb0EjEEZNS1_24adjacent_difference_implIS3_Lb0ELb0EPjS7_N6thrust23THRUST_200600_302600_NS5minusIjEEEE10hipError_tPvRmT2_T3_mT4_P12ihipStream_tbEUlT_E_NS1_11comp_targetILNS1_3genE9ELNS1_11target_archE1100ELNS1_3gpuE3ELNS1_3repE0EEENS1_30default_config_static_selectorELNS0_4arch9wavefront6targetE1EEEvT1_,@function
_ZN7rocprim17ROCPRIM_400000_NS6detail17trampoline_kernelINS0_14default_configENS1_35adjacent_difference_config_selectorILb0EjEEZNS1_24adjacent_difference_implIS3_Lb0ELb0EPjS7_N6thrust23THRUST_200600_302600_NS5minusIjEEEE10hipError_tPvRmT2_T3_mT4_P12ihipStream_tbEUlT_E_NS1_11comp_targetILNS1_3genE9ELNS1_11target_archE1100ELNS1_3gpuE3ELNS1_3repE0EEENS1_30default_config_static_selectorELNS0_4arch9wavefront6targetE1EEEvT1_: ; @_ZN7rocprim17ROCPRIM_400000_NS6detail17trampoline_kernelINS0_14default_configENS1_35adjacent_difference_config_selectorILb0EjEEZNS1_24adjacent_difference_implIS3_Lb0ELb0EPjS7_N6thrust23THRUST_200600_302600_NS5minusIjEEEE10hipError_tPvRmT2_T3_mT4_P12ihipStream_tbEUlT_E_NS1_11comp_targetILNS1_3genE9ELNS1_11target_archE1100ELNS1_3gpuE3ELNS1_3repE0EEENS1_30default_config_static_selectorELNS0_4arch9wavefront6targetE1EEEvT1_
; %bb.0:
	.section	.rodata,"a",@progbits
	.p2align	6, 0x0
	.amdhsa_kernel _ZN7rocprim17ROCPRIM_400000_NS6detail17trampoline_kernelINS0_14default_configENS1_35adjacent_difference_config_selectorILb0EjEEZNS1_24adjacent_difference_implIS3_Lb0ELb0EPjS7_N6thrust23THRUST_200600_302600_NS5minusIjEEEE10hipError_tPvRmT2_T3_mT4_P12ihipStream_tbEUlT_E_NS1_11comp_targetILNS1_3genE9ELNS1_11target_archE1100ELNS1_3gpuE3ELNS1_3repE0EEENS1_30default_config_static_selectorELNS0_4arch9wavefront6targetE1EEEvT1_
		.amdhsa_group_segment_fixed_size 0
		.amdhsa_private_segment_fixed_size 0
		.amdhsa_kernarg_size 56
		.amdhsa_user_sgpr_count 6
		.amdhsa_user_sgpr_private_segment_buffer 1
		.amdhsa_user_sgpr_dispatch_ptr 0
		.amdhsa_user_sgpr_queue_ptr 0
		.amdhsa_user_sgpr_kernarg_segment_ptr 1
		.amdhsa_user_sgpr_dispatch_id 0
		.amdhsa_user_sgpr_flat_scratch_init 0
		.amdhsa_user_sgpr_private_segment_size 0
		.amdhsa_uses_dynamic_stack 0
		.amdhsa_system_sgpr_private_segment_wavefront_offset 0
		.amdhsa_system_sgpr_workgroup_id_x 1
		.amdhsa_system_sgpr_workgroup_id_y 0
		.amdhsa_system_sgpr_workgroup_id_z 0
		.amdhsa_system_sgpr_workgroup_info 0
		.amdhsa_system_vgpr_workitem_id 0
		.amdhsa_next_free_vgpr 1
		.amdhsa_next_free_sgpr 0
		.amdhsa_reserve_vcc 0
		.amdhsa_reserve_flat_scratch 0
		.amdhsa_float_round_mode_32 0
		.amdhsa_float_round_mode_16_64 0
		.amdhsa_float_denorm_mode_32 3
		.amdhsa_float_denorm_mode_16_64 3
		.amdhsa_dx10_clamp 1
		.amdhsa_ieee_mode 1
		.amdhsa_fp16_overflow 0
		.amdhsa_exception_fp_ieee_invalid_op 0
		.amdhsa_exception_fp_denorm_src 0
		.amdhsa_exception_fp_ieee_div_zero 0
		.amdhsa_exception_fp_ieee_overflow 0
		.amdhsa_exception_fp_ieee_underflow 0
		.amdhsa_exception_fp_ieee_inexact 0
		.amdhsa_exception_int_div_zero 0
	.end_amdhsa_kernel
	.section	.text._ZN7rocprim17ROCPRIM_400000_NS6detail17trampoline_kernelINS0_14default_configENS1_35adjacent_difference_config_selectorILb0EjEEZNS1_24adjacent_difference_implIS3_Lb0ELb0EPjS7_N6thrust23THRUST_200600_302600_NS5minusIjEEEE10hipError_tPvRmT2_T3_mT4_P12ihipStream_tbEUlT_E_NS1_11comp_targetILNS1_3genE9ELNS1_11target_archE1100ELNS1_3gpuE3ELNS1_3repE0EEENS1_30default_config_static_selectorELNS0_4arch9wavefront6targetE1EEEvT1_,"axG",@progbits,_ZN7rocprim17ROCPRIM_400000_NS6detail17trampoline_kernelINS0_14default_configENS1_35adjacent_difference_config_selectorILb0EjEEZNS1_24adjacent_difference_implIS3_Lb0ELb0EPjS7_N6thrust23THRUST_200600_302600_NS5minusIjEEEE10hipError_tPvRmT2_T3_mT4_P12ihipStream_tbEUlT_E_NS1_11comp_targetILNS1_3genE9ELNS1_11target_archE1100ELNS1_3gpuE3ELNS1_3repE0EEENS1_30default_config_static_selectorELNS0_4arch9wavefront6targetE1EEEvT1_,comdat
.Lfunc_end161:
	.size	_ZN7rocprim17ROCPRIM_400000_NS6detail17trampoline_kernelINS0_14default_configENS1_35adjacent_difference_config_selectorILb0EjEEZNS1_24adjacent_difference_implIS3_Lb0ELb0EPjS7_N6thrust23THRUST_200600_302600_NS5minusIjEEEE10hipError_tPvRmT2_T3_mT4_P12ihipStream_tbEUlT_E_NS1_11comp_targetILNS1_3genE9ELNS1_11target_archE1100ELNS1_3gpuE3ELNS1_3repE0EEENS1_30default_config_static_selectorELNS0_4arch9wavefront6targetE1EEEvT1_, .Lfunc_end161-_ZN7rocprim17ROCPRIM_400000_NS6detail17trampoline_kernelINS0_14default_configENS1_35adjacent_difference_config_selectorILb0EjEEZNS1_24adjacent_difference_implIS3_Lb0ELb0EPjS7_N6thrust23THRUST_200600_302600_NS5minusIjEEEE10hipError_tPvRmT2_T3_mT4_P12ihipStream_tbEUlT_E_NS1_11comp_targetILNS1_3genE9ELNS1_11target_archE1100ELNS1_3gpuE3ELNS1_3repE0EEENS1_30default_config_static_selectorELNS0_4arch9wavefront6targetE1EEEvT1_
                                        ; -- End function
	.set _ZN7rocprim17ROCPRIM_400000_NS6detail17trampoline_kernelINS0_14default_configENS1_35adjacent_difference_config_selectorILb0EjEEZNS1_24adjacent_difference_implIS3_Lb0ELb0EPjS7_N6thrust23THRUST_200600_302600_NS5minusIjEEEE10hipError_tPvRmT2_T3_mT4_P12ihipStream_tbEUlT_E_NS1_11comp_targetILNS1_3genE9ELNS1_11target_archE1100ELNS1_3gpuE3ELNS1_3repE0EEENS1_30default_config_static_selectorELNS0_4arch9wavefront6targetE1EEEvT1_.num_vgpr, 0
	.set _ZN7rocprim17ROCPRIM_400000_NS6detail17trampoline_kernelINS0_14default_configENS1_35adjacent_difference_config_selectorILb0EjEEZNS1_24adjacent_difference_implIS3_Lb0ELb0EPjS7_N6thrust23THRUST_200600_302600_NS5minusIjEEEE10hipError_tPvRmT2_T3_mT4_P12ihipStream_tbEUlT_E_NS1_11comp_targetILNS1_3genE9ELNS1_11target_archE1100ELNS1_3gpuE3ELNS1_3repE0EEENS1_30default_config_static_selectorELNS0_4arch9wavefront6targetE1EEEvT1_.num_agpr, 0
	.set _ZN7rocprim17ROCPRIM_400000_NS6detail17trampoline_kernelINS0_14default_configENS1_35adjacent_difference_config_selectorILb0EjEEZNS1_24adjacent_difference_implIS3_Lb0ELb0EPjS7_N6thrust23THRUST_200600_302600_NS5minusIjEEEE10hipError_tPvRmT2_T3_mT4_P12ihipStream_tbEUlT_E_NS1_11comp_targetILNS1_3genE9ELNS1_11target_archE1100ELNS1_3gpuE3ELNS1_3repE0EEENS1_30default_config_static_selectorELNS0_4arch9wavefront6targetE1EEEvT1_.numbered_sgpr, 0
	.set _ZN7rocprim17ROCPRIM_400000_NS6detail17trampoline_kernelINS0_14default_configENS1_35adjacent_difference_config_selectorILb0EjEEZNS1_24adjacent_difference_implIS3_Lb0ELb0EPjS7_N6thrust23THRUST_200600_302600_NS5minusIjEEEE10hipError_tPvRmT2_T3_mT4_P12ihipStream_tbEUlT_E_NS1_11comp_targetILNS1_3genE9ELNS1_11target_archE1100ELNS1_3gpuE3ELNS1_3repE0EEENS1_30default_config_static_selectorELNS0_4arch9wavefront6targetE1EEEvT1_.num_named_barrier, 0
	.set _ZN7rocprim17ROCPRIM_400000_NS6detail17trampoline_kernelINS0_14default_configENS1_35adjacent_difference_config_selectorILb0EjEEZNS1_24adjacent_difference_implIS3_Lb0ELb0EPjS7_N6thrust23THRUST_200600_302600_NS5minusIjEEEE10hipError_tPvRmT2_T3_mT4_P12ihipStream_tbEUlT_E_NS1_11comp_targetILNS1_3genE9ELNS1_11target_archE1100ELNS1_3gpuE3ELNS1_3repE0EEENS1_30default_config_static_selectorELNS0_4arch9wavefront6targetE1EEEvT1_.private_seg_size, 0
	.set _ZN7rocprim17ROCPRIM_400000_NS6detail17trampoline_kernelINS0_14default_configENS1_35adjacent_difference_config_selectorILb0EjEEZNS1_24adjacent_difference_implIS3_Lb0ELb0EPjS7_N6thrust23THRUST_200600_302600_NS5minusIjEEEE10hipError_tPvRmT2_T3_mT4_P12ihipStream_tbEUlT_E_NS1_11comp_targetILNS1_3genE9ELNS1_11target_archE1100ELNS1_3gpuE3ELNS1_3repE0EEENS1_30default_config_static_selectorELNS0_4arch9wavefront6targetE1EEEvT1_.uses_vcc, 0
	.set _ZN7rocprim17ROCPRIM_400000_NS6detail17trampoline_kernelINS0_14default_configENS1_35adjacent_difference_config_selectorILb0EjEEZNS1_24adjacent_difference_implIS3_Lb0ELb0EPjS7_N6thrust23THRUST_200600_302600_NS5minusIjEEEE10hipError_tPvRmT2_T3_mT4_P12ihipStream_tbEUlT_E_NS1_11comp_targetILNS1_3genE9ELNS1_11target_archE1100ELNS1_3gpuE3ELNS1_3repE0EEENS1_30default_config_static_selectorELNS0_4arch9wavefront6targetE1EEEvT1_.uses_flat_scratch, 0
	.set _ZN7rocprim17ROCPRIM_400000_NS6detail17trampoline_kernelINS0_14default_configENS1_35adjacent_difference_config_selectorILb0EjEEZNS1_24adjacent_difference_implIS3_Lb0ELb0EPjS7_N6thrust23THRUST_200600_302600_NS5minusIjEEEE10hipError_tPvRmT2_T3_mT4_P12ihipStream_tbEUlT_E_NS1_11comp_targetILNS1_3genE9ELNS1_11target_archE1100ELNS1_3gpuE3ELNS1_3repE0EEENS1_30default_config_static_selectorELNS0_4arch9wavefront6targetE1EEEvT1_.has_dyn_sized_stack, 0
	.set _ZN7rocprim17ROCPRIM_400000_NS6detail17trampoline_kernelINS0_14default_configENS1_35adjacent_difference_config_selectorILb0EjEEZNS1_24adjacent_difference_implIS3_Lb0ELb0EPjS7_N6thrust23THRUST_200600_302600_NS5minusIjEEEE10hipError_tPvRmT2_T3_mT4_P12ihipStream_tbEUlT_E_NS1_11comp_targetILNS1_3genE9ELNS1_11target_archE1100ELNS1_3gpuE3ELNS1_3repE0EEENS1_30default_config_static_selectorELNS0_4arch9wavefront6targetE1EEEvT1_.has_recursion, 0
	.set _ZN7rocprim17ROCPRIM_400000_NS6detail17trampoline_kernelINS0_14default_configENS1_35adjacent_difference_config_selectorILb0EjEEZNS1_24adjacent_difference_implIS3_Lb0ELb0EPjS7_N6thrust23THRUST_200600_302600_NS5minusIjEEEE10hipError_tPvRmT2_T3_mT4_P12ihipStream_tbEUlT_E_NS1_11comp_targetILNS1_3genE9ELNS1_11target_archE1100ELNS1_3gpuE3ELNS1_3repE0EEENS1_30default_config_static_selectorELNS0_4arch9wavefront6targetE1EEEvT1_.has_indirect_call, 0
	.section	.AMDGPU.csdata,"",@progbits
; Kernel info:
; codeLenInByte = 0
; TotalNumSgprs: 4
; NumVgprs: 0
; ScratchSize: 0
; MemoryBound: 0
; FloatMode: 240
; IeeeMode: 1
; LDSByteSize: 0 bytes/workgroup (compile time only)
; SGPRBlocks: 0
; VGPRBlocks: 0
; NumSGPRsForWavesPerEU: 4
; NumVGPRsForWavesPerEU: 1
; Occupancy: 10
; WaveLimiterHint : 0
; COMPUTE_PGM_RSRC2:SCRATCH_EN: 0
; COMPUTE_PGM_RSRC2:USER_SGPR: 6
; COMPUTE_PGM_RSRC2:TRAP_HANDLER: 0
; COMPUTE_PGM_RSRC2:TGID_X_EN: 1
; COMPUTE_PGM_RSRC2:TGID_Y_EN: 0
; COMPUTE_PGM_RSRC2:TGID_Z_EN: 0
; COMPUTE_PGM_RSRC2:TIDIG_COMP_CNT: 0
	.section	.text._ZN7rocprim17ROCPRIM_400000_NS6detail17trampoline_kernelINS0_14default_configENS1_35adjacent_difference_config_selectorILb0EjEEZNS1_24adjacent_difference_implIS3_Lb0ELb0EPjS7_N6thrust23THRUST_200600_302600_NS5minusIjEEEE10hipError_tPvRmT2_T3_mT4_P12ihipStream_tbEUlT_E_NS1_11comp_targetILNS1_3genE8ELNS1_11target_archE1030ELNS1_3gpuE2ELNS1_3repE0EEENS1_30default_config_static_selectorELNS0_4arch9wavefront6targetE1EEEvT1_,"axG",@progbits,_ZN7rocprim17ROCPRIM_400000_NS6detail17trampoline_kernelINS0_14default_configENS1_35adjacent_difference_config_selectorILb0EjEEZNS1_24adjacent_difference_implIS3_Lb0ELb0EPjS7_N6thrust23THRUST_200600_302600_NS5minusIjEEEE10hipError_tPvRmT2_T3_mT4_P12ihipStream_tbEUlT_E_NS1_11comp_targetILNS1_3genE8ELNS1_11target_archE1030ELNS1_3gpuE2ELNS1_3repE0EEENS1_30default_config_static_selectorELNS0_4arch9wavefront6targetE1EEEvT1_,comdat
	.protected	_ZN7rocprim17ROCPRIM_400000_NS6detail17trampoline_kernelINS0_14default_configENS1_35adjacent_difference_config_selectorILb0EjEEZNS1_24adjacent_difference_implIS3_Lb0ELb0EPjS7_N6thrust23THRUST_200600_302600_NS5minusIjEEEE10hipError_tPvRmT2_T3_mT4_P12ihipStream_tbEUlT_E_NS1_11comp_targetILNS1_3genE8ELNS1_11target_archE1030ELNS1_3gpuE2ELNS1_3repE0EEENS1_30default_config_static_selectorELNS0_4arch9wavefront6targetE1EEEvT1_ ; -- Begin function _ZN7rocprim17ROCPRIM_400000_NS6detail17trampoline_kernelINS0_14default_configENS1_35adjacent_difference_config_selectorILb0EjEEZNS1_24adjacent_difference_implIS3_Lb0ELb0EPjS7_N6thrust23THRUST_200600_302600_NS5minusIjEEEE10hipError_tPvRmT2_T3_mT4_P12ihipStream_tbEUlT_E_NS1_11comp_targetILNS1_3genE8ELNS1_11target_archE1030ELNS1_3gpuE2ELNS1_3repE0EEENS1_30default_config_static_selectorELNS0_4arch9wavefront6targetE1EEEvT1_
	.globl	_ZN7rocprim17ROCPRIM_400000_NS6detail17trampoline_kernelINS0_14default_configENS1_35adjacent_difference_config_selectorILb0EjEEZNS1_24adjacent_difference_implIS3_Lb0ELb0EPjS7_N6thrust23THRUST_200600_302600_NS5minusIjEEEE10hipError_tPvRmT2_T3_mT4_P12ihipStream_tbEUlT_E_NS1_11comp_targetILNS1_3genE8ELNS1_11target_archE1030ELNS1_3gpuE2ELNS1_3repE0EEENS1_30default_config_static_selectorELNS0_4arch9wavefront6targetE1EEEvT1_
	.p2align	8
	.type	_ZN7rocprim17ROCPRIM_400000_NS6detail17trampoline_kernelINS0_14default_configENS1_35adjacent_difference_config_selectorILb0EjEEZNS1_24adjacent_difference_implIS3_Lb0ELb0EPjS7_N6thrust23THRUST_200600_302600_NS5minusIjEEEE10hipError_tPvRmT2_T3_mT4_P12ihipStream_tbEUlT_E_NS1_11comp_targetILNS1_3genE8ELNS1_11target_archE1030ELNS1_3gpuE2ELNS1_3repE0EEENS1_30default_config_static_selectorELNS0_4arch9wavefront6targetE1EEEvT1_,@function
_ZN7rocprim17ROCPRIM_400000_NS6detail17trampoline_kernelINS0_14default_configENS1_35adjacent_difference_config_selectorILb0EjEEZNS1_24adjacent_difference_implIS3_Lb0ELb0EPjS7_N6thrust23THRUST_200600_302600_NS5minusIjEEEE10hipError_tPvRmT2_T3_mT4_P12ihipStream_tbEUlT_E_NS1_11comp_targetILNS1_3genE8ELNS1_11target_archE1030ELNS1_3gpuE2ELNS1_3repE0EEENS1_30default_config_static_selectorELNS0_4arch9wavefront6targetE1EEEvT1_: ; @_ZN7rocprim17ROCPRIM_400000_NS6detail17trampoline_kernelINS0_14default_configENS1_35adjacent_difference_config_selectorILb0EjEEZNS1_24adjacent_difference_implIS3_Lb0ELb0EPjS7_N6thrust23THRUST_200600_302600_NS5minusIjEEEE10hipError_tPvRmT2_T3_mT4_P12ihipStream_tbEUlT_E_NS1_11comp_targetILNS1_3genE8ELNS1_11target_archE1030ELNS1_3gpuE2ELNS1_3repE0EEENS1_30default_config_static_selectorELNS0_4arch9wavefront6targetE1EEEvT1_
; %bb.0:
	.section	.rodata,"a",@progbits
	.p2align	6, 0x0
	.amdhsa_kernel _ZN7rocprim17ROCPRIM_400000_NS6detail17trampoline_kernelINS0_14default_configENS1_35adjacent_difference_config_selectorILb0EjEEZNS1_24adjacent_difference_implIS3_Lb0ELb0EPjS7_N6thrust23THRUST_200600_302600_NS5minusIjEEEE10hipError_tPvRmT2_T3_mT4_P12ihipStream_tbEUlT_E_NS1_11comp_targetILNS1_3genE8ELNS1_11target_archE1030ELNS1_3gpuE2ELNS1_3repE0EEENS1_30default_config_static_selectorELNS0_4arch9wavefront6targetE1EEEvT1_
		.amdhsa_group_segment_fixed_size 0
		.amdhsa_private_segment_fixed_size 0
		.amdhsa_kernarg_size 56
		.amdhsa_user_sgpr_count 6
		.amdhsa_user_sgpr_private_segment_buffer 1
		.amdhsa_user_sgpr_dispatch_ptr 0
		.amdhsa_user_sgpr_queue_ptr 0
		.amdhsa_user_sgpr_kernarg_segment_ptr 1
		.amdhsa_user_sgpr_dispatch_id 0
		.amdhsa_user_sgpr_flat_scratch_init 0
		.amdhsa_user_sgpr_private_segment_size 0
		.amdhsa_uses_dynamic_stack 0
		.amdhsa_system_sgpr_private_segment_wavefront_offset 0
		.amdhsa_system_sgpr_workgroup_id_x 1
		.amdhsa_system_sgpr_workgroup_id_y 0
		.amdhsa_system_sgpr_workgroup_id_z 0
		.amdhsa_system_sgpr_workgroup_info 0
		.amdhsa_system_vgpr_workitem_id 0
		.amdhsa_next_free_vgpr 1
		.amdhsa_next_free_sgpr 0
		.amdhsa_reserve_vcc 0
		.amdhsa_reserve_flat_scratch 0
		.amdhsa_float_round_mode_32 0
		.amdhsa_float_round_mode_16_64 0
		.amdhsa_float_denorm_mode_32 3
		.amdhsa_float_denorm_mode_16_64 3
		.amdhsa_dx10_clamp 1
		.amdhsa_ieee_mode 1
		.amdhsa_fp16_overflow 0
		.amdhsa_exception_fp_ieee_invalid_op 0
		.amdhsa_exception_fp_denorm_src 0
		.amdhsa_exception_fp_ieee_div_zero 0
		.amdhsa_exception_fp_ieee_overflow 0
		.amdhsa_exception_fp_ieee_underflow 0
		.amdhsa_exception_fp_ieee_inexact 0
		.amdhsa_exception_int_div_zero 0
	.end_amdhsa_kernel
	.section	.text._ZN7rocprim17ROCPRIM_400000_NS6detail17trampoline_kernelINS0_14default_configENS1_35adjacent_difference_config_selectorILb0EjEEZNS1_24adjacent_difference_implIS3_Lb0ELb0EPjS7_N6thrust23THRUST_200600_302600_NS5minusIjEEEE10hipError_tPvRmT2_T3_mT4_P12ihipStream_tbEUlT_E_NS1_11comp_targetILNS1_3genE8ELNS1_11target_archE1030ELNS1_3gpuE2ELNS1_3repE0EEENS1_30default_config_static_selectorELNS0_4arch9wavefront6targetE1EEEvT1_,"axG",@progbits,_ZN7rocprim17ROCPRIM_400000_NS6detail17trampoline_kernelINS0_14default_configENS1_35adjacent_difference_config_selectorILb0EjEEZNS1_24adjacent_difference_implIS3_Lb0ELb0EPjS7_N6thrust23THRUST_200600_302600_NS5minusIjEEEE10hipError_tPvRmT2_T3_mT4_P12ihipStream_tbEUlT_E_NS1_11comp_targetILNS1_3genE8ELNS1_11target_archE1030ELNS1_3gpuE2ELNS1_3repE0EEENS1_30default_config_static_selectorELNS0_4arch9wavefront6targetE1EEEvT1_,comdat
.Lfunc_end162:
	.size	_ZN7rocprim17ROCPRIM_400000_NS6detail17trampoline_kernelINS0_14default_configENS1_35adjacent_difference_config_selectorILb0EjEEZNS1_24adjacent_difference_implIS3_Lb0ELb0EPjS7_N6thrust23THRUST_200600_302600_NS5minusIjEEEE10hipError_tPvRmT2_T3_mT4_P12ihipStream_tbEUlT_E_NS1_11comp_targetILNS1_3genE8ELNS1_11target_archE1030ELNS1_3gpuE2ELNS1_3repE0EEENS1_30default_config_static_selectorELNS0_4arch9wavefront6targetE1EEEvT1_, .Lfunc_end162-_ZN7rocprim17ROCPRIM_400000_NS6detail17trampoline_kernelINS0_14default_configENS1_35adjacent_difference_config_selectorILb0EjEEZNS1_24adjacent_difference_implIS3_Lb0ELb0EPjS7_N6thrust23THRUST_200600_302600_NS5minusIjEEEE10hipError_tPvRmT2_T3_mT4_P12ihipStream_tbEUlT_E_NS1_11comp_targetILNS1_3genE8ELNS1_11target_archE1030ELNS1_3gpuE2ELNS1_3repE0EEENS1_30default_config_static_selectorELNS0_4arch9wavefront6targetE1EEEvT1_
                                        ; -- End function
	.set _ZN7rocprim17ROCPRIM_400000_NS6detail17trampoline_kernelINS0_14default_configENS1_35adjacent_difference_config_selectorILb0EjEEZNS1_24adjacent_difference_implIS3_Lb0ELb0EPjS7_N6thrust23THRUST_200600_302600_NS5minusIjEEEE10hipError_tPvRmT2_T3_mT4_P12ihipStream_tbEUlT_E_NS1_11comp_targetILNS1_3genE8ELNS1_11target_archE1030ELNS1_3gpuE2ELNS1_3repE0EEENS1_30default_config_static_selectorELNS0_4arch9wavefront6targetE1EEEvT1_.num_vgpr, 0
	.set _ZN7rocprim17ROCPRIM_400000_NS6detail17trampoline_kernelINS0_14default_configENS1_35adjacent_difference_config_selectorILb0EjEEZNS1_24adjacent_difference_implIS3_Lb0ELb0EPjS7_N6thrust23THRUST_200600_302600_NS5minusIjEEEE10hipError_tPvRmT2_T3_mT4_P12ihipStream_tbEUlT_E_NS1_11comp_targetILNS1_3genE8ELNS1_11target_archE1030ELNS1_3gpuE2ELNS1_3repE0EEENS1_30default_config_static_selectorELNS0_4arch9wavefront6targetE1EEEvT1_.num_agpr, 0
	.set _ZN7rocprim17ROCPRIM_400000_NS6detail17trampoline_kernelINS0_14default_configENS1_35adjacent_difference_config_selectorILb0EjEEZNS1_24adjacent_difference_implIS3_Lb0ELb0EPjS7_N6thrust23THRUST_200600_302600_NS5minusIjEEEE10hipError_tPvRmT2_T3_mT4_P12ihipStream_tbEUlT_E_NS1_11comp_targetILNS1_3genE8ELNS1_11target_archE1030ELNS1_3gpuE2ELNS1_3repE0EEENS1_30default_config_static_selectorELNS0_4arch9wavefront6targetE1EEEvT1_.numbered_sgpr, 0
	.set _ZN7rocprim17ROCPRIM_400000_NS6detail17trampoline_kernelINS0_14default_configENS1_35adjacent_difference_config_selectorILb0EjEEZNS1_24adjacent_difference_implIS3_Lb0ELb0EPjS7_N6thrust23THRUST_200600_302600_NS5minusIjEEEE10hipError_tPvRmT2_T3_mT4_P12ihipStream_tbEUlT_E_NS1_11comp_targetILNS1_3genE8ELNS1_11target_archE1030ELNS1_3gpuE2ELNS1_3repE0EEENS1_30default_config_static_selectorELNS0_4arch9wavefront6targetE1EEEvT1_.num_named_barrier, 0
	.set _ZN7rocprim17ROCPRIM_400000_NS6detail17trampoline_kernelINS0_14default_configENS1_35adjacent_difference_config_selectorILb0EjEEZNS1_24adjacent_difference_implIS3_Lb0ELb0EPjS7_N6thrust23THRUST_200600_302600_NS5minusIjEEEE10hipError_tPvRmT2_T3_mT4_P12ihipStream_tbEUlT_E_NS1_11comp_targetILNS1_3genE8ELNS1_11target_archE1030ELNS1_3gpuE2ELNS1_3repE0EEENS1_30default_config_static_selectorELNS0_4arch9wavefront6targetE1EEEvT1_.private_seg_size, 0
	.set _ZN7rocprim17ROCPRIM_400000_NS6detail17trampoline_kernelINS0_14default_configENS1_35adjacent_difference_config_selectorILb0EjEEZNS1_24adjacent_difference_implIS3_Lb0ELb0EPjS7_N6thrust23THRUST_200600_302600_NS5minusIjEEEE10hipError_tPvRmT2_T3_mT4_P12ihipStream_tbEUlT_E_NS1_11comp_targetILNS1_3genE8ELNS1_11target_archE1030ELNS1_3gpuE2ELNS1_3repE0EEENS1_30default_config_static_selectorELNS0_4arch9wavefront6targetE1EEEvT1_.uses_vcc, 0
	.set _ZN7rocprim17ROCPRIM_400000_NS6detail17trampoline_kernelINS0_14default_configENS1_35adjacent_difference_config_selectorILb0EjEEZNS1_24adjacent_difference_implIS3_Lb0ELb0EPjS7_N6thrust23THRUST_200600_302600_NS5minusIjEEEE10hipError_tPvRmT2_T3_mT4_P12ihipStream_tbEUlT_E_NS1_11comp_targetILNS1_3genE8ELNS1_11target_archE1030ELNS1_3gpuE2ELNS1_3repE0EEENS1_30default_config_static_selectorELNS0_4arch9wavefront6targetE1EEEvT1_.uses_flat_scratch, 0
	.set _ZN7rocprim17ROCPRIM_400000_NS6detail17trampoline_kernelINS0_14default_configENS1_35adjacent_difference_config_selectorILb0EjEEZNS1_24adjacent_difference_implIS3_Lb0ELb0EPjS7_N6thrust23THRUST_200600_302600_NS5minusIjEEEE10hipError_tPvRmT2_T3_mT4_P12ihipStream_tbEUlT_E_NS1_11comp_targetILNS1_3genE8ELNS1_11target_archE1030ELNS1_3gpuE2ELNS1_3repE0EEENS1_30default_config_static_selectorELNS0_4arch9wavefront6targetE1EEEvT1_.has_dyn_sized_stack, 0
	.set _ZN7rocprim17ROCPRIM_400000_NS6detail17trampoline_kernelINS0_14default_configENS1_35adjacent_difference_config_selectorILb0EjEEZNS1_24adjacent_difference_implIS3_Lb0ELb0EPjS7_N6thrust23THRUST_200600_302600_NS5minusIjEEEE10hipError_tPvRmT2_T3_mT4_P12ihipStream_tbEUlT_E_NS1_11comp_targetILNS1_3genE8ELNS1_11target_archE1030ELNS1_3gpuE2ELNS1_3repE0EEENS1_30default_config_static_selectorELNS0_4arch9wavefront6targetE1EEEvT1_.has_recursion, 0
	.set _ZN7rocprim17ROCPRIM_400000_NS6detail17trampoline_kernelINS0_14default_configENS1_35adjacent_difference_config_selectorILb0EjEEZNS1_24adjacent_difference_implIS3_Lb0ELb0EPjS7_N6thrust23THRUST_200600_302600_NS5minusIjEEEE10hipError_tPvRmT2_T3_mT4_P12ihipStream_tbEUlT_E_NS1_11comp_targetILNS1_3genE8ELNS1_11target_archE1030ELNS1_3gpuE2ELNS1_3repE0EEENS1_30default_config_static_selectorELNS0_4arch9wavefront6targetE1EEEvT1_.has_indirect_call, 0
	.section	.AMDGPU.csdata,"",@progbits
; Kernel info:
; codeLenInByte = 0
; TotalNumSgprs: 4
; NumVgprs: 0
; ScratchSize: 0
; MemoryBound: 0
; FloatMode: 240
; IeeeMode: 1
; LDSByteSize: 0 bytes/workgroup (compile time only)
; SGPRBlocks: 0
; VGPRBlocks: 0
; NumSGPRsForWavesPerEU: 4
; NumVGPRsForWavesPerEU: 1
; Occupancy: 10
; WaveLimiterHint : 0
; COMPUTE_PGM_RSRC2:SCRATCH_EN: 0
; COMPUTE_PGM_RSRC2:USER_SGPR: 6
; COMPUTE_PGM_RSRC2:TRAP_HANDLER: 0
; COMPUTE_PGM_RSRC2:TGID_X_EN: 1
; COMPUTE_PGM_RSRC2:TGID_Y_EN: 0
; COMPUTE_PGM_RSRC2:TGID_Z_EN: 0
; COMPUTE_PGM_RSRC2:TIDIG_COMP_CNT: 0
	.section	.text._ZN7rocprim17ROCPRIM_400000_NS6detail17trampoline_kernelINS0_14default_configENS1_25transform_config_selectorIjLb0EEEZNS1_14transform_implILb0ES3_S5_NS0_18transform_iteratorINS0_17counting_iteratorImlEEZNS1_24adjacent_difference_implIS3_Lb1ELb0EPjSB_N6thrust23THRUST_200600_302600_NS5minusIjEEEE10hipError_tPvRmT2_T3_mT4_P12ihipStream_tbEUlmE_jEESB_NS0_8identityIvEEEESG_SJ_SK_mSL_SN_bEUlT_E_NS1_11comp_targetILNS1_3genE0ELNS1_11target_archE4294967295ELNS1_3gpuE0ELNS1_3repE0EEENS1_30default_config_static_selectorELNS0_4arch9wavefront6targetE1EEEvT1_,"axG",@progbits,_ZN7rocprim17ROCPRIM_400000_NS6detail17trampoline_kernelINS0_14default_configENS1_25transform_config_selectorIjLb0EEEZNS1_14transform_implILb0ES3_S5_NS0_18transform_iteratorINS0_17counting_iteratorImlEEZNS1_24adjacent_difference_implIS3_Lb1ELb0EPjSB_N6thrust23THRUST_200600_302600_NS5minusIjEEEE10hipError_tPvRmT2_T3_mT4_P12ihipStream_tbEUlmE_jEESB_NS0_8identityIvEEEESG_SJ_SK_mSL_SN_bEUlT_E_NS1_11comp_targetILNS1_3genE0ELNS1_11target_archE4294967295ELNS1_3gpuE0ELNS1_3repE0EEENS1_30default_config_static_selectorELNS0_4arch9wavefront6targetE1EEEvT1_,comdat
	.protected	_ZN7rocprim17ROCPRIM_400000_NS6detail17trampoline_kernelINS0_14default_configENS1_25transform_config_selectorIjLb0EEEZNS1_14transform_implILb0ES3_S5_NS0_18transform_iteratorINS0_17counting_iteratorImlEEZNS1_24adjacent_difference_implIS3_Lb1ELb0EPjSB_N6thrust23THRUST_200600_302600_NS5minusIjEEEE10hipError_tPvRmT2_T3_mT4_P12ihipStream_tbEUlmE_jEESB_NS0_8identityIvEEEESG_SJ_SK_mSL_SN_bEUlT_E_NS1_11comp_targetILNS1_3genE0ELNS1_11target_archE4294967295ELNS1_3gpuE0ELNS1_3repE0EEENS1_30default_config_static_selectorELNS0_4arch9wavefront6targetE1EEEvT1_ ; -- Begin function _ZN7rocprim17ROCPRIM_400000_NS6detail17trampoline_kernelINS0_14default_configENS1_25transform_config_selectorIjLb0EEEZNS1_14transform_implILb0ES3_S5_NS0_18transform_iteratorINS0_17counting_iteratorImlEEZNS1_24adjacent_difference_implIS3_Lb1ELb0EPjSB_N6thrust23THRUST_200600_302600_NS5minusIjEEEE10hipError_tPvRmT2_T3_mT4_P12ihipStream_tbEUlmE_jEESB_NS0_8identityIvEEEESG_SJ_SK_mSL_SN_bEUlT_E_NS1_11comp_targetILNS1_3genE0ELNS1_11target_archE4294967295ELNS1_3gpuE0ELNS1_3repE0EEENS1_30default_config_static_selectorELNS0_4arch9wavefront6targetE1EEEvT1_
	.globl	_ZN7rocprim17ROCPRIM_400000_NS6detail17trampoline_kernelINS0_14default_configENS1_25transform_config_selectorIjLb0EEEZNS1_14transform_implILb0ES3_S5_NS0_18transform_iteratorINS0_17counting_iteratorImlEEZNS1_24adjacent_difference_implIS3_Lb1ELb0EPjSB_N6thrust23THRUST_200600_302600_NS5minusIjEEEE10hipError_tPvRmT2_T3_mT4_P12ihipStream_tbEUlmE_jEESB_NS0_8identityIvEEEESG_SJ_SK_mSL_SN_bEUlT_E_NS1_11comp_targetILNS1_3genE0ELNS1_11target_archE4294967295ELNS1_3gpuE0ELNS1_3repE0EEENS1_30default_config_static_selectorELNS0_4arch9wavefront6targetE1EEEvT1_
	.p2align	8
	.type	_ZN7rocprim17ROCPRIM_400000_NS6detail17trampoline_kernelINS0_14default_configENS1_25transform_config_selectorIjLb0EEEZNS1_14transform_implILb0ES3_S5_NS0_18transform_iteratorINS0_17counting_iteratorImlEEZNS1_24adjacent_difference_implIS3_Lb1ELb0EPjSB_N6thrust23THRUST_200600_302600_NS5minusIjEEEE10hipError_tPvRmT2_T3_mT4_P12ihipStream_tbEUlmE_jEESB_NS0_8identityIvEEEESG_SJ_SK_mSL_SN_bEUlT_E_NS1_11comp_targetILNS1_3genE0ELNS1_11target_archE4294967295ELNS1_3gpuE0ELNS1_3repE0EEENS1_30default_config_static_selectorELNS0_4arch9wavefront6targetE1EEEvT1_,@function
_ZN7rocprim17ROCPRIM_400000_NS6detail17trampoline_kernelINS0_14default_configENS1_25transform_config_selectorIjLb0EEEZNS1_14transform_implILb0ES3_S5_NS0_18transform_iteratorINS0_17counting_iteratorImlEEZNS1_24adjacent_difference_implIS3_Lb1ELb0EPjSB_N6thrust23THRUST_200600_302600_NS5minusIjEEEE10hipError_tPvRmT2_T3_mT4_P12ihipStream_tbEUlmE_jEESB_NS0_8identityIvEEEESG_SJ_SK_mSL_SN_bEUlT_E_NS1_11comp_targetILNS1_3genE0ELNS1_11target_archE4294967295ELNS1_3gpuE0ELNS1_3repE0EEENS1_30default_config_static_selectorELNS0_4arch9wavefront6targetE1EEEvT1_: ; @_ZN7rocprim17ROCPRIM_400000_NS6detail17trampoline_kernelINS0_14default_configENS1_25transform_config_selectorIjLb0EEEZNS1_14transform_implILb0ES3_S5_NS0_18transform_iteratorINS0_17counting_iteratorImlEEZNS1_24adjacent_difference_implIS3_Lb1ELb0EPjSB_N6thrust23THRUST_200600_302600_NS5minusIjEEEE10hipError_tPvRmT2_T3_mT4_P12ihipStream_tbEUlmE_jEESB_NS0_8identityIvEEEESG_SJ_SK_mSL_SN_bEUlT_E_NS1_11comp_targetILNS1_3genE0ELNS1_11target_archE4294967295ELNS1_3gpuE0ELNS1_3repE0EEENS1_30default_config_static_selectorELNS0_4arch9wavefront6targetE1EEEvT1_
; %bb.0:
	.section	.rodata,"a",@progbits
	.p2align	6, 0x0
	.amdhsa_kernel _ZN7rocprim17ROCPRIM_400000_NS6detail17trampoline_kernelINS0_14default_configENS1_25transform_config_selectorIjLb0EEEZNS1_14transform_implILb0ES3_S5_NS0_18transform_iteratorINS0_17counting_iteratorImlEEZNS1_24adjacent_difference_implIS3_Lb1ELb0EPjSB_N6thrust23THRUST_200600_302600_NS5minusIjEEEE10hipError_tPvRmT2_T3_mT4_P12ihipStream_tbEUlmE_jEESB_NS0_8identityIvEEEESG_SJ_SK_mSL_SN_bEUlT_E_NS1_11comp_targetILNS1_3genE0ELNS1_11target_archE4294967295ELNS1_3gpuE0ELNS1_3repE0EEENS1_30default_config_static_selectorELNS0_4arch9wavefront6targetE1EEEvT1_
		.amdhsa_group_segment_fixed_size 0
		.amdhsa_private_segment_fixed_size 0
		.amdhsa_kernarg_size 56
		.amdhsa_user_sgpr_count 6
		.amdhsa_user_sgpr_private_segment_buffer 1
		.amdhsa_user_sgpr_dispatch_ptr 0
		.amdhsa_user_sgpr_queue_ptr 0
		.amdhsa_user_sgpr_kernarg_segment_ptr 1
		.amdhsa_user_sgpr_dispatch_id 0
		.amdhsa_user_sgpr_flat_scratch_init 0
		.amdhsa_user_sgpr_private_segment_size 0
		.amdhsa_uses_dynamic_stack 0
		.amdhsa_system_sgpr_private_segment_wavefront_offset 0
		.amdhsa_system_sgpr_workgroup_id_x 1
		.amdhsa_system_sgpr_workgroup_id_y 0
		.amdhsa_system_sgpr_workgroup_id_z 0
		.amdhsa_system_sgpr_workgroup_info 0
		.amdhsa_system_vgpr_workitem_id 0
		.amdhsa_next_free_vgpr 1
		.amdhsa_next_free_sgpr 0
		.amdhsa_reserve_vcc 0
		.amdhsa_reserve_flat_scratch 0
		.amdhsa_float_round_mode_32 0
		.amdhsa_float_round_mode_16_64 0
		.amdhsa_float_denorm_mode_32 3
		.amdhsa_float_denorm_mode_16_64 3
		.amdhsa_dx10_clamp 1
		.amdhsa_ieee_mode 1
		.amdhsa_fp16_overflow 0
		.amdhsa_exception_fp_ieee_invalid_op 0
		.amdhsa_exception_fp_denorm_src 0
		.amdhsa_exception_fp_ieee_div_zero 0
		.amdhsa_exception_fp_ieee_overflow 0
		.amdhsa_exception_fp_ieee_underflow 0
		.amdhsa_exception_fp_ieee_inexact 0
		.amdhsa_exception_int_div_zero 0
	.end_amdhsa_kernel
	.section	.text._ZN7rocprim17ROCPRIM_400000_NS6detail17trampoline_kernelINS0_14default_configENS1_25transform_config_selectorIjLb0EEEZNS1_14transform_implILb0ES3_S5_NS0_18transform_iteratorINS0_17counting_iteratorImlEEZNS1_24adjacent_difference_implIS3_Lb1ELb0EPjSB_N6thrust23THRUST_200600_302600_NS5minusIjEEEE10hipError_tPvRmT2_T3_mT4_P12ihipStream_tbEUlmE_jEESB_NS0_8identityIvEEEESG_SJ_SK_mSL_SN_bEUlT_E_NS1_11comp_targetILNS1_3genE0ELNS1_11target_archE4294967295ELNS1_3gpuE0ELNS1_3repE0EEENS1_30default_config_static_selectorELNS0_4arch9wavefront6targetE1EEEvT1_,"axG",@progbits,_ZN7rocprim17ROCPRIM_400000_NS6detail17trampoline_kernelINS0_14default_configENS1_25transform_config_selectorIjLb0EEEZNS1_14transform_implILb0ES3_S5_NS0_18transform_iteratorINS0_17counting_iteratorImlEEZNS1_24adjacent_difference_implIS3_Lb1ELb0EPjSB_N6thrust23THRUST_200600_302600_NS5minusIjEEEE10hipError_tPvRmT2_T3_mT4_P12ihipStream_tbEUlmE_jEESB_NS0_8identityIvEEEESG_SJ_SK_mSL_SN_bEUlT_E_NS1_11comp_targetILNS1_3genE0ELNS1_11target_archE4294967295ELNS1_3gpuE0ELNS1_3repE0EEENS1_30default_config_static_selectorELNS0_4arch9wavefront6targetE1EEEvT1_,comdat
.Lfunc_end163:
	.size	_ZN7rocprim17ROCPRIM_400000_NS6detail17trampoline_kernelINS0_14default_configENS1_25transform_config_selectorIjLb0EEEZNS1_14transform_implILb0ES3_S5_NS0_18transform_iteratorINS0_17counting_iteratorImlEEZNS1_24adjacent_difference_implIS3_Lb1ELb0EPjSB_N6thrust23THRUST_200600_302600_NS5minusIjEEEE10hipError_tPvRmT2_T3_mT4_P12ihipStream_tbEUlmE_jEESB_NS0_8identityIvEEEESG_SJ_SK_mSL_SN_bEUlT_E_NS1_11comp_targetILNS1_3genE0ELNS1_11target_archE4294967295ELNS1_3gpuE0ELNS1_3repE0EEENS1_30default_config_static_selectorELNS0_4arch9wavefront6targetE1EEEvT1_, .Lfunc_end163-_ZN7rocprim17ROCPRIM_400000_NS6detail17trampoline_kernelINS0_14default_configENS1_25transform_config_selectorIjLb0EEEZNS1_14transform_implILb0ES3_S5_NS0_18transform_iteratorINS0_17counting_iteratorImlEEZNS1_24adjacent_difference_implIS3_Lb1ELb0EPjSB_N6thrust23THRUST_200600_302600_NS5minusIjEEEE10hipError_tPvRmT2_T3_mT4_P12ihipStream_tbEUlmE_jEESB_NS0_8identityIvEEEESG_SJ_SK_mSL_SN_bEUlT_E_NS1_11comp_targetILNS1_3genE0ELNS1_11target_archE4294967295ELNS1_3gpuE0ELNS1_3repE0EEENS1_30default_config_static_selectorELNS0_4arch9wavefront6targetE1EEEvT1_
                                        ; -- End function
	.set _ZN7rocprim17ROCPRIM_400000_NS6detail17trampoline_kernelINS0_14default_configENS1_25transform_config_selectorIjLb0EEEZNS1_14transform_implILb0ES3_S5_NS0_18transform_iteratorINS0_17counting_iteratorImlEEZNS1_24adjacent_difference_implIS3_Lb1ELb0EPjSB_N6thrust23THRUST_200600_302600_NS5minusIjEEEE10hipError_tPvRmT2_T3_mT4_P12ihipStream_tbEUlmE_jEESB_NS0_8identityIvEEEESG_SJ_SK_mSL_SN_bEUlT_E_NS1_11comp_targetILNS1_3genE0ELNS1_11target_archE4294967295ELNS1_3gpuE0ELNS1_3repE0EEENS1_30default_config_static_selectorELNS0_4arch9wavefront6targetE1EEEvT1_.num_vgpr, 0
	.set _ZN7rocprim17ROCPRIM_400000_NS6detail17trampoline_kernelINS0_14default_configENS1_25transform_config_selectorIjLb0EEEZNS1_14transform_implILb0ES3_S5_NS0_18transform_iteratorINS0_17counting_iteratorImlEEZNS1_24adjacent_difference_implIS3_Lb1ELb0EPjSB_N6thrust23THRUST_200600_302600_NS5minusIjEEEE10hipError_tPvRmT2_T3_mT4_P12ihipStream_tbEUlmE_jEESB_NS0_8identityIvEEEESG_SJ_SK_mSL_SN_bEUlT_E_NS1_11comp_targetILNS1_3genE0ELNS1_11target_archE4294967295ELNS1_3gpuE0ELNS1_3repE0EEENS1_30default_config_static_selectorELNS0_4arch9wavefront6targetE1EEEvT1_.num_agpr, 0
	.set _ZN7rocprim17ROCPRIM_400000_NS6detail17trampoline_kernelINS0_14default_configENS1_25transform_config_selectorIjLb0EEEZNS1_14transform_implILb0ES3_S5_NS0_18transform_iteratorINS0_17counting_iteratorImlEEZNS1_24adjacent_difference_implIS3_Lb1ELb0EPjSB_N6thrust23THRUST_200600_302600_NS5minusIjEEEE10hipError_tPvRmT2_T3_mT4_P12ihipStream_tbEUlmE_jEESB_NS0_8identityIvEEEESG_SJ_SK_mSL_SN_bEUlT_E_NS1_11comp_targetILNS1_3genE0ELNS1_11target_archE4294967295ELNS1_3gpuE0ELNS1_3repE0EEENS1_30default_config_static_selectorELNS0_4arch9wavefront6targetE1EEEvT1_.numbered_sgpr, 0
	.set _ZN7rocprim17ROCPRIM_400000_NS6detail17trampoline_kernelINS0_14default_configENS1_25transform_config_selectorIjLb0EEEZNS1_14transform_implILb0ES3_S5_NS0_18transform_iteratorINS0_17counting_iteratorImlEEZNS1_24adjacent_difference_implIS3_Lb1ELb0EPjSB_N6thrust23THRUST_200600_302600_NS5minusIjEEEE10hipError_tPvRmT2_T3_mT4_P12ihipStream_tbEUlmE_jEESB_NS0_8identityIvEEEESG_SJ_SK_mSL_SN_bEUlT_E_NS1_11comp_targetILNS1_3genE0ELNS1_11target_archE4294967295ELNS1_3gpuE0ELNS1_3repE0EEENS1_30default_config_static_selectorELNS0_4arch9wavefront6targetE1EEEvT1_.num_named_barrier, 0
	.set _ZN7rocprim17ROCPRIM_400000_NS6detail17trampoline_kernelINS0_14default_configENS1_25transform_config_selectorIjLb0EEEZNS1_14transform_implILb0ES3_S5_NS0_18transform_iteratorINS0_17counting_iteratorImlEEZNS1_24adjacent_difference_implIS3_Lb1ELb0EPjSB_N6thrust23THRUST_200600_302600_NS5minusIjEEEE10hipError_tPvRmT2_T3_mT4_P12ihipStream_tbEUlmE_jEESB_NS0_8identityIvEEEESG_SJ_SK_mSL_SN_bEUlT_E_NS1_11comp_targetILNS1_3genE0ELNS1_11target_archE4294967295ELNS1_3gpuE0ELNS1_3repE0EEENS1_30default_config_static_selectorELNS0_4arch9wavefront6targetE1EEEvT1_.private_seg_size, 0
	.set _ZN7rocprim17ROCPRIM_400000_NS6detail17trampoline_kernelINS0_14default_configENS1_25transform_config_selectorIjLb0EEEZNS1_14transform_implILb0ES3_S5_NS0_18transform_iteratorINS0_17counting_iteratorImlEEZNS1_24adjacent_difference_implIS3_Lb1ELb0EPjSB_N6thrust23THRUST_200600_302600_NS5minusIjEEEE10hipError_tPvRmT2_T3_mT4_P12ihipStream_tbEUlmE_jEESB_NS0_8identityIvEEEESG_SJ_SK_mSL_SN_bEUlT_E_NS1_11comp_targetILNS1_3genE0ELNS1_11target_archE4294967295ELNS1_3gpuE0ELNS1_3repE0EEENS1_30default_config_static_selectorELNS0_4arch9wavefront6targetE1EEEvT1_.uses_vcc, 0
	.set _ZN7rocprim17ROCPRIM_400000_NS6detail17trampoline_kernelINS0_14default_configENS1_25transform_config_selectorIjLb0EEEZNS1_14transform_implILb0ES3_S5_NS0_18transform_iteratorINS0_17counting_iteratorImlEEZNS1_24adjacent_difference_implIS3_Lb1ELb0EPjSB_N6thrust23THRUST_200600_302600_NS5minusIjEEEE10hipError_tPvRmT2_T3_mT4_P12ihipStream_tbEUlmE_jEESB_NS0_8identityIvEEEESG_SJ_SK_mSL_SN_bEUlT_E_NS1_11comp_targetILNS1_3genE0ELNS1_11target_archE4294967295ELNS1_3gpuE0ELNS1_3repE0EEENS1_30default_config_static_selectorELNS0_4arch9wavefront6targetE1EEEvT1_.uses_flat_scratch, 0
	.set _ZN7rocprim17ROCPRIM_400000_NS6detail17trampoline_kernelINS0_14default_configENS1_25transform_config_selectorIjLb0EEEZNS1_14transform_implILb0ES3_S5_NS0_18transform_iteratorINS0_17counting_iteratorImlEEZNS1_24adjacent_difference_implIS3_Lb1ELb0EPjSB_N6thrust23THRUST_200600_302600_NS5minusIjEEEE10hipError_tPvRmT2_T3_mT4_P12ihipStream_tbEUlmE_jEESB_NS0_8identityIvEEEESG_SJ_SK_mSL_SN_bEUlT_E_NS1_11comp_targetILNS1_3genE0ELNS1_11target_archE4294967295ELNS1_3gpuE0ELNS1_3repE0EEENS1_30default_config_static_selectorELNS0_4arch9wavefront6targetE1EEEvT1_.has_dyn_sized_stack, 0
	.set _ZN7rocprim17ROCPRIM_400000_NS6detail17trampoline_kernelINS0_14default_configENS1_25transform_config_selectorIjLb0EEEZNS1_14transform_implILb0ES3_S5_NS0_18transform_iteratorINS0_17counting_iteratorImlEEZNS1_24adjacent_difference_implIS3_Lb1ELb0EPjSB_N6thrust23THRUST_200600_302600_NS5minusIjEEEE10hipError_tPvRmT2_T3_mT4_P12ihipStream_tbEUlmE_jEESB_NS0_8identityIvEEEESG_SJ_SK_mSL_SN_bEUlT_E_NS1_11comp_targetILNS1_3genE0ELNS1_11target_archE4294967295ELNS1_3gpuE0ELNS1_3repE0EEENS1_30default_config_static_selectorELNS0_4arch9wavefront6targetE1EEEvT1_.has_recursion, 0
	.set _ZN7rocprim17ROCPRIM_400000_NS6detail17trampoline_kernelINS0_14default_configENS1_25transform_config_selectorIjLb0EEEZNS1_14transform_implILb0ES3_S5_NS0_18transform_iteratorINS0_17counting_iteratorImlEEZNS1_24adjacent_difference_implIS3_Lb1ELb0EPjSB_N6thrust23THRUST_200600_302600_NS5minusIjEEEE10hipError_tPvRmT2_T3_mT4_P12ihipStream_tbEUlmE_jEESB_NS0_8identityIvEEEESG_SJ_SK_mSL_SN_bEUlT_E_NS1_11comp_targetILNS1_3genE0ELNS1_11target_archE4294967295ELNS1_3gpuE0ELNS1_3repE0EEENS1_30default_config_static_selectorELNS0_4arch9wavefront6targetE1EEEvT1_.has_indirect_call, 0
	.section	.AMDGPU.csdata,"",@progbits
; Kernel info:
; codeLenInByte = 0
; TotalNumSgprs: 4
; NumVgprs: 0
; ScratchSize: 0
; MemoryBound: 0
; FloatMode: 240
; IeeeMode: 1
; LDSByteSize: 0 bytes/workgroup (compile time only)
; SGPRBlocks: 0
; VGPRBlocks: 0
; NumSGPRsForWavesPerEU: 4
; NumVGPRsForWavesPerEU: 1
; Occupancy: 10
; WaveLimiterHint : 0
; COMPUTE_PGM_RSRC2:SCRATCH_EN: 0
; COMPUTE_PGM_RSRC2:USER_SGPR: 6
; COMPUTE_PGM_RSRC2:TRAP_HANDLER: 0
; COMPUTE_PGM_RSRC2:TGID_X_EN: 1
; COMPUTE_PGM_RSRC2:TGID_Y_EN: 0
; COMPUTE_PGM_RSRC2:TGID_Z_EN: 0
; COMPUTE_PGM_RSRC2:TIDIG_COMP_CNT: 0
	.section	.text._ZN7rocprim17ROCPRIM_400000_NS6detail17trampoline_kernelINS0_14default_configENS1_25transform_config_selectorIjLb0EEEZNS1_14transform_implILb0ES3_S5_NS0_18transform_iteratorINS0_17counting_iteratorImlEEZNS1_24adjacent_difference_implIS3_Lb1ELb0EPjSB_N6thrust23THRUST_200600_302600_NS5minusIjEEEE10hipError_tPvRmT2_T3_mT4_P12ihipStream_tbEUlmE_jEESB_NS0_8identityIvEEEESG_SJ_SK_mSL_SN_bEUlT_E_NS1_11comp_targetILNS1_3genE5ELNS1_11target_archE942ELNS1_3gpuE9ELNS1_3repE0EEENS1_30default_config_static_selectorELNS0_4arch9wavefront6targetE1EEEvT1_,"axG",@progbits,_ZN7rocprim17ROCPRIM_400000_NS6detail17trampoline_kernelINS0_14default_configENS1_25transform_config_selectorIjLb0EEEZNS1_14transform_implILb0ES3_S5_NS0_18transform_iteratorINS0_17counting_iteratorImlEEZNS1_24adjacent_difference_implIS3_Lb1ELb0EPjSB_N6thrust23THRUST_200600_302600_NS5minusIjEEEE10hipError_tPvRmT2_T3_mT4_P12ihipStream_tbEUlmE_jEESB_NS0_8identityIvEEEESG_SJ_SK_mSL_SN_bEUlT_E_NS1_11comp_targetILNS1_3genE5ELNS1_11target_archE942ELNS1_3gpuE9ELNS1_3repE0EEENS1_30default_config_static_selectorELNS0_4arch9wavefront6targetE1EEEvT1_,comdat
	.protected	_ZN7rocprim17ROCPRIM_400000_NS6detail17trampoline_kernelINS0_14default_configENS1_25transform_config_selectorIjLb0EEEZNS1_14transform_implILb0ES3_S5_NS0_18transform_iteratorINS0_17counting_iteratorImlEEZNS1_24adjacent_difference_implIS3_Lb1ELb0EPjSB_N6thrust23THRUST_200600_302600_NS5minusIjEEEE10hipError_tPvRmT2_T3_mT4_P12ihipStream_tbEUlmE_jEESB_NS0_8identityIvEEEESG_SJ_SK_mSL_SN_bEUlT_E_NS1_11comp_targetILNS1_3genE5ELNS1_11target_archE942ELNS1_3gpuE9ELNS1_3repE0EEENS1_30default_config_static_selectorELNS0_4arch9wavefront6targetE1EEEvT1_ ; -- Begin function _ZN7rocprim17ROCPRIM_400000_NS6detail17trampoline_kernelINS0_14default_configENS1_25transform_config_selectorIjLb0EEEZNS1_14transform_implILb0ES3_S5_NS0_18transform_iteratorINS0_17counting_iteratorImlEEZNS1_24adjacent_difference_implIS3_Lb1ELb0EPjSB_N6thrust23THRUST_200600_302600_NS5minusIjEEEE10hipError_tPvRmT2_T3_mT4_P12ihipStream_tbEUlmE_jEESB_NS0_8identityIvEEEESG_SJ_SK_mSL_SN_bEUlT_E_NS1_11comp_targetILNS1_3genE5ELNS1_11target_archE942ELNS1_3gpuE9ELNS1_3repE0EEENS1_30default_config_static_selectorELNS0_4arch9wavefront6targetE1EEEvT1_
	.globl	_ZN7rocprim17ROCPRIM_400000_NS6detail17trampoline_kernelINS0_14default_configENS1_25transform_config_selectorIjLb0EEEZNS1_14transform_implILb0ES3_S5_NS0_18transform_iteratorINS0_17counting_iteratorImlEEZNS1_24adjacent_difference_implIS3_Lb1ELb0EPjSB_N6thrust23THRUST_200600_302600_NS5minusIjEEEE10hipError_tPvRmT2_T3_mT4_P12ihipStream_tbEUlmE_jEESB_NS0_8identityIvEEEESG_SJ_SK_mSL_SN_bEUlT_E_NS1_11comp_targetILNS1_3genE5ELNS1_11target_archE942ELNS1_3gpuE9ELNS1_3repE0EEENS1_30default_config_static_selectorELNS0_4arch9wavefront6targetE1EEEvT1_
	.p2align	8
	.type	_ZN7rocprim17ROCPRIM_400000_NS6detail17trampoline_kernelINS0_14default_configENS1_25transform_config_selectorIjLb0EEEZNS1_14transform_implILb0ES3_S5_NS0_18transform_iteratorINS0_17counting_iteratorImlEEZNS1_24adjacent_difference_implIS3_Lb1ELb0EPjSB_N6thrust23THRUST_200600_302600_NS5minusIjEEEE10hipError_tPvRmT2_T3_mT4_P12ihipStream_tbEUlmE_jEESB_NS0_8identityIvEEEESG_SJ_SK_mSL_SN_bEUlT_E_NS1_11comp_targetILNS1_3genE5ELNS1_11target_archE942ELNS1_3gpuE9ELNS1_3repE0EEENS1_30default_config_static_selectorELNS0_4arch9wavefront6targetE1EEEvT1_,@function
_ZN7rocprim17ROCPRIM_400000_NS6detail17trampoline_kernelINS0_14default_configENS1_25transform_config_selectorIjLb0EEEZNS1_14transform_implILb0ES3_S5_NS0_18transform_iteratorINS0_17counting_iteratorImlEEZNS1_24adjacent_difference_implIS3_Lb1ELb0EPjSB_N6thrust23THRUST_200600_302600_NS5minusIjEEEE10hipError_tPvRmT2_T3_mT4_P12ihipStream_tbEUlmE_jEESB_NS0_8identityIvEEEESG_SJ_SK_mSL_SN_bEUlT_E_NS1_11comp_targetILNS1_3genE5ELNS1_11target_archE942ELNS1_3gpuE9ELNS1_3repE0EEENS1_30default_config_static_selectorELNS0_4arch9wavefront6targetE1EEEvT1_: ; @_ZN7rocprim17ROCPRIM_400000_NS6detail17trampoline_kernelINS0_14default_configENS1_25transform_config_selectorIjLb0EEEZNS1_14transform_implILb0ES3_S5_NS0_18transform_iteratorINS0_17counting_iteratorImlEEZNS1_24adjacent_difference_implIS3_Lb1ELb0EPjSB_N6thrust23THRUST_200600_302600_NS5minusIjEEEE10hipError_tPvRmT2_T3_mT4_P12ihipStream_tbEUlmE_jEESB_NS0_8identityIvEEEESG_SJ_SK_mSL_SN_bEUlT_E_NS1_11comp_targetILNS1_3genE5ELNS1_11target_archE942ELNS1_3gpuE9ELNS1_3repE0EEENS1_30default_config_static_selectorELNS0_4arch9wavefront6targetE1EEEvT1_
; %bb.0:
	.section	.rodata,"a",@progbits
	.p2align	6, 0x0
	.amdhsa_kernel _ZN7rocprim17ROCPRIM_400000_NS6detail17trampoline_kernelINS0_14default_configENS1_25transform_config_selectorIjLb0EEEZNS1_14transform_implILb0ES3_S5_NS0_18transform_iteratorINS0_17counting_iteratorImlEEZNS1_24adjacent_difference_implIS3_Lb1ELb0EPjSB_N6thrust23THRUST_200600_302600_NS5minusIjEEEE10hipError_tPvRmT2_T3_mT4_P12ihipStream_tbEUlmE_jEESB_NS0_8identityIvEEEESG_SJ_SK_mSL_SN_bEUlT_E_NS1_11comp_targetILNS1_3genE5ELNS1_11target_archE942ELNS1_3gpuE9ELNS1_3repE0EEENS1_30default_config_static_selectorELNS0_4arch9wavefront6targetE1EEEvT1_
		.amdhsa_group_segment_fixed_size 0
		.amdhsa_private_segment_fixed_size 0
		.amdhsa_kernarg_size 56
		.amdhsa_user_sgpr_count 6
		.amdhsa_user_sgpr_private_segment_buffer 1
		.amdhsa_user_sgpr_dispatch_ptr 0
		.amdhsa_user_sgpr_queue_ptr 0
		.amdhsa_user_sgpr_kernarg_segment_ptr 1
		.amdhsa_user_sgpr_dispatch_id 0
		.amdhsa_user_sgpr_flat_scratch_init 0
		.amdhsa_user_sgpr_private_segment_size 0
		.amdhsa_uses_dynamic_stack 0
		.amdhsa_system_sgpr_private_segment_wavefront_offset 0
		.amdhsa_system_sgpr_workgroup_id_x 1
		.amdhsa_system_sgpr_workgroup_id_y 0
		.amdhsa_system_sgpr_workgroup_id_z 0
		.amdhsa_system_sgpr_workgroup_info 0
		.amdhsa_system_vgpr_workitem_id 0
		.amdhsa_next_free_vgpr 1
		.amdhsa_next_free_sgpr 0
		.amdhsa_reserve_vcc 0
		.amdhsa_reserve_flat_scratch 0
		.amdhsa_float_round_mode_32 0
		.amdhsa_float_round_mode_16_64 0
		.amdhsa_float_denorm_mode_32 3
		.amdhsa_float_denorm_mode_16_64 3
		.amdhsa_dx10_clamp 1
		.amdhsa_ieee_mode 1
		.amdhsa_fp16_overflow 0
		.amdhsa_exception_fp_ieee_invalid_op 0
		.amdhsa_exception_fp_denorm_src 0
		.amdhsa_exception_fp_ieee_div_zero 0
		.amdhsa_exception_fp_ieee_overflow 0
		.amdhsa_exception_fp_ieee_underflow 0
		.amdhsa_exception_fp_ieee_inexact 0
		.amdhsa_exception_int_div_zero 0
	.end_amdhsa_kernel
	.section	.text._ZN7rocprim17ROCPRIM_400000_NS6detail17trampoline_kernelINS0_14default_configENS1_25transform_config_selectorIjLb0EEEZNS1_14transform_implILb0ES3_S5_NS0_18transform_iteratorINS0_17counting_iteratorImlEEZNS1_24adjacent_difference_implIS3_Lb1ELb0EPjSB_N6thrust23THRUST_200600_302600_NS5minusIjEEEE10hipError_tPvRmT2_T3_mT4_P12ihipStream_tbEUlmE_jEESB_NS0_8identityIvEEEESG_SJ_SK_mSL_SN_bEUlT_E_NS1_11comp_targetILNS1_3genE5ELNS1_11target_archE942ELNS1_3gpuE9ELNS1_3repE0EEENS1_30default_config_static_selectorELNS0_4arch9wavefront6targetE1EEEvT1_,"axG",@progbits,_ZN7rocprim17ROCPRIM_400000_NS6detail17trampoline_kernelINS0_14default_configENS1_25transform_config_selectorIjLb0EEEZNS1_14transform_implILb0ES3_S5_NS0_18transform_iteratorINS0_17counting_iteratorImlEEZNS1_24adjacent_difference_implIS3_Lb1ELb0EPjSB_N6thrust23THRUST_200600_302600_NS5minusIjEEEE10hipError_tPvRmT2_T3_mT4_P12ihipStream_tbEUlmE_jEESB_NS0_8identityIvEEEESG_SJ_SK_mSL_SN_bEUlT_E_NS1_11comp_targetILNS1_3genE5ELNS1_11target_archE942ELNS1_3gpuE9ELNS1_3repE0EEENS1_30default_config_static_selectorELNS0_4arch9wavefront6targetE1EEEvT1_,comdat
.Lfunc_end164:
	.size	_ZN7rocprim17ROCPRIM_400000_NS6detail17trampoline_kernelINS0_14default_configENS1_25transform_config_selectorIjLb0EEEZNS1_14transform_implILb0ES3_S5_NS0_18transform_iteratorINS0_17counting_iteratorImlEEZNS1_24adjacent_difference_implIS3_Lb1ELb0EPjSB_N6thrust23THRUST_200600_302600_NS5minusIjEEEE10hipError_tPvRmT2_T3_mT4_P12ihipStream_tbEUlmE_jEESB_NS0_8identityIvEEEESG_SJ_SK_mSL_SN_bEUlT_E_NS1_11comp_targetILNS1_3genE5ELNS1_11target_archE942ELNS1_3gpuE9ELNS1_3repE0EEENS1_30default_config_static_selectorELNS0_4arch9wavefront6targetE1EEEvT1_, .Lfunc_end164-_ZN7rocprim17ROCPRIM_400000_NS6detail17trampoline_kernelINS0_14default_configENS1_25transform_config_selectorIjLb0EEEZNS1_14transform_implILb0ES3_S5_NS0_18transform_iteratorINS0_17counting_iteratorImlEEZNS1_24adjacent_difference_implIS3_Lb1ELb0EPjSB_N6thrust23THRUST_200600_302600_NS5minusIjEEEE10hipError_tPvRmT2_T3_mT4_P12ihipStream_tbEUlmE_jEESB_NS0_8identityIvEEEESG_SJ_SK_mSL_SN_bEUlT_E_NS1_11comp_targetILNS1_3genE5ELNS1_11target_archE942ELNS1_3gpuE9ELNS1_3repE0EEENS1_30default_config_static_selectorELNS0_4arch9wavefront6targetE1EEEvT1_
                                        ; -- End function
	.set _ZN7rocprim17ROCPRIM_400000_NS6detail17trampoline_kernelINS0_14default_configENS1_25transform_config_selectorIjLb0EEEZNS1_14transform_implILb0ES3_S5_NS0_18transform_iteratorINS0_17counting_iteratorImlEEZNS1_24adjacent_difference_implIS3_Lb1ELb0EPjSB_N6thrust23THRUST_200600_302600_NS5minusIjEEEE10hipError_tPvRmT2_T3_mT4_P12ihipStream_tbEUlmE_jEESB_NS0_8identityIvEEEESG_SJ_SK_mSL_SN_bEUlT_E_NS1_11comp_targetILNS1_3genE5ELNS1_11target_archE942ELNS1_3gpuE9ELNS1_3repE0EEENS1_30default_config_static_selectorELNS0_4arch9wavefront6targetE1EEEvT1_.num_vgpr, 0
	.set _ZN7rocprim17ROCPRIM_400000_NS6detail17trampoline_kernelINS0_14default_configENS1_25transform_config_selectorIjLb0EEEZNS1_14transform_implILb0ES3_S5_NS0_18transform_iteratorINS0_17counting_iteratorImlEEZNS1_24adjacent_difference_implIS3_Lb1ELb0EPjSB_N6thrust23THRUST_200600_302600_NS5minusIjEEEE10hipError_tPvRmT2_T3_mT4_P12ihipStream_tbEUlmE_jEESB_NS0_8identityIvEEEESG_SJ_SK_mSL_SN_bEUlT_E_NS1_11comp_targetILNS1_3genE5ELNS1_11target_archE942ELNS1_3gpuE9ELNS1_3repE0EEENS1_30default_config_static_selectorELNS0_4arch9wavefront6targetE1EEEvT1_.num_agpr, 0
	.set _ZN7rocprim17ROCPRIM_400000_NS6detail17trampoline_kernelINS0_14default_configENS1_25transform_config_selectorIjLb0EEEZNS1_14transform_implILb0ES3_S5_NS0_18transform_iteratorINS0_17counting_iteratorImlEEZNS1_24adjacent_difference_implIS3_Lb1ELb0EPjSB_N6thrust23THRUST_200600_302600_NS5minusIjEEEE10hipError_tPvRmT2_T3_mT4_P12ihipStream_tbEUlmE_jEESB_NS0_8identityIvEEEESG_SJ_SK_mSL_SN_bEUlT_E_NS1_11comp_targetILNS1_3genE5ELNS1_11target_archE942ELNS1_3gpuE9ELNS1_3repE0EEENS1_30default_config_static_selectorELNS0_4arch9wavefront6targetE1EEEvT1_.numbered_sgpr, 0
	.set _ZN7rocprim17ROCPRIM_400000_NS6detail17trampoline_kernelINS0_14default_configENS1_25transform_config_selectorIjLb0EEEZNS1_14transform_implILb0ES3_S5_NS0_18transform_iteratorINS0_17counting_iteratorImlEEZNS1_24adjacent_difference_implIS3_Lb1ELb0EPjSB_N6thrust23THRUST_200600_302600_NS5minusIjEEEE10hipError_tPvRmT2_T3_mT4_P12ihipStream_tbEUlmE_jEESB_NS0_8identityIvEEEESG_SJ_SK_mSL_SN_bEUlT_E_NS1_11comp_targetILNS1_3genE5ELNS1_11target_archE942ELNS1_3gpuE9ELNS1_3repE0EEENS1_30default_config_static_selectorELNS0_4arch9wavefront6targetE1EEEvT1_.num_named_barrier, 0
	.set _ZN7rocprim17ROCPRIM_400000_NS6detail17trampoline_kernelINS0_14default_configENS1_25transform_config_selectorIjLb0EEEZNS1_14transform_implILb0ES3_S5_NS0_18transform_iteratorINS0_17counting_iteratorImlEEZNS1_24adjacent_difference_implIS3_Lb1ELb0EPjSB_N6thrust23THRUST_200600_302600_NS5minusIjEEEE10hipError_tPvRmT2_T3_mT4_P12ihipStream_tbEUlmE_jEESB_NS0_8identityIvEEEESG_SJ_SK_mSL_SN_bEUlT_E_NS1_11comp_targetILNS1_3genE5ELNS1_11target_archE942ELNS1_3gpuE9ELNS1_3repE0EEENS1_30default_config_static_selectorELNS0_4arch9wavefront6targetE1EEEvT1_.private_seg_size, 0
	.set _ZN7rocprim17ROCPRIM_400000_NS6detail17trampoline_kernelINS0_14default_configENS1_25transform_config_selectorIjLb0EEEZNS1_14transform_implILb0ES3_S5_NS0_18transform_iteratorINS0_17counting_iteratorImlEEZNS1_24adjacent_difference_implIS3_Lb1ELb0EPjSB_N6thrust23THRUST_200600_302600_NS5minusIjEEEE10hipError_tPvRmT2_T3_mT4_P12ihipStream_tbEUlmE_jEESB_NS0_8identityIvEEEESG_SJ_SK_mSL_SN_bEUlT_E_NS1_11comp_targetILNS1_3genE5ELNS1_11target_archE942ELNS1_3gpuE9ELNS1_3repE0EEENS1_30default_config_static_selectorELNS0_4arch9wavefront6targetE1EEEvT1_.uses_vcc, 0
	.set _ZN7rocprim17ROCPRIM_400000_NS6detail17trampoline_kernelINS0_14default_configENS1_25transform_config_selectorIjLb0EEEZNS1_14transform_implILb0ES3_S5_NS0_18transform_iteratorINS0_17counting_iteratorImlEEZNS1_24adjacent_difference_implIS3_Lb1ELb0EPjSB_N6thrust23THRUST_200600_302600_NS5minusIjEEEE10hipError_tPvRmT2_T3_mT4_P12ihipStream_tbEUlmE_jEESB_NS0_8identityIvEEEESG_SJ_SK_mSL_SN_bEUlT_E_NS1_11comp_targetILNS1_3genE5ELNS1_11target_archE942ELNS1_3gpuE9ELNS1_3repE0EEENS1_30default_config_static_selectorELNS0_4arch9wavefront6targetE1EEEvT1_.uses_flat_scratch, 0
	.set _ZN7rocprim17ROCPRIM_400000_NS6detail17trampoline_kernelINS0_14default_configENS1_25transform_config_selectorIjLb0EEEZNS1_14transform_implILb0ES3_S5_NS0_18transform_iteratorINS0_17counting_iteratorImlEEZNS1_24adjacent_difference_implIS3_Lb1ELb0EPjSB_N6thrust23THRUST_200600_302600_NS5minusIjEEEE10hipError_tPvRmT2_T3_mT4_P12ihipStream_tbEUlmE_jEESB_NS0_8identityIvEEEESG_SJ_SK_mSL_SN_bEUlT_E_NS1_11comp_targetILNS1_3genE5ELNS1_11target_archE942ELNS1_3gpuE9ELNS1_3repE0EEENS1_30default_config_static_selectorELNS0_4arch9wavefront6targetE1EEEvT1_.has_dyn_sized_stack, 0
	.set _ZN7rocprim17ROCPRIM_400000_NS6detail17trampoline_kernelINS0_14default_configENS1_25transform_config_selectorIjLb0EEEZNS1_14transform_implILb0ES3_S5_NS0_18transform_iteratorINS0_17counting_iteratorImlEEZNS1_24adjacent_difference_implIS3_Lb1ELb0EPjSB_N6thrust23THRUST_200600_302600_NS5minusIjEEEE10hipError_tPvRmT2_T3_mT4_P12ihipStream_tbEUlmE_jEESB_NS0_8identityIvEEEESG_SJ_SK_mSL_SN_bEUlT_E_NS1_11comp_targetILNS1_3genE5ELNS1_11target_archE942ELNS1_3gpuE9ELNS1_3repE0EEENS1_30default_config_static_selectorELNS0_4arch9wavefront6targetE1EEEvT1_.has_recursion, 0
	.set _ZN7rocprim17ROCPRIM_400000_NS6detail17trampoline_kernelINS0_14default_configENS1_25transform_config_selectorIjLb0EEEZNS1_14transform_implILb0ES3_S5_NS0_18transform_iteratorINS0_17counting_iteratorImlEEZNS1_24adjacent_difference_implIS3_Lb1ELb0EPjSB_N6thrust23THRUST_200600_302600_NS5minusIjEEEE10hipError_tPvRmT2_T3_mT4_P12ihipStream_tbEUlmE_jEESB_NS0_8identityIvEEEESG_SJ_SK_mSL_SN_bEUlT_E_NS1_11comp_targetILNS1_3genE5ELNS1_11target_archE942ELNS1_3gpuE9ELNS1_3repE0EEENS1_30default_config_static_selectorELNS0_4arch9wavefront6targetE1EEEvT1_.has_indirect_call, 0
	.section	.AMDGPU.csdata,"",@progbits
; Kernel info:
; codeLenInByte = 0
; TotalNumSgprs: 4
; NumVgprs: 0
; ScratchSize: 0
; MemoryBound: 0
; FloatMode: 240
; IeeeMode: 1
; LDSByteSize: 0 bytes/workgroup (compile time only)
; SGPRBlocks: 0
; VGPRBlocks: 0
; NumSGPRsForWavesPerEU: 4
; NumVGPRsForWavesPerEU: 1
; Occupancy: 10
; WaveLimiterHint : 0
; COMPUTE_PGM_RSRC2:SCRATCH_EN: 0
; COMPUTE_PGM_RSRC2:USER_SGPR: 6
; COMPUTE_PGM_RSRC2:TRAP_HANDLER: 0
; COMPUTE_PGM_RSRC2:TGID_X_EN: 1
; COMPUTE_PGM_RSRC2:TGID_Y_EN: 0
; COMPUTE_PGM_RSRC2:TGID_Z_EN: 0
; COMPUTE_PGM_RSRC2:TIDIG_COMP_CNT: 0
	.section	.text._ZN7rocprim17ROCPRIM_400000_NS6detail17trampoline_kernelINS0_14default_configENS1_25transform_config_selectorIjLb0EEEZNS1_14transform_implILb0ES3_S5_NS0_18transform_iteratorINS0_17counting_iteratorImlEEZNS1_24adjacent_difference_implIS3_Lb1ELb0EPjSB_N6thrust23THRUST_200600_302600_NS5minusIjEEEE10hipError_tPvRmT2_T3_mT4_P12ihipStream_tbEUlmE_jEESB_NS0_8identityIvEEEESG_SJ_SK_mSL_SN_bEUlT_E_NS1_11comp_targetILNS1_3genE4ELNS1_11target_archE910ELNS1_3gpuE8ELNS1_3repE0EEENS1_30default_config_static_selectorELNS0_4arch9wavefront6targetE1EEEvT1_,"axG",@progbits,_ZN7rocprim17ROCPRIM_400000_NS6detail17trampoline_kernelINS0_14default_configENS1_25transform_config_selectorIjLb0EEEZNS1_14transform_implILb0ES3_S5_NS0_18transform_iteratorINS0_17counting_iteratorImlEEZNS1_24adjacent_difference_implIS3_Lb1ELb0EPjSB_N6thrust23THRUST_200600_302600_NS5minusIjEEEE10hipError_tPvRmT2_T3_mT4_P12ihipStream_tbEUlmE_jEESB_NS0_8identityIvEEEESG_SJ_SK_mSL_SN_bEUlT_E_NS1_11comp_targetILNS1_3genE4ELNS1_11target_archE910ELNS1_3gpuE8ELNS1_3repE0EEENS1_30default_config_static_selectorELNS0_4arch9wavefront6targetE1EEEvT1_,comdat
	.protected	_ZN7rocprim17ROCPRIM_400000_NS6detail17trampoline_kernelINS0_14default_configENS1_25transform_config_selectorIjLb0EEEZNS1_14transform_implILb0ES3_S5_NS0_18transform_iteratorINS0_17counting_iteratorImlEEZNS1_24adjacent_difference_implIS3_Lb1ELb0EPjSB_N6thrust23THRUST_200600_302600_NS5minusIjEEEE10hipError_tPvRmT2_T3_mT4_P12ihipStream_tbEUlmE_jEESB_NS0_8identityIvEEEESG_SJ_SK_mSL_SN_bEUlT_E_NS1_11comp_targetILNS1_3genE4ELNS1_11target_archE910ELNS1_3gpuE8ELNS1_3repE0EEENS1_30default_config_static_selectorELNS0_4arch9wavefront6targetE1EEEvT1_ ; -- Begin function _ZN7rocprim17ROCPRIM_400000_NS6detail17trampoline_kernelINS0_14default_configENS1_25transform_config_selectorIjLb0EEEZNS1_14transform_implILb0ES3_S5_NS0_18transform_iteratorINS0_17counting_iteratorImlEEZNS1_24adjacent_difference_implIS3_Lb1ELb0EPjSB_N6thrust23THRUST_200600_302600_NS5minusIjEEEE10hipError_tPvRmT2_T3_mT4_P12ihipStream_tbEUlmE_jEESB_NS0_8identityIvEEEESG_SJ_SK_mSL_SN_bEUlT_E_NS1_11comp_targetILNS1_3genE4ELNS1_11target_archE910ELNS1_3gpuE8ELNS1_3repE0EEENS1_30default_config_static_selectorELNS0_4arch9wavefront6targetE1EEEvT1_
	.globl	_ZN7rocprim17ROCPRIM_400000_NS6detail17trampoline_kernelINS0_14default_configENS1_25transform_config_selectorIjLb0EEEZNS1_14transform_implILb0ES3_S5_NS0_18transform_iteratorINS0_17counting_iteratorImlEEZNS1_24adjacent_difference_implIS3_Lb1ELb0EPjSB_N6thrust23THRUST_200600_302600_NS5minusIjEEEE10hipError_tPvRmT2_T3_mT4_P12ihipStream_tbEUlmE_jEESB_NS0_8identityIvEEEESG_SJ_SK_mSL_SN_bEUlT_E_NS1_11comp_targetILNS1_3genE4ELNS1_11target_archE910ELNS1_3gpuE8ELNS1_3repE0EEENS1_30default_config_static_selectorELNS0_4arch9wavefront6targetE1EEEvT1_
	.p2align	8
	.type	_ZN7rocprim17ROCPRIM_400000_NS6detail17trampoline_kernelINS0_14default_configENS1_25transform_config_selectorIjLb0EEEZNS1_14transform_implILb0ES3_S5_NS0_18transform_iteratorINS0_17counting_iteratorImlEEZNS1_24adjacent_difference_implIS3_Lb1ELb0EPjSB_N6thrust23THRUST_200600_302600_NS5minusIjEEEE10hipError_tPvRmT2_T3_mT4_P12ihipStream_tbEUlmE_jEESB_NS0_8identityIvEEEESG_SJ_SK_mSL_SN_bEUlT_E_NS1_11comp_targetILNS1_3genE4ELNS1_11target_archE910ELNS1_3gpuE8ELNS1_3repE0EEENS1_30default_config_static_selectorELNS0_4arch9wavefront6targetE1EEEvT1_,@function
_ZN7rocprim17ROCPRIM_400000_NS6detail17trampoline_kernelINS0_14default_configENS1_25transform_config_selectorIjLb0EEEZNS1_14transform_implILb0ES3_S5_NS0_18transform_iteratorINS0_17counting_iteratorImlEEZNS1_24adjacent_difference_implIS3_Lb1ELb0EPjSB_N6thrust23THRUST_200600_302600_NS5minusIjEEEE10hipError_tPvRmT2_T3_mT4_P12ihipStream_tbEUlmE_jEESB_NS0_8identityIvEEEESG_SJ_SK_mSL_SN_bEUlT_E_NS1_11comp_targetILNS1_3genE4ELNS1_11target_archE910ELNS1_3gpuE8ELNS1_3repE0EEENS1_30default_config_static_selectorELNS0_4arch9wavefront6targetE1EEEvT1_: ; @_ZN7rocprim17ROCPRIM_400000_NS6detail17trampoline_kernelINS0_14default_configENS1_25transform_config_selectorIjLb0EEEZNS1_14transform_implILb0ES3_S5_NS0_18transform_iteratorINS0_17counting_iteratorImlEEZNS1_24adjacent_difference_implIS3_Lb1ELb0EPjSB_N6thrust23THRUST_200600_302600_NS5minusIjEEEE10hipError_tPvRmT2_T3_mT4_P12ihipStream_tbEUlmE_jEESB_NS0_8identityIvEEEESG_SJ_SK_mSL_SN_bEUlT_E_NS1_11comp_targetILNS1_3genE4ELNS1_11target_archE910ELNS1_3gpuE8ELNS1_3repE0EEENS1_30default_config_static_selectorELNS0_4arch9wavefront6targetE1EEEvT1_
; %bb.0:
	.section	.rodata,"a",@progbits
	.p2align	6, 0x0
	.amdhsa_kernel _ZN7rocprim17ROCPRIM_400000_NS6detail17trampoline_kernelINS0_14default_configENS1_25transform_config_selectorIjLb0EEEZNS1_14transform_implILb0ES3_S5_NS0_18transform_iteratorINS0_17counting_iteratorImlEEZNS1_24adjacent_difference_implIS3_Lb1ELb0EPjSB_N6thrust23THRUST_200600_302600_NS5minusIjEEEE10hipError_tPvRmT2_T3_mT4_P12ihipStream_tbEUlmE_jEESB_NS0_8identityIvEEEESG_SJ_SK_mSL_SN_bEUlT_E_NS1_11comp_targetILNS1_3genE4ELNS1_11target_archE910ELNS1_3gpuE8ELNS1_3repE0EEENS1_30default_config_static_selectorELNS0_4arch9wavefront6targetE1EEEvT1_
		.amdhsa_group_segment_fixed_size 0
		.amdhsa_private_segment_fixed_size 0
		.amdhsa_kernarg_size 56
		.amdhsa_user_sgpr_count 6
		.amdhsa_user_sgpr_private_segment_buffer 1
		.amdhsa_user_sgpr_dispatch_ptr 0
		.amdhsa_user_sgpr_queue_ptr 0
		.amdhsa_user_sgpr_kernarg_segment_ptr 1
		.amdhsa_user_sgpr_dispatch_id 0
		.amdhsa_user_sgpr_flat_scratch_init 0
		.amdhsa_user_sgpr_private_segment_size 0
		.amdhsa_uses_dynamic_stack 0
		.amdhsa_system_sgpr_private_segment_wavefront_offset 0
		.amdhsa_system_sgpr_workgroup_id_x 1
		.amdhsa_system_sgpr_workgroup_id_y 0
		.amdhsa_system_sgpr_workgroup_id_z 0
		.amdhsa_system_sgpr_workgroup_info 0
		.amdhsa_system_vgpr_workitem_id 0
		.amdhsa_next_free_vgpr 1
		.amdhsa_next_free_sgpr 0
		.amdhsa_reserve_vcc 0
		.amdhsa_reserve_flat_scratch 0
		.amdhsa_float_round_mode_32 0
		.amdhsa_float_round_mode_16_64 0
		.amdhsa_float_denorm_mode_32 3
		.amdhsa_float_denorm_mode_16_64 3
		.amdhsa_dx10_clamp 1
		.amdhsa_ieee_mode 1
		.amdhsa_fp16_overflow 0
		.amdhsa_exception_fp_ieee_invalid_op 0
		.amdhsa_exception_fp_denorm_src 0
		.amdhsa_exception_fp_ieee_div_zero 0
		.amdhsa_exception_fp_ieee_overflow 0
		.amdhsa_exception_fp_ieee_underflow 0
		.amdhsa_exception_fp_ieee_inexact 0
		.amdhsa_exception_int_div_zero 0
	.end_amdhsa_kernel
	.section	.text._ZN7rocprim17ROCPRIM_400000_NS6detail17trampoline_kernelINS0_14default_configENS1_25transform_config_selectorIjLb0EEEZNS1_14transform_implILb0ES3_S5_NS0_18transform_iteratorINS0_17counting_iteratorImlEEZNS1_24adjacent_difference_implIS3_Lb1ELb0EPjSB_N6thrust23THRUST_200600_302600_NS5minusIjEEEE10hipError_tPvRmT2_T3_mT4_P12ihipStream_tbEUlmE_jEESB_NS0_8identityIvEEEESG_SJ_SK_mSL_SN_bEUlT_E_NS1_11comp_targetILNS1_3genE4ELNS1_11target_archE910ELNS1_3gpuE8ELNS1_3repE0EEENS1_30default_config_static_selectorELNS0_4arch9wavefront6targetE1EEEvT1_,"axG",@progbits,_ZN7rocprim17ROCPRIM_400000_NS6detail17trampoline_kernelINS0_14default_configENS1_25transform_config_selectorIjLb0EEEZNS1_14transform_implILb0ES3_S5_NS0_18transform_iteratorINS0_17counting_iteratorImlEEZNS1_24adjacent_difference_implIS3_Lb1ELb0EPjSB_N6thrust23THRUST_200600_302600_NS5minusIjEEEE10hipError_tPvRmT2_T3_mT4_P12ihipStream_tbEUlmE_jEESB_NS0_8identityIvEEEESG_SJ_SK_mSL_SN_bEUlT_E_NS1_11comp_targetILNS1_3genE4ELNS1_11target_archE910ELNS1_3gpuE8ELNS1_3repE0EEENS1_30default_config_static_selectorELNS0_4arch9wavefront6targetE1EEEvT1_,comdat
.Lfunc_end165:
	.size	_ZN7rocprim17ROCPRIM_400000_NS6detail17trampoline_kernelINS0_14default_configENS1_25transform_config_selectorIjLb0EEEZNS1_14transform_implILb0ES3_S5_NS0_18transform_iteratorINS0_17counting_iteratorImlEEZNS1_24adjacent_difference_implIS3_Lb1ELb0EPjSB_N6thrust23THRUST_200600_302600_NS5minusIjEEEE10hipError_tPvRmT2_T3_mT4_P12ihipStream_tbEUlmE_jEESB_NS0_8identityIvEEEESG_SJ_SK_mSL_SN_bEUlT_E_NS1_11comp_targetILNS1_3genE4ELNS1_11target_archE910ELNS1_3gpuE8ELNS1_3repE0EEENS1_30default_config_static_selectorELNS0_4arch9wavefront6targetE1EEEvT1_, .Lfunc_end165-_ZN7rocprim17ROCPRIM_400000_NS6detail17trampoline_kernelINS0_14default_configENS1_25transform_config_selectorIjLb0EEEZNS1_14transform_implILb0ES3_S5_NS0_18transform_iteratorINS0_17counting_iteratorImlEEZNS1_24adjacent_difference_implIS3_Lb1ELb0EPjSB_N6thrust23THRUST_200600_302600_NS5minusIjEEEE10hipError_tPvRmT2_T3_mT4_P12ihipStream_tbEUlmE_jEESB_NS0_8identityIvEEEESG_SJ_SK_mSL_SN_bEUlT_E_NS1_11comp_targetILNS1_3genE4ELNS1_11target_archE910ELNS1_3gpuE8ELNS1_3repE0EEENS1_30default_config_static_selectorELNS0_4arch9wavefront6targetE1EEEvT1_
                                        ; -- End function
	.set _ZN7rocprim17ROCPRIM_400000_NS6detail17trampoline_kernelINS0_14default_configENS1_25transform_config_selectorIjLb0EEEZNS1_14transform_implILb0ES3_S5_NS0_18transform_iteratorINS0_17counting_iteratorImlEEZNS1_24adjacent_difference_implIS3_Lb1ELb0EPjSB_N6thrust23THRUST_200600_302600_NS5minusIjEEEE10hipError_tPvRmT2_T3_mT4_P12ihipStream_tbEUlmE_jEESB_NS0_8identityIvEEEESG_SJ_SK_mSL_SN_bEUlT_E_NS1_11comp_targetILNS1_3genE4ELNS1_11target_archE910ELNS1_3gpuE8ELNS1_3repE0EEENS1_30default_config_static_selectorELNS0_4arch9wavefront6targetE1EEEvT1_.num_vgpr, 0
	.set _ZN7rocprim17ROCPRIM_400000_NS6detail17trampoline_kernelINS0_14default_configENS1_25transform_config_selectorIjLb0EEEZNS1_14transform_implILb0ES3_S5_NS0_18transform_iteratorINS0_17counting_iteratorImlEEZNS1_24adjacent_difference_implIS3_Lb1ELb0EPjSB_N6thrust23THRUST_200600_302600_NS5minusIjEEEE10hipError_tPvRmT2_T3_mT4_P12ihipStream_tbEUlmE_jEESB_NS0_8identityIvEEEESG_SJ_SK_mSL_SN_bEUlT_E_NS1_11comp_targetILNS1_3genE4ELNS1_11target_archE910ELNS1_3gpuE8ELNS1_3repE0EEENS1_30default_config_static_selectorELNS0_4arch9wavefront6targetE1EEEvT1_.num_agpr, 0
	.set _ZN7rocprim17ROCPRIM_400000_NS6detail17trampoline_kernelINS0_14default_configENS1_25transform_config_selectorIjLb0EEEZNS1_14transform_implILb0ES3_S5_NS0_18transform_iteratorINS0_17counting_iteratorImlEEZNS1_24adjacent_difference_implIS3_Lb1ELb0EPjSB_N6thrust23THRUST_200600_302600_NS5minusIjEEEE10hipError_tPvRmT2_T3_mT4_P12ihipStream_tbEUlmE_jEESB_NS0_8identityIvEEEESG_SJ_SK_mSL_SN_bEUlT_E_NS1_11comp_targetILNS1_3genE4ELNS1_11target_archE910ELNS1_3gpuE8ELNS1_3repE0EEENS1_30default_config_static_selectorELNS0_4arch9wavefront6targetE1EEEvT1_.numbered_sgpr, 0
	.set _ZN7rocprim17ROCPRIM_400000_NS6detail17trampoline_kernelINS0_14default_configENS1_25transform_config_selectorIjLb0EEEZNS1_14transform_implILb0ES3_S5_NS0_18transform_iteratorINS0_17counting_iteratorImlEEZNS1_24adjacent_difference_implIS3_Lb1ELb0EPjSB_N6thrust23THRUST_200600_302600_NS5minusIjEEEE10hipError_tPvRmT2_T3_mT4_P12ihipStream_tbEUlmE_jEESB_NS0_8identityIvEEEESG_SJ_SK_mSL_SN_bEUlT_E_NS1_11comp_targetILNS1_3genE4ELNS1_11target_archE910ELNS1_3gpuE8ELNS1_3repE0EEENS1_30default_config_static_selectorELNS0_4arch9wavefront6targetE1EEEvT1_.num_named_barrier, 0
	.set _ZN7rocprim17ROCPRIM_400000_NS6detail17trampoline_kernelINS0_14default_configENS1_25transform_config_selectorIjLb0EEEZNS1_14transform_implILb0ES3_S5_NS0_18transform_iteratorINS0_17counting_iteratorImlEEZNS1_24adjacent_difference_implIS3_Lb1ELb0EPjSB_N6thrust23THRUST_200600_302600_NS5minusIjEEEE10hipError_tPvRmT2_T3_mT4_P12ihipStream_tbEUlmE_jEESB_NS0_8identityIvEEEESG_SJ_SK_mSL_SN_bEUlT_E_NS1_11comp_targetILNS1_3genE4ELNS1_11target_archE910ELNS1_3gpuE8ELNS1_3repE0EEENS1_30default_config_static_selectorELNS0_4arch9wavefront6targetE1EEEvT1_.private_seg_size, 0
	.set _ZN7rocprim17ROCPRIM_400000_NS6detail17trampoline_kernelINS0_14default_configENS1_25transform_config_selectorIjLb0EEEZNS1_14transform_implILb0ES3_S5_NS0_18transform_iteratorINS0_17counting_iteratorImlEEZNS1_24adjacent_difference_implIS3_Lb1ELb0EPjSB_N6thrust23THRUST_200600_302600_NS5minusIjEEEE10hipError_tPvRmT2_T3_mT4_P12ihipStream_tbEUlmE_jEESB_NS0_8identityIvEEEESG_SJ_SK_mSL_SN_bEUlT_E_NS1_11comp_targetILNS1_3genE4ELNS1_11target_archE910ELNS1_3gpuE8ELNS1_3repE0EEENS1_30default_config_static_selectorELNS0_4arch9wavefront6targetE1EEEvT1_.uses_vcc, 0
	.set _ZN7rocprim17ROCPRIM_400000_NS6detail17trampoline_kernelINS0_14default_configENS1_25transform_config_selectorIjLb0EEEZNS1_14transform_implILb0ES3_S5_NS0_18transform_iteratorINS0_17counting_iteratorImlEEZNS1_24adjacent_difference_implIS3_Lb1ELb0EPjSB_N6thrust23THRUST_200600_302600_NS5minusIjEEEE10hipError_tPvRmT2_T3_mT4_P12ihipStream_tbEUlmE_jEESB_NS0_8identityIvEEEESG_SJ_SK_mSL_SN_bEUlT_E_NS1_11comp_targetILNS1_3genE4ELNS1_11target_archE910ELNS1_3gpuE8ELNS1_3repE0EEENS1_30default_config_static_selectorELNS0_4arch9wavefront6targetE1EEEvT1_.uses_flat_scratch, 0
	.set _ZN7rocprim17ROCPRIM_400000_NS6detail17trampoline_kernelINS0_14default_configENS1_25transform_config_selectorIjLb0EEEZNS1_14transform_implILb0ES3_S5_NS0_18transform_iteratorINS0_17counting_iteratorImlEEZNS1_24adjacent_difference_implIS3_Lb1ELb0EPjSB_N6thrust23THRUST_200600_302600_NS5minusIjEEEE10hipError_tPvRmT2_T3_mT4_P12ihipStream_tbEUlmE_jEESB_NS0_8identityIvEEEESG_SJ_SK_mSL_SN_bEUlT_E_NS1_11comp_targetILNS1_3genE4ELNS1_11target_archE910ELNS1_3gpuE8ELNS1_3repE0EEENS1_30default_config_static_selectorELNS0_4arch9wavefront6targetE1EEEvT1_.has_dyn_sized_stack, 0
	.set _ZN7rocprim17ROCPRIM_400000_NS6detail17trampoline_kernelINS0_14default_configENS1_25transform_config_selectorIjLb0EEEZNS1_14transform_implILb0ES3_S5_NS0_18transform_iteratorINS0_17counting_iteratorImlEEZNS1_24adjacent_difference_implIS3_Lb1ELb0EPjSB_N6thrust23THRUST_200600_302600_NS5minusIjEEEE10hipError_tPvRmT2_T3_mT4_P12ihipStream_tbEUlmE_jEESB_NS0_8identityIvEEEESG_SJ_SK_mSL_SN_bEUlT_E_NS1_11comp_targetILNS1_3genE4ELNS1_11target_archE910ELNS1_3gpuE8ELNS1_3repE0EEENS1_30default_config_static_selectorELNS0_4arch9wavefront6targetE1EEEvT1_.has_recursion, 0
	.set _ZN7rocprim17ROCPRIM_400000_NS6detail17trampoline_kernelINS0_14default_configENS1_25transform_config_selectorIjLb0EEEZNS1_14transform_implILb0ES3_S5_NS0_18transform_iteratorINS0_17counting_iteratorImlEEZNS1_24adjacent_difference_implIS3_Lb1ELb0EPjSB_N6thrust23THRUST_200600_302600_NS5minusIjEEEE10hipError_tPvRmT2_T3_mT4_P12ihipStream_tbEUlmE_jEESB_NS0_8identityIvEEEESG_SJ_SK_mSL_SN_bEUlT_E_NS1_11comp_targetILNS1_3genE4ELNS1_11target_archE910ELNS1_3gpuE8ELNS1_3repE0EEENS1_30default_config_static_selectorELNS0_4arch9wavefront6targetE1EEEvT1_.has_indirect_call, 0
	.section	.AMDGPU.csdata,"",@progbits
; Kernel info:
; codeLenInByte = 0
; TotalNumSgprs: 4
; NumVgprs: 0
; ScratchSize: 0
; MemoryBound: 0
; FloatMode: 240
; IeeeMode: 1
; LDSByteSize: 0 bytes/workgroup (compile time only)
; SGPRBlocks: 0
; VGPRBlocks: 0
; NumSGPRsForWavesPerEU: 4
; NumVGPRsForWavesPerEU: 1
; Occupancy: 10
; WaveLimiterHint : 0
; COMPUTE_PGM_RSRC2:SCRATCH_EN: 0
; COMPUTE_PGM_RSRC2:USER_SGPR: 6
; COMPUTE_PGM_RSRC2:TRAP_HANDLER: 0
; COMPUTE_PGM_RSRC2:TGID_X_EN: 1
; COMPUTE_PGM_RSRC2:TGID_Y_EN: 0
; COMPUTE_PGM_RSRC2:TGID_Z_EN: 0
; COMPUTE_PGM_RSRC2:TIDIG_COMP_CNT: 0
	.section	.text._ZN7rocprim17ROCPRIM_400000_NS6detail17trampoline_kernelINS0_14default_configENS1_25transform_config_selectorIjLb0EEEZNS1_14transform_implILb0ES3_S5_NS0_18transform_iteratorINS0_17counting_iteratorImlEEZNS1_24adjacent_difference_implIS3_Lb1ELb0EPjSB_N6thrust23THRUST_200600_302600_NS5minusIjEEEE10hipError_tPvRmT2_T3_mT4_P12ihipStream_tbEUlmE_jEESB_NS0_8identityIvEEEESG_SJ_SK_mSL_SN_bEUlT_E_NS1_11comp_targetILNS1_3genE3ELNS1_11target_archE908ELNS1_3gpuE7ELNS1_3repE0EEENS1_30default_config_static_selectorELNS0_4arch9wavefront6targetE1EEEvT1_,"axG",@progbits,_ZN7rocprim17ROCPRIM_400000_NS6detail17trampoline_kernelINS0_14default_configENS1_25transform_config_selectorIjLb0EEEZNS1_14transform_implILb0ES3_S5_NS0_18transform_iteratorINS0_17counting_iteratorImlEEZNS1_24adjacent_difference_implIS3_Lb1ELb0EPjSB_N6thrust23THRUST_200600_302600_NS5minusIjEEEE10hipError_tPvRmT2_T3_mT4_P12ihipStream_tbEUlmE_jEESB_NS0_8identityIvEEEESG_SJ_SK_mSL_SN_bEUlT_E_NS1_11comp_targetILNS1_3genE3ELNS1_11target_archE908ELNS1_3gpuE7ELNS1_3repE0EEENS1_30default_config_static_selectorELNS0_4arch9wavefront6targetE1EEEvT1_,comdat
	.protected	_ZN7rocprim17ROCPRIM_400000_NS6detail17trampoline_kernelINS0_14default_configENS1_25transform_config_selectorIjLb0EEEZNS1_14transform_implILb0ES3_S5_NS0_18transform_iteratorINS0_17counting_iteratorImlEEZNS1_24adjacent_difference_implIS3_Lb1ELb0EPjSB_N6thrust23THRUST_200600_302600_NS5minusIjEEEE10hipError_tPvRmT2_T3_mT4_P12ihipStream_tbEUlmE_jEESB_NS0_8identityIvEEEESG_SJ_SK_mSL_SN_bEUlT_E_NS1_11comp_targetILNS1_3genE3ELNS1_11target_archE908ELNS1_3gpuE7ELNS1_3repE0EEENS1_30default_config_static_selectorELNS0_4arch9wavefront6targetE1EEEvT1_ ; -- Begin function _ZN7rocprim17ROCPRIM_400000_NS6detail17trampoline_kernelINS0_14default_configENS1_25transform_config_selectorIjLb0EEEZNS1_14transform_implILb0ES3_S5_NS0_18transform_iteratorINS0_17counting_iteratorImlEEZNS1_24adjacent_difference_implIS3_Lb1ELb0EPjSB_N6thrust23THRUST_200600_302600_NS5minusIjEEEE10hipError_tPvRmT2_T3_mT4_P12ihipStream_tbEUlmE_jEESB_NS0_8identityIvEEEESG_SJ_SK_mSL_SN_bEUlT_E_NS1_11comp_targetILNS1_3genE3ELNS1_11target_archE908ELNS1_3gpuE7ELNS1_3repE0EEENS1_30default_config_static_selectorELNS0_4arch9wavefront6targetE1EEEvT1_
	.globl	_ZN7rocprim17ROCPRIM_400000_NS6detail17trampoline_kernelINS0_14default_configENS1_25transform_config_selectorIjLb0EEEZNS1_14transform_implILb0ES3_S5_NS0_18transform_iteratorINS0_17counting_iteratorImlEEZNS1_24adjacent_difference_implIS3_Lb1ELb0EPjSB_N6thrust23THRUST_200600_302600_NS5minusIjEEEE10hipError_tPvRmT2_T3_mT4_P12ihipStream_tbEUlmE_jEESB_NS0_8identityIvEEEESG_SJ_SK_mSL_SN_bEUlT_E_NS1_11comp_targetILNS1_3genE3ELNS1_11target_archE908ELNS1_3gpuE7ELNS1_3repE0EEENS1_30default_config_static_selectorELNS0_4arch9wavefront6targetE1EEEvT1_
	.p2align	8
	.type	_ZN7rocprim17ROCPRIM_400000_NS6detail17trampoline_kernelINS0_14default_configENS1_25transform_config_selectorIjLb0EEEZNS1_14transform_implILb0ES3_S5_NS0_18transform_iteratorINS0_17counting_iteratorImlEEZNS1_24adjacent_difference_implIS3_Lb1ELb0EPjSB_N6thrust23THRUST_200600_302600_NS5minusIjEEEE10hipError_tPvRmT2_T3_mT4_P12ihipStream_tbEUlmE_jEESB_NS0_8identityIvEEEESG_SJ_SK_mSL_SN_bEUlT_E_NS1_11comp_targetILNS1_3genE3ELNS1_11target_archE908ELNS1_3gpuE7ELNS1_3repE0EEENS1_30default_config_static_selectorELNS0_4arch9wavefront6targetE1EEEvT1_,@function
_ZN7rocprim17ROCPRIM_400000_NS6detail17trampoline_kernelINS0_14default_configENS1_25transform_config_selectorIjLb0EEEZNS1_14transform_implILb0ES3_S5_NS0_18transform_iteratorINS0_17counting_iteratorImlEEZNS1_24adjacent_difference_implIS3_Lb1ELb0EPjSB_N6thrust23THRUST_200600_302600_NS5minusIjEEEE10hipError_tPvRmT2_T3_mT4_P12ihipStream_tbEUlmE_jEESB_NS0_8identityIvEEEESG_SJ_SK_mSL_SN_bEUlT_E_NS1_11comp_targetILNS1_3genE3ELNS1_11target_archE908ELNS1_3gpuE7ELNS1_3repE0EEENS1_30default_config_static_selectorELNS0_4arch9wavefront6targetE1EEEvT1_: ; @_ZN7rocprim17ROCPRIM_400000_NS6detail17trampoline_kernelINS0_14default_configENS1_25transform_config_selectorIjLb0EEEZNS1_14transform_implILb0ES3_S5_NS0_18transform_iteratorINS0_17counting_iteratorImlEEZNS1_24adjacent_difference_implIS3_Lb1ELb0EPjSB_N6thrust23THRUST_200600_302600_NS5minusIjEEEE10hipError_tPvRmT2_T3_mT4_P12ihipStream_tbEUlmE_jEESB_NS0_8identityIvEEEESG_SJ_SK_mSL_SN_bEUlT_E_NS1_11comp_targetILNS1_3genE3ELNS1_11target_archE908ELNS1_3gpuE7ELNS1_3repE0EEENS1_30default_config_static_selectorELNS0_4arch9wavefront6targetE1EEEvT1_
; %bb.0:
	.section	.rodata,"a",@progbits
	.p2align	6, 0x0
	.amdhsa_kernel _ZN7rocprim17ROCPRIM_400000_NS6detail17trampoline_kernelINS0_14default_configENS1_25transform_config_selectorIjLb0EEEZNS1_14transform_implILb0ES3_S5_NS0_18transform_iteratorINS0_17counting_iteratorImlEEZNS1_24adjacent_difference_implIS3_Lb1ELb0EPjSB_N6thrust23THRUST_200600_302600_NS5minusIjEEEE10hipError_tPvRmT2_T3_mT4_P12ihipStream_tbEUlmE_jEESB_NS0_8identityIvEEEESG_SJ_SK_mSL_SN_bEUlT_E_NS1_11comp_targetILNS1_3genE3ELNS1_11target_archE908ELNS1_3gpuE7ELNS1_3repE0EEENS1_30default_config_static_selectorELNS0_4arch9wavefront6targetE1EEEvT1_
		.amdhsa_group_segment_fixed_size 0
		.amdhsa_private_segment_fixed_size 0
		.amdhsa_kernarg_size 56
		.amdhsa_user_sgpr_count 6
		.amdhsa_user_sgpr_private_segment_buffer 1
		.amdhsa_user_sgpr_dispatch_ptr 0
		.amdhsa_user_sgpr_queue_ptr 0
		.amdhsa_user_sgpr_kernarg_segment_ptr 1
		.amdhsa_user_sgpr_dispatch_id 0
		.amdhsa_user_sgpr_flat_scratch_init 0
		.amdhsa_user_sgpr_private_segment_size 0
		.amdhsa_uses_dynamic_stack 0
		.amdhsa_system_sgpr_private_segment_wavefront_offset 0
		.amdhsa_system_sgpr_workgroup_id_x 1
		.amdhsa_system_sgpr_workgroup_id_y 0
		.amdhsa_system_sgpr_workgroup_id_z 0
		.amdhsa_system_sgpr_workgroup_info 0
		.amdhsa_system_vgpr_workitem_id 0
		.amdhsa_next_free_vgpr 1
		.amdhsa_next_free_sgpr 0
		.amdhsa_reserve_vcc 0
		.amdhsa_reserve_flat_scratch 0
		.amdhsa_float_round_mode_32 0
		.amdhsa_float_round_mode_16_64 0
		.amdhsa_float_denorm_mode_32 3
		.amdhsa_float_denorm_mode_16_64 3
		.amdhsa_dx10_clamp 1
		.amdhsa_ieee_mode 1
		.amdhsa_fp16_overflow 0
		.amdhsa_exception_fp_ieee_invalid_op 0
		.amdhsa_exception_fp_denorm_src 0
		.amdhsa_exception_fp_ieee_div_zero 0
		.amdhsa_exception_fp_ieee_overflow 0
		.amdhsa_exception_fp_ieee_underflow 0
		.amdhsa_exception_fp_ieee_inexact 0
		.amdhsa_exception_int_div_zero 0
	.end_amdhsa_kernel
	.section	.text._ZN7rocprim17ROCPRIM_400000_NS6detail17trampoline_kernelINS0_14default_configENS1_25transform_config_selectorIjLb0EEEZNS1_14transform_implILb0ES3_S5_NS0_18transform_iteratorINS0_17counting_iteratorImlEEZNS1_24adjacent_difference_implIS3_Lb1ELb0EPjSB_N6thrust23THRUST_200600_302600_NS5minusIjEEEE10hipError_tPvRmT2_T3_mT4_P12ihipStream_tbEUlmE_jEESB_NS0_8identityIvEEEESG_SJ_SK_mSL_SN_bEUlT_E_NS1_11comp_targetILNS1_3genE3ELNS1_11target_archE908ELNS1_3gpuE7ELNS1_3repE0EEENS1_30default_config_static_selectorELNS0_4arch9wavefront6targetE1EEEvT1_,"axG",@progbits,_ZN7rocprim17ROCPRIM_400000_NS6detail17trampoline_kernelINS0_14default_configENS1_25transform_config_selectorIjLb0EEEZNS1_14transform_implILb0ES3_S5_NS0_18transform_iteratorINS0_17counting_iteratorImlEEZNS1_24adjacent_difference_implIS3_Lb1ELb0EPjSB_N6thrust23THRUST_200600_302600_NS5minusIjEEEE10hipError_tPvRmT2_T3_mT4_P12ihipStream_tbEUlmE_jEESB_NS0_8identityIvEEEESG_SJ_SK_mSL_SN_bEUlT_E_NS1_11comp_targetILNS1_3genE3ELNS1_11target_archE908ELNS1_3gpuE7ELNS1_3repE0EEENS1_30default_config_static_selectorELNS0_4arch9wavefront6targetE1EEEvT1_,comdat
.Lfunc_end166:
	.size	_ZN7rocprim17ROCPRIM_400000_NS6detail17trampoline_kernelINS0_14default_configENS1_25transform_config_selectorIjLb0EEEZNS1_14transform_implILb0ES3_S5_NS0_18transform_iteratorINS0_17counting_iteratorImlEEZNS1_24adjacent_difference_implIS3_Lb1ELb0EPjSB_N6thrust23THRUST_200600_302600_NS5minusIjEEEE10hipError_tPvRmT2_T3_mT4_P12ihipStream_tbEUlmE_jEESB_NS0_8identityIvEEEESG_SJ_SK_mSL_SN_bEUlT_E_NS1_11comp_targetILNS1_3genE3ELNS1_11target_archE908ELNS1_3gpuE7ELNS1_3repE0EEENS1_30default_config_static_selectorELNS0_4arch9wavefront6targetE1EEEvT1_, .Lfunc_end166-_ZN7rocprim17ROCPRIM_400000_NS6detail17trampoline_kernelINS0_14default_configENS1_25transform_config_selectorIjLb0EEEZNS1_14transform_implILb0ES3_S5_NS0_18transform_iteratorINS0_17counting_iteratorImlEEZNS1_24adjacent_difference_implIS3_Lb1ELb0EPjSB_N6thrust23THRUST_200600_302600_NS5minusIjEEEE10hipError_tPvRmT2_T3_mT4_P12ihipStream_tbEUlmE_jEESB_NS0_8identityIvEEEESG_SJ_SK_mSL_SN_bEUlT_E_NS1_11comp_targetILNS1_3genE3ELNS1_11target_archE908ELNS1_3gpuE7ELNS1_3repE0EEENS1_30default_config_static_selectorELNS0_4arch9wavefront6targetE1EEEvT1_
                                        ; -- End function
	.set _ZN7rocprim17ROCPRIM_400000_NS6detail17trampoline_kernelINS0_14default_configENS1_25transform_config_selectorIjLb0EEEZNS1_14transform_implILb0ES3_S5_NS0_18transform_iteratorINS0_17counting_iteratorImlEEZNS1_24adjacent_difference_implIS3_Lb1ELb0EPjSB_N6thrust23THRUST_200600_302600_NS5minusIjEEEE10hipError_tPvRmT2_T3_mT4_P12ihipStream_tbEUlmE_jEESB_NS0_8identityIvEEEESG_SJ_SK_mSL_SN_bEUlT_E_NS1_11comp_targetILNS1_3genE3ELNS1_11target_archE908ELNS1_3gpuE7ELNS1_3repE0EEENS1_30default_config_static_selectorELNS0_4arch9wavefront6targetE1EEEvT1_.num_vgpr, 0
	.set _ZN7rocprim17ROCPRIM_400000_NS6detail17trampoline_kernelINS0_14default_configENS1_25transform_config_selectorIjLb0EEEZNS1_14transform_implILb0ES3_S5_NS0_18transform_iteratorINS0_17counting_iteratorImlEEZNS1_24adjacent_difference_implIS3_Lb1ELb0EPjSB_N6thrust23THRUST_200600_302600_NS5minusIjEEEE10hipError_tPvRmT2_T3_mT4_P12ihipStream_tbEUlmE_jEESB_NS0_8identityIvEEEESG_SJ_SK_mSL_SN_bEUlT_E_NS1_11comp_targetILNS1_3genE3ELNS1_11target_archE908ELNS1_3gpuE7ELNS1_3repE0EEENS1_30default_config_static_selectorELNS0_4arch9wavefront6targetE1EEEvT1_.num_agpr, 0
	.set _ZN7rocprim17ROCPRIM_400000_NS6detail17trampoline_kernelINS0_14default_configENS1_25transform_config_selectorIjLb0EEEZNS1_14transform_implILb0ES3_S5_NS0_18transform_iteratorINS0_17counting_iteratorImlEEZNS1_24adjacent_difference_implIS3_Lb1ELb0EPjSB_N6thrust23THRUST_200600_302600_NS5minusIjEEEE10hipError_tPvRmT2_T3_mT4_P12ihipStream_tbEUlmE_jEESB_NS0_8identityIvEEEESG_SJ_SK_mSL_SN_bEUlT_E_NS1_11comp_targetILNS1_3genE3ELNS1_11target_archE908ELNS1_3gpuE7ELNS1_3repE0EEENS1_30default_config_static_selectorELNS0_4arch9wavefront6targetE1EEEvT1_.numbered_sgpr, 0
	.set _ZN7rocprim17ROCPRIM_400000_NS6detail17trampoline_kernelINS0_14default_configENS1_25transform_config_selectorIjLb0EEEZNS1_14transform_implILb0ES3_S5_NS0_18transform_iteratorINS0_17counting_iteratorImlEEZNS1_24adjacent_difference_implIS3_Lb1ELb0EPjSB_N6thrust23THRUST_200600_302600_NS5minusIjEEEE10hipError_tPvRmT2_T3_mT4_P12ihipStream_tbEUlmE_jEESB_NS0_8identityIvEEEESG_SJ_SK_mSL_SN_bEUlT_E_NS1_11comp_targetILNS1_3genE3ELNS1_11target_archE908ELNS1_3gpuE7ELNS1_3repE0EEENS1_30default_config_static_selectorELNS0_4arch9wavefront6targetE1EEEvT1_.num_named_barrier, 0
	.set _ZN7rocprim17ROCPRIM_400000_NS6detail17trampoline_kernelINS0_14default_configENS1_25transform_config_selectorIjLb0EEEZNS1_14transform_implILb0ES3_S5_NS0_18transform_iteratorINS0_17counting_iteratorImlEEZNS1_24adjacent_difference_implIS3_Lb1ELb0EPjSB_N6thrust23THRUST_200600_302600_NS5minusIjEEEE10hipError_tPvRmT2_T3_mT4_P12ihipStream_tbEUlmE_jEESB_NS0_8identityIvEEEESG_SJ_SK_mSL_SN_bEUlT_E_NS1_11comp_targetILNS1_3genE3ELNS1_11target_archE908ELNS1_3gpuE7ELNS1_3repE0EEENS1_30default_config_static_selectorELNS0_4arch9wavefront6targetE1EEEvT1_.private_seg_size, 0
	.set _ZN7rocprim17ROCPRIM_400000_NS6detail17trampoline_kernelINS0_14default_configENS1_25transform_config_selectorIjLb0EEEZNS1_14transform_implILb0ES3_S5_NS0_18transform_iteratorINS0_17counting_iteratorImlEEZNS1_24adjacent_difference_implIS3_Lb1ELb0EPjSB_N6thrust23THRUST_200600_302600_NS5minusIjEEEE10hipError_tPvRmT2_T3_mT4_P12ihipStream_tbEUlmE_jEESB_NS0_8identityIvEEEESG_SJ_SK_mSL_SN_bEUlT_E_NS1_11comp_targetILNS1_3genE3ELNS1_11target_archE908ELNS1_3gpuE7ELNS1_3repE0EEENS1_30default_config_static_selectorELNS0_4arch9wavefront6targetE1EEEvT1_.uses_vcc, 0
	.set _ZN7rocprim17ROCPRIM_400000_NS6detail17trampoline_kernelINS0_14default_configENS1_25transform_config_selectorIjLb0EEEZNS1_14transform_implILb0ES3_S5_NS0_18transform_iteratorINS0_17counting_iteratorImlEEZNS1_24adjacent_difference_implIS3_Lb1ELb0EPjSB_N6thrust23THRUST_200600_302600_NS5minusIjEEEE10hipError_tPvRmT2_T3_mT4_P12ihipStream_tbEUlmE_jEESB_NS0_8identityIvEEEESG_SJ_SK_mSL_SN_bEUlT_E_NS1_11comp_targetILNS1_3genE3ELNS1_11target_archE908ELNS1_3gpuE7ELNS1_3repE0EEENS1_30default_config_static_selectorELNS0_4arch9wavefront6targetE1EEEvT1_.uses_flat_scratch, 0
	.set _ZN7rocprim17ROCPRIM_400000_NS6detail17trampoline_kernelINS0_14default_configENS1_25transform_config_selectorIjLb0EEEZNS1_14transform_implILb0ES3_S5_NS0_18transform_iteratorINS0_17counting_iteratorImlEEZNS1_24adjacent_difference_implIS3_Lb1ELb0EPjSB_N6thrust23THRUST_200600_302600_NS5minusIjEEEE10hipError_tPvRmT2_T3_mT4_P12ihipStream_tbEUlmE_jEESB_NS0_8identityIvEEEESG_SJ_SK_mSL_SN_bEUlT_E_NS1_11comp_targetILNS1_3genE3ELNS1_11target_archE908ELNS1_3gpuE7ELNS1_3repE0EEENS1_30default_config_static_selectorELNS0_4arch9wavefront6targetE1EEEvT1_.has_dyn_sized_stack, 0
	.set _ZN7rocprim17ROCPRIM_400000_NS6detail17trampoline_kernelINS0_14default_configENS1_25transform_config_selectorIjLb0EEEZNS1_14transform_implILb0ES3_S5_NS0_18transform_iteratorINS0_17counting_iteratorImlEEZNS1_24adjacent_difference_implIS3_Lb1ELb0EPjSB_N6thrust23THRUST_200600_302600_NS5minusIjEEEE10hipError_tPvRmT2_T3_mT4_P12ihipStream_tbEUlmE_jEESB_NS0_8identityIvEEEESG_SJ_SK_mSL_SN_bEUlT_E_NS1_11comp_targetILNS1_3genE3ELNS1_11target_archE908ELNS1_3gpuE7ELNS1_3repE0EEENS1_30default_config_static_selectorELNS0_4arch9wavefront6targetE1EEEvT1_.has_recursion, 0
	.set _ZN7rocprim17ROCPRIM_400000_NS6detail17trampoline_kernelINS0_14default_configENS1_25transform_config_selectorIjLb0EEEZNS1_14transform_implILb0ES3_S5_NS0_18transform_iteratorINS0_17counting_iteratorImlEEZNS1_24adjacent_difference_implIS3_Lb1ELb0EPjSB_N6thrust23THRUST_200600_302600_NS5minusIjEEEE10hipError_tPvRmT2_T3_mT4_P12ihipStream_tbEUlmE_jEESB_NS0_8identityIvEEEESG_SJ_SK_mSL_SN_bEUlT_E_NS1_11comp_targetILNS1_3genE3ELNS1_11target_archE908ELNS1_3gpuE7ELNS1_3repE0EEENS1_30default_config_static_selectorELNS0_4arch9wavefront6targetE1EEEvT1_.has_indirect_call, 0
	.section	.AMDGPU.csdata,"",@progbits
; Kernel info:
; codeLenInByte = 0
; TotalNumSgprs: 4
; NumVgprs: 0
; ScratchSize: 0
; MemoryBound: 0
; FloatMode: 240
; IeeeMode: 1
; LDSByteSize: 0 bytes/workgroup (compile time only)
; SGPRBlocks: 0
; VGPRBlocks: 0
; NumSGPRsForWavesPerEU: 4
; NumVGPRsForWavesPerEU: 1
; Occupancy: 10
; WaveLimiterHint : 0
; COMPUTE_PGM_RSRC2:SCRATCH_EN: 0
; COMPUTE_PGM_RSRC2:USER_SGPR: 6
; COMPUTE_PGM_RSRC2:TRAP_HANDLER: 0
; COMPUTE_PGM_RSRC2:TGID_X_EN: 1
; COMPUTE_PGM_RSRC2:TGID_Y_EN: 0
; COMPUTE_PGM_RSRC2:TGID_Z_EN: 0
; COMPUTE_PGM_RSRC2:TIDIG_COMP_CNT: 0
	.section	.text._ZN7rocprim17ROCPRIM_400000_NS6detail17trampoline_kernelINS0_14default_configENS1_25transform_config_selectorIjLb0EEEZNS1_14transform_implILb0ES3_S5_NS0_18transform_iteratorINS0_17counting_iteratorImlEEZNS1_24adjacent_difference_implIS3_Lb1ELb0EPjSB_N6thrust23THRUST_200600_302600_NS5minusIjEEEE10hipError_tPvRmT2_T3_mT4_P12ihipStream_tbEUlmE_jEESB_NS0_8identityIvEEEESG_SJ_SK_mSL_SN_bEUlT_E_NS1_11comp_targetILNS1_3genE2ELNS1_11target_archE906ELNS1_3gpuE6ELNS1_3repE0EEENS1_30default_config_static_selectorELNS0_4arch9wavefront6targetE1EEEvT1_,"axG",@progbits,_ZN7rocprim17ROCPRIM_400000_NS6detail17trampoline_kernelINS0_14default_configENS1_25transform_config_selectorIjLb0EEEZNS1_14transform_implILb0ES3_S5_NS0_18transform_iteratorINS0_17counting_iteratorImlEEZNS1_24adjacent_difference_implIS3_Lb1ELb0EPjSB_N6thrust23THRUST_200600_302600_NS5minusIjEEEE10hipError_tPvRmT2_T3_mT4_P12ihipStream_tbEUlmE_jEESB_NS0_8identityIvEEEESG_SJ_SK_mSL_SN_bEUlT_E_NS1_11comp_targetILNS1_3genE2ELNS1_11target_archE906ELNS1_3gpuE6ELNS1_3repE0EEENS1_30default_config_static_selectorELNS0_4arch9wavefront6targetE1EEEvT1_,comdat
	.protected	_ZN7rocprim17ROCPRIM_400000_NS6detail17trampoline_kernelINS0_14default_configENS1_25transform_config_selectorIjLb0EEEZNS1_14transform_implILb0ES3_S5_NS0_18transform_iteratorINS0_17counting_iteratorImlEEZNS1_24adjacent_difference_implIS3_Lb1ELb0EPjSB_N6thrust23THRUST_200600_302600_NS5minusIjEEEE10hipError_tPvRmT2_T3_mT4_P12ihipStream_tbEUlmE_jEESB_NS0_8identityIvEEEESG_SJ_SK_mSL_SN_bEUlT_E_NS1_11comp_targetILNS1_3genE2ELNS1_11target_archE906ELNS1_3gpuE6ELNS1_3repE0EEENS1_30default_config_static_selectorELNS0_4arch9wavefront6targetE1EEEvT1_ ; -- Begin function _ZN7rocprim17ROCPRIM_400000_NS6detail17trampoline_kernelINS0_14default_configENS1_25transform_config_selectorIjLb0EEEZNS1_14transform_implILb0ES3_S5_NS0_18transform_iteratorINS0_17counting_iteratorImlEEZNS1_24adjacent_difference_implIS3_Lb1ELb0EPjSB_N6thrust23THRUST_200600_302600_NS5minusIjEEEE10hipError_tPvRmT2_T3_mT4_P12ihipStream_tbEUlmE_jEESB_NS0_8identityIvEEEESG_SJ_SK_mSL_SN_bEUlT_E_NS1_11comp_targetILNS1_3genE2ELNS1_11target_archE906ELNS1_3gpuE6ELNS1_3repE0EEENS1_30default_config_static_selectorELNS0_4arch9wavefront6targetE1EEEvT1_
	.globl	_ZN7rocprim17ROCPRIM_400000_NS6detail17trampoline_kernelINS0_14default_configENS1_25transform_config_selectorIjLb0EEEZNS1_14transform_implILb0ES3_S5_NS0_18transform_iteratorINS0_17counting_iteratorImlEEZNS1_24adjacent_difference_implIS3_Lb1ELb0EPjSB_N6thrust23THRUST_200600_302600_NS5minusIjEEEE10hipError_tPvRmT2_T3_mT4_P12ihipStream_tbEUlmE_jEESB_NS0_8identityIvEEEESG_SJ_SK_mSL_SN_bEUlT_E_NS1_11comp_targetILNS1_3genE2ELNS1_11target_archE906ELNS1_3gpuE6ELNS1_3repE0EEENS1_30default_config_static_selectorELNS0_4arch9wavefront6targetE1EEEvT1_
	.p2align	8
	.type	_ZN7rocprim17ROCPRIM_400000_NS6detail17trampoline_kernelINS0_14default_configENS1_25transform_config_selectorIjLb0EEEZNS1_14transform_implILb0ES3_S5_NS0_18transform_iteratorINS0_17counting_iteratorImlEEZNS1_24adjacent_difference_implIS3_Lb1ELb0EPjSB_N6thrust23THRUST_200600_302600_NS5minusIjEEEE10hipError_tPvRmT2_T3_mT4_P12ihipStream_tbEUlmE_jEESB_NS0_8identityIvEEEESG_SJ_SK_mSL_SN_bEUlT_E_NS1_11comp_targetILNS1_3genE2ELNS1_11target_archE906ELNS1_3gpuE6ELNS1_3repE0EEENS1_30default_config_static_selectorELNS0_4arch9wavefront6targetE1EEEvT1_,@function
_ZN7rocprim17ROCPRIM_400000_NS6detail17trampoline_kernelINS0_14default_configENS1_25transform_config_selectorIjLb0EEEZNS1_14transform_implILb0ES3_S5_NS0_18transform_iteratorINS0_17counting_iteratorImlEEZNS1_24adjacent_difference_implIS3_Lb1ELb0EPjSB_N6thrust23THRUST_200600_302600_NS5minusIjEEEE10hipError_tPvRmT2_T3_mT4_P12ihipStream_tbEUlmE_jEESB_NS0_8identityIvEEEESG_SJ_SK_mSL_SN_bEUlT_E_NS1_11comp_targetILNS1_3genE2ELNS1_11target_archE906ELNS1_3gpuE6ELNS1_3repE0EEENS1_30default_config_static_selectorELNS0_4arch9wavefront6targetE1EEEvT1_: ; @_ZN7rocprim17ROCPRIM_400000_NS6detail17trampoline_kernelINS0_14default_configENS1_25transform_config_selectorIjLb0EEEZNS1_14transform_implILb0ES3_S5_NS0_18transform_iteratorINS0_17counting_iteratorImlEEZNS1_24adjacent_difference_implIS3_Lb1ELb0EPjSB_N6thrust23THRUST_200600_302600_NS5minusIjEEEE10hipError_tPvRmT2_T3_mT4_P12ihipStream_tbEUlmE_jEESB_NS0_8identityIvEEEESG_SJ_SK_mSL_SN_bEUlT_E_NS1_11comp_targetILNS1_3genE2ELNS1_11target_archE906ELNS1_3gpuE6ELNS1_3repE0EEENS1_30default_config_static_selectorELNS0_4arch9wavefront6targetE1EEEvT1_
; %bb.0:
	s_load_dwordx4 s[0:3], s[4:5], 0x18
	s_load_dwordx2 s[14:15], s[4:5], 0x28
	s_load_dwordx4 s[8:11], s[4:5], 0x0
	s_load_dword s12, s[4:5], 0x10
	s_waitcnt lgkmcnt(0)
	s_load_dword s3, s[4:5], 0x38
                                        ; kill: killed $sgpr4_sgpr5
	s_lshl_b64 s[4:5], s[0:1], 2
	s_add_u32 s14, s14, s4
	s_addc_u32 s15, s15, s5
	s_lshl_b32 s4, s6, 11
	s_waitcnt lgkmcnt(0)
	s_add_i32 s3, s3, -1
	s_add_u32 s7, s8, s4
	s_addc_u32 s8, s9, 0
	s_add_u32 s16, s7, s0
	s_addc_u32 s17, s8, s1
	s_mov_b32 s5, 0
	s_cmp_lg_u32 s6, s3
	v_lshlrev_b32_e32 v5, 2, v0
	s_cbranch_scc0 .LBB167_2
; %bb.1:
	v_mov_b32_e32 v1, s17
	v_add_co_u32_e32 v2, vcc, s16, v0
	v_addc_co_u32_e32 v3, vcc, 0, v1, vcc
	v_mad_u64_u32 v[1:2], s[0:1], v2, s12, 0
	s_mov_b32 s13, s5
	s_lshl_b64 s[6:7], s[4:5], 2
	v_mad_u64_u32 v[2:3], s[0:1], v3, s12, v[2:3]
	v_mov_b32_e32 v3, s11
	s_lshl_b64 s[0:1], s[12:13], 12
	v_lshlrev_b64 v[1:2], 2, v[1:2]
	s_add_u32 s6, s14, s6
	v_add_co_u32_e32 v1, vcc, s10, v1
	v_addc_co_u32_e32 v2, vcc, v3, v2, vcc
	global_load_dword v6, v[1:2], off
	v_mov_b32_e32 v3, s1
	v_add_co_u32_e32 v1, vcc, s0, v1
	v_addc_co_u32_e32 v2, vcc, v2, v3, vcc
	global_load_dword v1, v[1:2], off
	s_addc_u32 s7, s15, s7
	v_mov_b32_e32 v2, s7
	v_add_co_u32_e32 v3, vcc, s6, v5
	v_addc_co_u32_e32 v4, vcc, 0, v2, vcc
	s_waitcnt vmcnt(1)
	global_store_dword v5, v6, s[6:7]
	s_mov_b64 s[6:7], -1
	s_cbranch_execz .LBB167_3
	s_branch .LBB167_12
.LBB167_2:
	s_mov_b64 s[6:7], 0
                                        ; implicit-def: $vgpr1
                                        ; implicit-def: $vgpr3_vgpr4
.LBB167_3:
	s_sub_i32 s8, s2, s4
	s_waitcnt vmcnt(1)
	v_mov_b32_e32 v1, 0
	v_cmp_gt_u32_e32 vcc, s8, v0
	v_mov_b32_e32 v2, v1
	s_and_saveexec_b64 s[2:3], vcc
	s_cbranch_execz .LBB167_5
; %bb.4:
	v_mov_b32_e32 v2, s17
	v_add_co_u32_e64 v3, s[0:1], s16, v0
	v_addc_co_u32_e64 v4, s[0:1], 0, v2, s[0:1]
	v_mad_u64_u32 v[2:3], s[0:1], v3, s12, 0
	v_mad_u64_u32 v[3:4], s[0:1], v4, s12, v[3:4]
	v_mov_b32_e32 v4, s11
	v_lshlrev_b64 v[2:3], 2, v[2:3]
	v_add_co_u32_e64 v2, s[0:1], s10, v2
	v_addc_co_u32_e64 v3, s[0:1], v4, v3, s[0:1]
	global_load_dword v2, v[2:3], off
	v_mov_b32_e32 v3, v1
	s_waitcnt vmcnt(0)
	v_mov_b32_e32 v1, v2
	v_mov_b32_e32 v2, v3
.LBB167_5:
	s_or_b64 exec, exec, s[2:3]
	v_or_b32_e32 v0, 0x400, v0
	v_cmp_gt_u32_e64 s[0:1], s8, v0
	s_and_saveexec_b64 s[8:9], s[0:1]
	s_cbranch_execz .LBB167_7
; %bb.6:
	v_mov_b32_e32 v2, s17
	v_add_co_u32_e64 v0, s[2:3], s16, v0
	v_addc_co_u32_e64 v4, s[2:3], 0, v2, s[2:3]
	v_mad_u64_u32 v[2:3], s[2:3], v0, s12, 0
	v_mov_b32_e32 v0, v3
	v_mad_u64_u32 v[3:4], s[2:3], v4, s12, v[0:1]
	v_mov_b32_e32 v0, s11
	v_lshlrev_b64 v[2:3], 2, v[2:3]
	v_add_co_u32_e64 v2, s[2:3], s10, v2
	v_addc_co_u32_e64 v3, s[2:3], v0, v3, s[2:3]
	global_load_dword v2, v[2:3], off
.LBB167_7:
	s_or_b64 exec, exec, s[8:9]
	s_lshl_b64 s[2:3], s[4:5], 2
	s_add_u32 s2, s14, s2
	s_addc_u32 s3, s15, s3
	v_cndmask_b32_e32 v0, 0, v1, vcc
	v_mov_b32_e32 v1, s3
	v_add_co_u32_e64 v3, s[2:3], s2, v5
	v_addc_co_u32_e64 v4, s[2:3], 0, v1, s[2:3]
	s_and_saveexec_b64 s[2:3], vcc
	s_cbranch_execz .LBB167_9
; %bb.8:
	global_store_dword v[3:4], v0, off
.LBB167_9:
	s_or_b64 exec, exec, s[2:3]
                                        ; implicit-def: $vgpr1
	s_and_saveexec_b64 s[2:3], s[0:1]
	s_cbranch_execz .LBB167_11
; %bb.10:
	s_waitcnt vmcnt(0)
	v_cndmask_b32_e64 v1, 0, v2, s[0:1]
	s_or_b64 s[6:7], s[6:7], exec
.LBB167_11:
	s_or_b64 exec, exec, s[2:3]
.LBB167_12:
	s_and_saveexec_b64 s[0:1], s[6:7]
	s_cbranch_execnz .LBB167_14
; %bb.13:
	s_endpgm
.LBB167_14:
	s_waitcnt vmcnt(0)
	v_add_co_u32_e32 v2, vcc, 0x1000, v3
	v_addc_co_u32_e32 v3, vcc, 0, v4, vcc
	global_store_dword v[2:3], v1, off
	s_endpgm
	.section	.rodata,"a",@progbits
	.p2align	6, 0x0
	.amdhsa_kernel _ZN7rocprim17ROCPRIM_400000_NS6detail17trampoline_kernelINS0_14default_configENS1_25transform_config_selectorIjLb0EEEZNS1_14transform_implILb0ES3_S5_NS0_18transform_iteratorINS0_17counting_iteratorImlEEZNS1_24adjacent_difference_implIS3_Lb1ELb0EPjSB_N6thrust23THRUST_200600_302600_NS5minusIjEEEE10hipError_tPvRmT2_T3_mT4_P12ihipStream_tbEUlmE_jEESB_NS0_8identityIvEEEESG_SJ_SK_mSL_SN_bEUlT_E_NS1_11comp_targetILNS1_3genE2ELNS1_11target_archE906ELNS1_3gpuE6ELNS1_3repE0EEENS1_30default_config_static_selectorELNS0_4arch9wavefront6targetE1EEEvT1_
		.amdhsa_group_segment_fixed_size 0
		.amdhsa_private_segment_fixed_size 0
		.amdhsa_kernarg_size 312
		.amdhsa_user_sgpr_count 6
		.amdhsa_user_sgpr_private_segment_buffer 1
		.amdhsa_user_sgpr_dispatch_ptr 0
		.amdhsa_user_sgpr_queue_ptr 0
		.amdhsa_user_sgpr_kernarg_segment_ptr 1
		.amdhsa_user_sgpr_dispatch_id 0
		.amdhsa_user_sgpr_flat_scratch_init 0
		.amdhsa_user_sgpr_private_segment_size 0
		.amdhsa_uses_dynamic_stack 0
		.amdhsa_system_sgpr_private_segment_wavefront_offset 0
		.amdhsa_system_sgpr_workgroup_id_x 1
		.amdhsa_system_sgpr_workgroup_id_y 0
		.amdhsa_system_sgpr_workgroup_id_z 0
		.amdhsa_system_sgpr_workgroup_info 0
		.amdhsa_system_vgpr_workitem_id 0
		.amdhsa_next_free_vgpr 7
		.amdhsa_next_free_sgpr 18
		.amdhsa_reserve_vcc 1
		.amdhsa_reserve_flat_scratch 0
		.amdhsa_float_round_mode_32 0
		.amdhsa_float_round_mode_16_64 0
		.amdhsa_float_denorm_mode_32 3
		.amdhsa_float_denorm_mode_16_64 3
		.amdhsa_dx10_clamp 1
		.amdhsa_ieee_mode 1
		.amdhsa_fp16_overflow 0
		.amdhsa_exception_fp_ieee_invalid_op 0
		.amdhsa_exception_fp_denorm_src 0
		.amdhsa_exception_fp_ieee_div_zero 0
		.amdhsa_exception_fp_ieee_overflow 0
		.amdhsa_exception_fp_ieee_underflow 0
		.amdhsa_exception_fp_ieee_inexact 0
		.amdhsa_exception_int_div_zero 0
	.end_amdhsa_kernel
	.section	.text._ZN7rocprim17ROCPRIM_400000_NS6detail17trampoline_kernelINS0_14default_configENS1_25transform_config_selectorIjLb0EEEZNS1_14transform_implILb0ES3_S5_NS0_18transform_iteratorINS0_17counting_iteratorImlEEZNS1_24adjacent_difference_implIS3_Lb1ELb0EPjSB_N6thrust23THRUST_200600_302600_NS5minusIjEEEE10hipError_tPvRmT2_T3_mT4_P12ihipStream_tbEUlmE_jEESB_NS0_8identityIvEEEESG_SJ_SK_mSL_SN_bEUlT_E_NS1_11comp_targetILNS1_3genE2ELNS1_11target_archE906ELNS1_3gpuE6ELNS1_3repE0EEENS1_30default_config_static_selectorELNS0_4arch9wavefront6targetE1EEEvT1_,"axG",@progbits,_ZN7rocprim17ROCPRIM_400000_NS6detail17trampoline_kernelINS0_14default_configENS1_25transform_config_selectorIjLb0EEEZNS1_14transform_implILb0ES3_S5_NS0_18transform_iteratorINS0_17counting_iteratorImlEEZNS1_24adjacent_difference_implIS3_Lb1ELb0EPjSB_N6thrust23THRUST_200600_302600_NS5minusIjEEEE10hipError_tPvRmT2_T3_mT4_P12ihipStream_tbEUlmE_jEESB_NS0_8identityIvEEEESG_SJ_SK_mSL_SN_bEUlT_E_NS1_11comp_targetILNS1_3genE2ELNS1_11target_archE906ELNS1_3gpuE6ELNS1_3repE0EEENS1_30default_config_static_selectorELNS0_4arch9wavefront6targetE1EEEvT1_,comdat
.Lfunc_end167:
	.size	_ZN7rocprim17ROCPRIM_400000_NS6detail17trampoline_kernelINS0_14default_configENS1_25transform_config_selectorIjLb0EEEZNS1_14transform_implILb0ES3_S5_NS0_18transform_iteratorINS0_17counting_iteratorImlEEZNS1_24adjacent_difference_implIS3_Lb1ELb0EPjSB_N6thrust23THRUST_200600_302600_NS5minusIjEEEE10hipError_tPvRmT2_T3_mT4_P12ihipStream_tbEUlmE_jEESB_NS0_8identityIvEEEESG_SJ_SK_mSL_SN_bEUlT_E_NS1_11comp_targetILNS1_3genE2ELNS1_11target_archE906ELNS1_3gpuE6ELNS1_3repE0EEENS1_30default_config_static_selectorELNS0_4arch9wavefront6targetE1EEEvT1_, .Lfunc_end167-_ZN7rocprim17ROCPRIM_400000_NS6detail17trampoline_kernelINS0_14default_configENS1_25transform_config_selectorIjLb0EEEZNS1_14transform_implILb0ES3_S5_NS0_18transform_iteratorINS0_17counting_iteratorImlEEZNS1_24adjacent_difference_implIS3_Lb1ELb0EPjSB_N6thrust23THRUST_200600_302600_NS5minusIjEEEE10hipError_tPvRmT2_T3_mT4_P12ihipStream_tbEUlmE_jEESB_NS0_8identityIvEEEESG_SJ_SK_mSL_SN_bEUlT_E_NS1_11comp_targetILNS1_3genE2ELNS1_11target_archE906ELNS1_3gpuE6ELNS1_3repE0EEENS1_30default_config_static_selectorELNS0_4arch9wavefront6targetE1EEEvT1_
                                        ; -- End function
	.set _ZN7rocprim17ROCPRIM_400000_NS6detail17trampoline_kernelINS0_14default_configENS1_25transform_config_selectorIjLb0EEEZNS1_14transform_implILb0ES3_S5_NS0_18transform_iteratorINS0_17counting_iteratorImlEEZNS1_24adjacent_difference_implIS3_Lb1ELb0EPjSB_N6thrust23THRUST_200600_302600_NS5minusIjEEEE10hipError_tPvRmT2_T3_mT4_P12ihipStream_tbEUlmE_jEESB_NS0_8identityIvEEEESG_SJ_SK_mSL_SN_bEUlT_E_NS1_11comp_targetILNS1_3genE2ELNS1_11target_archE906ELNS1_3gpuE6ELNS1_3repE0EEENS1_30default_config_static_selectorELNS0_4arch9wavefront6targetE1EEEvT1_.num_vgpr, 7
	.set _ZN7rocprim17ROCPRIM_400000_NS6detail17trampoline_kernelINS0_14default_configENS1_25transform_config_selectorIjLb0EEEZNS1_14transform_implILb0ES3_S5_NS0_18transform_iteratorINS0_17counting_iteratorImlEEZNS1_24adjacent_difference_implIS3_Lb1ELb0EPjSB_N6thrust23THRUST_200600_302600_NS5minusIjEEEE10hipError_tPvRmT2_T3_mT4_P12ihipStream_tbEUlmE_jEESB_NS0_8identityIvEEEESG_SJ_SK_mSL_SN_bEUlT_E_NS1_11comp_targetILNS1_3genE2ELNS1_11target_archE906ELNS1_3gpuE6ELNS1_3repE0EEENS1_30default_config_static_selectorELNS0_4arch9wavefront6targetE1EEEvT1_.num_agpr, 0
	.set _ZN7rocprim17ROCPRIM_400000_NS6detail17trampoline_kernelINS0_14default_configENS1_25transform_config_selectorIjLb0EEEZNS1_14transform_implILb0ES3_S5_NS0_18transform_iteratorINS0_17counting_iteratorImlEEZNS1_24adjacent_difference_implIS3_Lb1ELb0EPjSB_N6thrust23THRUST_200600_302600_NS5minusIjEEEE10hipError_tPvRmT2_T3_mT4_P12ihipStream_tbEUlmE_jEESB_NS0_8identityIvEEEESG_SJ_SK_mSL_SN_bEUlT_E_NS1_11comp_targetILNS1_3genE2ELNS1_11target_archE906ELNS1_3gpuE6ELNS1_3repE0EEENS1_30default_config_static_selectorELNS0_4arch9wavefront6targetE1EEEvT1_.numbered_sgpr, 18
	.set _ZN7rocprim17ROCPRIM_400000_NS6detail17trampoline_kernelINS0_14default_configENS1_25transform_config_selectorIjLb0EEEZNS1_14transform_implILb0ES3_S5_NS0_18transform_iteratorINS0_17counting_iteratorImlEEZNS1_24adjacent_difference_implIS3_Lb1ELb0EPjSB_N6thrust23THRUST_200600_302600_NS5minusIjEEEE10hipError_tPvRmT2_T3_mT4_P12ihipStream_tbEUlmE_jEESB_NS0_8identityIvEEEESG_SJ_SK_mSL_SN_bEUlT_E_NS1_11comp_targetILNS1_3genE2ELNS1_11target_archE906ELNS1_3gpuE6ELNS1_3repE0EEENS1_30default_config_static_selectorELNS0_4arch9wavefront6targetE1EEEvT1_.num_named_barrier, 0
	.set _ZN7rocprim17ROCPRIM_400000_NS6detail17trampoline_kernelINS0_14default_configENS1_25transform_config_selectorIjLb0EEEZNS1_14transform_implILb0ES3_S5_NS0_18transform_iteratorINS0_17counting_iteratorImlEEZNS1_24adjacent_difference_implIS3_Lb1ELb0EPjSB_N6thrust23THRUST_200600_302600_NS5minusIjEEEE10hipError_tPvRmT2_T3_mT4_P12ihipStream_tbEUlmE_jEESB_NS0_8identityIvEEEESG_SJ_SK_mSL_SN_bEUlT_E_NS1_11comp_targetILNS1_3genE2ELNS1_11target_archE906ELNS1_3gpuE6ELNS1_3repE0EEENS1_30default_config_static_selectorELNS0_4arch9wavefront6targetE1EEEvT1_.private_seg_size, 0
	.set _ZN7rocprim17ROCPRIM_400000_NS6detail17trampoline_kernelINS0_14default_configENS1_25transform_config_selectorIjLb0EEEZNS1_14transform_implILb0ES3_S5_NS0_18transform_iteratorINS0_17counting_iteratorImlEEZNS1_24adjacent_difference_implIS3_Lb1ELb0EPjSB_N6thrust23THRUST_200600_302600_NS5minusIjEEEE10hipError_tPvRmT2_T3_mT4_P12ihipStream_tbEUlmE_jEESB_NS0_8identityIvEEEESG_SJ_SK_mSL_SN_bEUlT_E_NS1_11comp_targetILNS1_3genE2ELNS1_11target_archE906ELNS1_3gpuE6ELNS1_3repE0EEENS1_30default_config_static_selectorELNS0_4arch9wavefront6targetE1EEEvT1_.uses_vcc, 1
	.set _ZN7rocprim17ROCPRIM_400000_NS6detail17trampoline_kernelINS0_14default_configENS1_25transform_config_selectorIjLb0EEEZNS1_14transform_implILb0ES3_S5_NS0_18transform_iteratorINS0_17counting_iteratorImlEEZNS1_24adjacent_difference_implIS3_Lb1ELb0EPjSB_N6thrust23THRUST_200600_302600_NS5minusIjEEEE10hipError_tPvRmT2_T3_mT4_P12ihipStream_tbEUlmE_jEESB_NS0_8identityIvEEEESG_SJ_SK_mSL_SN_bEUlT_E_NS1_11comp_targetILNS1_3genE2ELNS1_11target_archE906ELNS1_3gpuE6ELNS1_3repE0EEENS1_30default_config_static_selectorELNS0_4arch9wavefront6targetE1EEEvT1_.uses_flat_scratch, 0
	.set _ZN7rocprim17ROCPRIM_400000_NS6detail17trampoline_kernelINS0_14default_configENS1_25transform_config_selectorIjLb0EEEZNS1_14transform_implILb0ES3_S5_NS0_18transform_iteratorINS0_17counting_iteratorImlEEZNS1_24adjacent_difference_implIS3_Lb1ELb0EPjSB_N6thrust23THRUST_200600_302600_NS5minusIjEEEE10hipError_tPvRmT2_T3_mT4_P12ihipStream_tbEUlmE_jEESB_NS0_8identityIvEEEESG_SJ_SK_mSL_SN_bEUlT_E_NS1_11comp_targetILNS1_3genE2ELNS1_11target_archE906ELNS1_3gpuE6ELNS1_3repE0EEENS1_30default_config_static_selectorELNS0_4arch9wavefront6targetE1EEEvT1_.has_dyn_sized_stack, 0
	.set _ZN7rocprim17ROCPRIM_400000_NS6detail17trampoline_kernelINS0_14default_configENS1_25transform_config_selectorIjLb0EEEZNS1_14transform_implILb0ES3_S5_NS0_18transform_iteratorINS0_17counting_iteratorImlEEZNS1_24adjacent_difference_implIS3_Lb1ELb0EPjSB_N6thrust23THRUST_200600_302600_NS5minusIjEEEE10hipError_tPvRmT2_T3_mT4_P12ihipStream_tbEUlmE_jEESB_NS0_8identityIvEEEESG_SJ_SK_mSL_SN_bEUlT_E_NS1_11comp_targetILNS1_3genE2ELNS1_11target_archE906ELNS1_3gpuE6ELNS1_3repE0EEENS1_30default_config_static_selectorELNS0_4arch9wavefront6targetE1EEEvT1_.has_recursion, 0
	.set _ZN7rocprim17ROCPRIM_400000_NS6detail17trampoline_kernelINS0_14default_configENS1_25transform_config_selectorIjLb0EEEZNS1_14transform_implILb0ES3_S5_NS0_18transform_iteratorINS0_17counting_iteratorImlEEZNS1_24adjacent_difference_implIS3_Lb1ELb0EPjSB_N6thrust23THRUST_200600_302600_NS5minusIjEEEE10hipError_tPvRmT2_T3_mT4_P12ihipStream_tbEUlmE_jEESB_NS0_8identityIvEEEESG_SJ_SK_mSL_SN_bEUlT_E_NS1_11comp_targetILNS1_3genE2ELNS1_11target_archE906ELNS1_3gpuE6ELNS1_3repE0EEENS1_30default_config_static_selectorELNS0_4arch9wavefront6targetE1EEEvT1_.has_indirect_call, 0
	.section	.AMDGPU.csdata,"",@progbits
; Kernel info:
; codeLenInByte = 584
; TotalNumSgprs: 22
; NumVgprs: 7
; ScratchSize: 0
; MemoryBound: 0
; FloatMode: 240
; IeeeMode: 1
; LDSByteSize: 0 bytes/workgroup (compile time only)
; SGPRBlocks: 2
; VGPRBlocks: 1
; NumSGPRsForWavesPerEU: 22
; NumVGPRsForWavesPerEU: 7
; Occupancy: 10
; WaveLimiterHint : 0
; COMPUTE_PGM_RSRC2:SCRATCH_EN: 0
; COMPUTE_PGM_RSRC2:USER_SGPR: 6
; COMPUTE_PGM_RSRC2:TRAP_HANDLER: 0
; COMPUTE_PGM_RSRC2:TGID_X_EN: 1
; COMPUTE_PGM_RSRC2:TGID_Y_EN: 0
; COMPUTE_PGM_RSRC2:TGID_Z_EN: 0
; COMPUTE_PGM_RSRC2:TIDIG_COMP_CNT: 0
	.section	.text._ZN7rocprim17ROCPRIM_400000_NS6detail17trampoline_kernelINS0_14default_configENS1_25transform_config_selectorIjLb0EEEZNS1_14transform_implILb0ES3_S5_NS0_18transform_iteratorINS0_17counting_iteratorImlEEZNS1_24adjacent_difference_implIS3_Lb1ELb0EPjSB_N6thrust23THRUST_200600_302600_NS5minusIjEEEE10hipError_tPvRmT2_T3_mT4_P12ihipStream_tbEUlmE_jEESB_NS0_8identityIvEEEESG_SJ_SK_mSL_SN_bEUlT_E_NS1_11comp_targetILNS1_3genE10ELNS1_11target_archE1201ELNS1_3gpuE5ELNS1_3repE0EEENS1_30default_config_static_selectorELNS0_4arch9wavefront6targetE1EEEvT1_,"axG",@progbits,_ZN7rocprim17ROCPRIM_400000_NS6detail17trampoline_kernelINS0_14default_configENS1_25transform_config_selectorIjLb0EEEZNS1_14transform_implILb0ES3_S5_NS0_18transform_iteratorINS0_17counting_iteratorImlEEZNS1_24adjacent_difference_implIS3_Lb1ELb0EPjSB_N6thrust23THRUST_200600_302600_NS5minusIjEEEE10hipError_tPvRmT2_T3_mT4_P12ihipStream_tbEUlmE_jEESB_NS0_8identityIvEEEESG_SJ_SK_mSL_SN_bEUlT_E_NS1_11comp_targetILNS1_3genE10ELNS1_11target_archE1201ELNS1_3gpuE5ELNS1_3repE0EEENS1_30default_config_static_selectorELNS0_4arch9wavefront6targetE1EEEvT1_,comdat
	.protected	_ZN7rocprim17ROCPRIM_400000_NS6detail17trampoline_kernelINS0_14default_configENS1_25transform_config_selectorIjLb0EEEZNS1_14transform_implILb0ES3_S5_NS0_18transform_iteratorINS0_17counting_iteratorImlEEZNS1_24adjacent_difference_implIS3_Lb1ELb0EPjSB_N6thrust23THRUST_200600_302600_NS5minusIjEEEE10hipError_tPvRmT2_T3_mT4_P12ihipStream_tbEUlmE_jEESB_NS0_8identityIvEEEESG_SJ_SK_mSL_SN_bEUlT_E_NS1_11comp_targetILNS1_3genE10ELNS1_11target_archE1201ELNS1_3gpuE5ELNS1_3repE0EEENS1_30default_config_static_selectorELNS0_4arch9wavefront6targetE1EEEvT1_ ; -- Begin function _ZN7rocprim17ROCPRIM_400000_NS6detail17trampoline_kernelINS0_14default_configENS1_25transform_config_selectorIjLb0EEEZNS1_14transform_implILb0ES3_S5_NS0_18transform_iteratorINS0_17counting_iteratorImlEEZNS1_24adjacent_difference_implIS3_Lb1ELb0EPjSB_N6thrust23THRUST_200600_302600_NS5minusIjEEEE10hipError_tPvRmT2_T3_mT4_P12ihipStream_tbEUlmE_jEESB_NS0_8identityIvEEEESG_SJ_SK_mSL_SN_bEUlT_E_NS1_11comp_targetILNS1_3genE10ELNS1_11target_archE1201ELNS1_3gpuE5ELNS1_3repE0EEENS1_30default_config_static_selectorELNS0_4arch9wavefront6targetE1EEEvT1_
	.globl	_ZN7rocprim17ROCPRIM_400000_NS6detail17trampoline_kernelINS0_14default_configENS1_25transform_config_selectorIjLb0EEEZNS1_14transform_implILb0ES3_S5_NS0_18transform_iteratorINS0_17counting_iteratorImlEEZNS1_24adjacent_difference_implIS3_Lb1ELb0EPjSB_N6thrust23THRUST_200600_302600_NS5minusIjEEEE10hipError_tPvRmT2_T3_mT4_P12ihipStream_tbEUlmE_jEESB_NS0_8identityIvEEEESG_SJ_SK_mSL_SN_bEUlT_E_NS1_11comp_targetILNS1_3genE10ELNS1_11target_archE1201ELNS1_3gpuE5ELNS1_3repE0EEENS1_30default_config_static_selectorELNS0_4arch9wavefront6targetE1EEEvT1_
	.p2align	8
	.type	_ZN7rocprim17ROCPRIM_400000_NS6detail17trampoline_kernelINS0_14default_configENS1_25transform_config_selectorIjLb0EEEZNS1_14transform_implILb0ES3_S5_NS0_18transform_iteratorINS0_17counting_iteratorImlEEZNS1_24adjacent_difference_implIS3_Lb1ELb0EPjSB_N6thrust23THRUST_200600_302600_NS5minusIjEEEE10hipError_tPvRmT2_T3_mT4_P12ihipStream_tbEUlmE_jEESB_NS0_8identityIvEEEESG_SJ_SK_mSL_SN_bEUlT_E_NS1_11comp_targetILNS1_3genE10ELNS1_11target_archE1201ELNS1_3gpuE5ELNS1_3repE0EEENS1_30default_config_static_selectorELNS0_4arch9wavefront6targetE1EEEvT1_,@function
_ZN7rocprim17ROCPRIM_400000_NS6detail17trampoline_kernelINS0_14default_configENS1_25transform_config_selectorIjLb0EEEZNS1_14transform_implILb0ES3_S5_NS0_18transform_iteratorINS0_17counting_iteratorImlEEZNS1_24adjacent_difference_implIS3_Lb1ELb0EPjSB_N6thrust23THRUST_200600_302600_NS5minusIjEEEE10hipError_tPvRmT2_T3_mT4_P12ihipStream_tbEUlmE_jEESB_NS0_8identityIvEEEESG_SJ_SK_mSL_SN_bEUlT_E_NS1_11comp_targetILNS1_3genE10ELNS1_11target_archE1201ELNS1_3gpuE5ELNS1_3repE0EEENS1_30default_config_static_selectorELNS0_4arch9wavefront6targetE1EEEvT1_: ; @_ZN7rocprim17ROCPRIM_400000_NS6detail17trampoline_kernelINS0_14default_configENS1_25transform_config_selectorIjLb0EEEZNS1_14transform_implILb0ES3_S5_NS0_18transform_iteratorINS0_17counting_iteratorImlEEZNS1_24adjacent_difference_implIS3_Lb1ELb0EPjSB_N6thrust23THRUST_200600_302600_NS5minusIjEEEE10hipError_tPvRmT2_T3_mT4_P12ihipStream_tbEUlmE_jEESB_NS0_8identityIvEEEESG_SJ_SK_mSL_SN_bEUlT_E_NS1_11comp_targetILNS1_3genE10ELNS1_11target_archE1201ELNS1_3gpuE5ELNS1_3repE0EEENS1_30default_config_static_selectorELNS0_4arch9wavefront6targetE1EEEvT1_
; %bb.0:
	.section	.rodata,"a",@progbits
	.p2align	6, 0x0
	.amdhsa_kernel _ZN7rocprim17ROCPRIM_400000_NS6detail17trampoline_kernelINS0_14default_configENS1_25transform_config_selectorIjLb0EEEZNS1_14transform_implILb0ES3_S5_NS0_18transform_iteratorINS0_17counting_iteratorImlEEZNS1_24adjacent_difference_implIS3_Lb1ELb0EPjSB_N6thrust23THRUST_200600_302600_NS5minusIjEEEE10hipError_tPvRmT2_T3_mT4_P12ihipStream_tbEUlmE_jEESB_NS0_8identityIvEEEESG_SJ_SK_mSL_SN_bEUlT_E_NS1_11comp_targetILNS1_3genE10ELNS1_11target_archE1201ELNS1_3gpuE5ELNS1_3repE0EEENS1_30default_config_static_selectorELNS0_4arch9wavefront6targetE1EEEvT1_
		.amdhsa_group_segment_fixed_size 0
		.amdhsa_private_segment_fixed_size 0
		.amdhsa_kernarg_size 56
		.amdhsa_user_sgpr_count 6
		.amdhsa_user_sgpr_private_segment_buffer 1
		.amdhsa_user_sgpr_dispatch_ptr 0
		.amdhsa_user_sgpr_queue_ptr 0
		.amdhsa_user_sgpr_kernarg_segment_ptr 1
		.amdhsa_user_sgpr_dispatch_id 0
		.amdhsa_user_sgpr_flat_scratch_init 0
		.amdhsa_user_sgpr_private_segment_size 0
		.amdhsa_uses_dynamic_stack 0
		.amdhsa_system_sgpr_private_segment_wavefront_offset 0
		.amdhsa_system_sgpr_workgroup_id_x 1
		.amdhsa_system_sgpr_workgroup_id_y 0
		.amdhsa_system_sgpr_workgroup_id_z 0
		.amdhsa_system_sgpr_workgroup_info 0
		.amdhsa_system_vgpr_workitem_id 0
		.amdhsa_next_free_vgpr 1
		.amdhsa_next_free_sgpr 0
		.amdhsa_reserve_vcc 0
		.amdhsa_reserve_flat_scratch 0
		.amdhsa_float_round_mode_32 0
		.amdhsa_float_round_mode_16_64 0
		.amdhsa_float_denorm_mode_32 3
		.amdhsa_float_denorm_mode_16_64 3
		.amdhsa_dx10_clamp 1
		.amdhsa_ieee_mode 1
		.amdhsa_fp16_overflow 0
		.amdhsa_exception_fp_ieee_invalid_op 0
		.amdhsa_exception_fp_denorm_src 0
		.amdhsa_exception_fp_ieee_div_zero 0
		.amdhsa_exception_fp_ieee_overflow 0
		.amdhsa_exception_fp_ieee_underflow 0
		.amdhsa_exception_fp_ieee_inexact 0
		.amdhsa_exception_int_div_zero 0
	.end_amdhsa_kernel
	.section	.text._ZN7rocprim17ROCPRIM_400000_NS6detail17trampoline_kernelINS0_14default_configENS1_25transform_config_selectorIjLb0EEEZNS1_14transform_implILb0ES3_S5_NS0_18transform_iteratorINS0_17counting_iteratorImlEEZNS1_24adjacent_difference_implIS3_Lb1ELb0EPjSB_N6thrust23THRUST_200600_302600_NS5minusIjEEEE10hipError_tPvRmT2_T3_mT4_P12ihipStream_tbEUlmE_jEESB_NS0_8identityIvEEEESG_SJ_SK_mSL_SN_bEUlT_E_NS1_11comp_targetILNS1_3genE10ELNS1_11target_archE1201ELNS1_3gpuE5ELNS1_3repE0EEENS1_30default_config_static_selectorELNS0_4arch9wavefront6targetE1EEEvT1_,"axG",@progbits,_ZN7rocprim17ROCPRIM_400000_NS6detail17trampoline_kernelINS0_14default_configENS1_25transform_config_selectorIjLb0EEEZNS1_14transform_implILb0ES3_S5_NS0_18transform_iteratorINS0_17counting_iteratorImlEEZNS1_24adjacent_difference_implIS3_Lb1ELb0EPjSB_N6thrust23THRUST_200600_302600_NS5minusIjEEEE10hipError_tPvRmT2_T3_mT4_P12ihipStream_tbEUlmE_jEESB_NS0_8identityIvEEEESG_SJ_SK_mSL_SN_bEUlT_E_NS1_11comp_targetILNS1_3genE10ELNS1_11target_archE1201ELNS1_3gpuE5ELNS1_3repE0EEENS1_30default_config_static_selectorELNS0_4arch9wavefront6targetE1EEEvT1_,comdat
.Lfunc_end168:
	.size	_ZN7rocprim17ROCPRIM_400000_NS6detail17trampoline_kernelINS0_14default_configENS1_25transform_config_selectorIjLb0EEEZNS1_14transform_implILb0ES3_S5_NS0_18transform_iteratorINS0_17counting_iteratorImlEEZNS1_24adjacent_difference_implIS3_Lb1ELb0EPjSB_N6thrust23THRUST_200600_302600_NS5minusIjEEEE10hipError_tPvRmT2_T3_mT4_P12ihipStream_tbEUlmE_jEESB_NS0_8identityIvEEEESG_SJ_SK_mSL_SN_bEUlT_E_NS1_11comp_targetILNS1_3genE10ELNS1_11target_archE1201ELNS1_3gpuE5ELNS1_3repE0EEENS1_30default_config_static_selectorELNS0_4arch9wavefront6targetE1EEEvT1_, .Lfunc_end168-_ZN7rocprim17ROCPRIM_400000_NS6detail17trampoline_kernelINS0_14default_configENS1_25transform_config_selectorIjLb0EEEZNS1_14transform_implILb0ES3_S5_NS0_18transform_iteratorINS0_17counting_iteratorImlEEZNS1_24adjacent_difference_implIS3_Lb1ELb0EPjSB_N6thrust23THRUST_200600_302600_NS5minusIjEEEE10hipError_tPvRmT2_T3_mT4_P12ihipStream_tbEUlmE_jEESB_NS0_8identityIvEEEESG_SJ_SK_mSL_SN_bEUlT_E_NS1_11comp_targetILNS1_3genE10ELNS1_11target_archE1201ELNS1_3gpuE5ELNS1_3repE0EEENS1_30default_config_static_selectorELNS0_4arch9wavefront6targetE1EEEvT1_
                                        ; -- End function
	.set _ZN7rocprim17ROCPRIM_400000_NS6detail17trampoline_kernelINS0_14default_configENS1_25transform_config_selectorIjLb0EEEZNS1_14transform_implILb0ES3_S5_NS0_18transform_iteratorINS0_17counting_iteratorImlEEZNS1_24adjacent_difference_implIS3_Lb1ELb0EPjSB_N6thrust23THRUST_200600_302600_NS5minusIjEEEE10hipError_tPvRmT2_T3_mT4_P12ihipStream_tbEUlmE_jEESB_NS0_8identityIvEEEESG_SJ_SK_mSL_SN_bEUlT_E_NS1_11comp_targetILNS1_3genE10ELNS1_11target_archE1201ELNS1_3gpuE5ELNS1_3repE0EEENS1_30default_config_static_selectorELNS0_4arch9wavefront6targetE1EEEvT1_.num_vgpr, 0
	.set _ZN7rocprim17ROCPRIM_400000_NS6detail17trampoline_kernelINS0_14default_configENS1_25transform_config_selectorIjLb0EEEZNS1_14transform_implILb0ES3_S5_NS0_18transform_iteratorINS0_17counting_iteratorImlEEZNS1_24adjacent_difference_implIS3_Lb1ELb0EPjSB_N6thrust23THRUST_200600_302600_NS5minusIjEEEE10hipError_tPvRmT2_T3_mT4_P12ihipStream_tbEUlmE_jEESB_NS0_8identityIvEEEESG_SJ_SK_mSL_SN_bEUlT_E_NS1_11comp_targetILNS1_3genE10ELNS1_11target_archE1201ELNS1_3gpuE5ELNS1_3repE0EEENS1_30default_config_static_selectorELNS0_4arch9wavefront6targetE1EEEvT1_.num_agpr, 0
	.set _ZN7rocprim17ROCPRIM_400000_NS6detail17trampoline_kernelINS0_14default_configENS1_25transform_config_selectorIjLb0EEEZNS1_14transform_implILb0ES3_S5_NS0_18transform_iteratorINS0_17counting_iteratorImlEEZNS1_24adjacent_difference_implIS3_Lb1ELb0EPjSB_N6thrust23THRUST_200600_302600_NS5minusIjEEEE10hipError_tPvRmT2_T3_mT4_P12ihipStream_tbEUlmE_jEESB_NS0_8identityIvEEEESG_SJ_SK_mSL_SN_bEUlT_E_NS1_11comp_targetILNS1_3genE10ELNS1_11target_archE1201ELNS1_3gpuE5ELNS1_3repE0EEENS1_30default_config_static_selectorELNS0_4arch9wavefront6targetE1EEEvT1_.numbered_sgpr, 0
	.set _ZN7rocprim17ROCPRIM_400000_NS6detail17trampoline_kernelINS0_14default_configENS1_25transform_config_selectorIjLb0EEEZNS1_14transform_implILb0ES3_S5_NS0_18transform_iteratorINS0_17counting_iteratorImlEEZNS1_24adjacent_difference_implIS3_Lb1ELb0EPjSB_N6thrust23THRUST_200600_302600_NS5minusIjEEEE10hipError_tPvRmT2_T3_mT4_P12ihipStream_tbEUlmE_jEESB_NS0_8identityIvEEEESG_SJ_SK_mSL_SN_bEUlT_E_NS1_11comp_targetILNS1_3genE10ELNS1_11target_archE1201ELNS1_3gpuE5ELNS1_3repE0EEENS1_30default_config_static_selectorELNS0_4arch9wavefront6targetE1EEEvT1_.num_named_barrier, 0
	.set _ZN7rocprim17ROCPRIM_400000_NS6detail17trampoline_kernelINS0_14default_configENS1_25transform_config_selectorIjLb0EEEZNS1_14transform_implILb0ES3_S5_NS0_18transform_iteratorINS0_17counting_iteratorImlEEZNS1_24adjacent_difference_implIS3_Lb1ELb0EPjSB_N6thrust23THRUST_200600_302600_NS5minusIjEEEE10hipError_tPvRmT2_T3_mT4_P12ihipStream_tbEUlmE_jEESB_NS0_8identityIvEEEESG_SJ_SK_mSL_SN_bEUlT_E_NS1_11comp_targetILNS1_3genE10ELNS1_11target_archE1201ELNS1_3gpuE5ELNS1_3repE0EEENS1_30default_config_static_selectorELNS0_4arch9wavefront6targetE1EEEvT1_.private_seg_size, 0
	.set _ZN7rocprim17ROCPRIM_400000_NS6detail17trampoline_kernelINS0_14default_configENS1_25transform_config_selectorIjLb0EEEZNS1_14transform_implILb0ES3_S5_NS0_18transform_iteratorINS0_17counting_iteratorImlEEZNS1_24adjacent_difference_implIS3_Lb1ELb0EPjSB_N6thrust23THRUST_200600_302600_NS5minusIjEEEE10hipError_tPvRmT2_T3_mT4_P12ihipStream_tbEUlmE_jEESB_NS0_8identityIvEEEESG_SJ_SK_mSL_SN_bEUlT_E_NS1_11comp_targetILNS1_3genE10ELNS1_11target_archE1201ELNS1_3gpuE5ELNS1_3repE0EEENS1_30default_config_static_selectorELNS0_4arch9wavefront6targetE1EEEvT1_.uses_vcc, 0
	.set _ZN7rocprim17ROCPRIM_400000_NS6detail17trampoline_kernelINS0_14default_configENS1_25transform_config_selectorIjLb0EEEZNS1_14transform_implILb0ES3_S5_NS0_18transform_iteratorINS0_17counting_iteratorImlEEZNS1_24adjacent_difference_implIS3_Lb1ELb0EPjSB_N6thrust23THRUST_200600_302600_NS5minusIjEEEE10hipError_tPvRmT2_T3_mT4_P12ihipStream_tbEUlmE_jEESB_NS0_8identityIvEEEESG_SJ_SK_mSL_SN_bEUlT_E_NS1_11comp_targetILNS1_3genE10ELNS1_11target_archE1201ELNS1_3gpuE5ELNS1_3repE0EEENS1_30default_config_static_selectorELNS0_4arch9wavefront6targetE1EEEvT1_.uses_flat_scratch, 0
	.set _ZN7rocprim17ROCPRIM_400000_NS6detail17trampoline_kernelINS0_14default_configENS1_25transform_config_selectorIjLb0EEEZNS1_14transform_implILb0ES3_S5_NS0_18transform_iteratorINS0_17counting_iteratorImlEEZNS1_24adjacent_difference_implIS3_Lb1ELb0EPjSB_N6thrust23THRUST_200600_302600_NS5minusIjEEEE10hipError_tPvRmT2_T3_mT4_P12ihipStream_tbEUlmE_jEESB_NS0_8identityIvEEEESG_SJ_SK_mSL_SN_bEUlT_E_NS1_11comp_targetILNS1_3genE10ELNS1_11target_archE1201ELNS1_3gpuE5ELNS1_3repE0EEENS1_30default_config_static_selectorELNS0_4arch9wavefront6targetE1EEEvT1_.has_dyn_sized_stack, 0
	.set _ZN7rocprim17ROCPRIM_400000_NS6detail17trampoline_kernelINS0_14default_configENS1_25transform_config_selectorIjLb0EEEZNS1_14transform_implILb0ES3_S5_NS0_18transform_iteratorINS0_17counting_iteratorImlEEZNS1_24adjacent_difference_implIS3_Lb1ELb0EPjSB_N6thrust23THRUST_200600_302600_NS5minusIjEEEE10hipError_tPvRmT2_T3_mT4_P12ihipStream_tbEUlmE_jEESB_NS0_8identityIvEEEESG_SJ_SK_mSL_SN_bEUlT_E_NS1_11comp_targetILNS1_3genE10ELNS1_11target_archE1201ELNS1_3gpuE5ELNS1_3repE0EEENS1_30default_config_static_selectorELNS0_4arch9wavefront6targetE1EEEvT1_.has_recursion, 0
	.set _ZN7rocprim17ROCPRIM_400000_NS6detail17trampoline_kernelINS0_14default_configENS1_25transform_config_selectorIjLb0EEEZNS1_14transform_implILb0ES3_S5_NS0_18transform_iteratorINS0_17counting_iteratorImlEEZNS1_24adjacent_difference_implIS3_Lb1ELb0EPjSB_N6thrust23THRUST_200600_302600_NS5minusIjEEEE10hipError_tPvRmT2_T3_mT4_P12ihipStream_tbEUlmE_jEESB_NS0_8identityIvEEEESG_SJ_SK_mSL_SN_bEUlT_E_NS1_11comp_targetILNS1_3genE10ELNS1_11target_archE1201ELNS1_3gpuE5ELNS1_3repE0EEENS1_30default_config_static_selectorELNS0_4arch9wavefront6targetE1EEEvT1_.has_indirect_call, 0
	.section	.AMDGPU.csdata,"",@progbits
; Kernel info:
; codeLenInByte = 0
; TotalNumSgprs: 4
; NumVgprs: 0
; ScratchSize: 0
; MemoryBound: 0
; FloatMode: 240
; IeeeMode: 1
; LDSByteSize: 0 bytes/workgroup (compile time only)
; SGPRBlocks: 0
; VGPRBlocks: 0
; NumSGPRsForWavesPerEU: 4
; NumVGPRsForWavesPerEU: 1
; Occupancy: 10
; WaveLimiterHint : 0
; COMPUTE_PGM_RSRC2:SCRATCH_EN: 0
; COMPUTE_PGM_RSRC2:USER_SGPR: 6
; COMPUTE_PGM_RSRC2:TRAP_HANDLER: 0
; COMPUTE_PGM_RSRC2:TGID_X_EN: 1
; COMPUTE_PGM_RSRC2:TGID_Y_EN: 0
; COMPUTE_PGM_RSRC2:TGID_Z_EN: 0
; COMPUTE_PGM_RSRC2:TIDIG_COMP_CNT: 0
	.section	.text._ZN7rocprim17ROCPRIM_400000_NS6detail17trampoline_kernelINS0_14default_configENS1_25transform_config_selectorIjLb0EEEZNS1_14transform_implILb0ES3_S5_NS0_18transform_iteratorINS0_17counting_iteratorImlEEZNS1_24adjacent_difference_implIS3_Lb1ELb0EPjSB_N6thrust23THRUST_200600_302600_NS5minusIjEEEE10hipError_tPvRmT2_T3_mT4_P12ihipStream_tbEUlmE_jEESB_NS0_8identityIvEEEESG_SJ_SK_mSL_SN_bEUlT_E_NS1_11comp_targetILNS1_3genE10ELNS1_11target_archE1200ELNS1_3gpuE4ELNS1_3repE0EEENS1_30default_config_static_selectorELNS0_4arch9wavefront6targetE1EEEvT1_,"axG",@progbits,_ZN7rocprim17ROCPRIM_400000_NS6detail17trampoline_kernelINS0_14default_configENS1_25transform_config_selectorIjLb0EEEZNS1_14transform_implILb0ES3_S5_NS0_18transform_iteratorINS0_17counting_iteratorImlEEZNS1_24adjacent_difference_implIS3_Lb1ELb0EPjSB_N6thrust23THRUST_200600_302600_NS5minusIjEEEE10hipError_tPvRmT2_T3_mT4_P12ihipStream_tbEUlmE_jEESB_NS0_8identityIvEEEESG_SJ_SK_mSL_SN_bEUlT_E_NS1_11comp_targetILNS1_3genE10ELNS1_11target_archE1200ELNS1_3gpuE4ELNS1_3repE0EEENS1_30default_config_static_selectorELNS0_4arch9wavefront6targetE1EEEvT1_,comdat
	.protected	_ZN7rocprim17ROCPRIM_400000_NS6detail17trampoline_kernelINS0_14default_configENS1_25transform_config_selectorIjLb0EEEZNS1_14transform_implILb0ES3_S5_NS0_18transform_iteratorINS0_17counting_iteratorImlEEZNS1_24adjacent_difference_implIS3_Lb1ELb0EPjSB_N6thrust23THRUST_200600_302600_NS5minusIjEEEE10hipError_tPvRmT2_T3_mT4_P12ihipStream_tbEUlmE_jEESB_NS0_8identityIvEEEESG_SJ_SK_mSL_SN_bEUlT_E_NS1_11comp_targetILNS1_3genE10ELNS1_11target_archE1200ELNS1_3gpuE4ELNS1_3repE0EEENS1_30default_config_static_selectorELNS0_4arch9wavefront6targetE1EEEvT1_ ; -- Begin function _ZN7rocprim17ROCPRIM_400000_NS6detail17trampoline_kernelINS0_14default_configENS1_25transform_config_selectorIjLb0EEEZNS1_14transform_implILb0ES3_S5_NS0_18transform_iteratorINS0_17counting_iteratorImlEEZNS1_24adjacent_difference_implIS3_Lb1ELb0EPjSB_N6thrust23THRUST_200600_302600_NS5minusIjEEEE10hipError_tPvRmT2_T3_mT4_P12ihipStream_tbEUlmE_jEESB_NS0_8identityIvEEEESG_SJ_SK_mSL_SN_bEUlT_E_NS1_11comp_targetILNS1_3genE10ELNS1_11target_archE1200ELNS1_3gpuE4ELNS1_3repE0EEENS1_30default_config_static_selectorELNS0_4arch9wavefront6targetE1EEEvT1_
	.globl	_ZN7rocprim17ROCPRIM_400000_NS6detail17trampoline_kernelINS0_14default_configENS1_25transform_config_selectorIjLb0EEEZNS1_14transform_implILb0ES3_S5_NS0_18transform_iteratorINS0_17counting_iteratorImlEEZNS1_24adjacent_difference_implIS3_Lb1ELb0EPjSB_N6thrust23THRUST_200600_302600_NS5minusIjEEEE10hipError_tPvRmT2_T3_mT4_P12ihipStream_tbEUlmE_jEESB_NS0_8identityIvEEEESG_SJ_SK_mSL_SN_bEUlT_E_NS1_11comp_targetILNS1_3genE10ELNS1_11target_archE1200ELNS1_3gpuE4ELNS1_3repE0EEENS1_30default_config_static_selectorELNS0_4arch9wavefront6targetE1EEEvT1_
	.p2align	8
	.type	_ZN7rocprim17ROCPRIM_400000_NS6detail17trampoline_kernelINS0_14default_configENS1_25transform_config_selectorIjLb0EEEZNS1_14transform_implILb0ES3_S5_NS0_18transform_iteratorINS0_17counting_iteratorImlEEZNS1_24adjacent_difference_implIS3_Lb1ELb0EPjSB_N6thrust23THRUST_200600_302600_NS5minusIjEEEE10hipError_tPvRmT2_T3_mT4_P12ihipStream_tbEUlmE_jEESB_NS0_8identityIvEEEESG_SJ_SK_mSL_SN_bEUlT_E_NS1_11comp_targetILNS1_3genE10ELNS1_11target_archE1200ELNS1_3gpuE4ELNS1_3repE0EEENS1_30default_config_static_selectorELNS0_4arch9wavefront6targetE1EEEvT1_,@function
_ZN7rocprim17ROCPRIM_400000_NS6detail17trampoline_kernelINS0_14default_configENS1_25transform_config_selectorIjLb0EEEZNS1_14transform_implILb0ES3_S5_NS0_18transform_iteratorINS0_17counting_iteratorImlEEZNS1_24adjacent_difference_implIS3_Lb1ELb0EPjSB_N6thrust23THRUST_200600_302600_NS5minusIjEEEE10hipError_tPvRmT2_T3_mT4_P12ihipStream_tbEUlmE_jEESB_NS0_8identityIvEEEESG_SJ_SK_mSL_SN_bEUlT_E_NS1_11comp_targetILNS1_3genE10ELNS1_11target_archE1200ELNS1_3gpuE4ELNS1_3repE0EEENS1_30default_config_static_selectorELNS0_4arch9wavefront6targetE1EEEvT1_: ; @_ZN7rocprim17ROCPRIM_400000_NS6detail17trampoline_kernelINS0_14default_configENS1_25transform_config_selectorIjLb0EEEZNS1_14transform_implILb0ES3_S5_NS0_18transform_iteratorINS0_17counting_iteratorImlEEZNS1_24adjacent_difference_implIS3_Lb1ELb0EPjSB_N6thrust23THRUST_200600_302600_NS5minusIjEEEE10hipError_tPvRmT2_T3_mT4_P12ihipStream_tbEUlmE_jEESB_NS0_8identityIvEEEESG_SJ_SK_mSL_SN_bEUlT_E_NS1_11comp_targetILNS1_3genE10ELNS1_11target_archE1200ELNS1_3gpuE4ELNS1_3repE0EEENS1_30default_config_static_selectorELNS0_4arch9wavefront6targetE1EEEvT1_
; %bb.0:
	.section	.rodata,"a",@progbits
	.p2align	6, 0x0
	.amdhsa_kernel _ZN7rocprim17ROCPRIM_400000_NS6detail17trampoline_kernelINS0_14default_configENS1_25transform_config_selectorIjLb0EEEZNS1_14transform_implILb0ES3_S5_NS0_18transform_iteratorINS0_17counting_iteratorImlEEZNS1_24adjacent_difference_implIS3_Lb1ELb0EPjSB_N6thrust23THRUST_200600_302600_NS5minusIjEEEE10hipError_tPvRmT2_T3_mT4_P12ihipStream_tbEUlmE_jEESB_NS0_8identityIvEEEESG_SJ_SK_mSL_SN_bEUlT_E_NS1_11comp_targetILNS1_3genE10ELNS1_11target_archE1200ELNS1_3gpuE4ELNS1_3repE0EEENS1_30default_config_static_selectorELNS0_4arch9wavefront6targetE1EEEvT1_
		.amdhsa_group_segment_fixed_size 0
		.amdhsa_private_segment_fixed_size 0
		.amdhsa_kernarg_size 56
		.amdhsa_user_sgpr_count 6
		.amdhsa_user_sgpr_private_segment_buffer 1
		.amdhsa_user_sgpr_dispatch_ptr 0
		.amdhsa_user_sgpr_queue_ptr 0
		.amdhsa_user_sgpr_kernarg_segment_ptr 1
		.amdhsa_user_sgpr_dispatch_id 0
		.amdhsa_user_sgpr_flat_scratch_init 0
		.amdhsa_user_sgpr_private_segment_size 0
		.amdhsa_uses_dynamic_stack 0
		.amdhsa_system_sgpr_private_segment_wavefront_offset 0
		.amdhsa_system_sgpr_workgroup_id_x 1
		.amdhsa_system_sgpr_workgroup_id_y 0
		.amdhsa_system_sgpr_workgroup_id_z 0
		.amdhsa_system_sgpr_workgroup_info 0
		.amdhsa_system_vgpr_workitem_id 0
		.amdhsa_next_free_vgpr 1
		.amdhsa_next_free_sgpr 0
		.amdhsa_reserve_vcc 0
		.amdhsa_reserve_flat_scratch 0
		.amdhsa_float_round_mode_32 0
		.amdhsa_float_round_mode_16_64 0
		.amdhsa_float_denorm_mode_32 3
		.amdhsa_float_denorm_mode_16_64 3
		.amdhsa_dx10_clamp 1
		.amdhsa_ieee_mode 1
		.amdhsa_fp16_overflow 0
		.amdhsa_exception_fp_ieee_invalid_op 0
		.amdhsa_exception_fp_denorm_src 0
		.amdhsa_exception_fp_ieee_div_zero 0
		.amdhsa_exception_fp_ieee_overflow 0
		.amdhsa_exception_fp_ieee_underflow 0
		.amdhsa_exception_fp_ieee_inexact 0
		.amdhsa_exception_int_div_zero 0
	.end_amdhsa_kernel
	.section	.text._ZN7rocprim17ROCPRIM_400000_NS6detail17trampoline_kernelINS0_14default_configENS1_25transform_config_selectorIjLb0EEEZNS1_14transform_implILb0ES3_S5_NS0_18transform_iteratorINS0_17counting_iteratorImlEEZNS1_24adjacent_difference_implIS3_Lb1ELb0EPjSB_N6thrust23THRUST_200600_302600_NS5minusIjEEEE10hipError_tPvRmT2_T3_mT4_P12ihipStream_tbEUlmE_jEESB_NS0_8identityIvEEEESG_SJ_SK_mSL_SN_bEUlT_E_NS1_11comp_targetILNS1_3genE10ELNS1_11target_archE1200ELNS1_3gpuE4ELNS1_3repE0EEENS1_30default_config_static_selectorELNS0_4arch9wavefront6targetE1EEEvT1_,"axG",@progbits,_ZN7rocprim17ROCPRIM_400000_NS6detail17trampoline_kernelINS0_14default_configENS1_25transform_config_selectorIjLb0EEEZNS1_14transform_implILb0ES3_S5_NS0_18transform_iteratorINS0_17counting_iteratorImlEEZNS1_24adjacent_difference_implIS3_Lb1ELb0EPjSB_N6thrust23THRUST_200600_302600_NS5minusIjEEEE10hipError_tPvRmT2_T3_mT4_P12ihipStream_tbEUlmE_jEESB_NS0_8identityIvEEEESG_SJ_SK_mSL_SN_bEUlT_E_NS1_11comp_targetILNS1_3genE10ELNS1_11target_archE1200ELNS1_3gpuE4ELNS1_3repE0EEENS1_30default_config_static_selectorELNS0_4arch9wavefront6targetE1EEEvT1_,comdat
.Lfunc_end169:
	.size	_ZN7rocprim17ROCPRIM_400000_NS6detail17trampoline_kernelINS0_14default_configENS1_25transform_config_selectorIjLb0EEEZNS1_14transform_implILb0ES3_S5_NS0_18transform_iteratorINS0_17counting_iteratorImlEEZNS1_24adjacent_difference_implIS3_Lb1ELb0EPjSB_N6thrust23THRUST_200600_302600_NS5minusIjEEEE10hipError_tPvRmT2_T3_mT4_P12ihipStream_tbEUlmE_jEESB_NS0_8identityIvEEEESG_SJ_SK_mSL_SN_bEUlT_E_NS1_11comp_targetILNS1_3genE10ELNS1_11target_archE1200ELNS1_3gpuE4ELNS1_3repE0EEENS1_30default_config_static_selectorELNS0_4arch9wavefront6targetE1EEEvT1_, .Lfunc_end169-_ZN7rocprim17ROCPRIM_400000_NS6detail17trampoline_kernelINS0_14default_configENS1_25transform_config_selectorIjLb0EEEZNS1_14transform_implILb0ES3_S5_NS0_18transform_iteratorINS0_17counting_iteratorImlEEZNS1_24adjacent_difference_implIS3_Lb1ELb0EPjSB_N6thrust23THRUST_200600_302600_NS5minusIjEEEE10hipError_tPvRmT2_T3_mT4_P12ihipStream_tbEUlmE_jEESB_NS0_8identityIvEEEESG_SJ_SK_mSL_SN_bEUlT_E_NS1_11comp_targetILNS1_3genE10ELNS1_11target_archE1200ELNS1_3gpuE4ELNS1_3repE0EEENS1_30default_config_static_selectorELNS0_4arch9wavefront6targetE1EEEvT1_
                                        ; -- End function
	.set _ZN7rocprim17ROCPRIM_400000_NS6detail17trampoline_kernelINS0_14default_configENS1_25transform_config_selectorIjLb0EEEZNS1_14transform_implILb0ES3_S5_NS0_18transform_iteratorINS0_17counting_iteratorImlEEZNS1_24adjacent_difference_implIS3_Lb1ELb0EPjSB_N6thrust23THRUST_200600_302600_NS5minusIjEEEE10hipError_tPvRmT2_T3_mT4_P12ihipStream_tbEUlmE_jEESB_NS0_8identityIvEEEESG_SJ_SK_mSL_SN_bEUlT_E_NS1_11comp_targetILNS1_3genE10ELNS1_11target_archE1200ELNS1_3gpuE4ELNS1_3repE0EEENS1_30default_config_static_selectorELNS0_4arch9wavefront6targetE1EEEvT1_.num_vgpr, 0
	.set _ZN7rocprim17ROCPRIM_400000_NS6detail17trampoline_kernelINS0_14default_configENS1_25transform_config_selectorIjLb0EEEZNS1_14transform_implILb0ES3_S5_NS0_18transform_iteratorINS0_17counting_iteratorImlEEZNS1_24adjacent_difference_implIS3_Lb1ELb0EPjSB_N6thrust23THRUST_200600_302600_NS5minusIjEEEE10hipError_tPvRmT2_T3_mT4_P12ihipStream_tbEUlmE_jEESB_NS0_8identityIvEEEESG_SJ_SK_mSL_SN_bEUlT_E_NS1_11comp_targetILNS1_3genE10ELNS1_11target_archE1200ELNS1_3gpuE4ELNS1_3repE0EEENS1_30default_config_static_selectorELNS0_4arch9wavefront6targetE1EEEvT1_.num_agpr, 0
	.set _ZN7rocprim17ROCPRIM_400000_NS6detail17trampoline_kernelINS0_14default_configENS1_25transform_config_selectorIjLb0EEEZNS1_14transform_implILb0ES3_S5_NS0_18transform_iteratorINS0_17counting_iteratorImlEEZNS1_24adjacent_difference_implIS3_Lb1ELb0EPjSB_N6thrust23THRUST_200600_302600_NS5minusIjEEEE10hipError_tPvRmT2_T3_mT4_P12ihipStream_tbEUlmE_jEESB_NS0_8identityIvEEEESG_SJ_SK_mSL_SN_bEUlT_E_NS1_11comp_targetILNS1_3genE10ELNS1_11target_archE1200ELNS1_3gpuE4ELNS1_3repE0EEENS1_30default_config_static_selectorELNS0_4arch9wavefront6targetE1EEEvT1_.numbered_sgpr, 0
	.set _ZN7rocprim17ROCPRIM_400000_NS6detail17trampoline_kernelINS0_14default_configENS1_25transform_config_selectorIjLb0EEEZNS1_14transform_implILb0ES3_S5_NS0_18transform_iteratorINS0_17counting_iteratorImlEEZNS1_24adjacent_difference_implIS3_Lb1ELb0EPjSB_N6thrust23THRUST_200600_302600_NS5minusIjEEEE10hipError_tPvRmT2_T3_mT4_P12ihipStream_tbEUlmE_jEESB_NS0_8identityIvEEEESG_SJ_SK_mSL_SN_bEUlT_E_NS1_11comp_targetILNS1_3genE10ELNS1_11target_archE1200ELNS1_3gpuE4ELNS1_3repE0EEENS1_30default_config_static_selectorELNS0_4arch9wavefront6targetE1EEEvT1_.num_named_barrier, 0
	.set _ZN7rocprim17ROCPRIM_400000_NS6detail17trampoline_kernelINS0_14default_configENS1_25transform_config_selectorIjLb0EEEZNS1_14transform_implILb0ES3_S5_NS0_18transform_iteratorINS0_17counting_iteratorImlEEZNS1_24adjacent_difference_implIS3_Lb1ELb0EPjSB_N6thrust23THRUST_200600_302600_NS5minusIjEEEE10hipError_tPvRmT2_T3_mT4_P12ihipStream_tbEUlmE_jEESB_NS0_8identityIvEEEESG_SJ_SK_mSL_SN_bEUlT_E_NS1_11comp_targetILNS1_3genE10ELNS1_11target_archE1200ELNS1_3gpuE4ELNS1_3repE0EEENS1_30default_config_static_selectorELNS0_4arch9wavefront6targetE1EEEvT1_.private_seg_size, 0
	.set _ZN7rocprim17ROCPRIM_400000_NS6detail17trampoline_kernelINS0_14default_configENS1_25transform_config_selectorIjLb0EEEZNS1_14transform_implILb0ES3_S5_NS0_18transform_iteratorINS0_17counting_iteratorImlEEZNS1_24adjacent_difference_implIS3_Lb1ELb0EPjSB_N6thrust23THRUST_200600_302600_NS5minusIjEEEE10hipError_tPvRmT2_T3_mT4_P12ihipStream_tbEUlmE_jEESB_NS0_8identityIvEEEESG_SJ_SK_mSL_SN_bEUlT_E_NS1_11comp_targetILNS1_3genE10ELNS1_11target_archE1200ELNS1_3gpuE4ELNS1_3repE0EEENS1_30default_config_static_selectorELNS0_4arch9wavefront6targetE1EEEvT1_.uses_vcc, 0
	.set _ZN7rocprim17ROCPRIM_400000_NS6detail17trampoline_kernelINS0_14default_configENS1_25transform_config_selectorIjLb0EEEZNS1_14transform_implILb0ES3_S5_NS0_18transform_iteratorINS0_17counting_iteratorImlEEZNS1_24adjacent_difference_implIS3_Lb1ELb0EPjSB_N6thrust23THRUST_200600_302600_NS5minusIjEEEE10hipError_tPvRmT2_T3_mT4_P12ihipStream_tbEUlmE_jEESB_NS0_8identityIvEEEESG_SJ_SK_mSL_SN_bEUlT_E_NS1_11comp_targetILNS1_3genE10ELNS1_11target_archE1200ELNS1_3gpuE4ELNS1_3repE0EEENS1_30default_config_static_selectorELNS0_4arch9wavefront6targetE1EEEvT1_.uses_flat_scratch, 0
	.set _ZN7rocprim17ROCPRIM_400000_NS6detail17trampoline_kernelINS0_14default_configENS1_25transform_config_selectorIjLb0EEEZNS1_14transform_implILb0ES3_S5_NS0_18transform_iteratorINS0_17counting_iteratorImlEEZNS1_24adjacent_difference_implIS3_Lb1ELb0EPjSB_N6thrust23THRUST_200600_302600_NS5minusIjEEEE10hipError_tPvRmT2_T3_mT4_P12ihipStream_tbEUlmE_jEESB_NS0_8identityIvEEEESG_SJ_SK_mSL_SN_bEUlT_E_NS1_11comp_targetILNS1_3genE10ELNS1_11target_archE1200ELNS1_3gpuE4ELNS1_3repE0EEENS1_30default_config_static_selectorELNS0_4arch9wavefront6targetE1EEEvT1_.has_dyn_sized_stack, 0
	.set _ZN7rocprim17ROCPRIM_400000_NS6detail17trampoline_kernelINS0_14default_configENS1_25transform_config_selectorIjLb0EEEZNS1_14transform_implILb0ES3_S5_NS0_18transform_iteratorINS0_17counting_iteratorImlEEZNS1_24adjacent_difference_implIS3_Lb1ELb0EPjSB_N6thrust23THRUST_200600_302600_NS5minusIjEEEE10hipError_tPvRmT2_T3_mT4_P12ihipStream_tbEUlmE_jEESB_NS0_8identityIvEEEESG_SJ_SK_mSL_SN_bEUlT_E_NS1_11comp_targetILNS1_3genE10ELNS1_11target_archE1200ELNS1_3gpuE4ELNS1_3repE0EEENS1_30default_config_static_selectorELNS0_4arch9wavefront6targetE1EEEvT1_.has_recursion, 0
	.set _ZN7rocprim17ROCPRIM_400000_NS6detail17trampoline_kernelINS0_14default_configENS1_25transform_config_selectorIjLb0EEEZNS1_14transform_implILb0ES3_S5_NS0_18transform_iteratorINS0_17counting_iteratorImlEEZNS1_24adjacent_difference_implIS3_Lb1ELb0EPjSB_N6thrust23THRUST_200600_302600_NS5minusIjEEEE10hipError_tPvRmT2_T3_mT4_P12ihipStream_tbEUlmE_jEESB_NS0_8identityIvEEEESG_SJ_SK_mSL_SN_bEUlT_E_NS1_11comp_targetILNS1_3genE10ELNS1_11target_archE1200ELNS1_3gpuE4ELNS1_3repE0EEENS1_30default_config_static_selectorELNS0_4arch9wavefront6targetE1EEEvT1_.has_indirect_call, 0
	.section	.AMDGPU.csdata,"",@progbits
; Kernel info:
; codeLenInByte = 0
; TotalNumSgprs: 4
; NumVgprs: 0
; ScratchSize: 0
; MemoryBound: 0
; FloatMode: 240
; IeeeMode: 1
; LDSByteSize: 0 bytes/workgroup (compile time only)
; SGPRBlocks: 0
; VGPRBlocks: 0
; NumSGPRsForWavesPerEU: 4
; NumVGPRsForWavesPerEU: 1
; Occupancy: 10
; WaveLimiterHint : 0
; COMPUTE_PGM_RSRC2:SCRATCH_EN: 0
; COMPUTE_PGM_RSRC2:USER_SGPR: 6
; COMPUTE_PGM_RSRC2:TRAP_HANDLER: 0
; COMPUTE_PGM_RSRC2:TGID_X_EN: 1
; COMPUTE_PGM_RSRC2:TGID_Y_EN: 0
; COMPUTE_PGM_RSRC2:TGID_Z_EN: 0
; COMPUTE_PGM_RSRC2:TIDIG_COMP_CNT: 0
	.section	.text._ZN7rocprim17ROCPRIM_400000_NS6detail17trampoline_kernelINS0_14default_configENS1_25transform_config_selectorIjLb0EEEZNS1_14transform_implILb0ES3_S5_NS0_18transform_iteratorINS0_17counting_iteratorImlEEZNS1_24adjacent_difference_implIS3_Lb1ELb0EPjSB_N6thrust23THRUST_200600_302600_NS5minusIjEEEE10hipError_tPvRmT2_T3_mT4_P12ihipStream_tbEUlmE_jEESB_NS0_8identityIvEEEESG_SJ_SK_mSL_SN_bEUlT_E_NS1_11comp_targetILNS1_3genE9ELNS1_11target_archE1100ELNS1_3gpuE3ELNS1_3repE0EEENS1_30default_config_static_selectorELNS0_4arch9wavefront6targetE1EEEvT1_,"axG",@progbits,_ZN7rocprim17ROCPRIM_400000_NS6detail17trampoline_kernelINS0_14default_configENS1_25transform_config_selectorIjLb0EEEZNS1_14transform_implILb0ES3_S5_NS0_18transform_iteratorINS0_17counting_iteratorImlEEZNS1_24adjacent_difference_implIS3_Lb1ELb0EPjSB_N6thrust23THRUST_200600_302600_NS5minusIjEEEE10hipError_tPvRmT2_T3_mT4_P12ihipStream_tbEUlmE_jEESB_NS0_8identityIvEEEESG_SJ_SK_mSL_SN_bEUlT_E_NS1_11comp_targetILNS1_3genE9ELNS1_11target_archE1100ELNS1_3gpuE3ELNS1_3repE0EEENS1_30default_config_static_selectorELNS0_4arch9wavefront6targetE1EEEvT1_,comdat
	.protected	_ZN7rocprim17ROCPRIM_400000_NS6detail17trampoline_kernelINS0_14default_configENS1_25transform_config_selectorIjLb0EEEZNS1_14transform_implILb0ES3_S5_NS0_18transform_iteratorINS0_17counting_iteratorImlEEZNS1_24adjacent_difference_implIS3_Lb1ELb0EPjSB_N6thrust23THRUST_200600_302600_NS5minusIjEEEE10hipError_tPvRmT2_T3_mT4_P12ihipStream_tbEUlmE_jEESB_NS0_8identityIvEEEESG_SJ_SK_mSL_SN_bEUlT_E_NS1_11comp_targetILNS1_3genE9ELNS1_11target_archE1100ELNS1_3gpuE3ELNS1_3repE0EEENS1_30default_config_static_selectorELNS0_4arch9wavefront6targetE1EEEvT1_ ; -- Begin function _ZN7rocprim17ROCPRIM_400000_NS6detail17trampoline_kernelINS0_14default_configENS1_25transform_config_selectorIjLb0EEEZNS1_14transform_implILb0ES3_S5_NS0_18transform_iteratorINS0_17counting_iteratorImlEEZNS1_24adjacent_difference_implIS3_Lb1ELb0EPjSB_N6thrust23THRUST_200600_302600_NS5minusIjEEEE10hipError_tPvRmT2_T3_mT4_P12ihipStream_tbEUlmE_jEESB_NS0_8identityIvEEEESG_SJ_SK_mSL_SN_bEUlT_E_NS1_11comp_targetILNS1_3genE9ELNS1_11target_archE1100ELNS1_3gpuE3ELNS1_3repE0EEENS1_30default_config_static_selectorELNS0_4arch9wavefront6targetE1EEEvT1_
	.globl	_ZN7rocprim17ROCPRIM_400000_NS6detail17trampoline_kernelINS0_14default_configENS1_25transform_config_selectorIjLb0EEEZNS1_14transform_implILb0ES3_S5_NS0_18transform_iteratorINS0_17counting_iteratorImlEEZNS1_24adjacent_difference_implIS3_Lb1ELb0EPjSB_N6thrust23THRUST_200600_302600_NS5minusIjEEEE10hipError_tPvRmT2_T3_mT4_P12ihipStream_tbEUlmE_jEESB_NS0_8identityIvEEEESG_SJ_SK_mSL_SN_bEUlT_E_NS1_11comp_targetILNS1_3genE9ELNS1_11target_archE1100ELNS1_3gpuE3ELNS1_3repE0EEENS1_30default_config_static_selectorELNS0_4arch9wavefront6targetE1EEEvT1_
	.p2align	8
	.type	_ZN7rocprim17ROCPRIM_400000_NS6detail17trampoline_kernelINS0_14default_configENS1_25transform_config_selectorIjLb0EEEZNS1_14transform_implILb0ES3_S5_NS0_18transform_iteratorINS0_17counting_iteratorImlEEZNS1_24adjacent_difference_implIS3_Lb1ELb0EPjSB_N6thrust23THRUST_200600_302600_NS5minusIjEEEE10hipError_tPvRmT2_T3_mT4_P12ihipStream_tbEUlmE_jEESB_NS0_8identityIvEEEESG_SJ_SK_mSL_SN_bEUlT_E_NS1_11comp_targetILNS1_3genE9ELNS1_11target_archE1100ELNS1_3gpuE3ELNS1_3repE0EEENS1_30default_config_static_selectorELNS0_4arch9wavefront6targetE1EEEvT1_,@function
_ZN7rocprim17ROCPRIM_400000_NS6detail17trampoline_kernelINS0_14default_configENS1_25transform_config_selectorIjLb0EEEZNS1_14transform_implILb0ES3_S5_NS0_18transform_iteratorINS0_17counting_iteratorImlEEZNS1_24adjacent_difference_implIS3_Lb1ELb0EPjSB_N6thrust23THRUST_200600_302600_NS5minusIjEEEE10hipError_tPvRmT2_T3_mT4_P12ihipStream_tbEUlmE_jEESB_NS0_8identityIvEEEESG_SJ_SK_mSL_SN_bEUlT_E_NS1_11comp_targetILNS1_3genE9ELNS1_11target_archE1100ELNS1_3gpuE3ELNS1_3repE0EEENS1_30default_config_static_selectorELNS0_4arch9wavefront6targetE1EEEvT1_: ; @_ZN7rocprim17ROCPRIM_400000_NS6detail17trampoline_kernelINS0_14default_configENS1_25transform_config_selectorIjLb0EEEZNS1_14transform_implILb0ES3_S5_NS0_18transform_iteratorINS0_17counting_iteratorImlEEZNS1_24adjacent_difference_implIS3_Lb1ELb0EPjSB_N6thrust23THRUST_200600_302600_NS5minusIjEEEE10hipError_tPvRmT2_T3_mT4_P12ihipStream_tbEUlmE_jEESB_NS0_8identityIvEEEESG_SJ_SK_mSL_SN_bEUlT_E_NS1_11comp_targetILNS1_3genE9ELNS1_11target_archE1100ELNS1_3gpuE3ELNS1_3repE0EEENS1_30default_config_static_selectorELNS0_4arch9wavefront6targetE1EEEvT1_
; %bb.0:
	.section	.rodata,"a",@progbits
	.p2align	6, 0x0
	.amdhsa_kernel _ZN7rocprim17ROCPRIM_400000_NS6detail17trampoline_kernelINS0_14default_configENS1_25transform_config_selectorIjLb0EEEZNS1_14transform_implILb0ES3_S5_NS0_18transform_iteratorINS0_17counting_iteratorImlEEZNS1_24adjacent_difference_implIS3_Lb1ELb0EPjSB_N6thrust23THRUST_200600_302600_NS5minusIjEEEE10hipError_tPvRmT2_T3_mT4_P12ihipStream_tbEUlmE_jEESB_NS0_8identityIvEEEESG_SJ_SK_mSL_SN_bEUlT_E_NS1_11comp_targetILNS1_3genE9ELNS1_11target_archE1100ELNS1_3gpuE3ELNS1_3repE0EEENS1_30default_config_static_selectorELNS0_4arch9wavefront6targetE1EEEvT1_
		.amdhsa_group_segment_fixed_size 0
		.amdhsa_private_segment_fixed_size 0
		.amdhsa_kernarg_size 56
		.amdhsa_user_sgpr_count 6
		.amdhsa_user_sgpr_private_segment_buffer 1
		.amdhsa_user_sgpr_dispatch_ptr 0
		.amdhsa_user_sgpr_queue_ptr 0
		.amdhsa_user_sgpr_kernarg_segment_ptr 1
		.amdhsa_user_sgpr_dispatch_id 0
		.amdhsa_user_sgpr_flat_scratch_init 0
		.amdhsa_user_sgpr_private_segment_size 0
		.amdhsa_uses_dynamic_stack 0
		.amdhsa_system_sgpr_private_segment_wavefront_offset 0
		.amdhsa_system_sgpr_workgroup_id_x 1
		.amdhsa_system_sgpr_workgroup_id_y 0
		.amdhsa_system_sgpr_workgroup_id_z 0
		.amdhsa_system_sgpr_workgroup_info 0
		.amdhsa_system_vgpr_workitem_id 0
		.amdhsa_next_free_vgpr 1
		.amdhsa_next_free_sgpr 0
		.amdhsa_reserve_vcc 0
		.amdhsa_reserve_flat_scratch 0
		.amdhsa_float_round_mode_32 0
		.amdhsa_float_round_mode_16_64 0
		.amdhsa_float_denorm_mode_32 3
		.amdhsa_float_denorm_mode_16_64 3
		.amdhsa_dx10_clamp 1
		.amdhsa_ieee_mode 1
		.amdhsa_fp16_overflow 0
		.amdhsa_exception_fp_ieee_invalid_op 0
		.amdhsa_exception_fp_denorm_src 0
		.amdhsa_exception_fp_ieee_div_zero 0
		.amdhsa_exception_fp_ieee_overflow 0
		.amdhsa_exception_fp_ieee_underflow 0
		.amdhsa_exception_fp_ieee_inexact 0
		.amdhsa_exception_int_div_zero 0
	.end_amdhsa_kernel
	.section	.text._ZN7rocprim17ROCPRIM_400000_NS6detail17trampoline_kernelINS0_14default_configENS1_25transform_config_selectorIjLb0EEEZNS1_14transform_implILb0ES3_S5_NS0_18transform_iteratorINS0_17counting_iteratorImlEEZNS1_24adjacent_difference_implIS3_Lb1ELb0EPjSB_N6thrust23THRUST_200600_302600_NS5minusIjEEEE10hipError_tPvRmT2_T3_mT4_P12ihipStream_tbEUlmE_jEESB_NS0_8identityIvEEEESG_SJ_SK_mSL_SN_bEUlT_E_NS1_11comp_targetILNS1_3genE9ELNS1_11target_archE1100ELNS1_3gpuE3ELNS1_3repE0EEENS1_30default_config_static_selectorELNS0_4arch9wavefront6targetE1EEEvT1_,"axG",@progbits,_ZN7rocprim17ROCPRIM_400000_NS6detail17trampoline_kernelINS0_14default_configENS1_25transform_config_selectorIjLb0EEEZNS1_14transform_implILb0ES3_S5_NS0_18transform_iteratorINS0_17counting_iteratorImlEEZNS1_24adjacent_difference_implIS3_Lb1ELb0EPjSB_N6thrust23THRUST_200600_302600_NS5minusIjEEEE10hipError_tPvRmT2_T3_mT4_P12ihipStream_tbEUlmE_jEESB_NS0_8identityIvEEEESG_SJ_SK_mSL_SN_bEUlT_E_NS1_11comp_targetILNS1_3genE9ELNS1_11target_archE1100ELNS1_3gpuE3ELNS1_3repE0EEENS1_30default_config_static_selectorELNS0_4arch9wavefront6targetE1EEEvT1_,comdat
.Lfunc_end170:
	.size	_ZN7rocprim17ROCPRIM_400000_NS6detail17trampoline_kernelINS0_14default_configENS1_25transform_config_selectorIjLb0EEEZNS1_14transform_implILb0ES3_S5_NS0_18transform_iteratorINS0_17counting_iteratorImlEEZNS1_24adjacent_difference_implIS3_Lb1ELb0EPjSB_N6thrust23THRUST_200600_302600_NS5minusIjEEEE10hipError_tPvRmT2_T3_mT4_P12ihipStream_tbEUlmE_jEESB_NS0_8identityIvEEEESG_SJ_SK_mSL_SN_bEUlT_E_NS1_11comp_targetILNS1_3genE9ELNS1_11target_archE1100ELNS1_3gpuE3ELNS1_3repE0EEENS1_30default_config_static_selectorELNS0_4arch9wavefront6targetE1EEEvT1_, .Lfunc_end170-_ZN7rocprim17ROCPRIM_400000_NS6detail17trampoline_kernelINS0_14default_configENS1_25transform_config_selectorIjLb0EEEZNS1_14transform_implILb0ES3_S5_NS0_18transform_iteratorINS0_17counting_iteratorImlEEZNS1_24adjacent_difference_implIS3_Lb1ELb0EPjSB_N6thrust23THRUST_200600_302600_NS5minusIjEEEE10hipError_tPvRmT2_T3_mT4_P12ihipStream_tbEUlmE_jEESB_NS0_8identityIvEEEESG_SJ_SK_mSL_SN_bEUlT_E_NS1_11comp_targetILNS1_3genE9ELNS1_11target_archE1100ELNS1_3gpuE3ELNS1_3repE0EEENS1_30default_config_static_selectorELNS0_4arch9wavefront6targetE1EEEvT1_
                                        ; -- End function
	.set _ZN7rocprim17ROCPRIM_400000_NS6detail17trampoline_kernelINS0_14default_configENS1_25transform_config_selectorIjLb0EEEZNS1_14transform_implILb0ES3_S5_NS0_18transform_iteratorINS0_17counting_iteratorImlEEZNS1_24adjacent_difference_implIS3_Lb1ELb0EPjSB_N6thrust23THRUST_200600_302600_NS5minusIjEEEE10hipError_tPvRmT2_T3_mT4_P12ihipStream_tbEUlmE_jEESB_NS0_8identityIvEEEESG_SJ_SK_mSL_SN_bEUlT_E_NS1_11comp_targetILNS1_3genE9ELNS1_11target_archE1100ELNS1_3gpuE3ELNS1_3repE0EEENS1_30default_config_static_selectorELNS0_4arch9wavefront6targetE1EEEvT1_.num_vgpr, 0
	.set _ZN7rocprim17ROCPRIM_400000_NS6detail17trampoline_kernelINS0_14default_configENS1_25transform_config_selectorIjLb0EEEZNS1_14transform_implILb0ES3_S5_NS0_18transform_iteratorINS0_17counting_iteratorImlEEZNS1_24adjacent_difference_implIS3_Lb1ELb0EPjSB_N6thrust23THRUST_200600_302600_NS5minusIjEEEE10hipError_tPvRmT2_T3_mT4_P12ihipStream_tbEUlmE_jEESB_NS0_8identityIvEEEESG_SJ_SK_mSL_SN_bEUlT_E_NS1_11comp_targetILNS1_3genE9ELNS1_11target_archE1100ELNS1_3gpuE3ELNS1_3repE0EEENS1_30default_config_static_selectorELNS0_4arch9wavefront6targetE1EEEvT1_.num_agpr, 0
	.set _ZN7rocprim17ROCPRIM_400000_NS6detail17trampoline_kernelINS0_14default_configENS1_25transform_config_selectorIjLb0EEEZNS1_14transform_implILb0ES3_S5_NS0_18transform_iteratorINS0_17counting_iteratorImlEEZNS1_24adjacent_difference_implIS3_Lb1ELb0EPjSB_N6thrust23THRUST_200600_302600_NS5minusIjEEEE10hipError_tPvRmT2_T3_mT4_P12ihipStream_tbEUlmE_jEESB_NS0_8identityIvEEEESG_SJ_SK_mSL_SN_bEUlT_E_NS1_11comp_targetILNS1_3genE9ELNS1_11target_archE1100ELNS1_3gpuE3ELNS1_3repE0EEENS1_30default_config_static_selectorELNS0_4arch9wavefront6targetE1EEEvT1_.numbered_sgpr, 0
	.set _ZN7rocprim17ROCPRIM_400000_NS6detail17trampoline_kernelINS0_14default_configENS1_25transform_config_selectorIjLb0EEEZNS1_14transform_implILb0ES3_S5_NS0_18transform_iteratorINS0_17counting_iteratorImlEEZNS1_24adjacent_difference_implIS3_Lb1ELb0EPjSB_N6thrust23THRUST_200600_302600_NS5minusIjEEEE10hipError_tPvRmT2_T3_mT4_P12ihipStream_tbEUlmE_jEESB_NS0_8identityIvEEEESG_SJ_SK_mSL_SN_bEUlT_E_NS1_11comp_targetILNS1_3genE9ELNS1_11target_archE1100ELNS1_3gpuE3ELNS1_3repE0EEENS1_30default_config_static_selectorELNS0_4arch9wavefront6targetE1EEEvT1_.num_named_barrier, 0
	.set _ZN7rocprim17ROCPRIM_400000_NS6detail17trampoline_kernelINS0_14default_configENS1_25transform_config_selectorIjLb0EEEZNS1_14transform_implILb0ES3_S5_NS0_18transform_iteratorINS0_17counting_iteratorImlEEZNS1_24adjacent_difference_implIS3_Lb1ELb0EPjSB_N6thrust23THRUST_200600_302600_NS5minusIjEEEE10hipError_tPvRmT2_T3_mT4_P12ihipStream_tbEUlmE_jEESB_NS0_8identityIvEEEESG_SJ_SK_mSL_SN_bEUlT_E_NS1_11comp_targetILNS1_3genE9ELNS1_11target_archE1100ELNS1_3gpuE3ELNS1_3repE0EEENS1_30default_config_static_selectorELNS0_4arch9wavefront6targetE1EEEvT1_.private_seg_size, 0
	.set _ZN7rocprim17ROCPRIM_400000_NS6detail17trampoline_kernelINS0_14default_configENS1_25transform_config_selectorIjLb0EEEZNS1_14transform_implILb0ES3_S5_NS0_18transform_iteratorINS0_17counting_iteratorImlEEZNS1_24adjacent_difference_implIS3_Lb1ELb0EPjSB_N6thrust23THRUST_200600_302600_NS5minusIjEEEE10hipError_tPvRmT2_T3_mT4_P12ihipStream_tbEUlmE_jEESB_NS0_8identityIvEEEESG_SJ_SK_mSL_SN_bEUlT_E_NS1_11comp_targetILNS1_3genE9ELNS1_11target_archE1100ELNS1_3gpuE3ELNS1_3repE0EEENS1_30default_config_static_selectorELNS0_4arch9wavefront6targetE1EEEvT1_.uses_vcc, 0
	.set _ZN7rocprim17ROCPRIM_400000_NS6detail17trampoline_kernelINS0_14default_configENS1_25transform_config_selectorIjLb0EEEZNS1_14transform_implILb0ES3_S5_NS0_18transform_iteratorINS0_17counting_iteratorImlEEZNS1_24adjacent_difference_implIS3_Lb1ELb0EPjSB_N6thrust23THRUST_200600_302600_NS5minusIjEEEE10hipError_tPvRmT2_T3_mT4_P12ihipStream_tbEUlmE_jEESB_NS0_8identityIvEEEESG_SJ_SK_mSL_SN_bEUlT_E_NS1_11comp_targetILNS1_3genE9ELNS1_11target_archE1100ELNS1_3gpuE3ELNS1_3repE0EEENS1_30default_config_static_selectorELNS0_4arch9wavefront6targetE1EEEvT1_.uses_flat_scratch, 0
	.set _ZN7rocprim17ROCPRIM_400000_NS6detail17trampoline_kernelINS0_14default_configENS1_25transform_config_selectorIjLb0EEEZNS1_14transform_implILb0ES3_S5_NS0_18transform_iteratorINS0_17counting_iteratorImlEEZNS1_24adjacent_difference_implIS3_Lb1ELb0EPjSB_N6thrust23THRUST_200600_302600_NS5minusIjEEEE10hipError_tPvRmT2_T3_mT4_P12ihipStream_tbEUlmE_jEESB_NS0_8identityIvEEEESG_SJ_SK_mSL_SN_bEUlT_E_NS1_11comp_targetILNS1_3genE9ELNS1_11target_archE1100ELNS1_3gpuE3ELNS1_3repE0EEENS1_30default_config_static_selectorELNS0_4arch9wavefront6targetE1EEEvT1_.has_dyn_sized_stack, 0
	.set _ZN7rocprim17ROCPRIM_400000_NS6detail17trampoline_kernelINS0_14default_configENS1_25transform_config_selectorIjLb0EEEZNS1_14transform_implILb0ES3_S5_NS0_18transform_iteratorINS0_17counting_iteratorImlEEZNS1_24adjacent_difference_implIS3_Lb1ELb0EPjSB_N6thrust23THRUST_200600_302600_NS5minusIjEEEE10hipError_tPvRmT2_T3_mT4_P12ihipStream_tbEUlmE_jEESB_NS0_8identityIvEEEESG_SJ_SK_mSL_SN_bEUlT_E_NS1_11comp_targetILNS1_3genE9ELNS1_11target_archE1100ELNS1_3gpuE3ELNS1_3repE0EEENS1_30default_config_static_selectorELNS0_4arch9wavefront6targetE1EEEvT1_.has_recursion, 0
	.set _ZN7rocprim17ROCPRIM_400000_NS6detail17trampoline_kernelINS0_14default_configENS1_25transform_config_selectorIjLb0EEEZNS1_14transform_implILb0ES3_S5_NS0_18transform_iteratorINS0_17counting_iteratorImlEEZNS1_24adjacent_difference_implIS3_Lb1ELb0EPjSB_N6thrust23THRUST_200600_302600_NS5minusIjEEEE10hipError_tPvRmT2_T3_mT4_P12ihipStream_tbEUlmE_jEESB_NS0_8identityIvEEEESG_SJ_SK_mSL_SN_bEUlT_E_NS1_11comp_targetILNS1_3genE9ELNS1_11target_archE1100ELNS1_3gpuE3ELNS1_3repE0EEENS1_30default_config_static_selectorELNS0_4arch9wavefront6targetE1EEEvT1_.has_indirect_call, 0
	.section	.AMDGPU.csdata,"",@progbits
; Kernel info:
; codeLenInByte = 0
; TotalNumSgprs: 4
; NumVgprs: 0
; ScratchSize: 0
; MemoryBound: 0
; FloatMode: 240
; IeeeMode: 1
; LDSByteSize: 0 bytes/workgroup (compile time only)
; SGPRBlocks: 0
; VGPRBlocks: 0
; NumSGPRsForWavesPerEU: 4
; NumVGPRsForWavesPerEU: 1
; Occupancy: 10
; WaveLimiterHint : 0
; COMPUTE_PGM_RSRC2:SCRATCH_EN: 0
; COMPUTE_PGM_RSRC2:USER_SGPR: 6
; COMPUTE_PGM_RSRC2:TRAP_HANDLER: 0
; COMPUTE_PGM_RSRC2:TGID_X_EN: 1
; COMPUTE_PGM_RSRC2:TGID_Y_EN: 0
; COMPUTE_PGM_RSRC2:TGID_Z_EN: 0
; COMPUTE_PGM_RSRC2:TIDIG_COMP_CNT: 0
	.section	.text._ZN7rocprim17ROCPRIM_400000_NS6detail17trampoline_kernelINS0_14default_configENS1_25transform_config_selectorIjLb0EEEZNS1_14transform_implILb0ES3_S5_NS0_18transform_iteratorINS0_17counting_iteratorImlEEZNS1_24adjacent_difference_implIS3_Lb1ELb0EPjSB_N6thrust23THRUST_200600_302600_NS5minusIjEEEE10hipError_tPvRmT2_T3_mT4_P12ihipStream_tbEUlmE_jEESB_NS0_8identityIvEEEESG_SJ_SK_mSL_SN_bEUlT_E_NS1_11comp_targetILNS1_3genE8ELNS1_11target_archE1030ELNS1_3gpuE2ELNS1_3repE0EEENS1_30default_config_static_selectorELNS0_4arch9wavefront6targetE1EEEvT1_,"axG",@progbits,_ZN7rocprim17ROCPRIM_400000_NS6detail17trampoline_kernelINS0_14default_configENS1_25transform_config_selectorIjLb0EEEZNS1_14transform_implILb0ES3_S5_NS0_18transform_iteratorINS0_17counting_iteratorImlEEZNS1_24adjacent_difference_implIS3_Lb1ELb0EPjSB_N6thrust23THRUST_200600_302600_NS5minusIjEEEE10hipError_tPvRmT2_T3_mT4_P12ihipStream_tbEUlmE_jEESB_NS0_8identityIvEEEESG_SJ_SK_mSL_SN_bEUlT_E_NS1_11comp_targetILNS1_3genE8ELNS1_11target_archE1030ELNS1_3gpuE2ELNS1_3repE0EEENS1_30default_config_static_selectorELNS0_4arch9wavefront6targetE1EEEvT1_,comdat
	.protected	_ZN7rocprim17ROCPRIM_400000_NS6detail17trampoline_kernelINS0_14default_configENS1_25transform_config_selectorIjLb0EEEZNS1_14transform_implILb0ES3_S5_NS0_18transform_iteratorINS0_17counting_iteratorImlEEZNS1_24adjacent_difference_implIS3_Lb1ELb0EPjSB_N6thrust23THRUST_200600_302600_NS5minusIjEEEE10hipError_tPvRmT2_T3_mT4_P12ihipStream_tbEUlmE_jEESB_NS0_8identityIvEEEESG_SJ_SK_mSL_SN_bEUlT_E_NS1_11comp_targetILNS1_3genE8ELNS1_11target_archE1030ELNS1_3gpuE2ELNS1_3repE0EEENS1_30default_config_static_selectorELNS0_4arch9wavefront6targetE1EEEvT1_ ; -- Begin function _ZN7rocprim17ROCPRIM_400000_NS6detail17trampoline_kernelINS0_14default_configENS1_25transform_config_selectorIjLb0EEEZNS1_14transform_implILb0ES3_S5_NS0_18transform_iteratorINS0_17counting_iteratorImlEEZNS1_24adjacent_difference_implIS3_Lb1ELb0EPjSB_N6thrust23THRUST_200600_302600_NS5minusIjEEEE10hipError_tPvRmT2_T3_mT4_P12ihipStream_tbEUlmE_jEESB_NS0_8identityIvEEEESG_SJ_SK_mSL_SN_bEUlT_E_NS1_11comp_targetILNS1_3genE8ELNS1_11target_archE1030ELNS1_3gpuE2ELNS1_3repE0EEENS1_30default_config_static_selectorELNS0_4arch9wavefront6targetE1EEEvT1_
	.globl	_ZN7rocprim17ROCPRIM_400000_NS6detail17trampoline_kernelINS0_14default_configENS1_25transform_config_selectorIjLb0EEEZNS1_14transform_implILb0ES3_S5_NS0_18transform_iteratorINS0_17counting_iteratorImlEEZNS1_24adjacent_difference_implIS3_Lb1ELb0EPjSB_N6thrust23THRUST_200600_302600_NS5minusIjEEEE10hipError_tPvRmT2_T3_mT4_P12ihipStream_tbEUlmE_jEESB_NS0_8identityIvEEEESG_SJ_SK_mSL_SN_bEUlT_E_NS1_11comp_targetILNS1_3genE8ELNS1_11target_archE1030ELNS1_3gpuE2ELNS1_3repE0EEENS1_30default_config_static_selectorELNS0_4arch9wavefront6targetE1EEEvT1_
	.p2align	8
	.type	_ZN7rocprim17ROCPRIM_400000_NS6detail17trampoline_kernelINS0_14default_configENS1_25transform_config_selectorIjLb0EEEZNS1_14transform_implILb0ES3_S5_NS0_18transform_iteratorINS0_17counting_iteratorImlEEZNS1_24adjacent_difference_implIS3_Lb1ELb0EPjSB_N6thrust23THRUST_200600_302600_NS5minusIjEEEE10hipError_tPvRmT2_T3_mT4_P12ihipStream_tbEUlmE_jEESB_NS0_8identityIvEEEESG_SJ_SK_mSL_SN_bEUlT_E_NS1_11comp_targetILNS1_3genE8ELNS1_11target_archE1030ELNS1_3gpuE2ELNS1_3repE0EEENS1_30default_config_static_selectorELNS0_4arch9wavefront6targetE1EEEvT1_,@function
_ZN7rocprim17ROCPRIM_400000_NS6detail17trampoline_kernelINS0_14default_configENS1_25transform_config_selectorIjLb0EEEZNS1_14transform_implILb0ES3_S5_NS0_18transform_iteratorINS0_17counting_iteratorImlEEZNS1_24adjacent_difference_implIS3_Lb1ELb0EPjSB_N6thrust23THRUST_200600_302600_NS5minusIjEEEE10hipError_tPvRmT2_T3_mT4_P12ihipStream_tbEUlmE_jEESB_NS0_8identityIvEEEESG_SJ_SK_mSL_SN_bEUlT_E_NS1_11comp_targetILNS1_3genE8ELNS1_11target_archE1030ELNS1_3gpuE2ELNS1_3repE0EEENS1_30default_config_static_selectorELNS0_4arch9wavefront6targetE1EEEvT1_: ; @_ZN7rocprim17ROCPRIM_400000_NS6detail17trampoline_kernelINS0_14default_configENS1_25transform_config_selectorIjLb0EEEZNS1_14transform_implILb0ES3_S5_NS0_18transform_iteratorINS0_17counting_iteratorImlEEZNS1_24adjacent_difference_implIS3_Lb1ELb0EPjSB_N6thrust23THRUST_200600_302600_NS5minusIjEEEE10hipError_tPvRmT2_T3_mT4_P12ihipStream_tbEUlmE_jEESB_NS0_8identityIvEEEESG_SJ_SK_mSL_SN_bEUlT_E_NS1_11comp_targetILNS1_3genE8ELNS1_11target_archE1030ELNS1_3gpuE2ELNS1_3repE0EEENS1_30default_config_static_selectorELNS0_4arch9wavefront6targetE1EEEvT1_
; %bb.0:
	.section	.rodata,"a",@progbits
	.p2align	6, 0x0
	.amdhsa_kernel _ZN7rocprim17ROCPRIM_400000_NS6detail17trampoline_kernelINS0_14default_configENS1_25transform_config_selectorIjLb0EEEZNS1_14transform_implILb0ES3_S5_NS0_18transform_iteratorINS0_17counting_iteratorImlEEZNS1_24adjacent_difference_implIS3_Lb1ELb0EPjSB_N6thrust23THRUST_200600_302600_NS5minusIjEEEE10hipError_tPvRmT2_T3_mT4_P12ihipStream_tbEUlmE_jEESB_NS0_8identityIvEEEESG_SJ_SK_mSL_SN_bEUlT_E_NS1_11comp_targetILNS1_3genE8ELNS1_11target_archE1030ELNS1_3gpuE2ELNS1_3repE0EEENS1_30default_config_static_selectorELNS0_4arch9wavefront6targetE1EEEvT1_
		.amdhsa_group_segment_fixed_size 0
		.amdhsa_private_segment_fixed_size 0
		.amdhsa_kernarg_size 56
		.amdhsa_user_sgpr_count 6
		.amdhsa_user_sgpr_private_segment_buffer 1
		.amdhsa_user_sgpr_dispatch_ptr 0
		.amdhsa_user_sgpr_queue_ptr 0
		.amdhsa_user_sgpr_kernarg_segment_ptr 1
		.amdhsa_user_sgpr_dispatch_id 0
		.amdhsa_user_sgpr_flat_scratch_init 0
		.amdhsa_user_sgpr_private_segment_size 0
		.amdhsa_uses_dynamic_stack 0
		.amdhsa_system_sgpr_private_segment_wavefront_offset 0
		.amdhsa_system_sgpr_workgroup_id_x 1
		.amdhsa_system_sgpr_workgroup_id_y 0
		.amdhsa_system_sgpr_workgroup_id_z 0
		.amdhsa_system_sgpr_workgroup_info 0
		.amdhsa_system_vgpr_workitem_id 0
		.amdhsa_next_free_vgpr 1
		.amdhsa_next_free_sgpr 0
		.amdhsa_reserve_vcc 0
		.amdhsa_reserve_flat_scratch 0
		.amdhsa_float_round_mode_32 0
		.amdhsa_float_round_mode_16_64 0
		.amdhsa_float_denorm_mode_32 3
		.amdhsa_float_denorm_mode_16_64 3
		.amdhsa_dx10_clamp 1
		.amdhsa_ieee_mode 1
		.amdhsa_fp16_overflow 0
		.amdhsa_exception_fp_ieee_invalid_op 0
		.amdhsa_exception_fp_denorm_src 0
		.amdhsa_exception_fp_ieee_div_zero 0
		.amdhsa_exception_fp_ieee_overflow 0
		.amdhsa_exception_fp_ieee_underflow 0
		.amdhsa_exception_fp_ieee_inexact 0
		.amdhsa_exception_int_div_zero 0
	.end_amdhsa_kernel
	.section	.text._ZN7rocprim17ROCPRIM_400000_NS6detail17trampoline_kernelINS0_14default_configENS1_25transform_config_selectorIjLb0EEEZNS1_14transform_implILb0ES3_S5_NS0_18transform_iteratorINS0_17counting_iteratorImlEEZNS1_24adjacent_difference_implIS3_Lb1ELb0EPjSB_N6thrust23THRUST_200600_302600_NS5minusIjEEEE10hipError_tPvRmT2_T3_mT4_P12ihipStream_tbEUlmE_jEESB_NS0_8identityIvEEEESG_SJ_SK_mSL_SN_bEUlT_E_NS1_11comp_targetILNS1_3genE8ELNS1_11target_archE1030ELNS1_3gpuE2ELNS1_3repE0EEENS1_30default_config_static_selectorELNS0_4arch9wavefront6targetE1EEEvT1_,"axG",@progbits,_ZN7rocprim17ROCPRIM_400000_NS6detail17trampoline_kernelINS0_14default_configENS1_25transform_config_selectorIjLb0EEEZNS1_14transform_implILb0ES3_S5_NS0_18transform_iteratorINS0_17counting_iteratorImlEEZNS1_24adjacent_difference_implIS3_Lb1ELb0EPjSB_N6thrust23THRUST_200600_302600_NS5minusIjEEEE10hipError_tPvRmT2_T3_mT4_P12ihipStream_tbEUlmE_jEESB_NS0_8identityIvEEEESG_SJ_SK_mSL_SN_bEUlT_E_NS1_11comp_targetILNS1_3genE8ELNS1_11target_archE1030ELNS1_3gpuE2ELNS1_3repE0EEENS1_30default_config_static_selectorELNS0_4arch9wavefront6targetE1EEEvT1_,comdat
.Lfunc_end171:
	.size	_ZN7rocprim17ROCPRIM_400000_NS6detail17trampoline_kernelINS0_14default_configENS1_25transform_config_selectorIjLb0EEEZNS1_14transform_implILb0ES3_S5_NS0_18transform_iteratorINS0_17counting_iteratorImlEEZNS1_24adjacent_difference_implIS3_Lb1ELb0EPjSB_N6thrust23THRUST_200600_302600_NS5minusIjEEEE10hipError_tPvRmT2_T3_mT4_P12ihipStream_tbEUlmE_jEESB_NS0_8identityIvEEEESG_SJ_SK_mSL_SN_bEUlT_E_NS1_11comp_targetILNS1_3genE8ELNS1_11target_archE1030ELNS1_3gpuE2ELNS1_3repE0EEENS1_30default_config_static_selectorELNS0_4arch9wavefront6targetE1EEEvT1_, .Lfunc_end171-_ZN7rocprim17ROCPRIM_400000_NS6detail17trampoline_kernelINS0_14default_configENS1_25transform_config_selectorIjLb0EEEZNS1_14transform_implILb0ES3_S5_NS0_18transform_iteratorINS0_17counting_iteratorImlEEZNS1_24adjacent_difference_implIS3_Lb1ELb0EPjSB_N6thrust23THRUST_200600_302600_NS5minusIjEEEE10hipError_tPvRmT2_T3_mT4_P12ihipStream_tbEUlmE_jEESB_NS0_8identityIvEEEESG_SJ_SK_mSL_SN_bEUlT_E_NS1_11comp_targetILNS1_3genE8ELNS1_11target_archE1030ELNS1_3gpuE2ELNS1_3repE0EEENS1_30default_config_static_selectorELNS0_4arch9wavefront6targetE1EEEvT1_
                                        ; -- End function
	.set _ZN7rocprim17ROCPRIM_400000_NS6detail17trampoline_kernelINS0_14default_configENS1_25transform_config_selectorIjLb0EEEZNS1_14transform_implILb0ES3_S5_NS0_18transform_iteratorINS0_17counting_iteratorImlEEZNS1_24adjacent_difference_implIS3_Lb1ELb0EPjSB_N6thrust23THRUST_200600_302600_NS5minusIjEEEE10hipError_tPvRmT2_T3_mT4_P12ihipStream_tbEUlmE_jEESB_NS0_8identityIvEEEESG_SJ_SK_mSL_SN_bEUlT_E_NS1_11comp_targetILNS1_3genE8ELNS1_11target_archE1030ELNS1_3gpuE2ELNS1_3repE0EEENS1_30default_config_static_selectorELNS0_4arch9wavefront6targetE1EEEvT1_.num_vgpr, 0
	.set _ZN7rocprim17ROCPRIM_400000_NS6detail17trampoline_kernelINS0_14default_configENS1_25transform_config_selectorIjLb0EEEZNS1_14transform_implILb0ES3_S5_NS0_18transform_iteratorINS0_17counting_iteratorImlEEZNS1_24adjacent_difference_implIS3_Lb1ELb0EPjSB_N6thrust23THRUST_200600_302600_NS5minusIjEEEE10hipError_tPvRmT2_T3_mT4_P12ihipStream_tbEUlmE_jEESB_NS0_8identityIvEEEESG_SJ_SK_mSL_SN_bEUlT_E_NS1_11comp_targetILNS1_3genE8ELNS1_11target_archE1030ELNS1_3gpuE2ELNS1_3repE0EEENS1_30default_config_static_selectorELNS0_4arch9wavefront6targetE1EEEvT1_.num_agpr, 0
	.set _ZN7rocprim17ROCPRIM_400000_NS6detail17trampoline_kernelINS0_14default_configENS1_25transform_config_selectorIjLb0EEEZNS1_14transform_implILb0ES3_S5_NS0_18transform_iteratorINS0_17counting_iteratorImlEEZNS1_24adjacent_difference_implIS3_Lb1ELb0EPjSB_N6thrust23THRUST_200600_302600_NS5minusIjEEEE10hipError_tPvRmT2_T3_mT4_P12ihipStream_tbEUlmE_jEESB_NS0_8identityIvEEEESG_SJ_SK_mSL_SN_bEUlT_E_NS1_11comp_targetILNS1_3genE8ELNS1_11target_archE1030ELNS1_3gpuE2ELNS1_3repE0EEENS1_30default_config_static_selectorELNS0_4arch9wavefront6targetE1EEEvT1_.numbered_sgpr, 0
	.set _ZN7rocprim17ROCPRIM_400000_NS6detail17trampoline_kernelINS0_14default_configENS1_25transform_config_selectorIjLb0EEEZNS1_14transform_implILb0ES3_S5_NS0_18transform_iteratorINS0_17counting_iteratorImlEEZNS1_24adjacent_difference_implIS3_Lb1ELb0EPjSB_N6thrust23THRUST_200600_302600_NS5minusIjEEEE10hipError_tPvRmT2_T3_mT4_P12ihipStream_tbEUlmE_jEESB_NS0_8identityIvEEEESG_SJ_SK_mSL_SN_bEUlT_E_NS1_11comp_targetILNS1_3genE8ELNS1_11target_archE1030ELNS1_3gpuE2ELNS1_3repE0EEENS1_30default_config_static_selectorELNS0_4arch9wavefront6targetE1EEEvT1_.num_named_barrier, 0
	.set _ZN7rocprim17ROCPRIM_400000_NS6detail17trampoline_kernelINS0_14default_configENS1_25transform_config_selectorIjLb0EEEZNS1_14transform_implILb0ES3_S5_NS0_18transform_iteratorINS0_17counting_iteratorImlEEZNS1_24adjacent_difference_implIS3_Lb1ELb0EPjSB_N6thrust23THRUST_200600_302600_NS5minusIjEEEE10hipError_tPvRmT2_T3_mT4_P12ihipStream_tbEUlmE_jEESB_NS0_8identityIvEEEESG_SJ_SK_mSL_SN_bEUlT_E_NS1_11comp_targetILNS1_3genE8ELNS1_11target_archE1030ELNS1_3gpuE2ELNS1_3repE0EEENS1_30default_config_static_selectorELNS0_4arch9wavefront6targetE1EEEvT1_.private_seg_size, 0
	.set _ZN7rocprim17ROCPRIM_400000_NS6detail17trampoline_kernelINS0_14default_configENS1_25transform_config_selectorIjLb0EEEZNS1_14transform_implILb0ES3_S5_NS0_18transform_iteratorINS0_17counting_iteratorImlEEZNS1_24adjacent_difference_implIS3_Lb1ELb0EPjSB_N6thrust23THRUST_200600_302600_NS5minusIjEEEE10hipError_tPvRmT2_T3_mT4_P12ihipStream_tbEUlmE_jEESB_NS0_8identityIvEEEESG_SJ_SK_mSL_SN_bEUlT_E_NS1_11comp_targetILNS1_3genE8ELNS1_11target_archE1030ELNS1_3gpuE2ELNS1_3repE0EEENS1_30default_config_static_selectorELNS0_4arch9wavefront6targetE1EEEvT1_.uses_vcc, 0
	.set _ZN7rocprim17ROCPRIM_400000_NS6detail17trampoline_kernelINS0_14default_configENS1_25transform_config_selectorIjLb0EEEZNS1_14transform_implILb0ES3_S5_NS0_18transform_iteratorINS0_17counting_iteratorImlEEZNS1_24adjacent_difference_implIS3_Lb1ELb0EPjSB_N6thrust23THRUST_200600_302600_NS5minusIjEEEE10hipError_tPvRmT2_T3_mT4_P12ihipStream_tbEUlmE_jEESB_NS0_8identityIvEEEESG_SJ_SK_mSL_SN_bEUlT_E_NS1_11comp_targetILNS1_3genE8ELNS1_11target_archE1030ELNS1_3gpuE2ELNS1_3repE0EEENS1_30default_config_static_selectorELNS0_4arch9wavefront6targetE1EEEvT1_.uses_flat_scratch, 0
	.set _ZN7rocprim17ROCPRIM_400000_NS6detail17trampoline_kernelINS0_14default_configENS1_25transform_config_selectorIjLb0EEEZNS1_14transform_implILb0ES3_S5_NS0_18transform_iteratorINS0_17counting_iteratorImlEEZNS1_24adjacent_difference_implIS3_Lb1ELb0EPjSB_N6thrust23THRUST_200600_302600_NS5minusIjEEEE10hipError_tPvRmT2_T3_mT4_P12ihipStream_tbEUlmE_jEESB_NS0_8identityIvEEEESG_SJ_SK_mSL_SN_bEUlT_E_NS1_11comp_targetILNS1_3genE8ELNS1_11target_archE1030ELNS1_3gpuE2ELNS1_3repE0EEENS1_30default_config_static_selectorELNS0_4arch9wavefront6targetE1EEEvT1_.has_dyn_sized_stack, 0
	.set _ZN7rocprim17ROCPRIM_400000_NS6detail17trampoline_kernelINS0_14default_configENS1_25transform_config_selectorIjLb0EEEZNS1_14transform_implILb0ES3_S5_NS0_18transform_iteratorINS0_17counting_iteratorImlEEZNS1_24adjacent_difference_implIS3_Lb1ELb0EPjSB_N6thrust23THRUST_200600_302600_NS5minusIjEEEE10hipError_tPvRmT2_T3_mT4_P12ihipStream_tbEUlmE_jEESB_NS0_8identityIvEEEESG_SJ_SK_mSL_SN_bEUlT_E_NS1_11comp_targetILNS1_3genE8ELNS1_11target_archE1030ELNS1_3gpuE2ELNS1_3repE0EEENS1_30default_config_static_selectorELNS0_4arch9wavefront6targetE1EEEvT1_.has_recursion, 0
	.set _ZN7rocprim17ROCPRIM_400000_NS6detail17trampoline_kernelINS0_14default_configENS1_25transform_config_selectorIjLb0EEEZNS1_14transform_implILb0ES3_S5_NS0_18transform_iteratorINS0_17counting_iteratorImlEEZNS1_24adjacent_difference_implIS3_Lb1ELb0EPjSB_N6thrust23THRUST_200600_302600_NS5minusIjEEEE10hipError_tPvRmT2_T3_mT4_P12ihipStream_tbEUlmE_jEESB_NS0_8identityIvEEEESG_SJ_SK_mSL_SN_bEUlT_E_NS1_11comp_targetILNS1_3genE8ELNS1_11target_archE1030ELNS1_3gpuE2ELNS1_3repE0EEENS1_30default_config_static_selectorELNS0_4arch9wavefront6targetE1EEEvT1_.has_indirect_call, 0
	.section	.AMDGPU.csdata,"",@progbits
; Kernel info:
; codeLenInByte = 0
; TotalNumSgprs: 4
; NumVgprs: 0
; ScratchSize: 0
; MemoryBound: 0
; FloatMode: 240
; IeeeMode: 1
; LDSByteSize: 0 bytes/workgroup (compile time only)
; SGPRBlocks: 0
; VGPRBlocks: 0
; NumSGPRsForWavesPerEU: 4
; NumVGPRsForWavesPerEU: 1
; Occupancy: 10
; WaveLimiterHint : 0
; COMPUTE_PGM_RSRC2:SCRATCH_EN: 0
; COMPUTE_PGM_RSRC2:USER_SGPR: 6
; COMPUTE_PGM_RSRC2:TRAP_HANDLER: 0
; COMPUTE_PGM_RSRC2:TGID_X_EN: 1
; COMPUTE_PGM_RSRC2:TGID_Y_EN: 0
; COMPUTE_PGM_RSRC2:TGID_Z_EN: 0
; COMPUTE_PGM_RSRC2:TIDIG_COMP_CNT: 0
	.section	.text._ZN7rocprim17ROCPRIM_400000_NS6detail17trampoline_kernelINS0_14default_configENS1_35adjacent_difference_config_selectorILb1EjEEZNS1_24adjacent_difference_implIS3_Lb1ELb0EPjS7_N6thrust23THRUST_200600_302600_NS5minusIjEEEE10hipError_tPvRmT2_T3_mT4_P12ihipStream_tbEUlT_E_NS1_11comp_targetILNS1_3genE0ELNS1_11target_archE4294967295ELNS1_3gpuE0ELNS1_3repE0EEENS1_30default_config_static_selectorELNS0_4arch9wavefront6targetE1EEEvT1_,"axG",@progbits,_ZN7rocprim17ROCPRIM_400000_NS6detail17trampoline_kernelINS0_14default_configENS1_35adjacent_difference_config_selectorILb1EjEEZNS1_24adjacent_difference_implIS3_Lb1ELb0EPjS7_N6thrust23THRUST_200600_302600_NS5minusIjEEEE10hipError_tPvRmT2_T3_mT4_P12ihipStream_tbEUlT_E_NS1_11comp_targetILNS1_3genE0ELNS1_11target_archE4294967295ELNS1_3gpuE0ELNS1_3repE0EEENS1_30default_config_static_selectorELNS0_4arch9wavefront6targetE1EEEvT1_,comdat
	.protected	_ZN7rocprim17ROCPRIM_400000_NS6detail17trampoline_kernelINS0_14default_configENS1_35adjacent_difference_config_selectorILb1EjEEZNS1_24adjacent_difference_implIS3_Lb1ELb0EPjS7_N6thrust23THRUST_200600_302600_NS5minusIjEEEE10hipError_tPvRmT2_T3_mT4_P12ihipStream_tbEUlT_E_NS1_11comp_targetILNS1_3genE0ELNS1_11target_archE4294967295ELNS1_3gpuE0ELNS1_3repE0EEENS1_30default_config_static_selectorELNS0_4arch9wavefront6targetE1EEEvT1_ ; -- Begin function _ZN7rocprim17ROCPRIM_400000_NS6detail17trampoline_kernelINS0_14default_configENS1_35adjacent_difference_config_selectorILb1EjEEZNS1_24adjacent_difference_implIS3_Lb1ELb0EPjS7_N6thrust23THRUST_200600_302600_NS5minusIjEEEE10hipError_tPvRmT2_T3_mT4_P12ihipStream_tbEUlT_E_NS1_11comp_targetILNS1_3genE0ELNS1_11target_archE4294967295ELNS1_3gpuE0ELNS1_3repE0EEENS1_30default_config_static_selectorELNS0_4arch9wavefront6targetE1EEEvT1_
	.globl	_ZN7rocprim17ROCPRIM_400000_NS6detail17trampoline_kernelINS0_14default_configENS1_35adjacent_difference_config_selectorILb1EjEEZNS1_24adjacent_difference_implIS3_Lb1ELb0EPjS7_N6thrust23THRUST_200600_302600_NS5minusIjEEEE10hipError_tPvRmT2_T3_mT4_P12ihipStream_tbEUlT_E_NS1_11comp_targetILNS1_3genE0ELNS1_11target_archE4294967295ELNS1_3gpuE0ELNS1_3repE0EEENS1_30default_config_static_selectorELNS0_4arch9wavefront6targetE1EEEvT1_
	.p2align	8
	.type	_ZN7rocprim17ROCPRIM_400000_NS6detail17trampoline_kernelINS0_14default_configENS1_35adjacent_difference_config_selectorILb1EjEEZNS1_24adjacent_difference_implIS3_Lb1ELb0EPjS7_N6thrust23THRUST_200600_302600_NS5minusIjEEEE10hipError_tPvRmT2_T3_mT4_P12ihipStream_tbEUlT_E_NS1_11comp_targetILNS1_3genE0ELNS1_11target_archE4294967295ELNS1_3gpuE0ELNS1_3repE0EEENS1_30default_config_static_selectorELNS0_4arch9wavefront6targetE1EEEvT1_,@function
_ZN7rocprim17ROCPRIM_400000_NS6detail17trampoline_kernelINS0_14default_configENS1_35adjacent_difference_config_selectorILb1EjEEZNS1_24adjacent_difference_implIS3_Lb1ELb0EPjS7_N6thrust23THRUST_200600_302600_NS5minusIjEEEE10hipError_tPvRmT2_T3_mT4_P12ihipStream_tbEUlT_E_NS1_11comp_targetILNS1_3genE0ELNS1_11target_archE4294967295ELNS1_3gpuE0ELNS1_3repE0EEENS1_30default_config_static_selectorELNS0_4arch9wavefront6targetE1EEEvT1_: ; @_ZN7rocprim17ROCPRIM_400000_NS6detail17trampoline_kernelINS0_14default_configENS1_35adjacent_difference_config_selectorILb1EjEEZNS1_24adjacent_difference_implIS3_Lb1ELb0EPjS7_N6thrust23THRUST_200600_302600_NS5minusIjEEEE10hipError_tPvRmT2_T3_mT4_P12ihipStream_tbEUlT_E_NS1_11comp_targetILNS1_3genE0ELNS1_11target_archE4294967295ELNS1_3gpuE0ELNS1_3repE0EEENS1_30default_config_static_selectorELNS0_4arch9wavefront6targetE1EEEvT1_
; %bb.0:
	.section	.rodata,"a",@progbits
	.p2align	6, 0x0
	.amdhsa_kernel _ZN7rocprim17ROCPRIM_400000_NS6detail17trampoline_kernelINS0_14default_configENS1_35adjacent_difference_config_selectorILb1EjEEZNS1_24adjacent_difference_implIS3_Lb1ELb0EPjS7_N6thrust23THRUST_200600_302600_NS5minusIjEEEE10hipError_tPvRmT2_T3_mT4_P12ihipStream_tbEUlT_E_NS1_11comp_targetILNS1_3genE0ELNS1_11target_archE4294967295ELNS1_3gpuE0ELNS1_3repE0EEENS1_30default_config_static_selectorELNS0_4arch9wavefront6targetE1EEEvT1_
		.amdhsa_group_segment_fixed_size 0
		.amdhsa_private_segment_fixed_size 0
		.amdhsa_kernarg_size 56
		.amdhsa_user_sgpr_count 6
		.amdhsa_user_sgpr_private_segment_buffer 1
		.amdhsa_user_sgpr_dispatch_ptr 0
		.amdhsa_user_sgpr_queue_ptr 0
		.amdhsa_user_sgpr_kernarg_segment_ptr 1
		.amdhsa_user_sgpr_dispatch_id 0
		.amdhsa_user_sgpr_flat_scratch_init 0
		.amdhsa_user_sgpr_private_segment_size 0
		.amdhsa_uses_dynamic_stack 0
		.amdhsa_system_sgpr_private_segment_wavefront_offset 0
		.amdhsa_system_sgpr_workgroup_id_x 1
		.amdhsa_system_sgpr_workgroup_id_y 0
		.amdhsa_system_sgpr_workgroup_id_z 0
		.amdhsa_system_sgpr_workgroup_info 0
		.amdhsa_system_vgpr_workitem_id 0
		.amdhsa_next_free_vgpr 1
		.amdhsa_next_free_sgpr 0
		.amdhsa_reserve_vcc 0
		.amdhsa_reserve_flat_scratch 0
		.amdhsa_float_round_mode_32 0
		.amdhsa_float_round_mode_16_64 0
		.amdhsa_float_denorm_mode_32 3
		.amdhsa_float_denorm_mode_16_64 3
		.amdhsa_dx10_clamp 1
		.amdhsa_ieee_mode 1
		.amdhsa_fp16_overflow 0
		.amdhsa_exception_fp_ieee_invalid_op 0
		.amdhsa_exception_fp_denorm_src 0
		.amdhsa_exception_fp_ieee_div_zero 0
		.amdhsa_exception_fp_ieee_overflow 0
		.amdhsa_exception_fp_ieee_underflow 0
		.amdhsa_exception_fp_ieee_inexact 0
		.amdhsa_exception_int_div_zero 0
	.end_amdhsa_kernel
	.section	.text._ZN7rocprim17ROCPRIM_400000_NS6detail17trampoline_kernelINS0_14default_configENS1_35adjacent_difference_config_selectorILb1EjEEZNS1_24adjacent_difference_implIS3_Lb1ELb0EPjS7_N6thrust23THRUST_200600_302600_NS5minusIjEEEE10hipError_tPvRmT2_T3_mT4_P12ihipStream_tbEUlT_E_NS1_11comp_targetILNS1_3genE0ELNS1_11target_archE4294967295ELNS1_3gpuE0ELNS1_3repE0EEENS1_30default_config_static_selectorELNS0_4arch9wavefront6targetE1EEEvT1_,"axG",@progbits,_ZN7rocprim17ROCPRIM_400000_NS6detail17trampoline_kernelINS0_14default_configENS1_35adjacent_difference_config_selectorILb1EjEEZNS1_24adjacent_difference_implIS3_Lb1ELb0EPjS7_N6thrust23THRUST_200600_302600_NS5minusIjEEEE10hipError_tPvRmT2_T3_mT4_P12ihipStream_tbEUlT_E_NS1_11comp_targetILNS1_3genE0ELNS1_11target_archE4294967295ELNS1_3gpuE0ELNS1_3repE0EEENS1_30default_config_static_selectorELNS0_4arch9wavefront6targetE1EEEvT1_,comdat
.Lfunc_end172:
	.size	_ZN7rocprim17ROCPRIM_400000_NS6detail17trampoline_kernelINS0_14default_configENS1_35adjacent_difference_config_selectorILb1EjEEZNS1_24adjacent_difference_implIS3_Lb1ELb0EPjS7_N6thrust23THRUST_200600_302600_NS5minusIjEEEE10hipError_tPvRmT2_T3_mT4_P12ihipStream_tbEUlT_E_NS1_11comp_targetILNS1_3genE0ELNS1_11target_archE4294967295ELNS1_3gpuE0ELNS1_3repE0EEENS1_30default_config_static_selectorELNS0_4arch9wavefront6targetE1EEEvT1_, .Lfunc_end172-_ZN7rocprim17ROCPRIM_400000_NS6detail17trampoline_kernelINS0_14default_configENS1_35adjacent_difference_config_selectorILb1EjEEZNS1_24adjacent_difference_implIS3_Lb1ELb0EPjS7_N6thrust23THRUST_200600_302600_NS5minusIjEEEE10hipError_tPvRmT2_T3_mT4_P12ihipStream_tbEUlT_E_NS1_11comp_targetILNS1_3genE0ELNS1_11target_archE4294967295ELNS1_3gpuE0ELNS1_3repE0EEENS1_30default_config_static_selectorELNS0_4arch9wavefront6targetE1EEEvT1_
                                        ; -- End function
	.set _ZN7rocprim17ROCPRIM_400000_NS6detail17trampoline_kernelINS0_14default_configENS1_35adjacent_difference_config_selectorILb1EjEEZNS1_24adjacent_difference_implIS3_Lb1ELb0EPjS7_N6thrust23THRUST_200600_302600_NS5minusIjEEEE10hipError_tPvRmT2_T3_mT4_P12ihipStream_tbEUlT_E_NS1_11comp_targetILNS1_3genE0ELNS1_11target_archE4294967295ELNS1_3gpuE0ELNS1_3repE0EEENS1_30default_config_static_selectorELNS0_4arch9wavefront6targetE1EEEvT1_.num_vgpr, 0
	.set _ZN7rocprim17ROCPRIM_400000_NS6detail17trampoline_kernelINS0_14default_configENS1_35adjacent_difference_config_selectorILb1EjEEZNS1_24adjacent_difference_implIS3_Lb1ELb0EPjS7_N6thrust23THRUST_200600_302600_NS5minusIjEEEE10hipError_tPvRmT2_T3_mT4_P12ihipStream_tbEUlT_E_NS1_11comp_targetILNS1_3genE0ELNS1_11target_archE4294967295ELNS1_3gpuE0ELNS1_3repE0EEENS1_30default_config_static_selectorELNS0_4arch9wavefront6targetE1EEEvT1_.num_agpr, 0
	.set _ZN7rocprim17ROCPRIM_400000_NS6detail17trampoline_kernelINS0_14default_configENS1_35adjacent_difference_config_selectorILb1EjEEZNS1_24adjacent_difference_implIS3_Lb1ELb0EPjS7_N6thrust23THRUST_200600_302600_NS5minusIjEEEE10hipError_tPvRmT2_T3_mT4_P12ihipStream_tbEUlT_E_NS1_11comp_targetILNS1_3genE0ELNS1_11target_archE4294967295ELNS1_3gpuE0ELNS1_3repE0EEENS1_30default_config_static_selectorELNS0_4arch9wavefront6targetE1EEEvT1_.numbered_sgpr, 0
	.set _ZN7rocprim17ROCPRIM_400000_NS6detail17trampoline_kernelINS0_14default_configENS1_35adjacent_difference_config_selectorILb1EjEEZNS1_24adjacent_difference_implIS3_Lb1ELb0EPjS7_N6thrust23THRUST_200600_302600_NS5minusIjEEEE10hipError_tPvRmT2_T3_mT4_P12ihipStream_tbEUlT_E_NS1_11comp_targetILNS1_3genE0ELNS1_11target_archE4294967295ELNS1_3gpuE0ELNS1_3repE0EEENS1_30default_config_static_selectorELNS0_4arch9wavefront6targetE1EEEvT1_.num_named_barrier, 0
	.set _ZN7rocprim17ROCPRIM_400000_NS6detail17trampoline_kernelINS0_14default_configENS1_35adjacent_difference_config_selectorILb1EjEEZNS1_24adjacent_difference_implIS3_Lb1ELb0EPjS7_N6thrust23THRUST_200600_302600_NS5minusIjEEEE10hipError_tPvRmT2_T3_mT4_P12ihipStream_tbEUlT_E_NS1_11comp_targetILNS1_3genE0ELNS1_11target_archE4294967295ELNS1_3gpuE0ELNS1_3repE0EEENS1_30default_config_static_selectorELNS0_4arch9wavefront6targetE1EEEvT1_.private_seg_size, 0
	.set _ZN7rocprim17ROCPRIM_400000_NS6detail17trampoline_kernelINS0_14default_configENS1_35adjacent_difference_config_selectorILb1EjEEZNS1_24adjacent_difference_implIS3_Lb1ELb0EPjS7_N6thrust23THRUST_200600_302600_NS5minusIjEEEE10hipError_tPvRmT2_T3_mT4_P12ihipStream_tbEUlT_E_NS1_11comp_targetILNS1_3genE0ELNS1_11target_archE4294967295ELNS1_3gpuE0ELNS1_3repE0EEENS1_30default_config_static_selectorELNS0_4arch9wavefront6targetE1EEEvT1_.uses_vcc, 0
	.set _ZN7rocprim17ROCPRIM_400000_NS6detail17trampoline_kernelINS0_14default_configENS1_35adjacent_difference_config_selectorILb1EjEEZNS1_24adjacent_difference_implIS3_Lb1ELb0EPjS7_N6thrust23THRUST_200600_302600_NS5minusIjEEEE10hipError_tPvRmT2_T3_mT4_P12ihipStream_tbEUlT_E_NS1_11comp_targetILNS1_3genE0ELNS1_11target_archE4294967295ELNS1_3gpuE0ELNS1_3repE0EEENS1_30default_config_static_selectorELNS0_4arch9wavefront6targetE1EEEvT1_.uses_flat_scratch, 0
	.set _ZN7rocprim17ROCPRIM_400000_NS6detail17trampoline_kernelINS0_14default_configENS1_35adjacent_difference_config_selectorILb1EjEEZNS1_24adjacent_difference_implIS3_Lb1ELb0EPjS7_N6thrust23THRUST_200600_302600_NS5minusIjEEEE10hipError_tPvRmT2_T3_mT4_P12ihipStream_tbEUlT_E_NS1_11comp_targetILNS1_3genE0ELNS1_11target_archE4294967295ELNS1_3gpuE0ELNS1_3repE0EEENS1_30default_config_static_selectorELNS0_4arch9wavefront6targetE1EEEvT1_.has_dyn_sized_stack, 0
	.set _ZN7rocprim17ROCPRIM_400000_NS6detail17trampoline_kernelINS0_14default_configENS1_35adjacent_difference_config_selectorILb1EjEEZNS1_24adjacent_difference_implIS3_Lb1ELb0EPjS7_N6thrust23THRUST_200600_302600_NS5minusIjEEEE10hipError_tPvRmT2_T3_mT4_P12ihipStream_tbEUlT_E_NS1_11comp_targetILNS1_3genE0ELNS1_11target_archE4294967295ELNS1_3gpuE0ELNS1_3repE0EEENS1_30default_config_static_selectorELNS0_4arch9wavefront6targetE1EEEvT1_.has_recursion, 0
	.set _ZN7rocprim17ROCPRIM_400000_NS6detail17trampoline_kernelINS0_14default_configENS1_35adjacent_difference_config_selectorILb1EjEEZNS1_24adjacent_difference_implIS3_Lb1ELb0EPjS7_N6thrust23THRUST_200600_302600_NS5minusIjEEEE10hipError_tPvRmT2_T3_mT4_P12ihipStream_tbEUlT_E_NS1_11comp_targetILNS1_3genE0ELNS1_11target_archE4294967295ELNS1_3gpuE0ELNS1_3repE0EEENS1_30default_config_static_selectorELNS0_4arch9wavefront6targetE1EEEvT1_.has_indirect_call, 0
	.section	.AMDGPU.csdata,"",@progbits
; Kernel info:
; codeLenInByte = 0
; TotalNumSgprs: 4
; NumVgprs: 0
; ScratchSize: 0
; MemoryBound: 0
; FloatMode: 240
; IeeeMode: 1
; LDSByteSize: 0 bytes/workgroup (compile time only)
; SGPRBlocks: 0
; VGPRBlocks: 0
; NumSGPRsForWavesPerEU: 4
; NumVGPRsForWavesPerEU: 1
; Occupancy: 10
; WaveLimiterHint : 0
; COMPUTE_PGM_RSRC2:SCRATCH_EN: 0
; COMPUTE_PGM_RSRC2:USER_SGPR: 6
; COMPUTE_PGM_RSRC2:TRAP_HANDLER: 0
; COMPUTE_PGM_RSRC2:TGID_X_EN: 1
; COMPUTE_PGM_RSRC2:TGID_Y_EN: 0
; COMPUTE_PGM_RSRC2:TGID_Z_EN: 0
; COMPUTE_PGM_RSRC2:TIDIG_COMP_CNT: 0
	.section	.text._ZN7rocprim17ROCPRIM_400000_NS6detail17trampoline_kernelINS0_14default_configENS1_35adjacent_difference_config_selectorILb1EjEEZNS1_24adjacent_difference_implIS3_Lb1ELb0EPjS7_N6thrust23THRUST_200600_302600_NS5minusIjEEEE10hipError_tPvRmT2_T3_mT4_P12ihipStream_tbEUlT_E_NS1_11comp_targetILNS1_3genE10ELNS1_11target_archE1201ELNS1_3gpuE5ELNS1_3repE0EEENS1_30default_config_static_selectorELNS0_4arch9wavefront6targetE1EEEvT1_,"axG",@progbits,_ZN7rocprim17ROCPRIM_400000_NS6detail17trampoline_kernelINS0_14default_configENS1_35adjacent_difference_config_selectorILb1EjEEZNS1_24adjacent_difference_implIS3_Lb1ELb0EPjS7_N6thrust23THRUST_200600_302600_NS5minusIjEEEE10hipError_tPvRmT2_T3_mT4_P12ihipStream_tbEUlT_E_NS1_11comp_targetILNS1_3genE10ELNS1_11target_archE1201ELNS1_3gpuE5ELNS1_3repE0EEENS1_30default_config_static_selectorELNS0_4arch9wavefront6targetE1EEEvT1_,comdat
	.protected	_ZN7rocprim17ROCPRIM_400000_NS6detail17trampoline_kernelINS0_14default_configENS1_35adjacent_difference_config_selectorILb1EjEEZNS1_24adjacent_difference_implIS3_Lb1ELb0EPjS7_N6thrust23THRUST_200600_302600_NS5minusIjEEEE10hipError_tPvRmT2_T3_mT4_P12ihipStream_tbEUlT_E_NS1_11comp_targetILNS1_3genE10ELNS1_11target_archE1201ELNS1_3gpuE5ELNS1_3repE0EEENS1_30default_config_static_selectorELNS0_4arch9wavefront6targetE1EEEvT1_ ; -- Begin function _ZN7rocprim17ROCPRIM_400000_NS6detail17trampoline_kernelINS0_14default_configENS1_35adjacent_difference_config_selectorILb1EjEEZNS1_24adjacent_difference_implIS3_Lb1ELb0EPjS7_N6thrust23THRUST_200600_302600_NS5minusIjEEEE10hipError_tPvRmT2_T3_mT4_P12ihipStream_tbEUlT_E_NS1_11comp_targetILNS1_3genE10ELNS1_11target_archE1201ELNS1_3gpuE5ELNS1_3repE0EEENS1_30default_config_static_selectorELNS0_4arch9wavefront6targetE1EEEvT1_
	.globl	_ZN7rocprim17ROCPRIM_400000_NS6detail17trampoline_kernelINS0_14default_configENS1_35adjacent_difference_config_selectorILb1EjEEZNS1_24adjacent_difference_implIS3_Lb1ELb0EPjS7_N6thrust23THRUST_200600_302600_NS5minusIjEEEE10hipError_tPvRmT2_T3_mT4_P12ihipStream_tbEUlT_E_NS1_11comp_targetILNS1_3genE10ELNS1_11target_archE1201ELNS1_3gpuE5ELNS1_3repE0EEENS1_30default_config_static_selectorELNS0_4arch9wavefront6targetE1EEEvT1_
	.p2align	8
	.type	_ZN7rocprim17ROCPRIM_400000_NS6detail17trampoline_kernelINS0_14default_configENS1_35adjacent_difference_config_selectorILb1EjEEZNS1_24adjacent_difference_implIS3_Lb1ELb0EPjS7_N6thrust23THRUST_200600_302600_NS5minusIjEEEE10hipError_tPvRmT2_T3_mT4_P12ihipStream_tbEUlT_E_NS1_11comp_targetILNS1_3genE10ELNS1_11target_archE1201ELNS1_3gpuE5ELNS1_3repE0EEENS1_30default_config_static_selectorELNS0_4arch9wavefront6targetE1EEEvT1_,@function
_ZN7rocprim17ROCPRIM_400000_NS6detail17trampoline_kernelINS0_14default_configENS1_35adjacent_difference_config_selectorILb1EjEEZNS1_24adjacent_difference_implIS3_Lb1ELb0EPjS7_N6thrust23THRUST_200600_302600_NS5minusIjEEEE10hipError_tPvRmT2_T3_mT4_P12ihipStream_tbEUlT_E_NS1_11comp_targetILNS1_3genE10ELNS1_11target_archE1201ELNS1_3gpuE5ELNS1_3repE0EEENS1_30default_config_static_selectorELNS0_4arch9wavefront6targetE1EEEvT1_: ; @_ZN7rocprim17ROCPRIM_400000_NS6detail17trampoline_kernelINS0_14default_configENS1_35adjacent_difference_config_selectorILb1EjEEZNS1_24adjacent_difference_implIS3_Lb1ELb0EPjS7_N6thrust23THRUST_200600_302600_NS5minusIjEEEE10hipError_tPvRmT2_T3_mT4_P12ihipStream_tbEUlT_E_NS1_11comp_targetILNS1_3genE10ELNS1_11target_archE1201ELNS1_3gpuE5ELNS1_3repE0EEENS1_30default_config_static_selectorELNS0_4arch9wavefront6targetE1EEEvT1_
; %bb.0:
	.section	.rodata,"a",@progbits
	.p2align	6, 0x0
	.amdhsa_kernel _ZN7rocprim17ROCPRIM_400000_NS6detail17trampoline_kernelINS0_14default_configENS1_35adjacent_difference_config_selectorILb1EjEEZNS1_24adjacent_difference_implIS3_Lb1ELb0EPjS7_N6thrust23THRUST_200600_302600_NS5minusIjEEEE10hipError_tPvRmT2_T3_mT4_P12ihipStream_tbEUlT_E_NS1_11comp_targetILNS1_3genE10ELNS1_11target_archE1201ELNS1_3gpuE5ELNS1_3repE0EEENS1_30default_config_static_selectorELNS0_4arch9wavefront6targetE1EEEvT1_
		.amdhsa_group_segment_fixed_size 0
		.amdhsa_private_segment_fixed_size 0
		.amdhsa_kernarg_size 56
		.amdhsa_user_sgpr_count 6
		.amdhsa_user_sgpr_private_segment_buffer 1
		.amdhsa_user_sgpr_dispatch_ptr 0
		.amdhsa_user_sgpr_queue_ptr 0
		.amdhsa_user_sgpr_kernarg_segment_ptr 1
		.amdhsa_user_sgpr_dispatch_id 0
		.amdhsa_user_sgpr_flat_scratch_init 0
		.amdhsa_user_sgpr_private_segment_size 0
		.amdhsa_uses_dynamic_stack 0
		.amdhsa_system_sgpr_private_segment_wavefront_offset 0
		.amdhsa_system_sgpr_workgroup_id_x 1
		.amdhsa_system_sgpr_workgroup_id_y 0
		.amdhsa_system_sgpr_workgroup_id_z 0
		.amdhsa_system_sgpr_workgroup_info 0
		.amdhsa_system_vgpr_workitem_id 0
		.amdhsa_next_free_vgpr 1
		.amdhsa_next_free_sgpr 0
		.amdhsa_reserve_vcc 0
		.amdhsa_reserve_flat_scratch 0
		.amdhsa_float_round_mode_32 0
		.amdhsa_float_round_mode_16_64 0
		.amdhsa_float_denorm_mode_32 3
		.amdhsa_float_denorm_mode_16_64 3
		.amdhsa_dx10_clamp 1
		.amdhsa_ieee_mode 1
		.amdhsa_fp16_overflow 0
		.amdhsa_exception_fp_ieee_invalid_op 0
		.amdhsa_exception_fp_denorm_src 0
		.amdhsa_exception_fp_ieee_div_zero 0
		.amdhsa_exception_fp_ieee_overflow 0
		.amdhsa_exception_fp_ieee_underflow 0
		.amdhsa_exception_fp_ieee_inexact 0
		.amdhsa_exception_int_div_zero 0
	.end_amdhsa_kernel
	.section	.text._ZN7rocprim17ROCPRIM_400000_NS6detail17trampoline_kernelINS0_14default_configENS1_35adjacent_difference_config_selectorILb1EjEEZNS1_24adjacent_difference_implIS3_Lb1ELb0EPjS7_N6thrust23THRUST_200600_302600_NS5minusIjEEEE10hipError_tPvRmT2_T3_mT4_P12ihipStream_tbEUlT_E_NS1_11comp_targetILNS1_3genE10ELNS1_11target_archE1201ELNS1_3gpuE5ELNS1_3repE0EEENS1_30default_config_static_selectorELNS0_4arch9wavefront6targetE1EEEvT1_,"axG",@progbits,_ZN7rocprim17ROCPRIM_400000_NS6detail17trampoline_kernelINS0_14default_configENS1_35adjacent_difference_config_selectorILb1EjEEZNS1_24adjacent_difference_implIS3_Lb1ELb0EPjS7_N6thrust23THRUST_200600_302600_NS5minusIjEEEE10hipError_tPvRmT2_T3_mT4_P12ihipStream_tbEUlT_E_NS1_11comp_targetILNS1_3genE10ELNS1_11target_archE1201ELNS1_3gpuE5ELNS1_3repE0EEENS1_30default_config_static_selectorELNS0_4arch9wavefront6targetE1EEEvT1_,comdat
.Lfunc_end173:
	.size	_ZN7rocprim17ROCPRIM_400000_NS6detail17trampoline_kernelINS0_14default_configENS1_35adjacent_difference_config_selectorILb1EjEEZNS1_24adjacent_difference_implIS3_Lb1ELb0EPjS7_N6thrust23THRUST_200600_302600_NS5minusIjEEEE10hipError_tPvRmT2_T3_mT4_P12ihipStream_tbEUlT_E_NS1_11comp_targetILNS1_3genE10ELNS1_11target_archE1201ELNS1_3gpuE5ELNS1_3repE0EEENS1_30default_config_static_selectorELNS0_4arch9wavefront6targetE1EEEvT1_, .Lfunc_end173-_ZN7rocprim17ROCPRIM_400000_NS6detail17trampoline_kernelINS0_14default_configENS1_35adjacent_difference_config_selectorILb1EjEEZNS1_24adjacent_difference_implIS3_Lb1ELb0EPjS7_N6thrust23THRUST_200600_302600_NS5minusIjEEEE10hipError_tPvRmT2_T3_mT4_P12ihipStream_tbEUlT_E_NS1_11comp_targetILNS1_3genE10ELNS1_11target_archE1201ELNS1_3gpuE5ELNS1_3repE0EEENS1_30default_config_static_selectorELNS0_4arch9wavefront6targetE1EEEvT1_
                                        ; -- End function
	.set _ZN7rocprim17ROCPRIM_400000_NS6detail17trampoline_kernelINS0_14default_configENS1_35adjacent_difference_config_selectorILb1EjEEZNS1_24adjacent_difference_implIS3_Lb1ELb0EPjS7_N6thrust23THRUST_200600_302600_NS5minusIjEEEE10hipError_tPvRmT2_T3_mT4_P12ihipStream_tbEUlT_E_NS1_11comp_targetILNS1_3genE10ELNS1_11target_archE1201ELNS1_3gpuE5ELNS1_3repE0EEENS1_30default_config_static_selectorELNS0_4arch9wavefront6targetE1EEEvT1_.num_vgpr, 0
	.set _ZN7rocprim17ROCPRIM_400000_NS6detail17trampoline_kernelINS0_14default_configENS1_35adjacent_difference_config_selectorILb1EjEEZNS1_24adjacent_difference_implIS3_Lb1ELb0EPjS7_N6thrust23THRUST_200600_302600_NS5minusIjEEEE10hipError_tPvRmT2_T3_mT4_P12ihipStream_tbEUlT_E_NS1_11comp_targetILNS1_3genE10ELNS1_11target_archE1201ELNS1_3gpuE5ELNS1_3repE0EEENS1_30default_config_static_selectorELNS0_4arch9wavefront6targetE1EEEvT1_.num_agpr, 0
	.set _ZN7rocprim17ROCPRIM_400000_NS6detail17trampoline_kernelINS0_14default_configENS1_35adjacent_difference_config_selectorILb1EjEEZNS1_24adjacent_difference_implIS3_Lb1ELb0EPjS7_N6thrust23THRUST_200600_302600_NS5minusIjEEEE10hipError_tPvRmT2_T3_mT4_P12ihipStream_tbEUlT_E_NS1_11comp_targetILNS1_3genE10ELNS1_11target_archE1201ELNS1_3gpuE5ELNS1_3repE0EEENS1_30default_config_static_selectorELNS0_4arch9wavefront6targetE1EEEvT1_.numbered_sgpr, 0
	.set _ZN7rocprim17ROCPRIM_400000_NS6detail17trampoline_kernelINS0_14default_configENS1_35adjacent_difference_config_selectorILb1EjEEZNS1_24adjacent_difference_implIS3_Lb1ELb0EPjS7_N6thrust23THRUST_200600_302600_NS5minusIjEEEE10hipError_tPvRmT2_T3_mT4_P12ihipStream_tbEUlT_E_NS1_11comp_targetILNS1_3genE10ELNS1_11target_archE1201ELNS1_3gpuE5ELNS1_3repE0EEENS1_30default_config_static_selectorELNS0_4arch9wavefront6targetE1EEEvT1_.num_named_barrier, 0
	.set _ZN7rocprim17ROCPRIM_400000_NS6detail17trampoline_kernelINS0_14default_configENS1_35adjacent_difference_config_selectorILb1EjEEZNS1_24adjacent_difference_implIS3_Lb1ELb0EPjS7_N6thrust23THRUST_200600_302600_NS5minusIjEEEE10hipError_tPvRmT2_T3_mT4_P12ihipStream_tbEUlT_E_NS1_11comp_targetILNS1_3genE10ELNS1_11target_archE1201ELNS1_3gpuE5ELNS1_3repE0EEENS1_30default_config_static_selectorELNS0_4arch9wavefront6targetE1EEEvT1_.private_seg_size, 0
	.set _ZN7rocprim17ROCPRIM_400000_NS6detail17trampoline_kernelINS0_14default_configENS1_35adjacent_difference_config_selectorILb1EjEEZNS1_24adjacent_difference_implIS3_Lb1ELb0EPjS7_N6thrust23THRUST_200600_302600_NS5minusIjEEEE10hipError_tPvRmT2_T3_mT4_P12ihipStream_tbEUlT_E_NS1_11comp_targetILNS1_3genE10ELNS1_11target_archE1201ELNS1_3gpuE5ELNS1_3repE0EEENS1_30default_config_static_selectorELNS0_4arch9wavefront6targetE1EEEvT1_.uses_vcc, 0
	.set _ZN7rocprim17ROCPRIM_400000_NS6detail17trampoline_kernelINS0_14default_configENS1_35adjacent_difference_config_selectorILb1EjEEZNS1_24adjacent_difference_implIS3_Lb1ELb0EPjS7_N6thrust23THRUST_200600_302600_NS5minusIjEEEE10hipError_tPvRmT2_T3_mT4_P12ihipStream_tbEUlT_E_NS1_11comp_targetILNS1_3genE10ELNS1_11target_archE1201ELNS1_3gpuE5ELNS1_3repE0EEENS1_30default_config_static_selectorELNS0_4arch9wavefront6targetE1EEEvT1_.uses_flat_scratch, 0
	.set _ZN7rocprim17ROCPRIM_400000_NS6detail17trampoline_kernelINS0_14default_configENS1_35adjacent_difference_config_selectorILb1EjEEZNS1_24adjacent_difference_implIS3_Lb1ELb0EPjS7_N6thrust23THRUST_200600_302600_NS5minusIjEEEE10hipError_tPvRmT2_T3_mT4_P12ihipStream_tbEUlT_E_NS1_11comp_targetILNS1_3genE10ELNS1_11target_archE1201ELNS1_3gpuE5ELNS1_3repE0EEENS1_30default_config_static_selectorELNS0_4arch9wavefront6targetE1EEEvT1_.has_dyn_sized_stack, 0
	.set _ZN7rocprim17ROCPRIM_400000_NS6detail17trampoline_kernelINS0_14default_configENS1_35adjacent_difference_config_selectorILb1EjEEZNS1_24adjacent_difference_implIS3_Lb1ELb0EPjS7_N6thrust23THRUST_200600_302600_NS5minusIjEEEE10hipError_tPvRmT2_T3_mT4_P12ihipStream_tbEUlT_E_NS1_11comp_targetILNS1_3genE10ELNS1_11target_archE1201ELNS1_3gpuE5ELNS1_3repE0EEENS1_30default_config_static_selectorELNS0_4arch9wavefront6targetE1EEEvT1_.has_recursion, 0
	.set _ZN7rocprim17ROCPRIM_400000_NS6detail17trampoline_kernelINS0_14default_configENS1_35adjacent_difference_config_selectorILb1EjEEZNS1_24adjacent_difference_implIS3_Lb1ELb0EPjS7_N6thrust23THRUST_200600_302600_NS5minusIjEEEE10hipError_tPvRmT2_T3_mT4_P12ihipStream_tbEUlT_E_NS1_11comp_targetILNS1_3genE10ELNS1_11target_archE1201ELNS1_3gpuE5ELNS1_3repE0EEENS1_30default_config_static_selectorELNS0_4arch9wavefront6targetE1EEEvT1_.has_indirect_call, 0
	.section	.AMDGPU.csdata,"",@progbits
; Kernel info:
; codeLenInByte = 0
; TotalNumSgprs: 4
; NumVgprs: 0
; ScratchSize: 0
; MemoryBound: 0
; FloatMode: 240
; IeeeMode: 1
; LDSByteSize: 0 bytes/workgroup (compile time only)
; SGPRBlocks: 0
; VGPRBlocks: 0
; NumSGPRsForWavesPerEU: 4
; NumVGPRsForWavesPerEU: 1
; Occupancy: 10
; WaveLimiterHint : 0
; COMPUTE_PGM_RSRC2:SCRATCH_EN: 0
; COMPUTE_PGM_RSRC2:USER_SGPR: 6
; COMPUTE_PGM_RSRC2:TRAP_HANDLER: 0
; COMPUTE_PGM_RSRC2:TGID_X_EN: 1
; COMPUTE_PGM_RSRC2:TGID_Y_EN: 0
; COMPUTE_PGM_RSRC2:TGID_Z_EN: 0
; COMPUTE_PGM_RSRC2:TIDIG_COMP_CNT: 0
	.section	.text._ZN7rocprim17ROCPRIM_400000_NS6detail17trampoline_kernelINS0_14default_configENS1_35adjacent_difference_config_selectorILb1EjEEZNS1_24adjacent_difference_implIS3_Lb1ELb0EPjS7_N6thrust23THRUST_200600_302600_NS5minusIjEEEE10hipError_tPvRmT2_T3_mT4_P12ihipStream_tbEUlT_E_NS1_11comp_targetILNS1_3genE5ELNS1_11target_archE942ELNS1_3gpuE9ELNS1_3repE0EEENS1_30default_config_static_selectorELNS0_4arch9wavefront6targetE1EEEvT1_,"axG",@progbits,_ZN7rocprim17ROCPRIM_400000_NS6detail17trampoline_kernelINS0_14default_configENS1_35adjacent_difference_config_selectorILb1EjEEZNS1_24adjacent_difference_implIS3_Lb1ELb0EPjS7_N6thrust23THRUST_200600_302600_NS5minusIjEEEE10hipError_tPvRmT2_T3_mT4_P12ihipStream_tbEUlT_E_NS1_11comp_targetILNS1_3genE5ELNS1_11target_archE942ELNS1_3gpuE9ELNS1_3repE0EEENS1_30default_config_static_selectorELNS0_4arch9wavefront6targetE1EEEvT1_,comdat
	.protected	_ZN7rocprim17ROCPRIM_400000_NS6detail17trampoline_kernelINS0_14default_configENS1_35adjacent_difference_config_selectorILb1EjEEZNS1_24adjacent_difference_implIS3_Lb1ELb0EPjS7_N6thrust23THRUST_200600_302600_NS5minusIjEEEE10hipError_tPvRmT2_T3_mT4_P12ihipStream_tbEUlT_E_NS1_11comp_targetILNS1_3genE5ELNS1_11target_archE942ELNS1_3gpuE9ELNS1_3repE0EEENS1_30default_config_static_selectorELNS0_4arch9wavefront6targetE1EEEvT1_ ; -- Begin function _ZN7rocprim17ROCPRIM_400000_NS6detail17trampoline_kernelINS0_14default_configENS1_35adjacent_difference_config_selectorILb1EjEEZNS1_24adjacent_difference_implIS3_Lb1ELb0EPjS7_N6thrust23THRUST_200600_302600_NS5minusIjEEEE10hipError_tPvRmT2_T3_mT4_P12ihipStream_tbEUlT_E_NS1_11comp_targetILNS1_3genE5ELNS1_11target_archE942ELNS1_3gpuE9ELNS1_3repE0EEENS1_30default_config_static_selectorELNS0_4arch9wavefront6targetE1EEEvT1_
	.globl	_ZN7rocprim17ROCPRIM_400000_NS6detail17trampoline_kernelINS0_14default_configENS1_35adjacent_difference_config_selectorILb1EjEEZNS1_24adjacent_difference_implIS3_Lb1ELb0EPjS7_N6thrust23THRUST_200600_302600_NS5minusIjEEEE10hipError_tPvRmT2_T3_mT4_P12ihipStream_tbEUlT_E_NS1_11comp_targetILNS1_3genE5ELNS1_11target_archE942ELNS1_3gpuE9ELNS1_3repE0EEENS1_30default_config_static_selectorELNS0_4arch9wavefront6targetE1EEEvT1_
	.p2align	8
	.type	_ZN7rocprim17ROCPRIM_400000_NS6detail17trampoline_kernelINS0_14default_configENS1_35adjacent_difference_config_selectorILb1EjEEZNS1_24adjacent_difference_implIS3_Lb1ELb0EPjS7_N6thrust23THRUST_200600_302600_NS5minusIjEEEE10hipError_tPvRmT2_T3_mT4_P12ihipStream_tbEUlT_E_NS1_11comp_targetILNS1_3genE5ELNS1_11target_archE942ELNS1_3gpuE9ELNS1_3repE0EEENS1_30default_config_static_selectorELNS0_4arch9wavefront6targetE1EEEvT1_,@function
_ZN7rocprim17ROCPRIM_400000_NS6detail17trampoline_kernelINS0_14default_configENS1_35adjacent_difference_config_selectorILb1EjEEZNS1_24adjacent_difference_implIS3_Lb1ELb0EPjS7_N6thrust23THRUST_200600_302600_NS5minusIjEEEE10hipError_tPvRmT2_T3_mT4_P12ihipStream_tbEUlT_E_NS1_11comp_targetILNS1_3genE5ELNS1_11target_archE942ELNS1_3gpuE9ELNS1_3repE0EEENS1_30default_config_static_selectorELNS0_4arch9wavefront6targetE1EEEvT1_: ; @_ZN7rocprim17ROCPRIM_400000_NS6detail17trampoline_kernelINS0_14default_configENS1_35adjacent_difference_config_selectorILb1EjEEZNS1_24adjacent_difference_implIS3_Lb1ELb0EPjS7_N6thrust23THRUST_200600_302600_NS5minusIjEEEE10hipError_tPvRmT2_T3_mT4_P12ihipStream_tbEUlT_E_NS1_11comp_targetILNS1_3genE5ELNS1_11target_archE942ELNS1_3gpuE9ELNS1_3repE0EEENS1_30default_config_static_selectorELNS0_4arch9wavefront6targetE1EEEvT1_
; %bb.0:
	.section	.rodata,"a",@progbits
	.p2align	6, 0x0
	.amdhsa_kernel _ZN7rocprim17ROCPRIM_400000_NS6detail17trampoline_kernelINS0_14default_configENS1_35adjacent_difference_config_selectorILb1EjEEZNS1_24adjacent_difference_implIS3_Lb1ELb0EPjS7_N6thrust23THRUST_200600_302600_NS5minusIjEEEE10hipError_tPvRmT2_T3_mT4_P12ihipStream_tbEUlT_E_NS1_11comp_targetILNS1_3genE5ELNS1_11target_archE942ELNS1_3gpuE9ELNS1_3repE0EEENS1_30default_config_static_selectorELNS0_4arch9wavefront6targetE1EEEvT1_
		.amdhsa_group_segment_fixed_size 0
		.amdhsa_private_segment_fixed_size 0
		.amdhsa_kernarg_size 56
		.amdhsa_user_sgpr_count 6
		.amdhsa_user_sgpr_private_segment_buffer 1
		.amdhsa_user_sgpr_dispatch_ptr 0
		.amdhsa_user_sgpr_queue_ptr 0
		.amdhsa_user_sgpr_kernarg_segment_ptr 1
		.amdhsa_user_sgpr_dispatch_id 0
		.amdhsa_user_sgpr_flat_scratch_init 0
		.amdhsa_user_sgpr_private_segment_size 0
		.amdhsa_uses_dynamic_stack 0
		.amdhsa_system_sgpr_private_segment_wavefront_offset 0
		.amdhsa_system_sgpr_workgroup_id_x 1
		.amdhsa_system_sgpr_workgroup_id_y 0
		.amdhsa_system_sgpr_workgroup_id_z 0
		.amdhsa_system_sgpr_workgroup_info 0
		.amdhsa_system_vgpr_workitem_id 0
		.amdhsa_next_free_vgpr 1
		.amdhsa_next_free_sgpr 0
		.amdhsa_reserve_vcc 0
		.amdhsa_reserve_flat_scratch 0
		.amdhsa_float_round_mode_32 0
		.amdhsa_float_round_mode_16_64 0
		.amdhsa_float_denorm_mode_32 3
		.amdhsa_float_denorm_mode_16_64 3
		.amdhsa_dx10_clamp 1
		.amdhsa_ieee_mode 1
		.amdhsa_fp16_overflow 0
		.amdhsa_exception_fp_ieee_invalid_op 0
		.amdhsa_exception_fp_denorm_src 0
		.amdhsa_exception_fp_ieee_div_zero 0
		.amdhsa_exception_fp_ieee_overflow 0
		.amdhsa_exception_fp_ieee_underflow 0
		.amdhsa_exception_fp_ieee_inexact 0
		.amdhsa_exception_int_div_zero 0
	.end_amdhsa_kernel
	.section	.text._ZN7rocprim17ROCPRIM_400000_NS6detail17trampoline_kernelINS0_14default_configENS1_35adjacent_difference_config_selectorILb1EjEEZNS1_24adjacent_difference_implIS3_Lb1ELb0EPjS7_N6thrust23THRUST_200600_302600_NS5minusIjEEEE10hipError_tPvRmT2_T3_mT4_P12ihipStream_tbEUlT_E_NS1_11comp_targetILNS1_3genE5ELNS1_11target_archE942ELNS1_3gpuE9ELNS1_3repE0EEENS1_30default_config_static_selectorELNS0_4arch9wavefront6targetE1EEEvT1_,"axG",@progbits,_ZN7rocprim17ROCPRIM_400000_NS6detail17trampoline_kernelINS0_14default_configENS1_35adjacent_difference_config_selectorILb1EjEEZNS1_24adjacent_difference_implIS3_Lb1ELb0EPjS7_N6thrust23THRUST_200600_302600_NS5minusIjEEEE10hipError_tPvRmT2_T3_mT4_P12ihipStream_tbEUlT_E_NS1_11comp_targetILNS1_3genE5ELNS1_11target_archE942ELNS1_3gpuE9ELNS1_3repE0EEENS1_30default_config_static_selectorELNS0_4arch9wavefront6targetE1EEEvT1_,comdat
.Lfunc_end174:
	.size	_ZN7rocprim17ROCPRIM_400000_NS6detail17trampoline_kernelINS0_14default_configENS1_35adjacent_difference_config_selectorILb1EjEEZNS1_24adjacent_difference_implIS3_Lb1ELb0EPjS7_N6thrust23THRUST_200600_302600_NS5minusIjEEEE10hipError_tPvRmT2_T3_mT4_P12ihipStream_tbEUlT_E_NS1_11comp_targetILNS1_3genE5ELNS1_11target_archE942ELNS1_3gpuE9ELNS1_3repE0EEENS1_30default_config_static_selectorELNS0_4arch9wavefront6targetE1EEEvT1_, .Lfunc_end174-_ZN7rocprim17ROCPRIM_400000_NS6detail17trampoline_kernelINS0_14default_configENS1_35adjacent_difference_config_selectorILb1EjEEZNS1_24adjacent_difference_implIS3_Lb1ELb0EPjS7_N6thrust23THRUST_200600_302600_NS5minusIjEEEE10hipError_tPvRmT2_T3_mT4_P12ihipStream_tbEUlT_E_NS1_11comp_targetILNS1_3genE5ELNS1_11target_archE942ELNS1_3gpuE9ELNS1_3repE0EEENS1_30default_config_static_selectorELNS0_4arch9wavefront6targetE1EEEvT1_
                                        ; -- End function
	.set _ZN7rocprim17ROCPRIM_400000_NS6detail17trampoline_kernelINS0_14default_configENS1_35adjacent_difference_config_selectorILb1EjEEZNS1_24adjacent_difference_implIS3_Lb1ELb0EPjS7_N6thrust23THRUST_200600_302600_NS5minusIjEEEE10hipError_tPvRmT2_T3_mT4_P12ihipStream_tbEUlT_E_NS1_11comp_targetILNS1_3genE5ELNS1_11target_archE942ELNS1_3gpuE9ELNS1_3repE0EEENS1_30default_config_static_selectorELNS0_4arch9wavefront6targetE1EEEvT1_.num_vgpr, 0
	.set _ZN7rocprim17ROCPRIM_400000_NS6detail17trampoline_kernelINS0_14default_configENS1_35adjacent_difference_config_selectorILb1EjEEZNS1_24adjacent_difference_implIS3_Lb1ELb0EPjS7_N6thrust23THRUST_200600_302600_NS5minusIjEEEE10hipError_tPvRmT2_T3_mT4_P12ihipStream_tbEUlT_E_NS1_11comp_targetILNS1_3genE5ELNS1_11target_archE942ELNS1_3gpuE9ELNS1_3repE0EEENS1_30default_config_static_selectorELNS0_4arch9wavefront6targetE1EEEvT1_.num_agpr, 0
	.set _ZN7rocprim17ROCPRIM_400000_NS6detail17trampoline_kernelINS0_14default_configENS1_35adjacent_difference_config_selectorILb1EjEEZNS1_24adjacent_difference_implIS3_Lb1ELb0EPjS7_N6thrust23THRUST_200600_302600_NS5minusIjEEEE10hipError_tPvRmT2_T3_mT4_P12ihipStream_tbEUlT_E_NS1_11comp_targetILNS1_3genE5ELNS1_11target_archE942ELNS1_3gpuE9ELNS1_3repE0EEENS1_30default_config_static_selectorELNS0_4arch9wavefront6targetE1EEEvT1_.numbered_sgpr, 0
	.set _ZN7rocprim17ROCPRIM_400000_NS6detail17trampoline_kernelINS0_14default_configENS1_35adjacent_difference_config_selectorILb1EjEEZNS1_24adjacent_difference_implIS3_Lb1ELb0EPjS7_N6thrust23THRUST_200600_302600_NS5minusIjEEEE10hipError_tPvRmT2_T3_mT4_P12ihipStream_tbEUlT_E_NS1_11comp_targetILNS1_3genE5ELNS1_11target_archE942ELNS1_3gpuE9ELNS1_3repE0EEENS1_30default_config_static_selectorELNS0_4arch9wavefront6targetE1EEEvT1_.num_named_barrier, 0
	.set _ZN7rocprim17ROCPRIM_400000_NS6detail17trampoline_kernelINS0_14default_configENS1_35adjacent_difference_config_selectorILb1EjEEZNS1_24adjacent_difference_implIS3_Lb1ELb0EPjS7_N6thrust23THRUST_200600_302600_NS5minusIjEEEE10hipError_tPvRmT2_T3_mT4_P12ihipStream_tbEUlT_E_NS1_11comp_targetILNS1_3genE5ELNS1_11target_archE942ELNS1_3gpuE9ELNS1_3repE0EEENS1_30default_config_static_selectorELNS0_4arch9wavefront6targetE1EEEvT1_.private_seg_size, 0
	.set _ZN7rocprim17ROCPRIM_400000_NS6detail17trampoline_kernelINS0_14default_configENS1_35adjacent_difference_config_selectorILb1EjEEZNS1_24adjacent_difference_implIS3_Lb1ELb0EPjS7_N6thrust23THRUST_200600_302600_NS5minusIjEEEE10hipError_tPvRmT2_T3_mT4_P12ihipStream_tbEUlT_E_NS1_11comp_targetILNS1_3genE5ELNS1_11target_archE942ELNS1_3gpuE9ELNS1_3repE0EEENS1_30default_config_static_selectorELNS0_4arch9wavefront6targetE1EEEvT1_.uses_vcc, 0
	.set _ZN7rocprim17ROCPRIM_400000_NS6detail17trampoline_kernelINS0_14default_configENS1_35adjacent_difference_config_selectorILb1EjEEZNS1_24adjacent_difference_implIS3_Lb1ELb0EPjS7_N6thrust23THRUST_200600_302600_NS5minusIjEEEE10hipError_tPvRmT2_T3_mT4_P12ihipStream_tbEUlT_E_NS1_11comp_targetILNS1_3genE5ELNS1_11target_archE942ELNS1_3gpuE9ELNS1_3repE0EEENS1_30default_config_static_selectorELNS0_4arch9wavefront6targetE1EEEvT1_.uses_flat_scratch, 0
	.set _ZN7rocprim17ROCPRIM_400000_NS6detail17trampoline_kernelINS0_14default_configENS1_35adjacent_difference_config_selectorILb1EjEEZNS1_24adjacent_difference_implIS3_Lb1ELb0EPjS7_N6thrust23THRUST_200600_302600_NS5minusIjEEEE10hipError_tPvRmT2_T3_mT4_P12ihipStream_tbEUlT_E_NS1_11comp_targetILNS1_3genE5ELNS1_11target_archE942ELNS1_3gpuE9ELNS1_3repE0EEENS1_30default_config_static_selectorELNS0_4arch9wavefront6targetE1EEEvT1_.has_dyn_sized_stack, 0
	.set _ZN7rocprim17ROCPRIM_400000_NS6detail17trampoline_kernelINS0_14default_configENS1_35adjacent_difference_config_selectorILb1EjEEZNS1_24adjacent_difference_implIS3_Lb1ELb0EPjS7_N6thrust23THRUST_200600_302600_NS5minusIjEEEE10hipError_tPvRmT2_T3_mT4_P12ihipStream_tbEUlT_E_NS1_11comp_targetILNS1_3genE5ELNS1_11target_archE942ELNS1_3gpuE9ELNS1_3repE0EEENS1_30default_config_static_selectorELNS0_4arch9wavefront6targetE1EEEvT1_.has_recursion, 0
	.set _ZN7rocprim17ROCPRIM_400000_NS6detail17trampoline_kernelINS0_14default_configENS1_35adjacent_difference_config_selectorILb1EjEEZNS1_24adjacent_difference_implIS3_Lb1ELb0EPjS7_N6thrust23THRUST_200600_302600_NS5minusIjEEEE10hipError_tPvRmT2_T3_mT4_P12ihipStream_tbEUlT_E_NS1_11comp_targetILNS1_3genE5ELNS1_11target_archE942ELNS1_3gpuE9ELNS1_3repE0EEENS1_30default_config_static_selectorELNS0_4arch9wavefront6targetE1EEEvT1_.has_indirect_call, 0
	.section	.AMDGPU.csdata,"",@progbits
; Kernel info:
; codeLenInByte = 0
; TotalNumSgprs: 4
; NumVgprs: 0
; ScratchSize: 0
; MemoryBound: 0
; FloatMode: 240
; IeeeMode: 1
; LDSByteSize: 0 bytes/workgroup (compile time only)
; SGPRBlocks: 0
; VGPRBlocks: 0
; NumSGPRsForWavesPerEU: 4
; NumVGPRsForWavesPerEU: 1
; Occupancy: 10
; WaveLimiterHint : 0
; COMPUTE_PGM_RSRC2:SCRATCH_EN: 0
; COMPUTE_PGM_RSRC2:USER_SGPR: 6
; COMPUTE_PGM_RSRC2:TRAP_HANDLER: 0
; COMPUTE_PGM_RSRC2:TGID_X_EN: 1
; COMPUTE_PGM_RSRC2:TGID_Y_EN: 0
; COMPUTE_PGM_RSRC2:TGID_Z_EN: 0
; COMPUTE_PGM_RSRC2:TIDIG_COMP_CNT: 0
	.section	.text._ZN7rocprim17ROCPRIM_400000_NS6detail17trampoline_kernelINS0_14default_configENS1_35adjacent_difference_config_selectorILb1EjEEZNS1_24adjacent_difference_implIS3_Lb1ELb0EPjS7_N6thrust23THRUST_200600_302600_NS5minusIjEEEE10hipError_tPvRmT2_T3_mT4_P12ihipStream_tbEUlT_E_NS1_11comp_targetILNS1_3genE4ELNS1_11target_archE910ELNS1_3gpuE8ELNS1_3repE0EEENS1_30default_config_static_selectorELNS0_4arch9wavefront6targetE1EEEvT1_,"axG",@progbits,_ZN7rocprim17ROCPRIM_400000_NS6detail17trampoline_kernelINS0_14default_configENS1_35adjacent_difference_config_selectorILb1EjEEZNS1_24adjacent_difference_implIS3_Lb1ELb0EPjS7_N6thrust23THRUST_200600_302600_NS5minusIjEEEE10hipError_tPvRmT2_T3_mT4_P12ihipStream_tbEUlT_E_NS1_11comp_targetILNS1_3genE4ELNS1_11target_archE910ELNS1_3gpuE8ELNS1_3repE0EEENS1_30default_config_static_selectorELNS0_4arch9wavefront6targetE1EEEvT1_,comdat
	.protected	_ZN7rocprim17ROCPRIM_400000_NS6detail17trampoline_kernelINS0_14default_configENS1_35adjacent_difference_config_selectorILb1EjEEZNS1_24adjacent_difference_implIS3_Lb1ELb0EPjS7_N6thrust23THRUST_200600_302600_NS5minusIjEEEE10hipError_tPvRmT2_T3_mT4_P12ihipStream_tbEUlT_E_NS1_11comp_targetILNS1_3genE4ELNS1_11target_archE910ELNS1_3gpuE8ELNS1_3repE0EEENS1_30default_config_static_selectorELNS0_4arch9wavefront6targetE1EEEvT1_ ; -- Begin function _ZN7rocprim17ROCPRIM_400000_NS6detail17trampoline_kernelINS0_14default_configENS1_35adjacent_difference_config_selectorILb1EjEEZNS1_24adjacent_difference_implIS3_Lb1ELb0EPjS7_N6thrust23THRUST_200600_302600_NS5minusIjEEEE10hipError_tPvRmT2_T3_mT4_P12ihipStream_tbEUlT_E_NS1_11comp_targetILNS1_3genE4ELNS1_11target_archE910ELNS1_3gpuE8ELNS1_3repE0EEENS1_30default_config_static_selectorELNS0_4arch9wavefront6targetE1EEEvT1_
	.globl	_ZN7rocprim17ROCPRIM_400000_NS6detail17trampoline_kernelINS0_14default_configENS1_35adjacent_difference_config_selectorILb1EjEEZNS1_24adjacent_difference_implIS3_Lb1ELb0EPjS7_N6thrust23THRUST_200600_302600_NS5minusIjEEEE10hipError_tPvRmT2_T3_mT4_P12ihipStream_tbEUlT_E_NS1_11comp_targetILNS1_3genE4ELNS1_11target_archE910ELNS1_3gpuE8ELNS1_3repE0EEENS1_30default_config_static_selectorELNS0_4arch9wavefront6targetE1EEEvT1_
	.p2align	8
	.type	_ZN7rocprim17ROCPRIM_400000_NS6detail17trampoline_kernelINS0_14default_configENS1_35adjacent_difference_config_selectorILb1EjEEZNS1_24adjacent_difference_implIS3_Lb1ELb0EPjS7_N6thrust23THRUST_200600_302600_NS5minusIjEEEE10hipError_tPvRmT2_T3_mT4_P12ihipStream_tbEUlT_E_NS1_11comp_targetILNS1_3genE4ELNS1_11target_archE910ELNS1_3gpuE8ELNS1_3repE0EEENS1_30default_config_static_selectorELNS0_4arch9wavefront6targetE1EEEvT1_,@function
_ZN7rocprim17ROCPRIM_400000_NS6detail17trampoline_kernelINS0_14default_configENS1_35adjacent_difference_config_selectorILb1EjEEZNS1_24adjacent_difference_implIS3_Lb1ELb0EPjS7_N6thrust23THRUST_200600_302600_NS5minusIjEEEE10hipError_tPvRmT2_T3_mT4_P12ihipStream_tbEUlT_E_NS1_11comp_targetILNS1_3genE4ELNS1_11target_archE910ELNS1_3gpuE8ELNS1_3repE0EEENS1_30default_config_static_selectorELNS0_4arch9wavefront6targetE1EEEvT1_: ; @_ZN7rocprim17ROCPRIM_400000_NS6detail17trampoline_kernelINS0_14default_configENS1_35adjacent_difference_config_selectorILb1EjEEZNS1_24adjacent_difference_implIS3_Lb1ELb0EPjS7_N6thrust23THRUST_200600_302600_NS5minusIjEEEE10hipError_tPvRmT2_T3_mT4_P12ihipStream_tbEUlT_E_NS1_11comp_targetILNS1_3genE4ELNS1_11target_archE910ELNS1_3gpuE8ELNS1_3repE0EEENS1_30default_config_static_selectorELNS0_4arch9wavefront6targetE1EEEvT1_
; %bb.0:
	.section	.rodata,"a",@progbits
	.p2align	6, 0x0
	.amdhsa_kernel _ZN7rocprim17ROCPRIM_400000_NS6detail17trampoline_kernelINS0_14default_configENS1_35adjacent_difference_config_selectorILb1EjEEZNS1_24adjacent_difference_implIS3_Lb1ELb0EPjS7_N6thrust23THRUST_200600_302600_NS5minusIjEEEE10hipError_tPvRmT2_T3_mT4_P12ihipStream_tbEUlT_E_NS1_11comp_targetILNS1_3genE4ELNS1_11target_archE910ELNS1_3gpuE8ELNS1_3repE0EEENS1_30default_config_static_selectorELNS0_4arch9wavefront6targetE1EEEvT1_
		.amdhsa_group_segment_fixed_size 0
		.amdhsa_private_segment_fixed_size 0
		.amdhsa_kernarg_size 56
		.amdhsa_user_sgpr_count 6
		.amdhsa_user_sgpr_private_segment_buffer 1
		.amdhsa_user_sgpr_dispatch_ptr 0
		.amdhsa_user_sgpr_queue_ptr 0
		.amdhsa_user_sgpr_kernarg_segment_ptr 1
		.amdhsa_user_sgpr_dispatch_id 0
		.amdhsa_user_sgpr_flat_scratch_init 0
		.amdhsa_user_sgpr_private_segment_size 0
		.amdhsa_uses_dynamic_stack 0
		.amdhsa_system_sgpr_private_segment_wavefront_offset 0
		.amdhsa_system_sgpr_workgroup_id_x 1
		.amdhsa_system_sgpr_workgroup_id_y 0
		.amdhsa_system_sgpr_workgroup_id_z 0
		.amdhsa_system_sgpr_workgroup_info 0
		.amdhsa_system_vgpr_workitem_id 0
		.amdhsa_next_free_vgpr 1
		.amdhsa_next_free_sgpr 0
		.amdhsa_reserve_vcc 0
		.amdhsa_reserve_flat_scratch 0
		.amdhsa_float_round_mode_32 0
		.amdhsa_float_round_mode_16_64 0
		.amdhsa_float_denorm_mode_32 3
		.amdhsa_float_denorm_mode_16_64 3
		.amdhsa_dx10_clamp 1
		.amdhsa_ieee_mode 1
		.amdhsa_fp16_overflow 0
		.amdhsa_exception_fp_ieee_invalid_op 0
		.amdhsa_exception_fp_denorm_src 0
		.amdhsa_exception_fp_ieee_div_zero 0
		.amdhsa_exception_fp_ieee_overflow 0
		.amdhsa_exception_fp_ieee_underflow 0
		.amdhsa_exception_fp_ieee_inexact 0
		.amdhsa_exception_int_div_zero 0
	.end_amdhsa_kernel
	.section	.text._ZN7rocprim17ROCPRIM_400000_NS6detail17trampoline_kernelINS0_14default_configENS1_35adjacent_difference_config_selectorILb1EjEEZNS1_24adjacent_difference_implIS3_Lb1ELb0EPjS7_N6thrust23THRUST_200600_302600_NS5minusIjEEEE10hipError_tPvRmT2_T3_mT4_P12ihipStream_tbEUlT_E_NS1_11comp_targetILNS1_3genE4ELNS1_11target_archE910ELNS1_3gpuE8ELNS1_3repE0EEENS1_30default_config_static_selectorELNS0_4arch9wavefront6targetE1EEEvT1_,"axG",@progbits,_ZN7rocprim17ROCPRIM_400000_NS6detail17trampoline_kernelINS0_14default_configENS1_35adjacent_difference_config_selectorILb1EjEEZNS1_24adjacent_difference_implIS3_Lb1ELb0EPjS7_N6thrust23THRUST_200600_302600_NS5minusIjEEEE10hipError_tPvRmT2_T3_mT4_P12ihipStream_tbEUlT_E_NS1_11comp_targetILNS1_3genE4ELNS1_11target_archE910ELNS1_3gpuE8ELNS1_3repE0EEENS1_30default_config_static_selectorELNS0_4arch9wavefront6targetE1EEEvT1_,comdat
.Lfunc_end175:
	.size	_ZN7rocprim17ROCPRIM_400000_NS6detail17trampoline_kernelINS0_14default_configENS1_35adjacent_difference_config_selectorILb1EjEEZNS1_24adjacent_difference_implIS3_Lb1ELb0EPjS7_N6thrust23THRUST_200600_302600_NS5minusIjEEEE10hipError_tPvRmT2_T3_mT4_P12ihipStream_tbEUlT_E_NS1_11comp_targetILNS1_3genE4ELNS1_11target_archE910ELNS1_3gpuE8ELNS1_3repE0EEENS1_30default_config_static_selectorELNS0_4arch9wavefront6targetE1EEEvT1_, .Lfunc_end175-_ZN7rocprim17ROCPRIM_400000_NS6detail17trampoline_kernelINS0_14default_configENS1_35adjacent_difference_config_selectorILb1EjEEZNS1_24adjacent_difference_implIS3_Lb1ELb0EPjS7_N6thrust23THRUST_200600_302600_NS5minusIjEEEE10hipError_tPvRmT2_T3_mT4_P12ihipStream_tbEUlT_E_NS1_11comp_targetILNS1_3genE4ELNS1_11target_archE910ELNS1_3gpuE8ELNS1_3repE0EEENS1_30default_config_static_selectorELNS0_4arch9wavefront6targetE1EEEvT1_
                                        ; -- End function
	.set _ZN7rocprim17ROCPRIM_400000_NS6detail17trampoline_kernelINS0_14default_configENS1_35adjacent_difference_config_selectorILb1EjEEZNS1_24adjacent_difference_implIS3_Lb1ELb0EPjS7_N6thrust23THRUST_200600_302600_NS5minusIjEEEE10hipError_tPvRmT2_T3_mT4_P12ihipStream_tbEUlT_E_NS1_11comp_targetILNS1_3genE4ELNS1_11target_archE910ELNS1_3gpuE8ELNS1_3repE0EEENS1_30default_config_static_selectorELNS0_4arch9wavefront6targetE1EEEvT1_.num_vgpr, 0
	.set _ZN7rocprim17ROCPRIM_400000_NS6detail17trampoline_kernelINS0_14default_configENS1_35adjacent_difference_config_selectorILb1EjEEZNS1_24adjacent_difference_implIS3_Lb1ELb0EPjS7_N6thrust23THRUST_200600_302600_NS5minusIjEEEE10hipError_tPvRmT2_T3_mT4_P12ihipStream_tbEUlT_E_NS1_11comp_targetILNS1_3genE4ELNS1_11target_archE910ELNS1_3gpuE8ELNS1_3repE0EEENS1_30default_config_static_selectorELNS0_4arch9wavefront6targetE1EEEvT1_.num_agpr, 0
	.set _ZN7rocprim17ROCPRIM_400000_NS6detail17trampoline_kernelINS0_14default_configENS1_35adjacent_difference_config_selectorILb1EjEEZNS1_24adjacent_difference_implIS3_Lb1ELb0EPjS7_N6thrust23THRUST_200600_302600_NS5minusIjEEEE10hipError_tPvRmT2_T3_mT4_P12ihipStream_tbEUlT_E_NS1_11comp_targetILNS1_3genE4ELNS1_11target_archE910ELNS1_3gpuE8ELNS1_3repE0EEENS1_30default_config_static_selectorELNS0_4arch9wavefront6targetE1EEEvT1_.numbered_sgpr, 0
	.set _ZN7rocprim17ROCPRIM_400000_NS6detail17trampoline_kernelINS0_14default_configENS1_35adjacent_difference_config_selectorILb1EjEEZNS1_24adjacent_difference_implIS3_Lb1ELb0EPjS7_N6thrust23THRUST_200600_302600_NS5minusIjEEEE10hipError_tPvRmT2_T3_mT4_P12ihipStream_tbEUlT_E_NS1_11comp_targetILNS1_3genE4ELNS1_11target_archE910ELNS1_3gpuE8ELNS1_3repE0EEENS1_30default_config_static_selectorELNS0_4arch9wavefront6targetE1EEEvT1_.num_named_barrier, 0
	.set _ZN7rocprim17ROCPRIM_400000_NS6detail17trampoline_kernelINS0_14default_configENS1_35adjacent_difference_config_selectorILb1EjEEZNS1_24adjacent_difference_implIS3_Lb1ELb0EPjS7_N6thrust23THRUST_200600_302600_NS5minusIjEEEE10hipError_tPvRmT2_T3_mT4_P12ihipStream_tbEUlT_E_NS1_11comp_targetILNS1_3genE4ELNS1_11target_archE910ELNS1_3gpuE8ELNS1_3repE0EEENS1_30default_config_static_selectorELNS0_4arch9wavefront6targetE1EEEvT1_.private_seg_size, 0
	.set _ZN7rocprim17ROCPRIM_400000_NS6detail17trampoline_kernelINS0_14default_configENS1_35adjacent_difference_config_selectorILb1EjEEZNS1_24adjacent_difference_implIS3_Lb1ELb0EPjS7_N6thrust23THRUST_200600_302600_NS5minusIjEEEE10hipError_tPvRmT2_T3_mT4_P12ihipStream_tbEUlT_E_NS1_11comp_targetILNS1_3genE4ELNS1_11target_archE910ELNS1_3gpuE8ELNS1_3repE0EEENS1_30default_config_static_selectorELNS0_4arch9wavefront6targetE1EEEvT1_.uses_vcc, 0
	.set _ZN7rocprim17ROCPRIM_400000_NS6detail17trampoline_kernelINS0_14default_configENS1_35adjacent_difference_config_selectorILb1EjEEZNS1_24adjacent_difference_implIS3_Lb1ELb0EPjS7_N6thrust23THRUST_200600_302600_NS5minusIjEEEE10hipError_tPvRmT2_T3_mT4_P12ihipStream_tbEUlT_E_NS1_11comp_targetILNS1_3genE4ELNS1_11target_archE910ELNS1_3gpuE8ELNS1_3repE0EEENS1_30default_config_static_selectorELNS0_4arch9wavefront6targetE1EEEvT1_.uses_flat_scratch, 0
	.set _ZN7rocprim17ROCPRIM_400000_NS6detail17trampoline_kernelINS0_14default_configENS1_35adjacent_difference_config_selectorILb1EjEEZNS1_24adjacent_difference_implIS3_Lb1ELb0EPjS7_N6thrust23THRUST_200600_302600_NS5minusIjEEEE10hipError_tPvRmT2_T3_mT4_P12ihipStream_tbEUlT_E_NS1_11comp_targetILNS1_3genE4ELNS1_11target_archE910ELNS1_3gpuE8ELNS1_3repE0EEENS1_30default_config_static_selectorELNS0_4arch9wavefront6targetE1EEEvT1_.has_dyn_sized_stack, 0
	.set _ZN7rocprim17ROCPRIM_400000_NS6detail17trampoline_kernelINS0_14default_configENS1_35adjacent_difference_config_selectorILb1EjEEZNS1_24adjacent_difference_implIS3_Lb1ELb0EPjS7_N6thrust23THRUST_200600_302600_NS5minusIjEEEE10hipError_tPvRmT2_T3_mT4_P12ihipStream_tbEUlT_E_NS1_11comp_targetILNS1_3genE4ELNS1_11target_archE910ELNS1_3gpuE8ELNS1_3repE0EEENS1_30default_config_static_selectorELNS0_4arch9wavefront6targetE1EEEvT1_.has_recursion, 0
	.set _ZN7rocprim17ROCPRIM_400000_NS6detail17trampoline_kernelINS0_14default_configENS1_35adjacent_difference_config_selectorILb1EjEEZNS1_24adjacent_difference_implIS3_Lb1ELb0EPjS7_N6thrust23THRUST_200600_302600_NS5minusIjEEEE10hipError_tPvRmT2_T3_mT4_P12ihipStream_tbEUlT_E_NS1_11comp_targetILNS1_3genE4ELNS1_11target_archE910ELNS1_3gpuE8ELNS1_3repE0EEENS1_30default_config_static_selectorELNS0_4arch9wavefront6targetE1EEEvT1_.has_indirect_call, 0
	.section	.AMDGPU.csdata,"",@progbits
; Kernel info:
; codeLenInByte = 0
; TotalNumSgprs: 4
; NumVgprs: 0
; ScratchSize: 0
; MemoryBound: 0
; FloatMode: 240
; IeeeMode: 1
; LDSByteSize: 0 bytes/workgroup (compile time only)
; SGPRBlocks: 0
; VGPRBlocks: 0
; NumSGPRsForWavesPerEU: 4
; NumVGPRsForWavesPerEU: 1
; Occupancy: 10
; WaveLimiterHint : 0
; COMPUTE_PGM_RSRC2:SCRATCH_EN: 0
; COMPUTE_PGM_RSRC2:USER_SGPR: 6
; COMPUTE_PGM_RSRC2:TRAP_HANDLER: 0
; COMPUTE_PGM_RSRC2:TGID_X_EN: 1
; COMPUTE_PGM_RSRC2:TGID_Y_EN: 0
; COMPUTE_PGM_RSRC2:TGID_Z_EN: 0
; COMPUTE_PGM_RSRC2:TIDIG_COMP_CNT: 0
	.section	.text._ZN7rocprim17ROCPRIM_400000_NS6detail17trampoline_kernelINS0_14default_configENS1_35adjacent_difference_config_selectorILb1EjEEZNS1_24adjacent_difference_implIS3_Lb1ELb0EPjS7_N6thrust23THRUST_200600_302600_NS5minusIjEEEE10hipError_tPvRmT2_T3_mT4_P12ihipStream_tbEUlT_E_NS1_11comp_targetILNS1_3genE3ELNS1_11target_archE908ELNS1_3gpuE7ELNS1_3repE0EEENS1_30default_config_static_selectorELNS0_4arch9wavefront6targetE1EEEvT1_,"axG",@progbits,_ZN7rocprim17ROCPRIM_400000_NS6detail17trampoline_kernelINS0_14default_configENS1_35adjacent_difference_config_selectorILb1EjEEZNS1_24adjacent_difference_implIS3_Lb1ELb0EPjS7_N6thrust23THRUST_200600_302600_NS5minusIjEEEE10hipError_tPvRmT2_T3_mT4_P12ihipStream_tbEUlT_E_NS1_11comp_targetILNS1_3genE3ELNS1_11target_archE908ELNS1_3gpuE7ELNS1_3repE0EEENS1_30default_config_static_selectorELNS0_4arch9wavefront6targetE1EEEvT1_,comdat
	.protected	_ZN7rocprim17ROCPRIM_400000_NS6detail17trampoline_kernelINS0_14default_configENS1_35adjacent_difference_config_selectorILb1EjEEZNS1_24adjacent_difference_implIS3_Lb1ELb0EPjS7_N6thrust23THRUST_200600_302600_NS5minusIjEEEE10hipError_tPvRmT2_T3_mT4_P12ihipStream_tbEUlT_E_NS1_11comp_targetILNS1_3genE3ELNS1_11target_archE908ELNS1_3gpuE7ELNS1_3repE0EEENS1_30default_config_static_selectorELNS0_4arch9wavefront6targetE1EEEvT1_ ; -- Begin function _ZN7rocprim17ROCPRIM_400000_NS6detail17trampoline_kernelINS0_14default_configENS1_35adjacent_difference_config_selectorILb1EjEEZNS1_24adjacent_difference_implIS3_Lb1ELb0EPjS7_N6thrust23THRUST_200600_302600_NS5minusIjEEEE10hipError_tPvRmT2_T3_mT4_P12ihipStream_tbEUlT_E_NS1_11comp_targetILNS1_3genE3ELNS1_11target_archE908ELNS1_3gpuE7ELNS1_3repE0EEENS1_30default_config_static_selectorELNS0_4arch9wavefront6targetE1EEEvT1_
	.globl	_ZN7rocprim17ROCPRIM_400000_NS6detail17trampoline_kernelINS0_14default_configENS1_35adjacent_difference_config_selectorILb1EjEEZNS1_24adjacent_difference_implIS3_Lb1ELb0EPjS7_N6thrust23THRUST_200600_302600_NS5minusIjEEEE10hipError_tPvRmT2_T3_mT4_P12ihipStream_tbEUlT_E_NS1_11comp_targetILNS1_3genE3ELNS1_11target_archE908ELNS1_3gpuE7ELNS1_3repE0EEENS1_30default_config_static_selectorELNS0_4arch9wavefront6targetE1EEEvT1_
	.p2align	8
	.type	_ZN7rocprim17ROCPRIM_400000_NS6detail17trampoline_kernelINS0_14default_configENS1_35adjacent_difference_config_selectorILb1EjEEZNS1_24adjacent_difference_implIS3_Lb1ELb0EPjS7_N6thrust23THRUST_200600_302600_NS5minusIjEEEE10hipError_tPvRmT2_T3_mT4_P12ihipStream_tbEUlT_E_NS1_11comp_targetILNS1_3genE3ELNS1_11target_archE908ELNS1_3gpuE7ELNS1_3repE0EEENS1_30default_config_static_selectorELNS0_4arch9wavefront6targetE1EEEvT1_,@function
_ZN7rocprim17ROCPRIM_400000_NS6detail17trampoline_kernelINS0_14default_configENS1_35adjacent_difference_config_selectorILb1EjEEZNS1_24adjacent_difference_implIS3_Lb1ELb0EPjS7_N6thrust23THRUST_200600_302600_NS5minusIjEEEE10hipError_tPvRmT2_T3_mT4_P12ihipStream_tbEUlT_E_NS1_11comp_targetILNS1_3genE3ELNS1_11target_archE908ELNS1_3gpuE7ELNS1_3repE0EEENS1_30default_config_static_selectorELNS0_4arch9wavefront6targetE1EEEvT1_: ; @_ZN7rocprim17ROCPRIM_400000_NS6detail17trampoline_kernelINS0_14default_configENS1_35adjacent_difference_config_selectorILb1EjEEZNS1_24adjacent_difference_implIS3_Lb1ELb0EPjS7_N6thrust23THRUST_200600_302600_NS5minusIjEEEE10hipError_tPvRmT2_T3_mT4_P12ihipStream_tbEUlT_E_NS1_11comp_targetILNS1_3genE3ELNS1_11target_archE908ELNS1_3gpuE7ELNS1_3repE0EEENS1_30default_config_static_selectorELNS0_4arch9wavefront6targetE1EEEvT1_
; %bb.0:
	.section	.rodata,"a",@progbits
	.p2align	6, 0x0
	.amdhsa_kernel _ZN7rocprim17ROCPRIM_400000_NS6detail17trampoline_kernelINS0_14default_configENS1_35adjacent_difference_config_selectorILb1EjEEZNS1_24adjacent_difference_implIS3_Lb1ELb0EPjS7_N6thrust23THRUST_200600_302600_NS5minusIjEEEE10hipError_tPvRmT2_T3_mT4_P12ihipStream_tbEUlT_E_NS1_11comp_targetILNS1_3genE3ELNS1_11target_archE908ELNS1_3gpuE7ELNS1_3repE0EEENS1_30default_config_static_selectorELNS0_4arch9wavefront6targetE1EEEvT1_
		.amdhsa_group_segment_fixed_size 0
		.amdhsa_private_segment_fixed_size 0
		.amdhsa_kernarg_size 56
		.amdhsa_user_sgpr_count 6
		.amdhsa_user_sgpr_private_segment_buffer 1
		.amdhsa_user_sgpr_dispatch_ptr 0
		.amdhsa_user_sgpr_queue_ptr 0
		.amdhsa_user_sgpr_kernarg_segment_ptr 1
		.amdhsa_user_sgpr_dispatch_id 0
		.amdhsa_user_sgpr_flat_scratch_init 0
		.amdhsa_user_sgpr_private_segment_size 0
		.amdhsa_uses_dynamic_stack 0
		.amdhsa_system_sgpr_private_segment_wavefront_offset 0
		.amdhsa_system_sgpr_workgroup_id_x 1
		.amdhsa_system_sgpr_workgroup_id_y 0
		.amdhsa_system_sgpr_workgroup_id_z 0
		.amdhsa_system_sgpr_workgroup_info 0
		.amdhsa_system_vgpr_workitem_id 0
		.amdhsa_next_free_vgpr 1
		.amdhsa_next_free_sgpr 0
		.amdhsa_reserve_vcc 0
		.amdhsa_reserve_flat_scratch 0
		.amdhsa_float_round_mode_32 0
		.amdhsa_float_round_mode_16_64 0
		.amdhsa_float_denorm_mode_32 3
		.amdhsa_float_denorm_mode_16_64 3
		.amdhsa_dx10_clamp 1
		.amdhsa_ieee_mode 1
		.amdhsa_fp16_overflow 0
		.amdhsa_exception_fp_ieee_invalid_op 0
		.amdhsa_exception_fp_denorm_src 0
		.amdhsa_exception_fp_ieee_div_zero 0
		.amdhsa_exception_fp_ieee_overflow 0
		.amdhsa_exception_fp_ieee_underflow 0
		.amdhsa_exception_fp_ieee_inexact 0
		.amdhsa_exception_int_div_zero 0
	.end_amdhsa_kernel
	.section	.text._ZN7rocprim17ROCPRIM_400000_NS6detail17trampoline_kernelINS0_14default_configENS1_35adjacent_difference_config_selectorILb1EjEEZNS1_24adjacent_difference_implIS3_Lb1ELb0EPjS7_N6thrust23THRUST_200600_302600_NS5minusIjEEEE10hipError_tPvRmT2_T3_mT4_P12ihipStream_tbEUlT_E_NS1_11comp_targetILNS1_3genE3ELNS1_11target_archE908ELNS1_3gpuE7ELNS1_3repE0EEENS1_30default_config_static_selectorELNS0_4arch9wavefront6targetE1EEEvT1_,"axG",@progbits,_ZN7rocprim17ROCPRIM_400000_NS6detail17trampoline_kernelINS0_14default_configENS1_35adjacent_difference_config_selectorILb1EjEEZNS1_24adjacent_difference_implIS3_Lb1ELb0EPjS7_N6thrust23THRUST_200600_302600_NS5minusIjEEEE10hipError_tPvRmT2_T3_mT4_P12ihipStream_tbEUlT_E_NS1_11comp_targetILNS1_3genE3ELNS1_11target_archE908ELNS1_3gpuE7ELNS1_3repE0EEENS1_30default_config_static_selectorELNS0_4arch9wavefront6targetE1EEEvT1_,comdat
.Lfunc_end176:
	.size	_ZN7rocprim17ROCPRIM_400000_NS6detail17trampoline_kernelINS0_14default_configENS1_35adjacent_difference_config_selectorILb1EjEEZNS1_24adjacent_difference_implIS3_Lb1ELb0EPjS7_N6thrust23THRUST_200600_302600_NS5minusIjEEEE10hipError_tPvRmT2_T3_mT4_P12ihipStream_tbEUlT_E_NS1_11comp_targetILNS1_3genE3ELNS1_11target_archE908ELNS1_3gpuE7ELNS1_3repE0EEENS1_30default_config_static_selectorELNS0_4arch9wavefront6targetE1EEEvT1_, .Lfunc_end176-_ZN7rocprim17ROCPRIM_400000_NS6detail17trampoline_kernelINS0_14default_configENS1_35adjacent_difference_config_selectorILb1EjEEZNS1_24adjacent_difference_implIS3_Lb1ELb0EPjS7_N6thrust23THRUST_200600_302600_NS5minusIjEEEE10hipError_tPvRmT2_T3_mT4_P12ihipStream_tbEUlT_E_NS1_11comp_targetILNS1_3genE3ELNS1_11target_archE908ELNS1_3gpuE7ELNS1_3repE0EEENS1_30default_config_static_selectorELNS0_4arch9wavefront6targetE1EEEvT1_
                                        ; -- End function
	.set _ZN7rocprim17ROCPRIM_400000_NS6detail17trampoline_kernelINS0_14default_configENS1_35adjacent_difference_config_selectorILb1EjEEZNS1_24adjacent_difference_implIS3_Lb1ELb0EPjS7_N6thrust23THRUST_200600_302600_NS5minusIjEEEE10hipError_tPvRmT2_T3_mT4_P12ihipStream_tbEUlT_E_NS1_11comp_targetILNS1_3genE3ELNS1_11target_archE908ELNS1_3gpuE7ELNS1_3repE0EEENS1_30default_config_static_selectorELNS0_4arch9wavefront6targetE1EEEvT1_.num_vgpr, 0
	.set _ZN7rocprim17ROCPRIM_400000_NS6detail17trampoline_kernelINS0_14default_configENS1_35adjacent_difference_config_selectorILb1EjEEZNS1_24adjacent_difference_implIS3_Lb1ELb0EPjS7_N6thrust23THRUST_200600_302600_NS5minusIjEEEE10hipError_tPvRmT2_T3_mT4_P12ihipStream_tbEUlT_E_NS1_11comp_targetILNS1_3genE3ELNS1_11target_archE908ELNS1_3gpuE7ELNS1_3repE0EEENS1_30default_config_static_selectorELNS0_4arch9wavefront6targetE1EEEvT1_.num_agpr, 0
	.set _ZN7rocprim17ROCPRIM_400000_NS6detail17trampoline_kernelINS0_14default_configENS1_35adjacent_difference_config_selectorILb1EjEEZNS1_24adjacent_difference_implIS3_Lb1ELb0EPjS7_N6thrust23THRUST_200600_302600_NS5minusIjEEEE10hipError_tPvRmT2_T3_mT4_P12ihipStream_tbEUlT_E_NS1_11comp_targetILNS1_3genE3ELNS1_11target_archE908ELNS1_3gpuE7ELNS1_3repE0EEENS1_30default_config_static_selectorELNS0_4arch9wavefront6targetE1EEEvT1_.numbered_sgpr, 0
	.set _ZN7rocprim17ROCPRIM_400000_NS6detail17trampoline_kernelINS0_14default_configENS1_35adjacent_difference_config_selectorILb1EjEEZNS1_24adjacent_difference_implIS3_Lb1ELb0EPjS7_N6thrust23THRUST_200600_302600_NS5minusIjEEEE10hipError_tPvRmT2_T3_mT4_P12ihipStream_tbEUlT_E_NS1_11comp_targetILNS1_3genE3ELNS1_11target_archE908ELNS1_3gpuE7ELNS1_3repE0EEENS1_30default_config_static_selectorELNS0_4arch9wavefront6targetE1EEEvT1_.num_named_barrier, 0
	.set _ZN7rocprim17ROCPRIM_400000_NS6detail17trampoline_kernelINS0_14default_configENS1_35adjacent_difference_config_selectorILb1EjEEZNS1_24adjacent_difference_implIS3_Lb1ELb0EPjS7_N6thrust23THRUST_200600_302600_NS5minusIjEEEE10hipError_tPvRmT2_T3_mT4_P12ihipStream_tbEUlT_E_NS1_11comp_targetILNS1_3genE3ELNS1_11target_archE908ELNS1_3gpuE7ELNS1_3repE0EEENS1_30default_config_static_selectorELNS0_4arch9wavefront6targetE1EEEvT1_.private_seg_size, 0
	.set _ZN7rocprim17ROCPRIM_400000_NS6detail17trampoline_kernelINS0_14default_configENS1_35adjacent_difference_config_selectorILb1EjEEZNS1_24adjacent_difference_implIS3_Lb1ELb0EPjS7_N6thrust23THRUST_200600_302600_NS5minusIjEEEE10hipError_tPvRmT2_T3_mT4_P12ihipStream_tbEUlT_E_NS1_11comp_targetILNS1_3genE3ELNS1_11target_archE908ELNS1_3gpuE7ELNS1_3repE0EEENS1_30default_config_static_selectorELNS0_4arch9wavefront6targetE1EEEvT1_.uses_vcc, 0
	.set _ZN7rocprim17ROCPRIM_400000_NS6detail17trampoline_kernelINS0_14default_configENS1_35adjacent_difference_config_selectorILb1EjEEZNS1_24adjacent_difference_implIS3_Lb1ELb0EPjS7_N6thrust23THRUST_200600_302600_NS5minusIjEEEE10hipError_tPvRmT2_T3_mT4_P12ihipStream_tbEUlT_E_NS1_11comp_targetILNS1_3genE3ELNS1_11target_archE908ELNS1_3gpuE7ELNS1_3repE0EEENS1_30default_config_static_selectorELNS0_4arch9wavefront6targetE1EEEvT1_.uses_flat_scratch, 0
	.set _ZN7rocprim17ROCPRIM_400000_NS6detail17trampoline_kernelINS0_14default_configENS1_35adjacent_difference_config_selectorILb1EjEEZNS1_24adjacent_difference_implIS3_Lb1ELb0EPjS7_N6thrust23THRUST_200600_302600_NS5minusIjEEEE10hipError_tPvRmT2_T3_mT4_P12ihipStream_tbEUlT_E_NS1_11comp_targetILNS1_3genE3ELNS1_11target_archE908ELNS1_3gpuE7ELNS1_3repE0EEENS1_30default_config_static_selectorELNS0_4arch9wavefront6targetE1EEEvT1_.has_dyn_sized_stack, 0
	.set _ZN7rocprim17ROCPRIM_400000_NS6detail17trampoline_kernelINS0_14default_configENS1_35adjacent_difference_config_selectorILb1EjEEZNS1_24adjacent_difference_implIS3_Lb1ELb0EPjS7_N6thrust23THRUST_200600_302600_NS5minusIjEEEE10hipError_tPvRmT2_T3_mT4_P12ihipStream_tbEUlT_E_NS1_11comp_targetILNS1_3genE3ELNS1_11target_archE908ELNS1_3gpuE7ELNS1_3repE0EEENS1_30default_config_static_selectorELNS0_4arch9wavefront6targetE1EEEvT1_.has_recursion, 0
	.set _ZN7rocprim17ROCPRIM_400000_NS6detail17trampoline_kernelINS0_14default_configENS1_35adjacent_difference_config_selectorILb1EjEEZNS1_24adjacent_difference_implIS3_Lb1ELb0EPjS7_N6thrust23THRUST_200600_302600_NS5minusIjEEEE10hipError_tPvRmT2_T3_mT4_P12ihipStream_tbEUlT_E_NS1_11comp_targetILNS1_3genE3ELNS1_11target_archE908ELNS1_3gpuE7ELNS1_3repE0EEENS1_30default_config_static_selectorELNS0_4arch9wavefront6targetE1EEEvT1_.has_indirect_call, 0
	.section	.AMDGPU.csdata,"",@progbits
; Kernel info:
; codeLenInByte = 0
; TotalNumSgprs: 4
; NumVgprs: 0
; ScratchSize: 0
; MemoryBound: 0
; FloatMode: 240
; IeeeMode: 1
; LDSByteSize: 0 bytes/workgroup (compile time only)
; SGPRBlocks: 0
; VGPRBlocks: 0
; NumSGPRsForWavesPerEU: 4
; NumVGPRsForWavesPerEU: 1
; Occupancy: 10
; WaveLimiterHint : 0
; COMPUTE_PGM_RSRC2:SCRATCH_EN: 0
; COMPUTE_PGM_RSRC2:USER_SGPR: 6
; COMPUTE_PGM_RSRC2:TRAP_HANDLER: 0
; COMPUTE_PGM_RSRC2:TGID_X_EN: 1
; COMPUTE_PGM_RSRC2:TGID_Y_EN: 0
; COMPUTE_PGM_RSRC2:TGID_Z_EN: 0
; COMPUTE_PGM_RSRC2:TIDIG_COMP_CNT: 0
	.section	.text._ZN7rocprim17ROCPRIM_400000_NS6detail17trampoline_kernelINS0_14default_configENS1_35adjacent_difference_config_selectorILb1EjEEZNS1_24adjacent_difference_implIS3_Lb1ELb0EPjS7_N6thrust23THRUST_200600_302600_NS5minusIjEEEE10hipError_tPvRmT2_T3_mT4_P12ihipStream_tbEUlT_E_NS1_11comp_targetILNS1_3genE2ELNS1_11target_archE906ELNS1_3gpuE6ELNS1_3repE0EEENS1_30default_config_static_selectorELNS0_4arch9wavefront6targetE1EEEvT1_,"axG",@progbits,_ZN7rocprim17ROCPRIM_400000_NS6detail17trampoline_kernelINS0_14default_configENS1_35adjacent_difference_config_selectorILb1EjEEZNS1_24adjacent_difference_implIS3_Lb1ELb0EPjS7_N6thrust23THRUST_200600_302600_NS5minusIjEEEE10hipError_tPvRmT2_T3_mT4_P12ihipStream_tbEUlT_E_NS1_11comp_targetILNS1_3genE2ELNS1_11target_archE906ELNS1_3gpuE6ELNS1_3repE0EEENS1_30default_config_static_selectorELNS0_4arch9wavefront6targetE1EEEvT1_,comdat
	.protected	_ZN7rocprim17ROCPRIM_400000_NS6detail17trampoline_kernelINS0_14default_configENS1_35adjacent_difference_config_selectorILb1EjEEZNS1_24adjacent_difference_implIS3_Lb1ELb0EPjS7_N6thrust23THRUST_200600_302600_NS5minusIjEEEE10hipError_tPvRmT2_T3_mT4_P12ihipStream_tbEUlT_E_NS1_11comp_targetILNS1_3genE2ELNS1_11target_archE906ELNS1_3gpuE6ELNS1_3repE0EEENS1_30default_config_static_selectorELNS0_4arch9wavefront6targetE1EEEvT1_ ; -- Begin function _ZN7rocprim17ROCPRIM_400000_NS6detail17trampoline_kernelINS0_14default_configENS1_35adjacent_difference_config_selectorILb1EjEEZNS1_24adjacent_difference_implIS3_Lb1ELb0EPjS7_N6thrust23THRUST_200600_302600_NS5minusIjEEEE10hipError_tPvRmT2_T3_mT4_P12ihipStream_tbEUlT_E_NS1_11comp_targetILNS1_3genE2ELNS1_11target_archE906ELNS1_3gpuE6ELNS1_3repE0EEENS1_30default_config_static_selectorELNS0_4arch9wavefront6targetE1EEEvT1_
	.globl	_ZN7rocprim17ROCPRIM_400000_NS6detail17trampoline_kernelINS0_14default_configENS1_35adjacent_difference_config_selectorILb1EjEEZNS1_24adjacent_difference_implIS3_Lb1ELb0EPjS7_N6thrust23THRUST_200600_302600_NS5minusIjEEEE10hipError_tPvRmT2_T3_mT4_P12ihipStream_tbEUlT_E_NS1_11comp_targetILNS1_3genE2ELNS1_11target_archE906ELNS1_3gpuE6ELNS1_3repE0EEENS1_30default_config_static_selectorELNS0_4arch9wavefront6targetE1EEEvT1_
	.p2align	8
	.type	_ZN7rocprim17ROCPRIM_400000_NS6detail17trampoline_kernelINS0_14default_configENS1_35adjacent_difference_config_selectorILb1EjEEZNS1_24adjacent_difference_implIS3_Lb1ELb0EPjS7_N6thrust23THRUST_200600_302600_NS5minusIjEEEE10hipError_tPvRmT2_T3_mT4_P12ihipStream_tbEUlT_E_NS1_11comp_targetILNS1_3genE2ELNS1_11target_archE906ELNS1_3gpuE6ELNS1_3repE0EEENS1_30default_config_static_selectorELNS0_4arch9wavefront6targetE1EEEvT1_,@function
_ZN7rocprim17ROCPRIM_400000_NS6detail17trampoline_kernelINS0_14default_configENS1_35adjacent_difference_config_selectorILb1EjEEZNS1_24adjacent_difference_implIS3_Lb1ELb0EPjS7_N6thrust23THRUST_200600_302600_NS5minusIjEEEE10hipError_tPvRmT2_T3_mT4_P12ihipStream_tbEUlT_E_NS1_11comp_targetILNS1_3genE2ELNS1_11target_archE906ELNS1_3gpuE6ELNS1_3repE0EEENS1_30default_config_static_selectorELNS0_4arch9wavefront6targetE1EEEvT1_: ; @_ZN7rocprim17ROCPRIM_400000_NS6detail17trampoline_kernelINS0_14default_configENS1_35adjacent_difference_config_selectorILb1EjEEZNS1_24adjacent_difference_implIS3_Lb1ELb0EPjS7_N6thrust23THRUST_200600_302600_NS5minusIjEEEE10hipError_tPvRmT2_T3_mT4_P12ihipStream_tbEUlT_E_NS1_11comp_targetILNS1_3genE2ELNS1_11target_archE906ELNS1_3gpuE6ELNS1_3repE0EEENS1_30default_config_static_selectorELNS0_4arch9wavefront6targetE1EEEvT1_
; %bb.0:
	s_load_dwordx8 s[20:27], s[4:5], 0x0
	s_load_dwordx4 s[8:11], s[4:5], 0x28
	s_mul_i32 s28, s6, 0xb00
	s_mov_b32 s7, 0
	s_mov_b64 s[14:15], -1
	s_waitcnt lgkmcnt(0)
	s_lshl_b64 s[30:31], s[22:23], 2
	s_add_u32 s18, s20, s30
	s_addc_u32 s19, s21, s31
	s_mul_i32 s3, s27, 0xba2e8ba3
	s_mul_hi_u32 s4, s26, 0xba2e8ba3
	s_mul_hi_u32 s2, s27, 0xba2e8ba3
	s_add_u32 s3, s3, s4
	s_mul_i32 s1, s26, 0x2e8ba2e8
	s_addc_u32 s2, s2, 0
	s_mul_hi_u32 s0, s26, 0x2e8ba2e8
	s_add_u32 s1, s1, s3
	s_addc_u32 s0, s0, 0
	s_add_u32 s0, s2, s0
	s_addc_u32 s1, 0, 0
	s_mul_i32 s3, s27, 0x2e8ba2e8
	s_mul_hi_u32 s2, s27, 0x2e8ba2e8
	s_add_u32 s0, s3, s0
	s_addc_u32 s1, s2, s1
	s_lshr_b64 s[2:3], s[0:1], 9
	s_lshr_b32 s0, s1, 9
	s_mulk_i32 s0, 0xb00
	s_mul_hi_u32 s1, s2, 0xb00
	s_add_i32 s1, s1, s0
	s_mul_i32 s0, s2, 0xb00
	s_sub_u32 s0, s26, s0
	s_subb_u32 s1, s27, s1
	s_cmp_lg_u64 s[0:1], 0
	s_cselect_b64 s[0:1], -1, 0
	v_cndmask_b32_e64 v1, 0, 1, s[0:1]
	v_readfirstlane_b32 s0, v1
	s_add_u32 s2, s2, s0
	s_addc_u32 s3, s3, 0
	s_add_u32 s4, s10, s6
	s_addc_u32 s5, s11, 0
	s_add_u32 s12, s2, -1
	s_addc_u32 s13, s3, -1
	v_mov_b32_e32 v1, s12
	v_mov_b32_e32 v2, s13
	v_cmp_ge_u64_e64 s[0:1], s[4:5], v[1:2]
	s_mul_i32 s27, s12, 0xfffff500
	s_and_b64 vcc, exec, s[0:1]
	s_cbranch_vccz .LBB177_24
; %bb.1:
	s_mov_b32 s29, s7
	s_add_i32 s20, s27, s26
	s_lshl_b64 s[14:15], s[28:29], 2
	s_add_u32 s14, s18, s14
	v_mov_b32_e32 v1, 0
	s_addc_u32 s15, s19, s15
	v_cmp_gt_u32_e32 vcc, s20, v0
	v_mov_b32_e32 v2, v1
	v_mov_b32_e32 v3, v1
	;; [unrolled: 1-line block ×10, first 2 shown]
	s_and_saveexec_b64 s[16:17], vcc
	s_cbranch_execz .LBB177_3
; %bb.2:
	v_lshlrev_b32_e32 v2, 2, v0
	global_load_dword v2, v2, s[14:15]
	v_mov_b32_e32 v3, v1
	v_mov_b32_e32 v4, v1
	;; [unrolled: 1-line block ×10, first 2 shown]
	s_waitcnt vmcnt(0)
	v_mov_b32_e32 v1, v2
	v_mov_b32_e32 v2, v3
	;; [unrolled: 1-line block ×11, first 2 shown]
.LBB177_3:
	s_or_b64 exec, exec, s[16:17]
	v_or_b32_e32 v12, 0x100, v0
	v_cmp_gt_u32_e32 vcc, s20, v12
	s_and_saveexec_b64 s[16:17], vcc
	s_cbranch_execz .LBB177_5
; %bb.4:
	v_lshlrev_b32_e32 v2, 2, v0
	global_load_dword v2, v2, s[14:15] offset:1024
.LBB177_5:
	s_or_b64 exec, exec, s[16:17]
	v_or_b32_e32 v12, 0x200, v0
	v_cmp_gt_u32_e32 vcc, s20, v12
	s_and_saveexec_b64 s[16:17], vcc
	s_cbranch_execz .LBB177_7
; %bb.6:
	v_lshlrev_b32_e32 v3, 2, v0
	global_load_dword v3, v3, s[14:15] offset:2048
.LBB177_7:
	;; [unrolled: 9-line block ×3, first 2 shown]
	s_or_b64 exec, exec, s[16:17]
	v_or_b32_e32 v12, 0x400, v0
	v_cmp_gt_u32_e32 vcc, s20, v12
	s_and_saveexec_b64 s[16:17], vcc
	s_cbranch_execz .LBB177_11
; %bb.10:
	v_lshlrev_b32_e32 v5, 2, v12
	global_load_dword v5, v5, s[14:15]
.LBB177_11:
	s_or_b64 exec, exec, s[16:17]
	v_or_b32_e32 v12, 0x500, v0
	v_cmp_gt_u32_e32 vcc, s20, v12
	s_and_saveexec_b64 s[16:17], vcc
	s_cbranch_execz .LBB177_13
; %bb.12:
	v_lshlrev_b32_e32 v6, 2, v12
	global_load_dword v6, v6, s[14:15]
.LBB177_13:
	;; [unrolled: 9-line block ×7, first 2 shown]
	s_or_b64 exec, exec, s[16:17]
	v_lshlrev_b32_e32 v12, 2, v0
	s_mov_b64 s[14:15], 0
	s_waitcnt vmcnt(0)
	ds_write2st64_b32 v12, v1, v2 offset1:4
	ds_write2st64_b32 v12, v3, v4 offset0:8 offset1:12
	ds_write2st64_b32 v12, v5, v6 offset0:16 offset1:20
	;; [unrolled: 1-line block ×4, first 2 shown]
	ds_write_b32 v12, v11 offset:10240
	s_waitcnt lgkmcnt(0)
	s_barrier
.LBB177_24:
	s_and_b64 vcc, exec, s[14:15]
	v_lshlrev_b32_e32 v13, 2, v0
	s_cbranch_vccz .LBB177_26
; %bb.25:
	s_mov_b32 s29, 0
	s_lshl_b64 s[14:15], s[28:29], 2
	s_add_u32 s14, s18, s14
	s_addc_u32 s15, s19, s15
	v_mov_b32_e32 v1, s15
	v_add_co_u32_e32 v3, vcc, s14, v13
	v_addc_co_u32_e32 v4, vcc, 0, v1, vcc
	v_add_co_u32_e32 v1, vcc, 0x1000, v3
	v_addc_co_u32_e32 v2, vcc, 0, v4, vcc
	v_add_co_u32_e32 v3, vcc, 0x2000, v3
	global_load_dword v5, v13, s[14:15] offset:1024
	global_load_dword v6, v13, s[14:15] offset:2048
	;; [unrolled: 1-line block ×3, first 2 shown]
	v_addc_co_u32_e32 v4, vcc, 0, v4, vcc
	global_load_dword v8, v13, s[14:15]
	global_load_dword v9, v[1:2], off
	global_load_dword v10, v[1:2], off offset:1024
	global_load_dword v11, v[1:2], off offset:2048
	;; [unrolled: 1-line block ×3, first 2 shown]
	global_load_dword v14, v[3:4], off
	global_load_dword v15, v[3:4], off offset:1024
	global_load_dword v16, v[3:4], off offset:2048
	s_waitcnt vmcnt(7)
	ds_write2st64_b32 v13, v8, v5 offset1:4
	ds_write2st64_b32 v13, v6, v7 offset0:8 offset1:12
	s_waitcnt vmcnt(5)
	ds_write2st64_b32 v13, v9, v10 offset0:16 offset1:20
	s_waitcnt vmcnt(3)
	;; [unrolled: 2-line block ×4, first 2 shown]
	ds_write_b32 v13, v16 offset:10240
	s_waitcnt lgkmcnt(0)
	s_barrier
.LBB177_26:
	v_mul_u32_u24_e32 v14, 44, v0
	ds_read2_b32 v[1:2], v14 offset1:1
	ds_read2_b32 v[3:4], v14 offset0:2 offset1:3
	ds_read2_b32 v[5:6], v14 offset0:4 offset1:5
	ds_read2_b32 v[7:8], v14 offset0:6 offset1:7
	ds_read2_b32 v[9:10], v14 offset0:8 offset1:9
	ds_read_b32 v11, v14 offset:40
	s_cmp_eq_u64 s[4:5], 0
	s_waitcnt lgkmcnt(0)
	s_barrier
	s_cbranch_scc1 .LBB177_31
; %bb.27:
	s_lshl_b64 s[10:11], s[10:11], 2
	s_add_u32 s8, s8, s10
	s_addc_u32 s9, s9, s11
	s_lshl_b64 s[6:7], s[6:7], 2
	s_add_u32 s6, s8, s6
	s_addc_u32 s7, s9, s7
	s_add_u32 s6, s6, -4
	s_addc_u32 s7, s7, -1
	s_load_dword s8, s[6:7], 0x0
	s_cmp_eq_u64 s[4:5], s[12:13]
	s_cbranch_scc1 .LBB177_32
; %bb.28:
	v_cmp_ne_u32_e32 vcc, 0, v0
	s_waitcnt lgkmcnt(0)
	v_mov_b32_e32 v12, s8
	ds_write_b32 v13, v11
	s_waitcnt lgkmcnt(0)
	s_barrier
	s_and_saveexec_b64 s[6:7], vcc
; %bb.29:
	v_add_u32_e32 v12, -4, v13
	ds_read_b32 v12, v12
; %bb.30:
	s_or_b64 exec, exec, s[6:7]
	s_waitcnt lgkmcnt(0)
	v_sub_u32_e32 v15, v1, v12
	s_mov_b64 s[6:7], 0
	s_branch .LBB177_33
.LBB177_31:
                                        ; implicit-def: $vgpr12
                                        ; implicit-def: $vgpr17
                                        ; implicit-def: $vgpr18
                                        ; implicit-def: $vgpr15
                                        ; implicit-def: $vgpr19
                                        ; implicit-def: $vgpr20
                                        ; implicit-def: $vgpr21
                                        ; implicit-def: $vgpr22
                                        ; implicit-def: $vgpr23
                                        ; implicit-def: $vgpr24
                                        ; implicit-def: $vgpr25
	s_branch .LBB177_38
.LBB177_32:
	s_mov_b64 s[6:7], -1
                                        ; implicit-def: $vgpr15
.LBB177_33:
	s_and_b64 vcc, exec, s[6:7]
	v_mov_b32_e32 v12, v10
	v_mov_b32_e32 v17, v9
	;; [unrolled: 1-line block ×10, first 2 shown]
	s_cbranch_vccz .LBB177_37
; %bb.34:
	v_mul_u32_u24_e32 v15, 11, v0
	v_cmp_ne_u32_e32 vcc, 0, v0
	s_waitcnt lgkmcnt(0)
	v_mov_b32_e32 v16, s8
	ds_write_b32 v13, v11
	s_waitcnt lgkmcnt(0)
	s_barrier
	s_and_saveexec_b64 s[6:7], vcc
; %bb.35:
	v_add_u32_e32 v12, -4, v13
	ds_read_b32 v16, v12
; %bb.36:
	s_or_b64 exec, exec, s[6:7]
	s_mulk_i32 s4, 0xf500
	s_add_i32 s4, s4, s26
	v_add_u32_e32 v12, 10, v15
	v_cmp_gt_u32_e32 vcc, s4, v12
	v_add_u32_e32 v17, 9, v15
	v_cndmask_b32_e32 v12, 0, v10, vcc
	v_cmp_gt_u32_e32 vcc, s4, v17
	v_add_u32_e32 v18, 8, v15
	v_cndmask_b32_e32 v17, 0, v9, vcc
	;; [unrolled: 3-line block ×9, first 2 shown]
	v_cmp_gt_u32_e32 vcc, s4, v19
	v_cndmask_b32_e32 v19, 0, v1, vcc
	v_cmp_gt_u32_e32 vcc, s4, v15
	s_waitcnt lgkmcnt(0)
	v_cndmask_b32_e32 v15, 0, v16, vcc
	v_sub_u32_e32 v15, v1, v15
.LBB177_37:
	s_cbranch_execnz .LBB177_48
.LBB177_38:
	s_cmp_eq_u64 s[2:3], 1
	v_cmp_ne_u32_e32 vcc, 0, v0
	s_cbranch_scc1 .LBB177_43
; %bb.39:
	v_mov_b32_e32 v15, v1
	ds_write_b32 v13, v11
	s_waitcnt lgkmcnt(0)
	s_barrier
	s_and_saveexec_b64 s[2:3], vcc
	s_cbranch_execz .LBB177_41
; %bb.40:
	v_add_u32_e32 v12, -4, v13
	ds_read_b32 v12, v12
	s_waitcnt lgkmcnt(0)
	v_sub_u32_e32 v15, v1, v12
.LBB177_41:
	s_or_b64 exec, exec, s[2:3]
	s_cbranch_execz .LBB177_44
; %bb.42:
	v_mov_b32_e32 v12, v10
	v_mov_b32_e32 v17, v9
	;; [unrolled: 1-line block ×9, first 2 shown]
	s_branch .LBB177_47
.LBB177_43:
                                        ; implicit-def: $vgpr15
.LBB177_44:
	v_mad_u32_u24 v15, v0, 11, 10
	v_cmp_gt_u32_e32 vcc, s26, v15
	v_mad_u32_u24 v15, v0, 11, 9
	v_cmp_gt_u32_e64 s[2:3], s26, v15
	v_mad_u32_u24 v15, v0, 11, 8
	v_cmp_gt_u32_e64 s[4:5], s26, v15
	;; [unrolled: 2-line block ×3, first 2 shown]
	v_mad_u32_u24 v15, v0, 11, 6
	s_waitcnt lgkmcnt(0)
	v_cmp_gt_u32_e64 s[8:9], s26, v15
	v_mad_u32_u24 v15, v0, 11, 5
	v_cmp_gt_u32_e64 s[10:11], s26, v15
	v_mad_u32_u24 v15, v0, 11, 4
	v_cmp_gt_u32_e64 s[12:13], s26, v15
	v_mad_u32_u24 v15, v0, 11, 3
	v_mul_u32_u24_e32 v12, 11, v0
	v_cmp_gt_u32_e64 s[14:15], s26, v15
	v_mad_u32_u24 v15, v0, 11, 2
	v_cmp_gt_u32_e64 s[16:17], s26, v15
	v_mad_u32_u24 v15, v0, 11, 1
	v_cmp_ne_u32_e64 s[20:21], 0, v0
	v_cmp_gt_u32_e64 s[22:23], s26, v12
	v_cmp_gt_u32_e64 s[18:19], s26, v15
	s_and_b64 s[22:23], s[20:21], s[22:23]
	v_mov_b32_e32 v15, v1
	ds_write_b32 v13, v11
	s_waitcnt lgkmcnt(0)
	s_barrier
	s_and_saveexec_b64 s[20:21], s[22:23]
	s_cbranch_execz .LBB177_46
; %bb.45:
	v_add_u32_e32 v12, -4, v13
	ds_read_b32 v12, v12
	s_waitcnt lgkmcnt(0)
	v_sub_u32_e32 v15, v1, v12
.LBB177_46:
	s_or_b64 exec, exec, s[20:21]
	v_cndmask_b32_e32 v12, 0, v10, vcc
	v_cndmask_b32_e64 v17, 0, v9, s[2:3]
	v_cndmask_b32_e64 v18, 0, v8, s[4:5]
	;; [unrolled: 1-line block ×9, first 2 shown]
.LBB177_47:
	v_mov_b32_e32 v19, v1
.LBB177_48:
	s_add_u32 s4, s24, s30
	s_addc_u32 s5, s25, s31
	v_sub_u32_e32 v16, v11, v12
	v_sub_u32_e32 v17, v10, v17
	;; [unrolled: 1-line block ×10, first 2 shown]
	s_and_b64 vcc, exec, s[0:1]
	s_waitcnt lgkmcnt(0)
	s_barrier
	s_cbranch_vccz .LBB177_70
; %bb.49:
	v_mul_i32_i24_e32 v26, 0xffffffd8, v0
	v_mad_u32_u24 v1, v0, 44, v26
	ds_write2_b32 v14, v15, v19 offset1:1
	ds_write2_b32 v14, v20, v21 offset0:2 offset1:3
	ds_write2_b32 v14, v22, v23 offset0:4 offset1:5
	ds_write2_b32 v14, v24, v25 offset0:6 offset1:7
	ds_write2_b32 v14, v18, v17 offset0:8 offset1:9
	ds_write_b32 v14, v16 offset:40
	s_waitcnt lgkmcnt(0)
	s_barrier
	ds_read2st64_b32 v[11:12], v1 offset0:4 offset1:8
	ds_read2st64_b32 v[9:10], v1 offset0:12 offset1:16
	;; [unrolled: 1-line block ×5, first 2 shown]
	s_mov_b32 s29, 0
	s_add_i32 s27, s27, s26
	s_lshl_b64 s[0:1], s[28:29], 2
	s_add_u32 s0, s4, s0
	s_addc_u32 s1, s5, s1
	v_mov_b32_e32 v4, s1
	v_add_co_u32_e32 v3, vcc, s0, v13
	v_addc_co_u32_e32 v4, vcc, 0, v4, vcc
	v_cmp_gt_u32_e32 vcc, s27, v0
	s_and_saveexec_b64 s[0:1], vcc
	s_cbranch_execz .LBB177_51
; %bb.50:
	v_add_u32_e32 v26, v14, v26
	ds_read_b32 v26, v26
	s_waitcnt lgkmcnt(0)
	global_store_dword v[3:4], v26, off
.LBB177_51:
	s_or_b64 exec, exec, s[0:1]
	v_or_b32_e32 v26, 0x100, v0
	v_cmp_gt_u32_e32 vcc, s27, v26
	s_and_saveexec_b64 s[0:1], vcc
	s_cbranch_execz .LBB177_53
; %bb.52:
	s_waitcnt lgkmcnt(4)
	global_store_dword v[3:4], v11, off offset:1024
.LBB177_53:
	s_or_b64 exec, exec, s[0:1]
	s_waitcnt lgkmcnt(4)
	v_or_b32_e32 v11, 0x200, v0
	v_cmp_gt_u32_e32 vcc, s27, v11
	s_and_saveexec_b64 s[0:1], vcc
	s_cbranch_execz .LBB177_55
; %bb.54:
	global_store_dword v[3:4], v12, off offset:2048
.LBB177_55:
	s_or_b64 exec, exec, s[0:1]
	v_or_b32_e32 v11, 0x300, v0
	v_cmp_gt_u32_e32 vcc, s27, v11
	s_and_saveexec_b64 s[0:1], vcc
	s_cbranch_execz .LBB177_57
; %bb.56:
	s_waitcnt lgkmcnt(3)
	global_store_dword v[3:4], v9, off offset:3072
.LBB177_57:
	s_or_b64 exec, exec, s[0:1]
	s_waitcnt lgkmcnt(3)
	v_or_b32_e32 v9, 0x400, v0
	v_cmp_gt_u32_e32 vcc, s27, v9
	s_and_saveexec_b64 s[0:1], vcc
	s_cbranch_execz .LBB177_59
; %bb.58:
	v_add_co_u32_e32 v11, vcc, 0x1000, v3
	v_addc_co_u32_e32 v12, vcc, 0, v4, vcc
	global_store_dword v[11:12], v10, off
.LBB177_59:
	s_or_b64 exec, exec, s[0:1]
	v_or_b32_e32 v9, 0x500, v0
	v_cmp_gt_u32_e32 vcc, s27, v9
	s_and_saveexec_b64 s[0:1], vcc
	s_cbranch_execz .LBB177_61
; %bb.60:
	v_add_co_u32_e32 v9, vcc, 0x1000, v3
	v_addc_co_u32_e32 v10, vcc, 0, v4, vcc
	s_waitcnt lgkmcnt(2)
	global_store_dword v[9:10], v7, off offset:1024
.LBB177_61:
	s_or_b64 exec, exec, s[0:1]
	s_waitcnt lgkmcnt(2)
	v_or_b32_e32 v7, 0x600, v0
	v_cmp_gt_u32_e32 vcc, s27, v7
	s_and_saveexec_b64 s[0:1], vcc
	s_cbranch_execz .LBB177_63
; %bb.62:
	v_add_co_u32_e32 v9, vcc, 0x1000, v3
	v_addc_co_u32_e32 v10, vcc, 0, v4, vcc
	global_store_dword v[9:10], v8, off offset:2048
.LBB177_63:
	s_or_b64 exec, exec, s[0:1]
	v_or_b32_e32 v7, 0x700, v0
	v_cmp_gt_u32_e32 vcc, s27, v7
	s_and_saveexec_b64 s[0:1], vcc
	s_cbranch_execz .LBB177_65
; %bb.64:
	v_add_co_u32_e32 v7, vcc, 0x1000, v3
	v_addc_co_u32_e32 v8, vcc, 0, v4, vcc
	s_waitcnt lgkmcnt(1)
	global_store_dword v[7:8], v5, off offset:3072
.LBB177_65:
	s_or_b64 exec, exec, s[0:1]
	s_waitcnt lgkmcnt(1)
	v_or_b32_e32 v5, 0x800, v0
	v_cmp_gt_u32_e32 vcc, s27, v5
	s_and_saveexec_b64 s[0:1], vcc
	s_cbranch_execz .LBB177_67
; %bb.66:
	v_add_co_u32_e32 v7, vcc, 0x2000, v3
	v_addc_co_u32_e32 v8, vcc, 0, v4, vcc
	global_store_dword v[7:8], v6, off
.LBB177_67:
	s_or_b64 exec, exec, s[0:1]
	v_or_b32_e32 v5, 0x900, v0
	v_cmp_gt_u32_e32 vcc, s27, v5
	s_and_saveexec_b64 s[0:1], vcc
	s_cbranch_execz .LBB177_69
; %bb.68:
	v_add_co_u32_e32 v5, vcc, 0x2000, v3
	v_addc_co_u32_e32 v6, vcc, 0, v4, vcc
	s_waitcnt lgkmcnt(0)
	global_store_dword v[5:6], v1, off offset:1024
.LBB177_69:
	s_or_b64 exec, exec, s[0:1]
	s_waitcnt lgkmcnt(0)
	v_or_b32_e32 v1, 0xa00, v0
	v_cmp_gt_u32_e64 s[0:1], s27, v1
	s_branch .LBB177_72
.LBB177_70:
	s_mov_b64 s[0:1], 0
                                        ; implicit-def: $vgpr2
                                        ; implicit-def: $vgpr3_vgpr4
	s_cbranch_execz .LBB177_72
; %bb.71:
	s_mov_b32 s29, 0
	s_lshl_b64 s[2:3], s[28:29], 2
	s_add_u32 s2, s4, s2
	v_mul_i32_i24_e32 v1, 0xffffffd8, v0
	s_addc_u32 s3, s5, s3
	v_mad_u32_u24 v2, v0, 44, v1
	ds_write2_b32 v14, v15, v19 offset1:1
	ds_write2_b32 v14, v20, v21 offset0:2 offset1:3
	ds_write2_b32 v14, v22, v23 offset0:4 offset1:5
	ds_write2_b32 v14, v24, v25 offset0:6 offset1:7
	ds_write2_b32 v14, v18, v17 offset0:8 offset1:9
	ds_write_b32 v14, v16 offset:40
	s_waitcnt vmcnt(0) lgkmcnt(0)
	s_barrier
	ds_read2st64_b32 v[0:1], v2 offset1:4
	ds_read2st64_b32 v[5:6], v2 offset0:8 offset1:12
	ds_read2st64_b32 v[7:8], v2 offset0:16 offset1:20
	;; [unrolled: 1-line block ×4, first 2 shown]
	ds_read_b32 v2, v2 offset:10240
	v_mov_b32_e32 v4, s3
	v_add_co_u32_e32 v3, vcc, s2, v13
	v_addc_co_u32_e32 v4, vcc, 0, v4, vcc
	s_waitcnt lgkmcnt(5)
	global_store_dword v13, v0, s[2:3]
	global_store_dword v13, v1, s[2:3] offset:1024
	s_waitcnt lgkmcnt(4)
	global_store_dword v13, v5, s[2:3] offset:2048
	global_store_dword v13, v6, s[2:3] offset:3072
	s_movk_i32 s2, 0x1000
	v_add_co_u32_e32 v0, vcc, s2, v3
	v_addc_co_u32_e32 v1, vcc, 0, v4, vcc
	s_waitcnt lgkmcnt(3)
	global_store_dword v[0:1], v7, off
	global_store_dword v[0:1], v8, off offset:1024
	s_waitcnt lgkmcnt(2)
	global_store_dword v[0:1], v9, off offset:2048
	global_store_dword v[0:1], v10, off offset:3072
	v_add_co_u32_e32 v0, vcc, 0x2000, v3
	v_addc_co_u32_e32 v1, vcc, 0, v4, vcc
	s_or_b64 s[0:1], s[0:1], exec
	s_waitcnt lgkmcnt(1)
	global_store_dword v[0:1], v11, off
	global_store_dword v[0:1], v12, off offset:1024
.LBB177_72:
	s_and_saveexec_b64 s[2:3], s[0:1]
	s_cbranch_execnz .LBB177_74
; %bb.73:
	s_endpgm
.LBB177_74:
	v_add_co_u32_e32 v0, vcc, 0x2000, v3
	v_addc_co_u32_e32 v1, vcc, 0, v4, vcc
	s_waitcnt lgkmcnt(0)
	global_store_dword v[0:1], v2, off offset:2048
	s_endpgm
	.section	.rodata,"a",@progbits
	.p2align	6, 0x0
	.amdhsa_kernel _ZN7rocprim17ROCPRIM_400000_NS6detail17trampoline_kernelINS0_14default_configENS1_35adjacent_difference_config_selectorILb1EjEEZNS1_24adjacent_difference_implIS3_Lb1ELb0EPjS7_N6thrust23THRUST_200600_302600_NS5minusIjEEEE10hipError_tPvRmT2_T3_mT4_P12ihipStream_tbEUlT_E_NS1_11comp_targetILNS1_3genE2ELNS1_11target_archE906ELNS1_3gpuE6ELNS1_3repE0EEENS1_30default_config_static_selectorELNS0_4arch9wavefront6targetE1EEEvT1_
		.amdhsa_group_segment_fixed_size 11264
		.amdhsa_private_segment_fixed_size 0
		.amdhsa_kernarg_size 56
		.amdhsa_user_sgpr_count 6
		.amdhsa_user_sgpr_private_segment_buffer 1
		.amdhsa_user_sgpr_dispatch_ptr 0
		.amdhsa_user_sgpr_queue_ptr 0
		.amdhsa_user_sgpr_kernarg_segment_ptr 1
		.amdhsa_user_sgpr_dispatch_id 0
		.amdhsa_user_sgpr_flat_scratch_init 0
		.amdhsa_user_sgpr_private_segment_size 0
		.amdhsa_uses_dynamic_stack 0
		.amdhsa_system_sgpr_private_segment_wavefront_offset 0
		.amdhsa_system_sgpr_workgroup_id_x 1
		.amdhsa_system_sgpr_workgroup_id_y 0
		.amdhsa_system_sgpr_workgroup_id_z 0
		.amdhsa_system_sgpr_workgroup_info 0
		.amdhsa_system_vgpr_workitem_id 0
		.amdhsa_next_free_vgpr 41
		.amdhsa_next_free_sgpr 98
		.amdhsa_reserve_vcc 1
		.amdhsa_reserve_flat_scratch 0
		.amdhsa_float_round_mode_32 0
		.amdhsa_float_round_mode_16_64 0
		.amdhsa_float_denorm_mode_32 3
		.amdhsa_float_denorm_mode_16_64 3
		.amdhsa_dx10_clamp 1
		.amdhsa_ieee_mode 1
		.amdhsa_fp16_overflow 0
		.amdhsa_exception_fp_ieee_invalid_op 0
		.amdhsa_exception_fp_denorm_src 0
		.amdhsa_exception_fp_ieee_div_zero 0
		.amdhsa_exception_fp_ieee_overflow 0
		.amdhsa_exception_fp_ieee_underflow 0
		.amdhsa_exception_fp_ieee_inexact 0
		.amdhsa_exception_int_div_zero 0
	.end_amdhsa_kernel
	.section	.text._ZN7rocprim17ROCPRIM_400000_NS6detail17trampoline_kernelINS0_14default_configENS1_35adjacent_difference_config_selectorILb1EjEEZNS1_24adjacent_difference_implIS3_Lb1ELb0EPjS7_N6thrust23THRUST_200600_302600_NS5minusIjEEEE10hipError_tPvRmT2_T3_mT4_P12ihipStream_tbEUlT_E_NS1_11comp_targetILNS1_3genE2ELNS1_11target_archE906ELNS1_3gpuE6ELNS1_3repE0EEENS1_30default_config_static_selectorELNS0_4arch9wavefront6targetE1EEEvT1_,"axG",@progbits,_ZN7rocprim17ROCPRIM_400000_NS6detail17trampoline_kernelINS0_14default_configENS1_35adjacent_difference_config_selectorILb1EjEEZNS1_24adjacent_difference_implIS3_Lb1ELb0EPjS7_N6thrust23THRUST_200600_302600_NS5minusIjEEEE10hipError_tPvRmT2_T3_mT4_P12ihipStream_tbEUlT_E_NS1_11comp_targetILNS1_3genE2ELNS1_11target_archE906ELNS1_3gpuE6ELNS1_3repE0EEENS1_30default_config_static_selectorELNS0_4arch9wavefront6targetE1EEEvT1_,comdat
.Lfunc_end177:
	.size	_ZN7rocprim17ROCPRIM_400000_NS6detail17trampoline_kernelINS0_14default_configENS1_35adjacent_difference_config_selectorILb1EjEEZNS1_24adjacent_difference_implIS3_Lb1ELb0EPjS7_N6thrust23THRUST_200600_302600_NS5minusIjEEEE10hipError_tPvRmT2_T3_mT4_P12ihipStream_tbEUlT_E_NS1_11comp_targetILNS1_3genE2ELNS1_11target_archE906ELNS1_3gpuE6ELNS1_3repE0EEENS1_30default_config_static_selectorELNS0_4arch9wavefront6targetE1EEEvT1_, .Lfunc_end177-_ZN7rocprim17ROCPRIM_400000_NS6detail17trampoline_kernelINS0_14default_configENS1_35adjacent_difference_config_selectorILb1EjEEZNS1_24adjacent_difference_implIS3_Lb1ELb0EPjS7_N6thrust23THRUST_200600_302600_NS5minusIjEEEE10hipError_tPvRmT2_T3_mT4_P12ihipStream_tbEUlT_E_NS1_11comp_targetILNS1_3genE2ELNS1_11target_archE906ELNS1_3gpuE6ELNS1_3repE0EEENS1_30default_config_static_selectorELNS0_4arch9wavefront6targetE1EEEvT1_
                                        ; -- End function
	.set _ZN7rocprim17ROCPRIM_400000_NS6detail17trampoline_kernelINS0_14default_configENS1_35adjacent_difference_config_selectorILb1EjEEZNS1_24adjacent_difference_implIS3_Lb1ELb0EPjS7_N6thrust23THRUST_200600_302600_NS5minusIjEEEE10hipError_tPvRmT2_T3_mT4_P12ihipStream_tbEUlT_E_NS1_11comp_targetILNS1_3genE2ELNS1_11target_archE906ELNS1_3gpuE6ELNS1_3repE0EEENS1_30default_config_static_selectorELNS0_4arch9wavefront6targetE1EEEvT1_.num_vgpr, 27
	.set _ZN7rocprim17ROCPRIM_400000_NS6detail17trampoline_kernelINS0_14default_configENS1_35adjacent_difference_config_selectorILb1EjEEZNS1_24adjacent_difference_implIS3_Lb1ELb0EPjS7_N6thrust23THRUST_200600_302600_NS5minusIjEEEE10hipError_tPvRmT2_T3_mT4_P12ihipStream_tbEUlT_E_NS1_11comp_targetILNS1_3genE2ELNS1_11target_archE906ELNS1_3gpuE6ELNS1_3repE0EEENS1_30default_config_static_selectorELNS0_4arch9wavefront6targetE1EEEvT1_.num_agpr, 0
	.set _ZN7rocprim17ROCPRIM_400000_NS6detail17trampoline_kernelINS0_14default_configENS1_35adjacent_difference_config_selectorILb1EjEEZNS1_24adjacent_difference_implIS3_Lb1ELb0EPjS7_N6thrust23THRUST_200600_302600_NS5minusIjEEEE10hipError_tPvRmT2_T3_mT4_P12ihipStream_tbEUlT_E_NS1_11comp_targetILNS1_3genE2ELNS1_11target_archE906ELNS1_3gpuE6ELNS1_3repE0EEENS1_30default_config_static_selectorELNS0_4arch9wavefront6targetE1EEEvT1_.numbered_sgpr, 32
	.set _ZN7rocprim17ROCPRIM_400000_NS6detail17trampoline_kernelINS0_14default_configENS1_35adjacent_difference_config_selectorILb1EjEEZNS1_24adjacent_difference_implIS3_Lb1ELb0EPjS7_N6thrust23THRUST_200600_302600_NS5minusIjEEEE10hipError_tPvRmT2_T3_mT4_P12ihipStream_tbEUlT_E_NS1_11comp_targetILNS1_3genE2ELNS1_11target_archE906ELNS1_3gpuE6ELNS1_3repE0EEENS1_30default_config_static_selectorELNS0_4arch9wavefront6targetE1EEEvT1_.num_named_barrier, 0
	.set _ZN7rocprim17ROCPRIM_400000_NS6detail17trampoline_kernelINS0_14default_configENS1_35adjacent_difference_config_selectorILb1EjEEZNS1_24adjacent_difference_implIS3_Lb1ELb0EPjS7_N6thrust23THRUST_200600_302600_NS5minusIjEEEE10hipError_tPvRmT2_T3_mT4_P12ihipStream_tbEUlT_E_NS1_11comp_targetILNS1_3genE2ELNS1_11target_archE906ELNS1_3gpuE6ELNS1_3repE0EEENS1_30default_config_static_selectorELNS0_4arch9wavefront6targetE1EEEvT1_.private_seg_size, 0
	.set _ZN7rocprim17ROCPRIM_400000_NS6detail17trampoline_kernelINS0_14default_configENS1_35adjacent_difference_config_selectorILb1EjEEZNS1_24adjacent_difference_implIS3_Lb1ELb0EPjS7_N6thrust23THRUST_200600_302600_NS5minusIjEEEE10hipError_tPvRmT2_T3_mT4_P12ihipStream_tbEUlT_E_NS1_11comp_targetILNS1_3genE2ELNS1_11target_archE906ELNS1_3gpuE6ELNS1_3repE0EEENS1_30default_config_static_selectorELNS0_4arch9wavefront6targetE1EEEvT1_.uses_vcc, 1
	.set _ZN7rocprim17ROCPRIM_400000_NS6detail17trampoline_kernelINS0_14default_configENS1_35adjacent_difference_config_selectorILb1EjEEZNS1_24adjacent_difference_implIS3_Lb1ELb0EPjS7_N6thrust23THRUST_200600_302600_NS5minusIjEEEE10hipError_tPvRmT2_T3_mT4_P12ihipStream_tbEUlT_E_NS1_11comp_targetILNS1_3genE2ELNS1_11target_archE906ELNS1_3gpuE6ELNS1_3repE0EEENS1_30default_config_static_selectorELNS0_4arch9wavefront6targetE1EEEvT1_.uses_flat_scratch, 0
	.set _ZN7rocprim17ROCPRIM_400000_NS6detail17trampoline_kernelINS0_14default_configENS1_35adjacent_difference_config_selectorILb1EjEEZNS1_24adjacent_difference_implIS3_Lb1ELb0EPjS7_N6thrust23THRUST_200600_302600_NS5minusIjEEEE10hipError_tPvRmT2_T3_mT4_P12ihipStream_tbEUlT_E_NS1_11comp_targetILNS1_3genE2ELNS1_11target_archE906ELNS1_3gpuE6ELNS1_3repE0EEENS1_30default_config_static_selectorELNS0_4arch9wavefront6targetE1EEEvT1_.has_dyn_sized_stack, 0
	.set _ZN7rocprim17ROCPRIM_400000_NS6detail17trampoline_kernelINS0_14default_configENS1_35adjacent_difference_config_selectorILb1EjEEZNS1_24adjacent_difference_implIS3_Lb1ELb0EPjS7_N6thrust23THRUST_200600_302600_NS5minusIjEEEE10hipError_tPvRmT2_T3_mT4_P12ihipStream_tbEUlT_E_NS1_11comp_targetILNS1_3genE2ELNS1_11target_archE906ELNS1_3gpuE6ELNS1_3repE0EEENS1_30default_config_static_selectorELNS0_4arch9wavefront6targetE1EEEvT1_.has_recursion, 0
	.set _ZN7rocprim17ROCPRIM_400000_NS6detail17trampoline_kernelINS0_14default_configENS1_35adjacent_difference_config_selectorILb1EjEEZNS1_24adjacent_difference_implIS3_Lb1ELb0EPjS7_N6thrust23THRUST_200600_302600_NS5minusIjEEEE10hipError_tPvRmT2_T3_mT4_P12ihipStream_tbEUlT_E_NS1_11comp_targetILNS1_3genE2ELNS1_11target_archE906ELNS1_3gpuE6ELNS1_3repE0EEENS1_30default_config_static_selectorELNS0_4arch9wavefront6targetE1EEEvT1_.has_indirect_call, 0
	.section	.AMDGPU.csdata,"",@progbits
; Kernel info:
; codeLenInByte = 2940
; TotalNumSgprs: 36
; NumVgprs: 27
; ScratchSize: 0
; MemoryBound: 0
; FloatMode: 240
; IeeeMode: 1
; LDSByteSize: 11264 bytes/workgroup (compile time only)
; SGPRBlocks: 12
; VGPRBlocks: 10
; NumSGPRsForWavesPerEU: 102
; NumVGPRsForWavesPerEU: 41
; Occupancy: 5
; WaveLimiterHint : 1
; COMPUTE_PGM_RSRC2:SCRATCH_EN: 0
; COMPUTE_PGM_RSRC2:USER_SGPR: 6
; COMPUTE_PGM_RSRC2:TRAP_HANDLER: 0
; COMPUTE_PGM_RSRC2:TGID_X_EN: 1
; COMPUTE_PGM_RSRC2:TGID_Y_EN: 0
; COMPUTE_PGM_RSRC2:TGID_Z_EN: 0
; COMPUTE_PGM_RSRC2:TIDIG_COMP_CNT: 0
	.section	.text._ZN7rocprim17ROCPRIM_400000_NS6detail17trampoline_kernelINS0_14default_configENS1_35adjacent_difference_config_selectorILb1EjEEZNS1_24adjacent_difference_implIS3_Lb1ELb0EPjS7_N6thrust23THRUST_200600_302600_NS5minusIjEEEE10hipError_tPvRmT2_T3_mT4_P12ihipStream_tbEUlT_E_NS1_11comp_targetILNS1_3genE9ELNS1_11target_archE1100ELNS1_3gpuE3ELNS1_3repE0EEENS1_30default_config_static_selectorELNS0_4arch9wavefront6targetE1EEEvT1_,"axG",@progbits,_ZN7rocprim17ROCPRIM_400000_NS6detail17trampoline_kernelINS0_14default_configENS1_35adjacent_difference_config_selectorILb1EjEEZNS1_24adjacent_difference_implIS3_Lb1ELb0EPjS7_N6thrust23THRUST_200600_302600_NS5minusIjEEEE10hipError_tPvRmT2_T3_mT4_P12ihipStream_tbEUlT_E_NS1_11comp_targetILNS1_3genE9ELNS1_11target_archE1100ELNS1_3gpuE3ELNS1_3repE0EEENS1_30default_config_static_selectorELNS0_4arch9wavefront6targetE1EEEvT1_,comdat
	.protected	_ZN7rocprim17ROCPRIM_400000_NS6detail17trampoline_kernelINS0_14default_configENS1_35adjacent_difference_config_selectorILb1EjEEZNS1_24adjacent_difference_implIS3_Lb1ELb0EPjS7_N6thrust23THRUST_200600_302600_NS5minusIjEEEE10hipError_tPvRmT2_T3_mT4_P12ihipStream_tbEUlT_E_NS1_11comp_targetILNS1_3genE9ELNS1_11target_archE1100ELNS1_3gpuE3ELNS1_3repE0EEENS1_30default_config_static_selectorELNS0_4arch9wavefront6targetE1EEEvT1_ ; -- Begin function _ZN7rocprim17ROCPRIM_400000_NS6detail17trampoline_kernelINS0_14default_configENS1_35adjacent_difference_config_selectorILb1EjEEZNS1_24adjacent_difference_implIS3_Lb1ELb0EPjS7_N6thrust23THRUST_200600_302600_NS5minusIjEEEE10hipError_tPvRmT2_T3_mT4_P12ihipStream_tbEUlT_E_NS1_11comp_targetILNS1_3genE9ELNS1_11target_archE1100ELNS1_3gpuE3ELNS1_3repE0EEENS1_30default_config_static_selectorELNS0_4arch9wavefront6targetE1EEEvT1_
	.globl	_ZN7rocprim17ROCPRIM_400000_NS6detail17trampoline_kernelINS0_14default_configENS1_35adjacent_difference_config_selectorILb1EjEEZNS1_24adjacent_difference_implIS3_Lb1ELb0EPjS7_N6thrust23THRUST_200600_302600_NS5minusIjEEEE10hipError_tPvRmT2_T3_mT4_P12ihipStream_tbEUlT_E_NS1_11comp_targetILNS1_3genE9ELNS1_11target_archE1100ELNS1_3gpuE3ELNS1_3repE0EEENS1_30default_config_static_selectorELNS0_4arch9wavefront6targetE1EEEvT1_
	.p2align	8
	.type	_ZN7rocprim17ROCPRIM_400000_NS6detail17trampoline_kernelINS0_14default_configENS1_35adjacent_difference_config_selectorILb1EjEEZNS1_24adjacent_difference_implIS3_Lb1ELb0EPjS7_N6thrust23THRUST_200600_302600_NS5minusIjEEEE10hipError_tPvRmT2_T3_mT4_P12ihipStream_tbEUlT_E_NS1_11comp_targetILNS1_3genE9ELNS1_11target_archE1100ELNS1_3gpuE3ELNS1_3repE0EEENS1_30default_config_static_selectorELNS0_4arch9wavefront6targetE1EEEvT1_,@function
_ZN7rocprim17ROCPRIM_400000_NS6detail17trampoline_kernelINS0_14default_configENS1_35adjacent_difference_config_selectorILb1EjEEZNS1_24adjacent_difference_implIS3_Lb1ELb0EPjS7_N6thrust23THRUST_200600_302600_NS5minusIjEEEE10hipError_tPvRmT2_T3_mT4_P12ihipStream_tbEUlT_E_NS1_11comp_targetILNS1_3genE9ELNS1_11target_archE1100ELNS1_3gpuE3ELNS1_3repE0EEENS1_30default_config_static_selectorELNS0_4arch9wavefront6targetE1EEEvT1_: ; @_ZN7rocprim17ROCPRIM_400000_NS6detail17trampoline_kernelINS0_14default_configENS1_35adjacent_difference_config_selectorILb1EjEEZNS1_24adjacent_difference_implIS3_Lb1ELb0EPjS7_N6thrust23THRUST_200600_302600_NS5minusIjEEEE10hipError_tPvRmT2_T3_mT4_P12ihipStream_tbEUlT_E_NS1_11comp_targetILNS1_3genE9ELNS1_11target_archE1100ELNS1_3gpuE3ELNS1_3repE0EEENS1_30default_config_static_selectorELNS0_4arch9wavefront6targetE1EEEvT1_
; %bb.0:
	.section	.rodata,"a",@progbits
	.p2align	6, 0x0
	.amdhsa_kernel _ZN7rocprim17ROCPRIM_400000_NS6detail17trampoline_kernelINS0_14default_configENS1_35adjacent_difference_config_selectorILb1EjEEZNS1_24adjacent_difference_implIS3_Lb1ELb0EPjS7_N6thrust23THRUST_200600_302600_NS5minusIjEEEE10hipError_tPvRmT2_T3_mT4_P12ihipStream_tbEUlT_E_NS1_11comp_targetILNS1_3genE9ELNS1_11target_archE1100ELNS1_3gpuE3ELNS1_3repE0EEENS1_30default_config_static_selectorELNS0_4arch9wavefront6targetE1EEEvT1_
		.amdhsa_group_segment_fixed_size 0
		.amdhsa_private_segment_fixed_size 0
		.amdhsa_kernarg_size 56
		.amdhsa_user_sgpr_count 6
		.amdhsa_user_sgpr_private_segment_buffer 1
		.amdhsa_user_sgpr_dispatch_ptr 0
		.amdhsa_user_sgpr_queue_ptr 0
		.amdhsa_user_sgpr_kernarg_segment_ptr 1
		.amdhsa_user_sgpr_dispatch_id 0
		.amdhsa_user_sgpr_flat_scratch_init 0
		.amdhsa_user_sgpr_private_segment_size 0
		.amdhsa_uses_dynamic_stack 0
		.amdhsa_system_sgpr_private_segment_wavefront_offset 0
		.amdhsa_system_sgpr_workgroup_id_x 1
		.amdhsa_system_sgpr_workgroup_id_y 0
		.amdhsa_system_sgpr_workgroup_id_z 0
		.amdhsa_system_sgpr_workgroup_info 0
		.amdhsa_system_vgpr_workitem_id 0
		.amdhsa_next_free_vgpr 1
		.amdhsa_next_free_sgpr 0
		.amdhsa_reserve_vcc 0
		.amdhsa_reserve_flat_scratch 0
		.amdhsa_float_round_mode_32 0
		.amdhsa_float_round_mode_16_64 0
		.amdhsa_float_denorm_mode_32 3
		.amdhsa_float_denorm_mode_16_64 3
		.amdhsa_dx10_clamp 1
		.amdhsa_ieee_mode 1
		.amdhsa_fp16_overflow 0
		.amdhsa_exception_fp_ieee_invalid_op 0
		.amdhsa_exception_fp_denorm_src 0
		.amdhsa_exception_fp_ieee_div_zero 0
		.amdhsa_exception_fp_ieee_overflow 0
		.amdhsa_exception_fp_ieee_underflow 0
		.amdhsa_exception_fp_ieee_inexact 0
		.amdhsa_exception_int_div_zero 0
	.end_amdhsa_kernel
	.section	.text._ZN7rocprim17ROCPRIM_400000_NS6detail17trampoline_kernelINS0_14default_configENS1_35adjacent_difference_config_selectorILb1EjEEZNS1_24adjacent_difference_implIS3_Lb1ELb0EPjS7_N6thrust23THRUST_200600_302600_NS5minusIjEEEE10hipError_tPvRmT2_T3_mT4_P12ihipStream_tbEUlT_E_NS1_11comp_targetILNS1_3genE9ELNS1_11target_archE1100ELNS1_3gpuE3ELNS1_3repE0EEENS1_30default_config_static_selectorELNS0_4arch9wavefront6targetE1EEEvT1_,"axG",@progbits,_ZN7rocprim17ROCPRIM_400000_NS6detail17trampoline_kernelINS0_14default_configENS1_35adjacent_difference_config_selectorILb1EjEEZNS1_24adjacent_difference_implIS3_Lb1ELb0EPjS7_N6thrust23THRUST_200600_302600_NS5minusIjEEEE10hipError_tPvRmT2_T3_mT4_P12ihipStream_tbEUlT_E_NS1_11comp_targetILNS1_3genE9ELNS1_11target_archE1100ELNS1_3gpuE3ELNS1_3repE0EEENS1_30default_config_static_selectorELNS0_4arch9wavefront6targetE1EEEvT1_,comdat
.Lfunc_end178:
	.size	_ZN7rocprim17ROCPRIM_400000_NS6detail17trampoline_kernelINS0_14default_configENS1_35adjacent_difference_config_selectorILb1EjEEZNS1_24adjacent_difference_implIS3_Lb1ELb0EPjS7_N6thrust23THRUST_200600_302600_NS5minusIjEEEE10hipError_tPvRmT2_T3_mT4_P12ihipStream_tbEUlT_E_NS1_11comp_targetILNS1_3genE9ELNS1_11target_archE1100ELNS1_3gpuE3ELNS1_3repE0EEENS1_30default_config_static_selectorELNS0_4arch9wavefront6targetE1EEEvT1_, .Lfunc_end178-_ZN7rocprim17ROCPRIM_400000_NS6detail17trampoline_kernelINS0_14default_configENS1_35adjacent_difference_config_selectorILb1EjEEZNS1_24adjacent_difference_implIS3_Lb1ELb0EPjS7_N6thrust23THRUST_200600_302600_NS5minusIjEEEE10hipError_tPvRmT2_T3_mT4_P12ihipStream_tbEUlT_E_NS1_11comp_targetILNS1_3genE9ELNS1_11target_archE1100ELNS1_3gpuE3ELNS1_3repE0EEENS1_30default_config_static_selectorELNS0_4arch9wavefront6targetE1EEEvT1_
                                        ; -- End function
	.set _ZN7rocprim17ROCPRIM_400000_NS6detail17trampoline_kernelINS0_14default_configENS1_35adjacent_difference_config_selectorILb1EjEEZNS1_24adjacent_difference_implIS3_Lb1ELb0EPjS7_N6thrust23THRUST_200600_302600_NS5minusIjEEEE10hipError_tPvRmT2_T3_mT4_P12ihipStream_tbEUlT_E_NS1_11comp_targetILNS1_3genE9ELNS1_11target_archE1100ELNS1_3gpuE3ELNS1_3repE0EEENS1_30default_config_static_selectorELNS0_4arch9wavefront6targetE1EEEvT1_.num_vgpr, 0
	.set _ZN7rocprim17ROCPRIM_400000_NS6detail17trampoline_kernelINS0_14default_configENS1_35adjacent_difference_config_selectorILb1EjEEZNS1_24adjacent_difference_implIS3_Lb1ELb0EPjS7_N6thrust23THRUST_200600_302600_NS5minusIjEEEE10hipError_tPvRmT2_T3_mT4_P12ihipStream_tbEUlT_E_NS1_11comp_targetILNS1_3genE9ELNS1_11target_archE1100ELNS1_3gpuE3ELNS1_3repE0EEENS1_30default_config_static_selectorELNS0_4arch9wavefront6targetE1EEEvT1_.num_agpr, 0
	.set _ZN7rocprim17ROCPRIM_400000_NS6detail17trampoline_kernelINS0_14default_configENS1_35adjacent_difference_config_selectorILb1EjEEZNS1_24adjacent_difference_implIS3_Lb1ELb0EPjS7_N6thrust23THRUST_200600_302600_NS5minusIjEEEE10hipError_tPvRmT2_T3_mT4_P12ihipStream_tbEUlT_E_NS1_11comp_targetILNS1_3genE9ELNS1_11target_archE1100ELNS1_3gpuE3ELNS1_3repE0EEENS1_30default_config_static_selectorELNS0_4arch9wavefront6targetE1EEEvT1_.numbered_sgpr, 0
	.set _ZN7rocprim17ROCPRIM_400000_NS6detail17trampoline_kernelINS0_14default_configENS1_35adjacent_difference_config_selectorILb1EjEEZNS1_24adjacent_difference_implIS3_Lb1ELb0EPjS7_N6thrust23THRUST_200600_302600_NS5minusIjEEEE10hipError_tPvRmT2_T3_mT4_P12ihipStream_tbEUlT_E_NS1_11comp_targetILNS1_3genE9ELNS1_11target_archE1100ELNS1_3gpuE3ELNS1_3repE0EEENS1_30default_config_static_selectorELNS0_4arch9wavefront6targetE1EEEvT1_.num_named_barrier, 0
	.set _ZN7rocprim17ROCPRIM_400000_NS6detail17trampoline_kernelINS0_14default_configENS1_35adjacent_difference_config_selectorILb1EjEEZNS1_24adjacent_difference_implIS3_Lb1ELb0EPjS7_N6thrust23THRUST_200600_302600_NS5minusIjEEEE10hipError_tPvRmT2_T3_mT4_P12ihipStream_tbEUlT_E_NS1_11comp_targetILNS1_3genE9ELNS1_11target_archE1100ELNS1_3gpuE3ELNS1_3repE0EEENS1_30default_config_static_selectorELNS0_4arch9wavefront6targetE1EEEvT1_.private_seg_size, 0
	.set _ZN7rocprim17ROCPRIM_400000_NS6detail17trampoline_kernelINS0_14default_configENS1_35adjacent_difference_config_selectorILb1EjEEZNS1_24adjacent_difference_implIS3_Lb1ELb0EPjS7_N6thrust23THRUST_200600_302600_NS5minusIjEEEE10hipError_tPvRmT2_T3_mT4_P12ihipStream_tbEUlT_E_NS1_11comp_targetILNS1_3genE9ELNS1_11target_archE1100ELNS1_3gpuE3ELNS1_3repE0EEENS1_30default_config_static_selectorELNS0_4arch9wavefront6targetE1EEEvT1_.uses_vcc, 0
	.set _ZN7rocprim17ROCPRIM_400000_NS6detail17trampoline_kernelINS0_14default_configENS1_35adjacent_difference_config_selectorILb1EjEEZNS1_24adjacent_difference_implIS3_Lb1ELb0EPjS7_N6thrust23THRUST_200600_302600_NS5minusIjEEEE10hipError_tPvRmT2_T3_mT4_P12ihipStream_tbEUlT_E_NS1_11comp_targetILNS1_3genE9ELNS1_11target_archE1100ELNS1_3gpuE3ELNS1_3repE0EEENS1_30default_config_static_selectorELNS0_4arch9wavefront6targetE1EEEvT1_.uses_flat_scratch, 0
	.set _ZN7rocprim17ROCPRIM_400000_NS6detail17trampoline_kernelINS0_14default_configENS1_35adjacent_difference_config_selectorILb1EjEEZNS1_24adjacent_difference_implIS3_Lb1ELb0EPjS7_N6thrust23THRUST_200600_302600_NS5minusIjEEEE10hipError_tPvRmT2_T3_mT4_P12ihipStream_tbEUlT_E_NS1_11comp_targetILNS1_3genE9ELNS1_11target_archE1100ELNS1_3gpuE3ELNS1_3repE0EEENS1_30default_config_static_selectorELNS0_4arch9wavefront6targetE1EEEvT1_.has_dyn_sized_stack, 0
	.set _ZN7rocprim17ROCPRIM_400000_NS6detail17trampoline_kernelINS0_14default_configENS1_35adjacent_difference_config_selectorILb1EjEEZNS1_24adjacent_difference_implIS3_Lb1ELb0EPjS7_N6thrust23THRUST_200600_302600_NS5minusIjEEEE10hipError_tPvRmT2_T3_mT4_P12ihipStream_tbEUlT_E_NS1_11comp_targetILNS1_3genE9ELNS1_11target_archE1100ELNS1_3gpuE3ELNS1_3repE0EEENS1_30default_config_static_selectorELNS0_4arch9wavefront6targetE1EEEvT1_.has_recursion, 0
	.set _ZN7rocprim17ROCPRIM_400000_NS6detail17trampoline_kernelINS0_14default_configENS1_35adjacent_difference_config_selectorILb1EjEEZNS1_24adjacent_difference_implIS3_Lb1ELb0EPjS7_N6thrust23THRUST_200600_302600_NS5minusIjEEEE10hipError_tPvRmT2_T3_mT4_P12ihipStream_tbEUlT_E_NS1_11comp_targetILNS1_3genE9ELNS1_11target_archE1100ELNS1_3gpuE3ELNS1_3repE0EEENS1_30default_config_static_selectorELNS0_4arch9wavefront6targetE1EEEvT1_.has_indirect_call, 0
	.section	.AMDGPU.csdata,"",@progbits
; Kernel info:
; codeLenInByte = 0
; TotalNumSgprs: 4
; NumVgprs: 0
; ScratchSize: 0
; MemoryBound: 0
; FloatMode: 240
; IeeeMode: 1
; LDSByteSize: 0 bytes/workgroup (compile time only)
; SGPRBlocks: 0
; VGPRBlocks: 0
; NumSGPRsForWavesPerEU: 4
; NumVGPRsForWavesPerEU: 1
; Occupancy: 10
; WaveLimiterHint : 0
; COMPUTE_PGM_RSRC2:SCRATCH_EN: 0
; COMPUTE_PGM_RSRC2:USER_SGPR: 6
; COMPUTE_PGM_RSRC2:TRAP_HANDLER: 0
; COMPUTE_PGM_RSRC2:TGID_X_EN: 1
; COMPUTE_PGM_RSRC2:TGID_Y_EN: 0
; COMPUTE_PGM_RSRC2:TGID_Z_EN: 0
; COMPUTE_PGM_RSRC2:TIDIG_COMP_CNT: 0
	.section	.text._ZN7rocprim17ROCPRIM_400000_NS6detail17trampoline_kernelINS0_14default_configENS1_35adjacent_difference_config_selectorILb1EjEEZNS1_24adjacent_difference_implIS3_Lb1ELb0EPjS7_N6thrust23THRUST_200600_302600_NS5minusIjEEEE10hipError_tPvRmT2_T3_mT4_P12ihipStream_tbEUlT_E_NS1_11comp_targetILNS1_3genE8ELNS1_11target_archE1030ELNS1_3gpuE2ELNS1_3repE0EEENS1_30default_config_static_selectorELNS0_4arch9wavefront6targetE1EEEvT1_,"axG",@progbits,_ZN7rocprim17ROCPRIM_400000_NS6detail17trampoline_kernelINS0_14default_configENS1_35adjacent_difference_config_selectorILb1EjEEZNS1_24adjacent_difference_implIS3_Lb1ELb0EPjS7_N6thrust23THRUST_200600_302600_NS5minusIjEEEE10hipError_tPvRmT2_T3_mT4_P12ihipStream_tbEUlT_E_NS1_11comp_targetILNS1_3genE8ELNS1_11target_archE1030ELNS1_3gpuE2ELNS1_3repE0EEENS1_30default_config_static_selectorELNS0_4arch9wavefront6targetE1EEEvT1_,comdat
	.protected	_ZN7rocprim17ROCPRIM_400000_NS6detail17trampoline_kernelINS0_14default_configENS1_35adjacent_difference_config_selectorILb1EjEEZNS1_24adjacent_difference_implIS3_Lb1ELb0EPjS7_N6thrust23THRUST_200600_302600_NS5minusIjEEEE10hipError_tPvRmT2_T3_mT4_P12ihipStream_tbEUlT_E_NS1_11comp_targetILNS1_3genE8ELNS1_11target_archE1030ELNS1_3gpuE2ELNS1_3repE0EEENS1_30default_config_static_selectorELNS0_4arch9wavefront6targetE1EEEvT1_ ; -- Begin function _ZN7rocprim17ROCPRIM_400000_NS6detail17trampoline_kernelINS0_14default_configENS1_35adjacent_difference_config_selectorILb1EjEEZNS1_24adjacent_difference_implIS3_Lb1ELb0EPjS7_N6thrust23THRUST_200600_302600_NS5minusIjEEEE10hipError_tPvRmT2_T3_mT4_P12ihipStream_tbEUlT_E_NS1_11comp_targetILNS1_3genE8ELNS1_11target_archE1030ELNS1_3gpuE2ELNS1_3repE0EEENS1_30default_config_static_selectorELNS0_4arch9wavefront6targetE1EEEvT1_
	.globl	_ZN7rocprim17ROCPRIM_400000_NS6detail17trampoline_kernelINS0_14default_configENS1_35adjacent_difference_config_selectorILb1EjEEZNS1_24adjacent_difference_implIS3_Lb1ELb0EPjS7_N6thrust23THRUST_200600_302600_NS5minusIjEEEE10hipError_tPvRmT2_T3_mT4_P12ihipStream_tbEUlT_E_NS1_11comp_targetILNS1_3genE8ELNS1_11target_archE1030ELNS1_3gpuE2ELNS1_3repE0EEENS1_30default_config_static_selectorELNS0_4arch9wavefront6targetE1EEEvT1_
	.p2align	8
	.type	_ZN7rocprim17ROCPRIM_400000_NS6detail17trampoline_kernelINS0_14default_configENS1_35adjacent_difference_config_selectorILb1EjEEZNS1_24adjacent_difference_implIS3_Lb1ELb0EPjS7_N6thrust23THRUST_200600_302600_NS5minusIjEEEE10hipError_tPvRmT2_T3_mT4_P12ihipStream_tbEUlT_E_NS1_11comp_targetILNS1_3genE8ELNS1_11target_archE1030ELNS1_3gpuE2ELNS1_3repE0EEENS1_30default_config_static_selectorELNS0_4arch9wavefront6targetE1EEEvT1_,@function
_ZN7rocprim17ROCPRIM_400000_NS6detail17trampoline_kernelINS0_14default_configENS1_35adjacent_difference_config_selectorILb1EjEEZNS1_24adjacent_difference_implIS3_Lb1ELb0EPjS7_N6thrust23THRUST_200600_302600_NS5minusIjEEEE10hipError_tPvRmT2_T3_mT4_P12ihipStream_tbEUlT_E_NS1_11comp_targetILNS1_3genE8ELNS1_11target_archE1030ELNS1_3gpuE2ELNS1_3repE0EEENS1_30default_config_static_selectorELNS0_4arch9wavefront6targetE1EEEvT1_: ; @_ZN7rocprim17ROCPRIM_400000_NS6detail17trampoline_kernelINS0_14default_configENS1_35adjacent_difference_config_selectorILb1EjEEZNS1_24adjacent_difference_implIS3_Lb1ELb0EPjS7_N6thrust23THRUST_200600_302600_NS5minusIjEEEE10hipError_tPvRmT2_T3_mT4_P12ihipStream_tbEUlT_E_NS1_11comp_targetILNS1_3genE8ELNS1_11target_archE1030ELNS1_3gpuE2ELNS1_3repE0EEENS1_30default_config_static_selectorELNS0_4arch9wavefront6targetE1EEEvT1_
; %bb.0:
	.section	.rodata,"a",@progbits
	.p2align	6, 0x0
	.amdhsa_kernel _ZN7rocprim17ROCPRIM_400000_NS6detail17trampoline_kernelINS0_14default_configENS1_35adjacent_difference_config_selectorILb1EjEEZNS1_24adjacent_difference_implIS3_Lb1ELb0EPjS7_N6thrust23THRUST_200600_302600_NS5minusIjEEEE10hipError_tPvRmT2_T3_mT4_P12ihipStream_tbEUlT_E_NS1_11comp_targetILNS1_3genE8ELNS1_11target_archE1030ELNS1_3gpuE2ELNS1_3repE0EEENS1_30default_config_static_selectorELNS0_4arch9wavefront6targetE1EEEvT1_
		.amdhsa_group_segment_fixed_size 0
		.amdhsa_private_segment_fixed_size 0
		.amdhsa_kernarg_size 56
		.amdhsa_user_sgpr_count 6
		.amdhsa_user_sgpr_private_segment_buffer 1
		.amdhsa_user_sgpr_dispatch_ptr 0
		.amdhsa_user_sgpr_queue_ptr 0
		.amdhsa_user_sgpr_kernarg_segment_ptr 1
		.amdhsa_user_sgpr_dispatch_id 0
		.amdhsa_user_sgpr_flat_scratch_init 0
		.amdhsa_user_sgpr_private_segment_size 0
		.amdhsa_uses_dynamic_stack 0
		.amdhsa_system_sgpr_private_segment_wavefront_offset 0
		.amdhsa_system_sgpr_workgroup_id_x 1
		.amdhsa_system_sgpr_workgroup_id_y 0
		.amdhsa_system_sgpr_workgroup_id_z 0
		.amdhsa_system_sgpr_workgroup_info 0
		.amdhsa_system_vgpr_workitem_id 0
		.amdhsa_next_free_vgpr 1
		.amdhsa_next_free_sgpr 0
		.amdhsa_reserve_vcc 0
		.amdhsa_reserve_flat_scratch 0
		.amdhsa_float_round_mode_32 0
		.amdhsa_float_round_mode_16_64 0
		.amdhsa_float_denorm_mode_32 3
		.amdhsa_float_denorm_mode_16_64 3
		.amdhsa_dx10_clamp 1
		.amdhsa_ieee_mode 1
		.amdhsa_fp16_overflow 0
		.amdhsa_exception_fp_ieee_invalid_op 0
		.amdhsa_exception_fp_denorm_src 0
		.amdhsa_exception_fp_ieee_div_zero 0
		.amdhsa_exception_fp_ieee_overflow 0
		.amdhsa_exception_fp_ieee_underflow 0
		.amdhsa_exception_fp_ieee_inexact 0
		.amdhsa_exception_int_div_zero 0
	.end_amdhsa_kernel
	.section	.text._ZN7rocprim17ROCPRIM_400000_NS6detail17trampoline_kernelINS0_14default_configENS1_35adjacent_difference_config_selectorILb1EjEEZNS1_24adjacent_difference_implIS3_Lb1ELb0EPjS7_N6thrust23THRUST_200600_302600_NS5minusIjEEEE10hipError_tPvRmT2_T3_mT4_P12ihipStream_tbEUlT_E_NS1_11comp_targetILNS1_3genE8ELNS1_11target_archE1030ELNS1_3gpuE2ELNS1_3repE0EEENS1_30default_config_static_selectorELNS0_4arch9wavefront6targetE1EEEvT1_,"axG",@progbits,_ZN7rocprim17ROCPRIM_400000_NS6detail17trampoline_kernelINS0_14default_configENS1_35adjacent_difference_config_selectorILb1EjEEZNS1_24adjacent_difference_implIS3_Lb1ELb0EPjS7_N6thrust23THRUST_200600_302600_NS5minusIjEEEE10hipError_tPvRmT2_T3_mT4_P12ihipStream_tbEUlT_E_NS1_11comp_targetILNS1_3genE8ELNS1_11target_archE1030ELNS1_3gpuE2ELNS1_3repE0EEENS1_30default_config_static_selectorELNS0_4arch9wavefront6targetE1EEEvT1_,comdat
.Lfunc_end179:
	.size	_ZN7rocprim17ROCPRIM_400000_NS6detail17trampoline_kernelINS0_14default_configENS1_35adjacent_difference_config_selectorILb1EjEEZNS1_24adjacent_difference_implIS3_Lb1ELb0EPjS7_N6thrust23THRUST_200600_302600_NS5minusIjEEEE10hipError_tPvRmT2_T3_mT4_P12ihipStream_tbEUlT_E_NS1_11comp_targetILNS1_3genE8ELNS1_11target_archE1030ELNS1_3gpuE2ELNS1_3repE0EEENS1_30default_config_static_selectorELNS0_4arch9wavefront6targetE1EEEvT1_, .Lfunc_end179-_ZN7rocprim17ROCPRIM_400000_NS6detail17trampoline_kernelINS0_14default_configENS1_35adjacent_difference_config_selectorILb1EjEEZNS1_24adjacent_difference_implIS3_Lb1ELb0EPjS7_N6thrust23THRUST_200600_302600_NS5minusIjEEEE10hipError_tPvRmT2_T3_mT4_P12ihipStream_tbEUlT_E_NS1_11comp_targetILNS1_3genE8ELNS1_11target_archE1030ELNS1_3gpuE2ELNS1_3repE0EEENS1_30default_config_static_selectorELNS0_4arch9wavefront6targetE1EEEvT1_
                                        ; -- End function
	.set _ZN7rocprim17ROCPRIM_400000_NS6detail17trampoline_kernelINS0_14default_configENS1_35adjacent_difference_config_selectorILb1EjEEZNS1_24adjacent_difference_implIS3_Lb1ELb0EPjS7_N6thrust23THRUST_200600_302600_NS5minusIjEEEE10hipError_tPvRmT2_T3_mT4_P12ihipStream_tbEUlT_E_NS1_11comp_targetILNS1_3genE8ELNS1_11target_archE1030ELNS1_3gpuE2ELNS1_3repE0EEENS1_30default_config_static_selectorELNS0_4arch9wavefront6targetE1EEEvT1_.num_vgpr, 0
	.set _ZN7rocprim17ROCPRIM_400000_NS6detail17trampoline_kernelINS0_14default_configENS1_35adjacent_difference_config_selectorILb1EjEEZNS1_24adjacent_difference_implIS3_Lb1ELb0EPjS7_N6thrust23THRUST_200600_302600_NS5minusIjEEEE10hipError_tPvRmT2_T3_mT4_P12ihipStream_tbEUlT_E_NS1_11comp_targetILNS1_3genE8ELNS1_11target_archE1030ELNS1_3gpuE2ELNS1_3repE0EEENS1_30default_config_static_selectorELNS0_4arch9wavefront6targetE1EEEvT1_.num_agpr, 0
	.set _ZN7rocprim17ROCPRIM_400000_NS6detail17trampoline_kernelINS0_14default_configENS1_35adjacent_difference_config_selectorILb1EjEEZNS1_24adjacent_difference_implIS3_Lb1ELb0EPjS7_N6thrust23THRUST_200600_302600_NS5minusIjEEEE10hipError_tPvRmT2_T3_mT4_P12ihipStream_tbEUlT_E_NS1_11comp_targetILNS1_3genE8ELNS1_11target_archE1030ELNS1_3gpuE2ELNS1_3repE0EEENS1_30default_config_static_selectorELNS0_4arch9wavefront6targetE1EEEvT1_.numbered_sgpr, 0
	.set _ZN7rocprim17ROCPRIM_400000_NS6detail17trampoline_kernelINS0_14default_configENS1_35adjacent_difference_config_selectorILb1EjEEZNS1_24adjacent_difference_implIS3_Lb1ELb0EPjS7_N6thrust23THRUST_200600_302600_NS5minusIjEEEE10hipError_tPvRmT2_T3_mT4_P12ihipStream_tbEUlT_E_NS1_11comp_targetILNS1_3genE8ELNS1_11target_archE1030ELNS1_3gpuE2ELNS1_3repE0EEENS1_30default_config_static_selectorELNS0_4arch9wavefront6targetE1EEEvT1_.num_named_barrier, 0
	.set _ZN7rocprim17ROCPRIM_400000_NS6detail17trampoline_kernelINS0_14default_configENS1_35adjacent_difference_config_selectorILb1EjEEZNS1_24adjacent_difference_implIS3_Lb1ELb0EPjS7_N6thrust23THRUST_200600_302600_NS5minusIjEEEE10hipError_tPvRmT2_T3_mT4_P12ihipStream_tbEUlT_E_NS1_11comp_targetILNS1_3genE8ELNS1_11target_archE1030ELNS1_3gpuE2ELNS1_3repE0EEENS1_30default_config_static_selectorELNS0_4arch9wavefront6targetE1EEEvT1_.private_seg_size, 0
	.set _ZN7rocprim17ROCPRIM_400000_NS6detail17trampoline_kernelINS0_14default_configENS1_35adjacent_difference_config_selectorILb1EjEEZNS1_24adjacent_difference_implIS3_Lb1ELb0EPjS7_N6thrust23THRUST_200600_302600_NS5minusIjEEEE10hipError_tPvRmT2_T3_mT4_P12ihipStream_tbEUlT_E_NS1_11comp_targetILNS1_3genE8ELNS1_11target_archE1030ELNS1_3gpuE2ELNS1_3repE0EEENS1_30default_config_static_selectorELNS0_4arch9wavefront6targetE1EEEvT1_.uses_vcc, 0
	.set _ZN7rocprim17ROCPRIM_400000_NS6detail17trampoline_kernelINS0_14default_configENS1_35adjacent_difference_config_selectorILb1EjEEZNS1_24adjacent_difference_implIS3_Lb1ELb0EPjS7_N6thrust23THRUST_200600_302600_NS5minusIjEEEE10hipError_tPvRmT2_T3_mT4_P12ihipStream_tbEUlT_E_NS1_11comp_targetILNS1_3genE8ELNS1_11target_archE1030ELNS1_3gpuE2ELNS1_3repE0EEENS1_30default_config_static_selectorELNS0_4arch9wavefront6targetE1EEEvT1_.uses_flat_scratch, 0
	.set _ZN7rocprim17ROCPRIM_400000_NS6detail17trampoline_kernelINS0_14default_configENS1_35adjacent_difference_config_selectorILb1EjEEZNS1_24adjacent_difference_implIS3_Lb1ELb0EPjS7_N6thrust23THRUST_200600_302600_NS5minusIjEEEE10hipError_tPvRmT2_T3_mT4_P12ihipStream_tbEUlT_E_NS1_11comp_targetILNS1_3genE8ELNS1_11target_archE1030ELNS1_3gpuE2ELNS1_3repE0EEENS1_30default_config_static_selectorELNS0_4arch9wavefront6targetE1EEEvT1_.has_dyn_sized_stack, 0
	.set _ZN7rocprim17ROCPRIM_400000_NS6detail17trampoline_kernelINS0_14default_configENS1_35adjacent_difference_config_selectorILb1EjEEZNS1_24adjacent_difference_implIS3_Lb1ELb0EPjS7_N6thrust23THRUST_200600_302600_NS5minusIjEEEE10hipError_tPvRmT2_T3_mT4_P12ihipStream_tbEUlT_E_NS1_11comp_targetILNS1_3genE8ELNS1_11target_archE1030ELNS1_3gpuE2ELNS1_3repE0EEENS1_30default_config_static_selectorELNS0_4arch9wavefront6targetE1EEEvT1_.has_recursion, 0
	.set _ZN7rocprim17ROCPRIM_400000_NS6detail17trampoline_kernelINS0_14default_configENS1_35adjacent_difference_config_selectorILb1EjEEZNS1_24adjacent_difference_implIS3_Lb1ELb0EPjS7_N6thrust23THRUST_200600_302600_NS5minusIjEEEE10hipError_tPvRmT2_T3_mT4_P12ihipStream_tbEUlT_E_NS1_11comp_targetILNS1_3genE8ELNS1_11target_archE1030ELNS1_3gpuE2ELNS1_3repE0EEENS1_30default_config_static_selectorELNS0_4arch9wavefront6targetE1EEEvT1_.has_indirect_call, 0
	.section	.AMDGPU.csdata,"",@progbits
; Kernel info:
; codeLenInByte = 0
; TotalNumSgprs: 4
; NumVgprs: 0
; ScratchSize: 0
; MemoryBound: 0
; FloatMode: 240
; IeeeMode: 1
; LDSByteSize: 0 bytes/workgroup (compile time only)
; SGPRBlocks: 0
; VGPRBlocks: 0
; NumSGPRsForWavesPerEU: 4
; NumVGPRsForWavesPerEU: 1
; Occupancy: 10
; WaveLimiterHint : 0
; COMPUTE_PGM_RSRC2:SCRATCH_EN: 0
; COMPUTE_PGM_RSRC2:USER_SGPR: 6
; COMPUTE_PGM_RSRC2:TRAP_HANDLER: 0
; COMPUTE_PGM_RSRC2:TGID_X_EN: 1
; COMPUTE_PGM_RSRC2:TGID_Y_EN: 0
; COMPUTE_PGM_RSRC2:TGID_Z_EN: 0
; COMPUTE_PGM_RSRC2:TIDIG_COMP_CNT: 0
	.section	.text._ZN7rocprim17ROCPRIM_400000_NS6detail17trampoline_kernelINS0_14default_configENS1_35adjacent_difference_config_selectorILb0EjEEZNS1_24adjacent_difference_implIS3_Lb0ELb0EPjS7_N6thrust23THRUST_200600_302600_NS4plusIjEEEE10hipError_tPvRmT2_T3_mT4_P12ihipStream_tbEUlT_E_NS1_11comp_targetILNS1_3genE0ELNS1_11target_archE4294967295ELNS1_3gpuE0ELNS1_3repE0EEENS1_30default_config_static_selectorELNS0_4arch9wavefront6targetE1EEEvT1_,"axG",@progbits,_ZN7rocprim17ROCPRIM_400000_NS6detail17trampoline_kernelINS0_14default_configENS1_35adjacent_difference_config_selectorILb0EjEEZNS1_24adjacent_difference_implIS3_Lb0ELb0EPjS7_N6thrust23THRUST_200600_302600_NS4plusIjEEEE10hipError_tPvRmT2_T3_mT4_P12ihipStream_tbEUlT_E_NS1_11comp_targetILNS1_3genE0ELNS1_11target_archE4294967295ELNS1_3gpuE0ELNS1_3repE0EEENS1_30default_config_static_selectorELNS0_4arch9wavefront6targetE1EEEvT1_,comdat
	.protected	_ZN7rocprim17ROCPRIM_400000_NS6detail17trampoline_kernelINS0_14default_configENS1_35adjacent_difference_config_selectorILb0EjEEZNS1_24adjacent_difference_implIS3_Lb0ELb0EPjS7_N6thrust23THRUST_200600_302600_NS4plusIjEEEE10hipError_tPvRmT2_T3_mT4_P12ihipStream_tbEUlT_E_NS1_11comp_targetILNS1_3genE0ELNS1_11target_archE4294967295ELNS1_3gpuE0ELNS1_3repE0EEENS1_30default_config_static_selectorELNS0_4arch9wavefront6targetE1EEEvT1_ ; -- Begin function _ZN7rocprim17ROCPRIM_400000_NS6detail17trampoline_kernelINS0_14default_configENS1_35adjacent_difference_config_selectorILb0EjEEZNS1_24adjacent_difference_implIS3_Lb0ELb0EPjS7_N6thrust23THRUST_200600_302600_NS4plusIjEEEE10hipError_tPvRmT2_T3_mT4_P12ihipStream_tbEUlT_E_NS1_11comp_targetILNS1_3genE0ELNS1_11target_archE4294967295ELNS1_3gpuE0ELNS1_3repE0EEENS1_30default_config_static_selectorELNS0_4arch9wavefront6targetE1EEEvT1_
	.globl	_ZN7rocprim17ROCPRIM_400000_NS6detail17trampoline_kernelINS0_14default_configENS1_35adjacent_difference_config_selectorILb0EjEEZNS1_24adjacent_difference_implIS3_Lb0ELb0EPjS7_N6thrust23THRUST_200600_302600_NS4plusIjEEEE10hipError_tPvRmT2_T3_mT4_P12ihipStream_tbEUlT_E_NS1_11comp_targetILNS1_3genE0ELNS1_11target_archE4294967295ELNS1_3gpuE0ELNS1_3repE0EEENS1_30default_config_static_selectorELNS0_4arch9wavefront6targetE1EEEvT1_
	.p2align	8
	.type	_ZN7rocprim17ROCPRIM_400000_NS6detail17trampoline_kernelINS0_14default_configENS1_35adjacent_difference_config_selectorILb0EjEEZNS1_24adjacent_difference_implIS3_Lb0ELb0EPjS7_N6thrust23THRUST_200600_302600_NS4plusIjEEEE10hipError_tPvRmT2_T3_mT4_P12ihipStream_tbEUlT_E_NS1_11comp_targetILNS1_3genE0ELNS1_11target_archE4294967295ELNS1_3gpuE0ELNS1_3repE0EEENS1_30default_config_static_selectorELNS0_4arch9wavefront6targetE1EEEvT1_,@function
_ZN7rocprim17ROCPRIM_400000_NS6detail17trampoline_kernelINS0_14default_configENS1_35adjacent_difference_config_selectorILb0EjEEZNS1_24adjacent_difference_implIS3_Lb0ELb0EPjS7_N6thrust23THRUST_200600_302600_NS4plusIjEEEE10hipError_tPvRmT2_T3_mT4_P12ihipStream_tbEUlT_E_NS1_11comp_targetILNS1_3genE0ELNS1_11target_archE4294967295ELNS1_3gpuE0ELNS1_3repE0EEENS1_30default_config_static_selectorELNS0_4arch9wavefront6targetE1EEEvT1_: ; @_ZN7rocprim17ROCPRIM_400000_NS6detail17trampoline_kernelINS0_14default_configENS1_35adjacent_difference_config_selectorILb0EjEEZNS1_24adjacent_difference_implIS3_Lb0ELb0EPjS7_N6thrust23THRUST_200600_302600_NS4plusIjEEEE10hipError_tPvRmT2_T3_mT4_P12ihipStream_tbEUlT_E_NS1_11comp_targetILNS1_3genE0ELNS1_11target_archE4294967295ELNS1_3gpuE0ELNS1_3repE0EEENS1_30default_config_static_selectorELNS0_4arch9wavefront6targetE1EEEvT1_
; %bb.0:
	.section	.rodata,"a",@progbits
	.p2align	6, 0x0
	.amdhsa_kernel _ZN7rocprim17ROCPRIM_400000_NS6detail17trampoline_kernelINS0_14default_configENS1_35adjacent_difference_config_selectorILb0EjEEZNS1_24adjacent_difference_implIS3_Lb0ELb0EPjS7_N6thrust23THRUST_200600_302600_NS4plusIjEEEE10hipError_tPvRmT2_T3_mT4_P12ihipStream_tbEUlT_E_NS1_11comp_targetILNS1_3genE0ELNS1_11target_archE4294967295ELNS1_3gpuE0ELNS1_3repE0EEENS1_30default_config_static_selectorELNS0_4arch9wavefront6targetE1EEEvT1_
		.amdhsa_group_segment_fixed_size 0
		.amdhsa_private_segment_fixed_size 0
		.amdhsa_kernarg_size 56
		.amdhsa_user_sgpr_count 6
		.amdhsa_user_sgpr_private_segment_buffer 1
		.amdhsa_user_sgpr_dispatch_ptr 0
		.amdhsa_user_sgpr_queue_ptr 0
		.amdhsa_user_sgpr_kernarg_segment_ptr 1
		.amdhsa_user_sgpr_dispatch_id 0
		.amdhsa_user_sgpr_flat_scratch_init 0
		.amdhsa_user_sgpr_private_segment_size 0
		.amdhsa_uses_dynamic_stack 0
		.amdhsa_system_sgpr_private_segment_wavefront_offset 0
		.amdhsa_system_sgpr_workgroup_id_x 1
		.amdhsa_system_sgpr_workgroup_id_y 0
		.amdhsa_system_sgpr_workgroup_id_z 0
		.amdhsa_system_sgpr_workgroup_info 0
		.amdhsa_system_vgpr_workitem_id 0
		.amdhsa_next_free_vgpr 1
		.amdhsa_next_free_sgpr 0
		.amdhsa_reserve_vcc 0
		.amdhsa_reserve_flat_scratch 0
		.amdhsa_float_round_mode_32 0
		.amdhsa_float_round_mode_16_64 0
		.amdhsa_float_denorm_mode_32 3
		.amdhsa_float_denorm_mode_16_64 3
		.amdhsa_dx10_clamp 1
		.amdhsa_ieee_mode 1
		.amdhsa_fp16_overflow 0
		.amdhsa_exception_fp_ieee_invalid_op 0
		.amdhsa_exception_fp_denorm_src 0
		.amdhsa_exception_fp_ieee_div_zero 0
		.amdhsa_exception_fp_ieee_overflow 0
		.amdhsa_exception_fp_ieee_underflow 0
		.amdhsa_exception_fp_ieee_inexact 0
		.amdhsa_exception_int_div_zero 0
	.end_amdhsa_kernel
	.section	.text._ZN7rocprim17ROCPRIM_400000_NS6detail17trampoline_kernelINS0_14default_configENS1_35adjacent_difference_config_selectorILb0EjEEZNS1_24adjacent_difference_implIS3_Lb0ELb0EPjS7_N6thrust23THRUST_200600_302600_NS4plusIjEEEE10hipError_tPvRmT2_T3_mT4_P12ihipStream_tbEUlT_E_NS1_11comp_targetILNS1_3genE0ELNS1_11target_archE4294967295ELNS1_3gpuE0ELNS1_3repE0EEENS1_30default_config_static_selectorELNS0_4arch9wavefront6targetE1EEEvT1_,"axG",@progbits,_ZN7rocprim17ROCPRIM_400000_NS6detail17trampoline_kernelINS0_14default_configENS1_35adjacent_difference_config_selectorILb0EjEEZNS1_24adjacent_difference_implIS3_Lb0ELb0EPjS7_N6thrust23THRUST_200600_302600_NS4plusIjEEEE10hipError_tPvRmT2_T3_mT4_P12ihipStream_tbEUlT_E_NS1_11comp_targetILNS1_3genE0ELNS1_11target_archE4294967295ELNS1_3gpuE0ELNS1_3repE0EEENS1_30default_config_static_selectorELNS0_4arch9wavefront6targetE1EEEvT1_,comdat
.Lfunc_end180:
	.size	_ZN7rocprim17ROCPRIM_400000_NS6detail17trampoline_kernelINS0_14default_configENS1_35adjacent_difference_config_selectorILb0EjEEZNS1_24adjacent_difference_implIS3_Lb0ELb0EPjS7_N6thrust23THRUST_200600_302600_NS4plusIjEEEE10hipError_tPvRmT2_T3_mT4_P12ihipStream_tbEUlT_E_NS1_11comp_targetILNS1_3genE0ELNS1_11target_archE4294967295ELNS1_3gpuE0ELNS1_3repE0EEENS1_30default_config_static_selectorELNS0_4arch9wavefront6targetE1EEEvT1_, .Lfunc_end180-_ZN7rocprim17ROCPRIM_400000_NS6detail17trampoline_kernelINS0_14default_configENS1_35adjacent_difference_config_selectorILb0EjEEZNS1_24adjacent_difference_implIS3_Lb0ELb0EPjS7_N6thrust23THRUST_200600_302600_NS4plusIjEEEE10hipError_tPvRmT2_T3_mT4_P12ihipStream_tbEUlT_E_NS1_11comp_targetILNS1_3genE0ELNS1_11target_archE4294967295ELNS1_3gpuE0ELNS1_3repE0EEENS1_30default_config_static_selectorELNS0_4arch9wavefront6targetE1EEEvT1_
                                        ; -- End function
	.set _ZN7rocprim17ROCPRIM_400000_NS6detail17trampoline_kernelINS0_14default_configENS1_35adjacent_difference_config_selectorILb0EjEEZNS1_24adjacent_difference_implIS3_Lb0ELb0EPjS7_N6thrust23THRUST_200600_302600_NS4plusIjEEEE10hipError_tPvRmT2_T3_mT4_P12ihipStream_tbEUlT_E_NS1_11comp_targetILNS1_3genE0ELNS1_11target_archE4294967295ELNS1_3gpuE0ELNS1_3repE0EEENS1_30default_config_static_selectorELNS0_4arch9wavefront6targetE1EEEvT1_.num_vgpr, 0
	.set _ZN7rocprim17ROCPRIM_400000_NS6detail17trampoline_kernelINS0_14default_configENS1_35adjacent_difference_config_selectorILb0EjEEZNS1_24adjacent_difference_implIS3_Lb0ELb0EPjS7_N6thrust23THRUST_200600_302600_NS4plusIjEEEE10hipError_tPvRmT2_T3_mT4_P12ihipStream_tbEUlT_E_NS1_11comp_targetILNS1_3genE0ELNS1_11target_archE4294967295ELNS1_3gpuE0ELNS1_3repE0EEENS1_30default_config_static_selectorELNS0_4arch9wavefront6targetE1EEEvT1_.num_agpr, 0
	.set _ZN7rocprim17ROCPRIM_400000_NS6detail17trampoline_kernelINS0_14default_configENS1_35adjacent_difference_config_selectorILb0EjEEZNS1_24adjacent_difference_implIS3_Lb0ELb0EPjS7_N6thrust23THRUST_200600_302600_NS4plusIjEEEE10hipError_tPvRmT2_T3_mT4_P12ihipStream_tbEUlT_E_NS1_11comp_targetILNS1_3genE0ELNS1_11target_archE4294967295ELNS1_3gpuE0ELNS1_3repE0EEENS1_30default_config_static_selectorELNS0_4arch9wavefront6targetE1EEEvT1_.numbered_sgpr, 0
	.set _ZN7rocprim17ROCPRIM_400000_NS6detail17trampoline_kernelINS0_14default_configENS1_35adjacent_difference_config_selectorILb0EjEEZNS1_24adjacent_difference_implIS3_Lb0ELb0EPjS7_N6thrust23THRUST_200600_302600_NS4plusIjEEEE10hipError_tPvRmT2_T3_mT4_P12ihipStream_tbEUlT_E_NS1_11comp_targetILNS1_3genE0ELNS1_11target_archE4294967295ELNS1_3gpuE0ELNS1_3repE0EEENS1_30default_config_static_selectorELNS0_4arch9wavefront6targetE1EEEvT1_.num_named_barrier, 0
	.set _ZN7rocprim17ROCPRIM_400000_NS6detail17trampoline_kernelINS0_14default_configENS1_35adjacent_difference_config_selectorILb0EjEEZNS1_24adjacent_difference_implIS3_Lb0ELb0EPjS7_N6thrust23THRUST_200600_302600_NS4plusIjEEEE10hipError_tPvRmT2_T3_mT4_P12ihipStream_tbEUlT_E_NS1_11comp_targetILNS1_3genE0ELNS1_11target_archE4294967295ELNS1_3gpuE0ELNS1_3repE0EEENS1_30default_config_static_selectorELNS0_4arch9wavefront6targetE1EEEvT1_.private_seg_size, 0
	.set _ZN7rocprim17ROCPRIM_400000_NS6detail17trampoline_kernelINS0_14default_configENS1_35adjacent_difference_config_selectorILb0EjEEZNS1_24adjacent_difference_implIS3_Lb0ELb0EPjS7_N6thrust23THRUST_200600_302600_NS4plusIjEEEE10hipError_tPvRmT2_T3_mT4_P12ihipStream_tbEUlT_E_NS1_11comp_targetILNS1_3genE0ELNS1_11target_archE4294967295ELNS1_3gpuE0ELNS1_3repE0EEENS1_30default_config_static_selectorELNS0_4arch9wavefront6targetE1EEEvT1_.uses_vcc, 0
	.set _ZN7rocprim17ROCPRIM_400000_NS6detail17trampoline_kernelINS0_14default_configENS1_35adjacent_difference_config_selectorILb0EjEEZNS1_24adjacent_difference_implIS3_Lb0ELb0EPjS7_N6thrust23THRUST_200600_302600_NS4plusIjEEEE10hipError_tPvRmT2_T3_mT4_P12ihipStream_tbEUlT_E_NS1_11comp_targetILNS1_3genE0ELNS1_11target_archE4294967295ELNS1_3gpuE0ELNS1_3repE0EEENS1_30default_config_static_selectorELNS0_4arch9wavefront6targetE1EEEvT1_.uses_flat_scratch, 0
	.set _ZN7rocprim17ROCPRIM_400000_NS6detail17trampoline_kernelINS0_14default_configENS1_35adjacent_difference_config_selectorILb0EjEEZNS1_24adjacent_difference_implIS3_Lb0ELb0EPjS7_N6thrust23THRUST_200600_302600_NS4plusIjEEEE10hipError_tPvRmT2_T3_mT4_P12ihipStream_tbEUlT_E_NS1_11comp_targetILNS1_3genE0ELNS1_11target_archE4294967295ELNS1_3gpuE0ELNS1_3repE0EEENS1_30default_config_static_selectorELNS0_4arch9wavefront6targetE1EEEvT1_.has_dyn_sized_stack, 0
	.set _ZN7rocprim17ROCPRIM_400000_NS6detail17trampoline_kernelINS0_14default_configENS1_35adjacent_difference_config_selectorILb0EjEEZNS1_24adjacent_difference_implIS3_Lb0ELb0EPjS7_N6thrust23THRUST_200600_302600_NS4plusIjEEEE10hipError_tPvRmT2_T3_mT4_P12ihipStream_tbEUlT_E_NS1_11comp_targetILNS1_3genE0ELNS1_11target_archE4294967295ELNS1_3gpuE0ELNS1_3repE0EEENS1_30default_config_static_selectorELNS0_4arch9wavefront6targetE1EEEvT1_.has_recursion, 0
	.set _ZN7rocprim17ROCPRIM_400000_NS6detail17trampoline_kernelINS0_14default_configENS1_35adjacent_difference_config_selectorILb0EjEEZNS1_24adjacent_difference_implIS3_Lb0ELb0EPjS7_N6thrust23THRUST_200600_302600_NS4plusIjEEEE10hipError_tPvRmT2_T3_mT4_P12ihipStream_tbEUlT_E_NS1_11comp_targetILNS1_3genE0ELNS1_11target_archE4294967295ELNS1_3gpuE0ELNS1_3repE0EEENS1_30default_config_static_selectorELNS0_4arch9wavefront6targetE1EEEvT1_.has_indirect_call, 0
	.section	.AMDGPU.csdata,"",@progbits
; Kernel info:
; codeLenInByte = 0
; TotalNumSgprs: 4
; NumVgprs: 0
; ScratchSize: 0
; MemoryBound: 0
; FloatMode: 240
; IeeeMode: 1
; LDSByteSize: 0 bytes/workgroup (compile time only)
; SGPRBlocks: 0
; VGPRBlocks: 0
; NumSGPRsForWavesPerEU: 4
; NumVGPRsForWavesPerEU: 1
; Occupancy: 10
; WaveLimiterHint : 0
; COMPUTE_PGM_RSRC2:SCRATCH_EN: 0
; COMPUTE_PGM_RSRC2:USER_SGPR: 6
; COMPUTE_PGM_RSRC2:TRAP_HANDLER: 0
; COMPUTE_PGM_RSRC2:TGID_X_EN: 1
; COMPUTE_PGM_RSRC2:TGID_Y_EN: 0
; COMPUTE_PGM_RSRC2:TGID_Z_EN: 0
; COMPUTE_PGM_RSRC2:TIDIG_COMP_CNT: 0
	.section	.text._ZN7rocprim17ROCPRIM_400000_NS6detail17trampoline_kernelINS0_14default_configENS1_35adjacent_difference_config_selectorILb0EjEEZNS1_24adjacent_difference_implIS3_Lb0ELb0EPjS7_N6thrust23THRUST_200600_302600_NS4plusIjEEEE10hipError_tPvRmT2_T3_mT4_P12ihipStream_tbEUlT_E_NS1_11comp_targetILNS1_3genE10ELNS1_11target_archE1201ELNS1_3gpuE5ELNS1_3repE0EEENS1_30default_config_static_selectorELNS0_4arch9wavefront6targetE1EEEvT1_,"axG",@progbits,_ZN7rocprim17ROCPRIM_400000_NS6detail17trampoline_kernelINS0_14default_configENS1_35adjacent_difference_config_selectorILb0EjEEZNS1_24adjacent_difference_implIS3_Lb0ELb0EPjS7_N6thrust23THRUST_200600_302600_NS4plusIjEEEE10hipError_tPvRmT2_T3_mT4_P12ihipStream_tbEUlT_E_NS1_11comp_targetILNS1_3genE10ELNS1_11target_archE1201ELNS1_3gpuE5ELNS1_3repE0EEENS1_30default_config_static_selectorELNS0_4arch9wavefront6targetE1EEEvT1_,comdat
	.protected	_ZN7rocprim17ROCPRIM_400000_NS6detail17trampoline_kernelINS0_14default_configENS1_35adjacent_difference_config_selectorILb0EjEEZNS1_24adjacent_difference_implIS3_Lb0ELb0EPjS7_N6thrust23THRUST_200600_302600_NS4plusIjEEEE10hipError_tPvRmT2_T3_mT4_P12ihipStream_tbEUlT_E_NS1_11comp_targetILNS1_3genE10ELNS1_11target_archE1201ELNS1_3gpuE5ELNS1_3repE0EEENS1_30default_config_static_selectorELNS0_4arch9wavefront6targetE1EEEvT1_ ; -- Begin function _ZN7rocprim17ROCPRIM_400000_NS6detail17trampoline_kernelINS0_14default_configENS1_35adjacent_difference_config_selectorILb0EjEEZNS1_24adjacent_difference_implIS3_Lb0ELb0EPjS7_N6thrust23THRUST_200600_302600_NS4plusIjEEEE10hipError_tPvRmT2_T3_mT4_P12ihipStream_tbEUlT_E_NS1_11comp_targetILNS1_3genE10ELNS1_11target_archE1201ELNS1_3gpuE5ELNS1_3repE0EEENS1_30default_config_static_selectorELNS0_4arch9wavefront6targetE1EEEvT1_
	.globl	_ZN7rocprim17ROCPRIM_400000_NS6detail17trampoline_kernelINS0_14default_configENS1_35adjacent_difference_config_selectorILb0EjEEZNS1_24adjacent_difference_implIS3_Lb0ELb0EPjS7_N6thrust23THRUST_200600_302600_NS4plusIjEEEE10hipError_tPvRmT2_T3_mT4_P12ihipStream_tbEUlT_E_NS1_11comp_targetILNS1_3genE10ELNS1_11target_archE1201ELNS1_3gpuE5ELNS1_3repE0EEENS1_30default_config_static_selectorELNS0_4arch9wavefront6targetE1EEEvT1_
	.p2align	8
	.type	_ZN7rocprim17ROCPRIM_400000_NS6detail17trampoline_kernelINS0_14default_configENS1_35adjacent_difference_config_selectorILb0EjEEZNS1_24adjacent_difference_implIS3_Lb0ELb0EPjS7_N6thrust23THRUST_200600_302600_NS4plusIjEEEE10hipError_tPvRmT2_T3_mT4_P12ihipStream_tbEUlT_E_NS1_11comp_targetILNS1_3genE10ELNS1_11target_archE1201ELNS1_3gpuE5ELNS1_3repE0EEENS1_30default_config_static_selectorELNS0_4arch9wavefront6targetE1EEEvT1_,@function
_ZN7rocprim17ROCPRIM_400000_NS6detail17trampoline_kernelINS0_14default_configENS1_35adjacent_difference_config_selectorILb0EjEEZNS1_24adjacent_difference_implIS3_Lb0ELb0EPjS7_N6thrust23THRUST_200600_302600_NS4plusIjEEEE10hipError_tPvRmT2_T3_mT4_P12ihipStream_tbEUlT_E_NS1_11comp_targetILNS1_3genE10ELNS1_11target_archE1201ELNS1_3gpuE5ELNS1_3repE0EEENS1_30default_config_static_selectorELNS0_4arch9wavefront6targetE1EEEvT1_: ; @_ZN7rocprim17ROCPRIM_400000_NS6detail17trampoline_kernelINS0_14default_configENS1_35adjacent_difference_config_selectorILb0EjEEZNS1_24adjacent_difference_implIS3_Lb0ELb0EPjS7_N6thrust23THRUST_200600_302600_NS4plusIjEEEE10hipError_tPvRmT2_T3_mT4_P12ihipStream_tbEUlT_E_NS1_11comp_targetILNS1_3genE10ELNS1_11target_archE1201ELNS1_3gpuE5ELNS1_3repE0EEENS1_30default_config_static_selectorELNS0_4arch9wavefront6targetE1EEEvT1_
; %bb.0:
	.section	.rodata,"a",@progbits
	.p2align	6, 0x0
	.amdhsa_kernel _ZN7rocprim17ROCPRIM_400000_NS6detail17trampoline_kernelINS0_14default_configENS1_35adjacent_difference_config_selectorILb0EjEEZNS1_24adjacent_difference_implIS3_Lb0ELb0EPjS7_N6thrust23THRUST_200600_302600_NS4plusIjEEEE10hipError_tPvRmT2_T3_mT4_P12ihipStream_tbEUlT_E_NS1_11comp_targetILNS1_3genE10ELNS1_11target_archE1201ELNS1_3gpuE5ELNS1_3repE0EEENS1_30default_config_static_selectorELNS0_4arch9wavefront6targetE1EEEvT1_
		.amdhsa_group_segment_fixed_size 0
		.amdhsa_private_segment_fixed_size 0
		.amdhsa_kernarg_size 56
		.amdhsa_user_sgpr_count 6
		.amdhsa_user_sgpr_private_segment_buffer 1
		.amdhsa_user_sgpr_dispatch_ptr 0
		.amdhsa_user_sgpr_queue_ptr 0
		.amdhsa_user_sgpr_kernarg_segment_ptr 1
		.amdhsa_user_sgpr_dispatch_id 0
		.amdhsa_user_sgpr_flat_scratch_init 0
		.amdhsa_user_sgpr_private_segment_size 0
		.amdhsa_uses_dynamic_stack 0
		.amdhsa_system_sgpr_private_segment_wavefront_offset 0
		.amdhsa_system_sgpr_workgroup_id_x 1
		.amdhsa_system_sgpr_workgroup_id_y 0
		.amdhsa_system_sgpr_workgroup_id_z 0
		.amdhsa_system_sgpr_workgroup_info 0
		.amdhsa_system_vgpr_workitem_id 0
		.amdhsa_next_free_vgpr 1
		.amdhsa_next_free_sgpr 0
		.amdhsa_reserve_vcc 0
		.amdhsa_reserve_flat_scratch 0
		.amdhsa_float_round_mode_32 0
		.amdhsa_float_round_mode_16_64 0
		.amdhsa_float_denorm_mode_32 3
		.amdhsa_float_denorm_mode_16_64 3
		.amdhsa_dx10_clamp 1
		.amdhsa_ieee_mode 1
		.amdhsa_fp16_overflow 0
		.amdhsa_exception_fp_ieee_invalid_op 0
		.amdhsa_exception_fp_denorm_src 0
		.amdhsa_exception_fp_ieee_div_zero 0
		.amdhsa_exception_fp_ieee_overflow 0
		.amdhsa_exception_fp_ieee_underflow 0
		.amdhsa_exception_fp_ieee_inexact 0
		.amdhsa_exception_int_div_zero 0
	.end_amdhsa_kernel
	.section	.text._ZN7rocprim17ROCPRIM_400000_NS6detail17trampoline_kernelINS0_14default_configENS1_35adjacent_difference_config_selectorILb0EjEEZNS1_24adjacent_difference_implIS3_Lb0ELb0EPjS7_N6thrust23THRUST_200600_302600_NS4plusIjEEEE10hipError_tPvRmT2_T3_mT4_P12ihipStream_tbEUlT_E_NS1_11comp_targetILNS1_3genE10ELNS1_11target_archE1201ELNS1_3gpuE5ELNS1_3repE0EEENS1_30default_config_static_selectorELNS0_4arch9wavefront6targetE1EEEvT1_,"axG",@progbits,_ZN7rocprim17ROCPRIM_400000_NS6detail17trampoline_kernelINS0_14default_configENS1_35adjacent_difference_config_selectorILb0EjEEZNS1_24adjacent_difference_implIS3_Lb0ELb0EPjS7_N6thrust23THRUST_200600_302600_NS4plusIjEEEE10hipError_tPvRmT2_T3_mT4_P12ihipStream_tbEUlT_E_NS1_11comp_targetILNS1_3genE10ELNS1_11target_archE1201ELNS1_3gpuE5ELNS1_3repE0EEENS1_30default_config_static_selectorELNS0_4arch9wavefront6targetE1EEEvT1_,comdat
.Lfunc_end181:
	.size	_ZN7rocprim17ROCPRIM_400000_NS6detail17trampoline_kernelINS0_14default_configENS1_35adjacent_difference_config_selectorILb0EjEEZNS1_24adjacent_difference_implIS3_Lb0ELb0EPjS7_N6thrust23THRUST_200600_302600_NS4plusIjEEEE10hipError_tPvRmT2_T3_mT4_P12ihipStream_tbEUlT_E_NS1_11comp_targetILNS1_3genE10ELNS1_11target_archE1201ELNS1_3gpuE5ELNS1_3repE0EEENS1_30default_config_static_selectorELNS0_4arch9wavefront6targetE1EEEvT1_, .Lfunc_end181-_ZN7rocprim17ROCPRIM_400000_NS6detail17trampoline_kernelINS0_14default_configENS1_35adjacent_difference_config_selectorILb0EjEEZNS1_24adjacent_difference_implIS3_Lb0ELb0EPjS7_N6thrust23THRUST_200600_302600_NS4plusIjEEEE10hipError_tPvRmT2_T3_mT4_P12ihipStream_tbEUlT_E_NS1_11comp_targetILNS1_3genE10ELNS1_11target_archE1201ELNS1_3gpuE5ELNS1_3repE0EEENS1_30default_config_static_selectorELNS0_4arch9wavefront6targetE1EEEvT1_
                                        ; -- End function
	.set _ZN7rocprim17ROCPRIM_400000_NS6detail17trampoline_kernelINS0_14default_configENS1_35adjacent_difference_config_selectorILb0EjEEZNS1_24adjacent_difference_implIS3_Lb0ELb0EPjS7_N6thrust23THRUST_200600_302600_NS4plusIjEEEE10hipError_tPvRmT2_T3_mT4_P12ihipStream_tbEUlT_E_NS1_11comp_targetILNS1_3genE10ELNS1_11target_archE1201ELNS1_3gpuE5ELNS1_3repE0EEENS1_30default_config_static_selectorELNS0_4arch9wavefront6targetE1EEEvT1_.num_vgpr, 0
	.set _ZN7rocprim17ROCPRIM_400000_NS6detail17trampoline_kernelINS0_14default_configENS1_35adjacent_difference_config_selectorILb0EjEEZNS1_24adjacent_difference_implIS3_Lb0ELb0EPjS7_N6thrust23THRUST_200600_302600_NS4plusIjEEEE10hipError_tPvRmT2_T3_mT4_P12ihipStream_tbEUlT_E_NS1_11comp_targetILNS1_3genE10ELNS1_11target_archE1201ELNS1_3gpuE5ELNS1_3repE0EEENS1_30default_config_static_selectorELNS0_4arch9wavefront6targetE1EEEvT1_.num_agpr, 0
	.set _ZN7rocprim17ROCPRIM_400000_NS6detail17trampoline_kernelINS0_14default_configENS1_35adjacent_difference_config_selectorILb0EjEEZNS1_24adjacent_difference_implIS3_Lb0ELb0EPjS7_N6thrust23THRUST_200600_302600_NS4plusIjEEEE10hipError_tPvRmT2_T3_mT4_P12ihipStream_tbEUlT_E_NS1_11comp_targetILNS1_3genE10ELNS1_11target_archE1201ELNS1_3gpuE5ELNS1_3repE0EEENS1_30default_config_static_selectorELNS0_4arch9wavefront6targetE1EEEvT1_.numbered_sgpr, 0
	.set _ZN7rocprim17ROCPRIM_400000_NS6detail17trampoline_kernelINS0_14default_configENS1_35adjacent_difference_config_selectorILb0EjEEZNS1_24adjacent_difference_implIS3_Lb0ELb0EPjS7_N6thrust23THRUST_200600_302600_NS4plusIjEEEE10hipError_tPvRmT2_T3_mT4_P12ihipStream_tbEUlT_E_NS1_11comp_targetILNS1_3genE10ELNS1_11target_archE1201ELNS1_3gpuE5ELNS1_3repE0EEENS1_30default_config_static_selectorELNS0_4arch9wavefront6targetE1EEEvT1_.num_named_barrier, 0
	.set _ZN7rocprim17ROCPRIM_400000_NS6detail17trampoline_kernelINS0_14default_configENS1_35adjacent_difference_config_selectorILb0EjEEZNS1_24adjacent_difference_implIS3_Lb0ELb0EPjS7_N6thrust23THRUST_200600_302600_NS4plusIjEEEE10hipError_tPvRmT2_T3_mT4_P12ihipStream_tbEUlT_E_NS1_11comp_targetILNS1_3genE10ELNS1_11target_archE1201ELNS1_3gpuE5ELNS1_3repE0EEENS1_30default_config_static_selectorELNS0_4arch9wavefront6targetE1EEEvT1_.private_seg_size, 0
	.set _ZN7rocprim17ROCPRIM_400000_NS6detail17trampoline_kernelINS0_14default_configENS1_35adjacent_difference_config_selectorILb0EjEEZNS1_24adjacent_difference_implIS3_Lb0ELb0EPjS7_N6thrust23THRUST_200600_302600_NS4plusIjEEEE10hipError_tPvRmT2_T3_mT4_P12ihipStream_tbEUlT_E_NS1_11comp_targetILNS1_3genE10ELNS1_11target_archE1201ELNS1_3gpuE5ELNS1_3repE0EEENS1_30default_config_static_selectorELNS0_4arch9wavefront6targetE1EEEvT1_.uses_vcc, 0
	.set _ZN7rocprim17ROCPRIM_400000_NS6detail17trampoline_kernelINS0_14default_configENS1_35adjacent_difference_config_selectorILb0EjEEZNS1_24adjacent_difference_implIS3_Lb0ELb0EPjS7_N6thrust23THRUST_200600_302600_NS4plusIjEEEE10hipError_tPvRmT2_T3_mT4_P12ihipStream_tbEUlT_E_NS1_11comp_targetILNS1_3genE10ELNS1_11target_archE1201ELNS1_3gpuE5ELNS1_3repE0EEENS1_30default_config_static_selectorELNS0_4arch9wavefront6targetE1EEEvT1_.uses_flat_scratch, 0
	.set _ZN7rocprim17ROCPRIM_400000_NS6detail17trampoline_kernelINS0_14default_configENS1_35adjacent_difference_config_selectorILb0EjEEZNS1_24adjacent_difference_implIS3_Lb0ELb0EPjS7_N6thrust23THRUST_200600_302600_NS4plusIjEEEE10hipError_tPvRmT2_T3_mT4_P12ihipStream_tbEUlT_E_NS1_11comp_targetILNS1_3genE10ELNS1_11target_archE1201ELNS1_3gpuE5ELNS1_3repE0EEENS1_30default_config_static_selectorELNS0_4arch9wavefront6targetE1EEEvT1_.has_dyn_sized_stack, 0
	.set _ZN7rocprim17ROCPRIM_400000_NS6detail17trampoline_kernelINS0_14default_configENS1_35adjacent_difference_config_selectorILb0EjEEZNS1_24adjacent_difference_implIS3_Lb0ELb0EPjS7_N6thrust23THRUST_200600_302600_NS4plusIjEEEE10hipError_tPvRmT2_T3_mT4_P12ihipStream_tbEUlT_E_NS1_11comp_targetILNS1_3genE10ELNS1_11target_archE1201ELNS1_3gpuE5ELNS1_3repE0EEENS1_30default_config_static_selectorELNS0_4arch9wavefront6targetE1EEEvT1_.has_recursion, 0
	.set _ZN7rocprim17ROCPRIM_400000_NS6detail17trampoline_kernelINS0_14default_configENS1_35adjacent_difference_config_selectorILb0EjEEZNS1_24adjacent_difference_implIS3_Lb0ELb0EPjS7_N6thrust23THRUST_200600_302600_NS4plusIjEEEE10hipError_tPvRmT2_T3_mT4_P12ihipStream_tbEUlT_E_NS1_11comp_targetILNS1_3genE10ELNS1_11target_archE1201ELNS1_3gpuE5ELNS1_3repE0EEENS1_30default_config_static_selectorELNS0_4arch9wavefront6targetE1EEEvT1_.has_indirect_call, 0
	.section	.AMDGPU.csdata,"",@progbits
; Kernel info:
; codeLenInByte = 0
; TotalNumSgprs: 4
; NumVgprs: 0
; ScratchSize: 0
; MemoryBound: 0
; FloatMode: 240
; IeeeMode: 1
; LDSByteSize: 0 bytes/workgroup (compile time only)
; SGPRBlocks: 0
; VGPRBlocks: 0
; NumSGPRsForWavesPerEU: 4
; NumVGPRsForWavesPerEU: 1
; Occupancy: 10
; WaveLimiterHint : 0
; COMPUTE_PGM_RSRC2:SCRATCH_EN: 0
; COMPUTE_PGM_RSRC2:USER_SGPR: 6
; COMPUTE_PGM_RSRC2:TRAP_HANDLER: 0
; COMPUTE_PGM_RSRC2:TGID_X_EN: 1
; COMPUTE_PGM_RSRC2:TGID_Y_EN: 0
; COMPUTE_PGM_RSRC2:TGID_Z_EN: 0
; COMPUTE_PGM_RSRC2:TIDIG_COMP_CNT: 0
	.section	.text._ZN7rocprim17ROCPRIM_400000_NS6detail17trampoline_kernelINS0_14default_configENS1_35adjacent_difference_config_selectorILb0EjEEZNS1_24adjacent_difference_implIS3_Lb0ELb0EPjS7_N6thrust23THRUST_200600_302600_NS4plusIjEEEE10hipError_tPvRmT2_T3_mT4_P12ihipStream_tbEUlT_E_NS1_11comp_targetILNS1_3genE5ELNS1_11target_archE942ELNS1_3gpuE9ELNS1_3repE0EEENS1_30default_config_static_selectorELNS0_4arch9wavefront6targetE1EEEvT1_,"axG",@progbits,_ZN7rocprim17ROCPRIM_400000_NS6detail17trampoline_kernelINS0_14default_configENS1_35adjacent_difference_config_selectorILb0EjEEZNS1_24adjacent_difference_implIS3_Lb0ELb0EPjS7_N6thrust23THRUST_200600_302600_NS4plusIjEEEE10hipError_tPvRmT2_T3_mT4_P12ihipStream_tbEUlT_E_NS1_11comp_targetILNS1_3genE5ELNS1_11target_archE942ELNS1_3gpuE9ELNS1_3repE0EEENS1_30default_config_static_selectorELNS0_4arch9wavefront6targetE1EEEvT1_,comdat
	.protected	_ZN7rocprim17ROCPRIM_400000_NS6detail17trampoline_kernelINS0_14default_configENS1_35adjacent_difference_config_selectorILb0EjEEZNS1_24adjacent_difference_implIS3_Lb0ELb0EPjS7_N6thrust23THRUST_200600_302600_NS4plusIjEEEE10hipError_tPvRmT2_T3_mT4_P12ihipStream_tbEUlT_E_NS1_11comp_targetILNS1_3genE5ELNS1_11target_archE942ELNS1_3gpuE9ELNS1_3repE0EEENS1_30default_config_static_selectorELNS0_4arch9wavefront6targetE1EEEvT1_ ; -- Begin function _ZN7rocprim17ROCPRIM_400000_NS6detail17trampoline_kernelINS0_14default_configENS1_35adjacent_difference_config_selectorILb0EjEEZNS1_24adjacent_difference_implIS3_Lb0ELb0EPjS7_N6thrust23THRUST_200600_302600_NS4plusIjEEEE10hipError_tPvRmT2_T3_mT4_P12ihipStream_tbEUlT_E_NS1_11comp_targetILNS1_3genE5ELNS1_11target_archE942ELNS1_3gpuE9ELNS1_3repE0EEENS1_30default_config_static_selectorELNS0_4arch9wavefront6targetE1EEEvT1_
	.globl	_ZN7rocprim17ROCPRIM_400000_NS6detail17trampoline_kernelINS0_14default_configENS1_35adjacent_difference_config_selectorILb0EjEEZNS1_24adjacent_difference_implIS3_Lb0ELb0EPjS7_N6thrust23THRUST_200600_302600_NS4plusIjEEEE10hipError_tPvRmT2_T3_mT4_P12ihipStream_tbEUlT_E_NS1_11comp_targetILNS1_3genE5ELNS1_11target_archE942ELNS1_3gpuE9ELNS1_3repE0EEENS1_30default_config_static_selectorELNS0_4arch9wavefront6targetE1EEEvT1_
	.p2align	8
	.type	_ZN7rocprim17ROCPRIM_400000_NS6detail17trampoline_kernelINS0_14default_configENS1_35adjacent_difference_config_selectorILb0EjEEZNS1_24adjacent_difference_implIS3_Lb0ELb0EPjS7_N6thrust23THRUST_200600_302600_NS4plusIjEEEE10hipError_tPvRmT2_T3_mT4_P12ihipStream_tbEUlT_E_NS1_11comp_targetILNS1_3genE5ELNS1_11target_archE942ELNS1_3gpuE9ELNS1_3repE0EEENS1_30default_config_static_selectorELNS0_4arch9wavefront6targetE1EEEvT1_,@function
_ZN7rocprim17ROCPRIM_400000_NS6detail17trampoline_kernelINS0_14default_configENS1_35adjacent_difference_config_selectorILb0EjEEZNS1_24adjacent_difference_implIS3_Lb0ELb0EPjS7_N6thrust23THRUST_200600_302600_NS4plusIjEEEE10hipError_tPvRmT2_T3_mT4_P12ihipStream_tbEUlT_E_NS1_11comp_targetILNS1_3genE5ELNS1_11target_archE942ELNS1_3gpuE9ELNS1_3repE0EEENS1_30default_config_static_selectorELNS0_4arch9wavefront6targetE1EEEvT1_: ; @_ZN7rocprim17ROCPRIM_400000_NS6detail17trampoline_kernelINS0_14default_configENS1_35adjacent_difference_config_selectorILb0EjEEZNS1_24adjacent_difference_implIS3_Lb0ELb0EPjS7_N6thrust23THRUST_200600_302600_NS4plusIjEEEE10hipError_tPvRmT2_T3_mT4_P12ihipStream_tbEUlT_E_NS1_11comp_targetILNS1_3genE5ELNS1_11target_archE942ELNS1_3gpuE9ELNS1_3repE0EEENS1_30default_config_static_selectorELNS0_4arch9wavefront6targetE1EEEvT1_
; %bb.0:
	.section	.rodata,"a",@progbits
	.p2align	6, 0x0
	.amdhsa_kernel _ZN7rocprim17ROCPRIM_400000_NS6detail17trampoline_kernelINS0_14default_configENS1_35adjacent_difference_config_selectorILb0EjEEZNS1_24adjacent_difference_implIS3_Lb0ELb0EPjS7_N6thrust23THRUST_200600_302600_NS4plusIjEEEE10hipError_tPvRmT2_T3_mT4_P12ihipStream_tbEUlT_E_NS1_11comp_targetILNS1_3genE5ELNS1_11target_archE942ELNS1_3gpuE9ELNS1_3repE0EEENS1_30default_config_static_selectorELNS0_4arch9wavefront6targetE1EEEvT1_
		.amdhsa_group_segment_fixed_size 0
		.amdhsa_private_segment_fixed_size 0
		.amdhsa_kernarg_size 56
		.amdhsa_user_sgpr_count 6
		.amdhsa_user_sgpr_private_segment_buffer 1
		.amdhsa_user_sgpr_dispatch_ptr 0
		.amdhsa_user_sgpr_queue_ptr 0
		.amdhsa_user_sgpr_kernarg_segment_ptr 1
		.amdhsa_user_sgpr_dispatch_id 0
		.amdhsa_user_sgpr_flat_scratch_init 0
		.amdhsa_user_sgpr_private_segment_size 0
		.amdhsa_uses_dynamic_stack 0
		.amdhsa_system_sgpr_private_segment_wavefront_offset 0
		.amdhsa_system_sgpr_workgroup_id_x 1
		.amdhsa_system_sgpr_workgroup_id_y 0
		.amdhsa_system_sgpr_workgroup_id_z 0
		.amdhsa_system_sgpr_workgroup_info 0
		.amdhsa_system_vgpr_workitem_id 0
		.amdhsa_next_free_vgpr 1
		.amdhsa_next_free_sgpr 0
		.amdhsa_reserve_vcc 0
		.amdhsa_reserve_flat_scratch 0
		.amdhsa_float_round_mode_32 0
		.amdhsa_float_round_mode_16_64 0
		.amdhsa_float_denorm_mode_32 3
		.amdhsa_float_denorm_mode_16_64 3
		.amdhsa_dx10_clamp 1
		.amdhsa_ieee_mode 1
		.amdhsa_fp16_overflow 0
		.amdhsa_exception_fp_ieee_invalid_op 0
		.amdhsa_exception_fp_denorm_src 0
		.amdhsa_exception_fp_ieee_div_zero 0
		.amdhsa_exception_fp_ieee_overflow 0
		.amdhsa_exception_fp_ieee_underflow 0
		.amdhsa_exception_fp_ieee_inexact 0
		.amdhsa_exception_int_div_zero 0
	.end_amdhsa_kernel
	.section	.text._ZN7rocprim17ROCPRIM_400000_NS6detail17trampoline_kernelINS0_14default_configENS1_35adjacent_difference_config_selectorILb0EjEEZNS1_24adjacent_difference_implIS3_Lb0ELb0EPjS7_N6thrust23THRUST_200600_302600_NS4plusIjEEEE10hipError_tPvRmT2_T3_mT4_P12ihipStream_tbEUlT_E_NS1_11comp_targetILNS1_3genE5ELNS1_11target_archE942ELNS1_3gpuE9ELNS1_3repE0EEENS1_30default_config_static_selectorELNS0_4arch9wavefront6targetE1EEEvT1_,"axG",@progbits,_ZN7rocprim17ROCPRIM_400000_NS6detail17trampoline_kernelINS0_14default_configENS1_35adjacent_difference_config_selectorILb0EjEEZNS1_24adjacent_difference_implIS3_Lb0ELb0EPjS7_N6thrust23THRUST_200600_302600_NS4plusIjEEEE10hipError_tPvRmT2_T3_mT4_P12ihipStream_tbEUlT_E_NS1_11comp_targetILNS1_3genE5ELNS1_11target_archE942ELNS1_3gpuE9ELNS1_3repE0EEENS1_30default_config_static_selectorELNS0_4arch9wavefront6targetE1EEEvT1_,comdat
.Lfunc_end182:
	.size	_ZN7rocprim17ROCPRIM_400000_NS6detail17trampoline_kernelINS0_14default_configENS1_35adjacent_difference_config_selectorILb0EjEEZNS1_24adjacent_difference_implIS3_Lb0ELb0EPjS7_N6thrust23THRUST_200600_302600_NS4plusIjEEEE10hipError_tPvRmT2_T3_mT4_P12ihipStream_tbEUlT_E_NS1_11comp_targetILNS1_3genE5ELNS1_11target_archE942ELNS1_3gpuE9ELNS1_3repE0EEENS1_30default_config_static_selectorELNS0_4arch9wavefront6targetE1EEEvT1_, .Lfunc_end182-_ZN7rocprim17ROCPRIM_400000_NS6detail17trampoline_kernelINS0_14default_configENS1_35adjacent_difference_config_selectorILb0EjEEZNS1_24adjacent_difference_implIS3_Lb0ELb0EPjS7_N6thrust23THRUST_200600_302600_NS4plusIjEEEE10hipError_tPvRmT2_T3_mT4_P12ihipStream_tbEUlT_E_NS1_11comp_targetILNS1_3genE5ELNS1_11target_archE942ELNS1_3gpuE9ELNS1_3repE0EEENS1_30default_config_static_selectorELNS0_4arch9wavefront6targetE1EEEvT1_
                                        ; -- End function
	.set _ZN7rocprim17ROCPRIM_400000_NS6detail17trampoline_kernelINS0_14default_configENS1_35adjacent_difference_config_selectorILb0EjEEZNS1_24adjacent_difference_implIS3_Lb0ELb0EPjS7_N6thrust23THRUST_200600_302600_NS4plusIjEEEE10hipError_tPvRmT2_T3_mT4_P12ihipStream_tbEUlT_E_NS1_11comp_targetILNS1_3genE5ELNS1_11target_archE942ELNS1_3gpuE9ELNS1_3repE0EEENS1_30default_config_static_selectorELNS0_4arch9wavefront6targetE1EEEvT1_.num_vgpr, 0
	.set _ZN7rocprim17ROCPRIM_400000_NS6detail17trampoline_kernelINS0_14default_configENS1_35adjacent_difference_config_selectorILb0EjEEZNS1_24adjacent_difference_implIS3_Lb0ELb0EPjS7_N6thrust23THRUST_200600_302600_NS4plusIjEEEE10hipError_tPvRmT2_T3_mT4_P12ihipStream_tbEUlT_E_NS1_11comp_targetILNS1_3genE5ELNS1_11target_archE942ELNS1_3gpuE9ELNS1_3repE0EEENS1_30default_config_static_selectorELNS0_4arch9wavefront6targetE1EEEvT1_.num_agpr, 0
	.set _ZN7rocprim17ROCPRIM_400000_NS6detail17trampoline_kernelINS0_14default_configENS1_35adjacent_difference_config_selectorILb0EjEEZNS1_24adjacent_difference_implIS3_Lb0ELb0EPjS7_N6thrust23THRUST_200600_302600_NS4plusIjEEEE10hipError_tPvRmT2_T3_mT4_P12ihipStream_tbEUlT_E_NS1_11comp_targetILNS1_3genE5ELNS1_11target_archE942ELNS1_3gpuE9ELNS1_3repE0EEENS1_30default_config_static_selectorELNS0_4arch9wavefront6targetE1EEEvT1_.numbered_sgpr, 0
	.set _ZN7rocprim17ROCPRIM_400000_NS6detail17trampoline_kernelINS0_14default_configENS1_35adjacent_difference_config_selectorILb0EjEEZNS1_24adjacent_difference_implIS3_Lb0ELb0EPjS7_N6thrust23THRUST_200600_302600_NS4plusIjEEEE10hipError_tPvRmT2_T3_mT4_P12ihipStream_tbEUlT_E_NS1_11comp_targetILNS1_3genE5ELNS1_11target_archE942ELNS1_3gpuE9ELNS1_3repE0EEENS1_30default_config_static_selectorELNS0_4arch9wavefront6targetE1EEEvT1_.num_named_barrier, 0
	.set _ZN7rocprim17ROCPRIM_400000_NS6detail17trampoline_kernelINS0_14default_configENS1_35adjacent_difference_config_selectorILb0EjEEZNS1_24adjacent_difference_implIS3_Lb0ELb0EPjS7_N6thrust23THRUST_200600_302600_NS4plusIjEEEE10hipError_tPvRmT2_T3_mT4_P12ihipStream_tbEUlT_E_NS1_11comp_targetILNS1_3genE5ELNS1_11target_archE942ELNS1_3gpuE9ELNS1_3repE0EEENS1_30default_config_static_selectorELNS0_4arch9wavefront6targetE1EEEvT1_.private_seg_size, 0
	.set _ZN7rocprim17ROCPRIM_400000_NS6detail17trampoline_kernelINS0_14default_configENS1_35adjacent_difference_config_selectorILb0EjEEZNS1_24adjacent_difference_implIS3_Lb0ELb0EPjS7_N6thrust23THRUST_200600_302600_NS4plusIjEEEE10hipError_tPvRmT2_T3_mT4_P12ihipStream_tbEUlT_E_NS1_11comp_targetILNS1_3genE5ELNS1_11target_archE942ELNS1_3gpuE9ELNS1_3repE0EEENS1_30default_config_static_selectorELNS0_4arch9wavefront6targetE1EEEvT1_.uses_vcc, 0
	.set _ZN7rocprim17ROCPRIM_400000_NS6detail17trampoline_kernelINS0_14default_configENS1_35adjacent_difference_config_selectorILb0EjEEZNS1_24adjacent_difference_implIS3_Lb0ELb0EPjS7_N6thrust23THRUST_200600_302600_NS4plusIjEEEE10hipError_tPvRmT2_T3_mT4_P12ihipStream_tbEUlT_E_NS1_11comp_targetILNS1_3genE5ELNS1_11target_archE942ELNS1_3gpuE9ELNS1_3repE0EEENS1_30default_config_static_selectorELNS0_4arch9wavefront6targetE1EEEvT1_.uses_flat_scratch, 0
	.set _ZN7rocprim17ROCPRIM_400000_NS6detail17trampoline_kernelINS0_14default_configENS1_35adjacent_difference_config_selectorILb0EjEEZNS1_24adjacent_difference_implIS3_Lb0ELb0EPjS7_N6thrust23THRUST_200600_302600_NS4plusIjEEEE10hipError_tPvRmT2_T3_mT4_P12ihipStream_tbEUlT_E_NS1_11comp_targetILNS1_3genE5ELNS1_11target_archE942ELNS1_3gpuE9ELNS1_3repE0EEENS1_30default_config_static_selectorELNS0_4arch9wavefront6targetE1EEEvT1_.has_dyn_sized_stack, 0
	.set _ZN7rocprim17ROCPRIM_400000_NS6detail17trampoline_kernelINS0_14default_configENS1_35adjacent_difference_config_selectorILb0EjEEZNS1_24adjacent_difference_implIS3_Lb0ELb0EPjS7_N6thrust23THRUST_200600_302600_NS4plusIjEEEE10hipError_tPvRmT2_T3_mT4_P12ihipStream_tbEUlT_E_NS1_11comp_targetILNS1_3genE5ELNS1_11target_archE942ELNS1_3gpuE9ELNS1_3repE0EEENS1_30default_config_static_selectorELNS0_4arch9wavefront6targetE1EEEvT1_.has_recursion, 0
	.set _ZN7rocprim17ROCPRIM_400000_NS6detail17trampoline_kernelINS0_14default_configENS1_35adjacent_difference_config_selectorILb0EjEEZNS1_24adjacent_difference_implIS3_Lb0ELb0EPjS7_N6thrust23THRUST_200600_302600_NS4plusIjEEEE10hipError_tPvRmT2_T3_mT4_P12ihipStream_tbEUlT_E_NS1_11comp_targetILNS1_3genE5ELNS1_11target_archE942ELNS1_3gpuE9ELNS1_3repE0EEENS1_30default_config_static_selectorELNS0_4arch9wavefront6targetE1EEEvT1_.has_indirect_call, 0
	.section	.AMDGPU.csdata,"",@progbits
; Kernel info:
; codeLenInByte = 0
; TotalNumSgprs: 4
; NumVgprs: 0
; ScratchSize: 0
; MemoryBound: 0
; FloatMode: 240
; IeeeMode: 1
; LDSByteSize: 0 bytes/workgroup (compile time only)
; SGPRBlocks: 0
; VGPRBlocks: 0
; NumSGPRsForWavesPerEU: 4
; NumVGPRsForWavesPerEU: 1
; Occupancy: 10
; WaveLimiterHint : 0
; COMPUTE_PGM_RSRC2:SCRATCH_EN: 0
; COMPUTE_PGM_RSRC2:USER_SGPR: 6
; COMPUTE_PGM_RSRC2:TRAP_HANDLER: 0
; COMPUTE_PGM_RSRC2:TGID_X_EN: 1
; COMPUTE_PGM_RSRC2:TGID_Y_EN: 0
; COMPUTE_PGM_RSRC2:TGID_Z_EN: 0
; COMPUTE_PGM_RSRC2:TIDIG_COMP_CNT: 0
	.section	.text._ZN7rocprim17ROCPRIM_400000_NS6detail17trampoline_kernelINS0_14default_configENS1_35adjacent_difference_config_selectorILb0EjEEZNS1_24adjacent_difference_implIS3_Lb0ELb0EPjS7_N6thrust23THRUST_200600_302600_NS4plusIjEEEE10hipError_tPvRmT2_T3_mT4_P12ihipStream_tbEUlT_E_NS1_11comp_targetILNS1_3genE4ELNS1_11target_archE910ELNS1_3gpuE8ELNS1_3repE0EEENS1_30default_config_static_selectorELNS0_4arch9wavefront6targetE1EEEvT1_,"axG",@progbits,_ZN7rocprim17ROCPRIM_400000_NS6detail17trampoline_kernelINS0_14default_configENS1_35adjacent_difference_config_selectorILb0EjEEZNS1_24adjacent_difference_implIS3_Lb0ELb0EPjS7_N6thrust23THRUST_200600_302600_NS4plusIjEEEE10hipError_tPvRmT2_T3_mT4_P12ihipStream_tbEUlT_E_NS1_11comp_targetILNS1_3genE4ELNS1_11target_archE910ELNS1_3gpuE8ELNS1_3repE0EEENS1_30default_config_static_selectorELNS0_4arch9wavefront6targetE1EEEvT1_,comdat
	.protected	_ZN7rocprim17ROCPRIM_400000_NS6detail17trampoline_kernelINS0_14default_configENS1_35adjacent_difference_config_selectorILb0EjEEZNS1_24adjacent_difference_implIS3_Lb0ELb0EPjS7_N6thrust23THRUST_200600_302600_NS4plusIjEEEE10hipError_tPvRmT2_T3_mT4_P12ihipStream_tbEUlT_E_NS1_11comp_targetILNS1_3genE4ELNS1_11target_archE910ELNS1_3gpuE8ELNS1_3repE0EEENS1_30default_config_static_selectorELNS0_4arch9wavefront6targetE1EEEvT1_ ; -- Begin function _ZN7rocprim17ROCPRIM_400000_NS6detail17trampoline_kernelINS0_14default_configENS1_35adjacent_difference_config_selectorILb0EjEEZNS1_24adjacent_difference_implIS3_Lb0ELb0EPjS7_N6thrust23THRUST_200600_302600_NS4plusIjEEEE10hipError_tPvRmT2_T3_mT4_P12ihipStream_tbEUlT_E_NS1_11comp_targetILNS1_3genE4ELNS1_11target_archE910ELNS1_3gpuE8ELNS1_3repE0EEENS1_30default_config_static_selectorELNS0_4arch9wavefront6targetE1EEEvT1_
	.globl	_ZN7rocprim17ROCPRIM_400000_NS6detail17trampoline_kernelINS0_14default_configENS1_35adjacent_difference_config_selectorILb0EjEEZNS1_24adjacent_difference_implIS3_Lb0ELb0EPjS7_N6thrust23THRUST_200600_302600_NS4plusIjEEEE10hipError_tPvRmT2_T3_mT4_P12ihipStream_tbEUlT_E_NS1_11comp_targetILNS1_3genE4ELNS1_11target_archE910ELNS1_3gpuE8ELNS1_3repE0EEENS1_30default_config_static_selectorELNS0_4arch9wavefront6targetE1EEEvT1_
	.p2align	8
	.type	_ZN7rocprim17ROCPRIM_400000_NS6detail17trampoline_kernelINS0_14default_configENS1_35adjacent_difference_config_selectorILb0EjEEZNS1_24adjacent_difference_implIS3_Lb0ELb0EPjS7_N6thrust23THRUST_200600_302600_NS4plusIjEEEE10hipError_tPvRmT2_T3_mT4_P12ihipStream_tbEUlT_E_NS1_11comp_targetILNS1_3genE4ELNS1_11target_archE910ELNS1_3gpuE8ELNS1_3repE0EEENS1_30default_config_static_selectorELNS0_4arch9wavefront6targetE1EEEvT1_,@function
_ZN7rocprim17ROCPRIM_400000_NS6detail17trampoline_kernelINS0_14default_configENS1_35adjacent_difference_config_selectorILb0EjEEZNS1_24adjacent_difference_implIS3_Lb0ELb0EPjS7_N6thrust23THRUST_200600_302600_NS4plusIjEEEE10hipError_tPvRmT2_T3_mT4_P12ihipStream_tbEUlT_E_NS1_11comp_targetILNS1_3genE4ELNS1_11target_archE910ELNS1_3gpuE8ELNS1_3repE0EEENS1_30default_config_static_selectorELNS0_4arch9wavefront6targetE1EEEvT1_: ; @_ZN7rocprim17ROCPRIM_400000_NS6detail17trampoline_kernelINS0_14default_configENS1_35adjacent_difference_config_selectorILb0EjEEZNS1_24adjacent_difference_implIS3_Lb0ELb0EPjS7_N6thrust23THRUST_200600_302600_NS4plusIjEEEE10hipError_tPvRmT2_T3_mT4_P12ihipStream_tbEUlT_E_NS1_11comp_targetILNS1_3genE4ELNS1_11target_archE910ELNS1_3gpuE8ELNS1_3repE0EEENS1_30default_config_static_selectorELNS0_4arch9wavefront6targetE1EEEvT1_
; %bb.0:
	.section	.rodata,"a",@progbits
	.p2align	6, 0x0
	.amdhsa_kernel _ZN7rocprim17ROCPRIM_400000_NS6detail17trampoline_kernelINS0_14default_configENS1_35adjacent_difference_config_selectorILb0EjEEZNS1_24adjacent_difference_implIS3_Lb0ELb0EPjS7_N6thrust23THRUST_200600_302600_NS4plusIjEEEE10hipError_tPvRmT2_T3_mT4_P12ihipStream_tbEUlT_E_NS1_11comp_targetILNS1_3genE4ELNS1_11target_archE910ELNS1_3gpuE8ELNS1_3repE0EEENS1_30default_config_static_selectorELNS0_4arch9wavefront6targetE1EEEvT1_
		.amdhsa_group_segment_fixed_size 0
		.amdhsa_private_segment_fixed_size 0
		.amdhsa_kernarg_size 56
		.amdhsa_user_sgpr_count 6
		.amdhsa_user_sgpr_private_segment_buffer 1
		.amdhsa_user_sgpr_dispatch_ptr 0
		.amdhsa_user_sgpr_queue_ptr 0
		.amdhsa_user_sgpr_kernarg_segment_ptr 1
		.amdhsa_user_sgpr_dispatch_id 0
		.amdhsa_user_sgpr_flat_scratch_init 0
		.amdhsa_user_sgpr_private_segment_size 0
		.amdhsa_uses_dynamic_stack 0
		.amdhsa_system_sgpr_private_segment_wavefront_offset 0
		.amdhsa_system_sgpr_workgroup_id_x 1
		.amdhsa_system_sgpr_workgroup_id_y 0
		.amdhsa_system_sgpr_workgroup_id_z 0
		.amdhsa_system_sgpr_workgroup_info 0
		.amdhsa_system_vgpr_workitem_id 0
		.amdhsa_next_free_vgpr 1
		.amdhsa_next_free_sgpr 0
		.amdhsa_reserve_vcc 0
		.amdhsa_reserve_flat_scratch 0
		.amdhsa_float_round_mode_32 0
		.amdhsa_float_round_mode_16_64 0
		.amdhsa_float_denorm_mode_32 3
		.amdhsa_float_denorm_mode_16_64 3
		.amdhsa_dx10_clamp 1
		.amdhsa_ieee_mode 1
		.amdhsa_fp16_overflow 0
		.amdhsa_exception_fp_ieee_invalid_op 0
		.amdhsa_exception_fp_denorm_src 0
		.amdhsa_exception_fp_ieee_div_zero 0
		.amdhsa_exception_fp_ieee_overflow 0
		.amdhsa_exception_fp_ieee_underflow 0
		.amdhsa_exception_fp_ieee_inexact 0
		.amdhsa_exception_int_div_zero 0
	.end_amdhsa_kernel
	.section	.text._ZN7rocprim17ROCPRIM_400000_NS6detail17trampoline_kernelINS0_14default_configENS1_35adjacent_difference_config_selectorILb0EjEEZNS1_24adjacent_difference_implIS3_Lb0ELb0EPjS7_N6thrust23THRUST_200600_302600_NS4plusIjEEEE10hipError_tPvRmT2_T3_mT4_P12ihipStream_tbEUlT_E_NS1_11comp_targetILNS1_3genE4ELNS1_11target_archE910ELNS1_3gpuE8ELNS1_3repE0EEENS1_30default_config_static_selectorELNS0_4arch9wavefront6targetE1EEEvT1_,"axG",@progbits,_ZN7rocprim17ROCPRIM_400000_NS6detail17trampoline_kernelINS0_14default_configENS1_35adjacent_difference_config_selectorILb0EjEEZNS1_24adjacent_difference_implIS3_Lb0ELb0EPjS7_N6thrust23THRUST_200600_302600_NS4plusIjEEEE10hipError_tPvRmT2_T3_mT4_P12ihipStream_tbEUlT_E_NS1_11comp_targetILNS1_3genE4ELNS1_11target_archE910ELNS1_3gpuE8ELNS1_3repE0EEENS1_30default_config_static_selectorELNS0_4arch9wavefront6targetE1EEEvT1_,comdat
.Lfunc_end183:
	.size	_ZN7rocprim17ROCPRIM_400000_NS6detail17trampoline_kernelINS0_14default_configENS1_35adjacent_difference_config_selectorILb0EjEEZNS1_24adjacent_difference_implIS3_Lb0ELb0EPjS7_N6thrust23THRUST_200600_302600_NS4plusIjEEEE10hipError_tPvRmT2_T3_mT4_P12ihipStream_tbEUlT_E_NS1_11comp_targetILNS1_3genE4ELNS1_11target_archE910ELNS1_3gpuE8ELNS1_3repE0EEENS1_30default_config_static_selectorELNS0_4arch9wavefront6targetE1EEEvT1_, .Lfunc_end183-_ZN7rocprim17ROCPRIM_400000_NS6detail17trampoline_kernelINS0_14default_configENS1_35adjacent_difference_config_selectorILb0EjEEZNS1_24adjacent_difference_implIS3_Lb0ELb0EPjS7_N6thrust23THRUST_200600_302600_NS4plusIjEEEE10hipError_tPvRmT2_T3_mT4_P12ihipStream_tbEUlT_E_NS1_11comp_targetILNS1_3genE4ELNS1_11target_archE910ELNS1_3gpuE8ELNS1_3repE0EEENS1_30default_config_static_selectorELNS0_4arch9wavefront6targetE1EEEvT1_
                                        ; -- End function
	.set _ZN7rocprim17ROCPRIM_400000_NS6detail17trampoline_kernelINS0_14default_configENS1_35adjacent_difference_config_selectorILb0EjEEZNS1_24adjacent_difference_implIS3_Lb0ELb0EPjS7_N6thrust23THRUST_200600_302600_NS4plusIjEEEE10hipError_tPvRmT2_T3_mT4_P12ihipStream_tbEUlT_E_NS1_11comp_targetILNS1_3genE4ELNS1_11target_archE910ELNS1_3gpuE8ELNS1_3repE0EEENS1_30default_config_static_selectorELNS0_4arch9wavefront6targetE1EEEvT1_.num_vgpr, 0
	.set _ZN7rocprim17ROCPRIM_400000_NS6detail17trampoline_kernelINS0_14default_configENS1_35adjacent_difference_config_selectorILb0EjEEZNS1_24adjacent_difference_implIS3_Lb0ELb0EPjS7_N6thrust23THRUST_200600_302600_NS4plusIjEEEE10hipError_tPvRmT2_T3_mT4_P12ihipStream_tbEUlT_E_NS1_11comp_targetILNS1_3genE4ELNS1_11target_archE910ELNS1_3gpuE8ELNS1_3repE0EEENS1_30default_config_static_selectorELNS0_4arch9wavefront6targetE1EEEvT1_.num_agpr, 0
	.set _ZN7rocprim17ROCPRIM_400000_NS6detail17trampoline_kernelINS0_14default_configENS1_35adjacent_difference_config_selectorILb0EjEEZNS1_24adjacent_difference_implIS3_Lb0ELb0EPjS7_N6thrust23THRUST_200600_302600_NS4plusIjEEEE10hipError_tPvRmT2_T3_mT4_P12ihipStream_tbEUlT_E_NS1_11comp_targetILNS1_3genE4ELNS1_11target_archE910ELNS1_3gpuE8ELNS1_3repE0EEENS1_30default_config_static_selectorELNS0_4arch9wavefront6targetE1EEEvT1_.numbered_sgpr, 0
	.set _ZN7rocprim17ROCPRIM_400000_NS6detail17trampoline_kernelINS0_14default_configENS1_35adjacent_difference_config_selectorILb0EjEEZNS1_24adjacent_difference_implIS3_Lb0ELb0EPjS7_N6thrust23THRUST_200600_302600_NS4plusIjEEEE10hipError_tPvRmT2_T3_mT4_P12ihipStream_tbEUlT_E_NS1_11comp_targetILNS1_3genE4ELNS1_11target_archE910ELNS1_3gpuE8ELNS1_3repE0EEENS1_30default_config_static_selectorELNS0_4arch9wavefront6targetE1EEEvT1_.num_named_barrier, 0
	.set _ZN7rocprim17ROCPRIM_400000_NS6detail17trampoline_kernelINS0_14default_configENS1_35adjacent_difference_config_selectorILb0EjEEZNS1_24adjacent_difference_implIS3_Lb0ELb0EPjS7_N6thrust23THRUST_200600_302600_NS4plusIjEEEE10hipError_tPvRmT2_T3_mT4_P12ihipStream_tbEUlT_E_NS1_11comp_targetILNS1_3genE4ELNS1_11target_archE910ELNS1_3gpuE8ELNS1_3repE0EEENS1_30default_config_static_selectorELNS0_4arch9wavefront6targetE1EEEvT1_.private_seg_size, 0
	.set _ZN7rocprim17ROCPRIM_400000_NS6detail17trampoline_kernelINS0_14default_configENS1_35adjacent_difference_config_selectorILb0EjEEZNS1_24adjacent_difference_implIS3_Lb0ELb0EPjS7_N6thrust23THRUST_200600_302600_NS4plusIjEEEE10hipError_tPvRmT2_T3_mT4_P12ihipStream_tbEUlT_E_NS1_11comp_targetILNS1_3genE4ELNS1_11target_archE910ELNS1_3gpuE8ELNS1_3repE0EEENS1_30default_config_static_selectorELNS0_4arch9wavefront6targetE1EEEvT1_.uses_vcc, 0
	.set _ZN7rocprim17ROCPRIM_400000_NS6detail17trampoline_kernelINS0_14default_configENS1_35adjacent_difference_config_selectorILb0EjEEZNS1_24adjacent_difference_implIS3_Lb0ELb0EPjS7_N6thrust23THRUST_200600_302600_NS4plusIjEEEE10hipError_tPvRmT2_T3_mT4_P12ihipStream_tbEUlT_E_NS1_11comp_targetILNS1_3genE4ELNS1_11target_archE910ELNS1_3gpuE8ELNS1_3repE0EEENS1_30default_config_static_selectorELNS0_4arch9wavefront6targetE1EEEvT1_.uses_flat_scratch, 0
	.set _ZN7rocprim17ROCPRIM_400000_NS6detail17trampoline_kernelINS0_14default_configENS1_35adjacent_difference_config_selectorILb0EjEEZNS1_24adjacent_difference_implIS3_Lb0ELb0EPjS7_N6thrust23THRUST_200600_302600_NS4plusIjEEEE10hipError_tPvRmT2_T3_mT4_P12ihipStream_tbEUlT_E_NS1_11comp_targetILNS1_3genE4ELNS1_11target_archE910ELNS1_3gpuE8ELNS1_3repE0EEENS1_30default_config_static_selectorELNS0_4arch9wavefront6targetE1EEEvT1_.has_dyn_sized_stack, 0
	.set _ZN7rocprim17ROCPRIM_400000_NS6detail17trampoline_kernelINS0_14default_configENS1_35adjacent_difference_config_selectorILb0EjEEZNS1_24adjacent_difference_implIS3_Lb0ELb0EPjS7_N6thrust23THRUST_200600_302600_NS4plusIjEEEE10hipError_tPvRmT2_T3_mT4_P12ihipStream_tbEUlT_E_NS1_11comp_targetILNS1_3genE4ELNS1_11target_archE910ELNS1_3gpuE8ELNS1_3repE0EEENS1_30default_config_static_selectorELNS0_4arch9wavefront6targetE1EEEvT1_.has_recursion, 0
	.set _ZN7rocprim17ROCPRIM_400000_NS6detail17trampoline_kernelINS0_14default_configENS1_35adjacent_difference_config_selectorILb0EjEEZNS1_24adjacent_difference_implIS3_Lb0ELb0EPjS7_N6thrust23THRUST_200600_302600_NS4plusIjEEEE10hipError_tPvRmT2_T3_mT4_P12ihipStream_tbEUlT_E_NS1_11comp_targetILNS1_3genE4ELNS1_11target_archE910ELNS1_3gpuE8ELNS1_3repE0EEENS1_30default_config_static_selectorELNS0_4arch9wavefront6targetE1EEEvT1_.has_indirect_call, 0
	.section	.AMDGPU.csdata,"",@progbits
; Kernel info:
; codeLenInByte = 0
; TotalNumSgprs: 4
; NumVgprs: 0
; ScratchSize: 0
; MemoryBound: 0
; FloatMode: 240
; IeeeMode: 1
; LDSByteSize: 0 bytes/workgroup (compile time only)
; SGPRBlocks: 0
; VGPRBlocks: 0
; NumSGPRsForWavesPerEU: 4
; NumVGPRsForWavesPerEU: 1
; Occupancy: 10
; WaveLimiterHint : 0
; COMPUTE_PGM_RSRC2:SCRATCH_EN: 0
; COMPUTE_PGM_RSRC2:USER_SGPR: 6
; COMPUTE_PGM_RSRC2:TRAP_HANDLER: 0
; COMPUTE_PGM_RSRC2:TGID_X_EN: 1
; COMPUTE_PGM_RSRC2:TGID_Y_EN: 0
; COMPUTE_PGM_RSRC2:TGID_Z_EN: 0
; COMPUTE_PGM_RSRC2:TIDIG_COMP_CNT: 0
	.section	.text._ZN7rocprim17ROCPRIM_400000_NS6detail17trampoline_kernelINS0_14default_configENS1_35adjacent_difference_config_selectorILb0EjEEZNS1_24adjacent_difference_implIS3_Lb0ELb0EPjS7_N6thrust23THRUST_200600_302600_NS4plusIjEEEE10hipError_tPvRmT2_T3_mT4_P12ihipStream_tbEUlT_E_NS1_11comp_targetILNS1_3genE3ELNS1_11target_archE908ELNS1_3gpuE7ELNS1_3repE0EEENS1_30default_config_static_selectorELNS0_4arch9wavefront6targetE1EEEvT1_,"axG",@progbits,_ZN7rocprim17ROCPRIM_400000_NS6detail17trampoline_kernelINS0_14default_configENS1_35adjacent_difference_config_selectorILb0EjEEZNS1_24adjacent_difference_implIS3_Lb0ELb0EPjS7_N6thrust23THRUST_200600_302600_NS4plusIjEEEE10hipError_tPvRmT2_T3_mT4_P12ihipStream_tbEUlT_E_NS1_11comp_targetILNS1_3genE3ELNS1_11target_archE908ELNS1_3gpuE7ELNS1_3repE0EEENS1_30default_config_static_selectorELNS0_4arch9wavefront6targetE1EEEvT1_,comdat
	.protected	_ZN7rocprim17ROCPRIM_400000_NS6detail17trampoline_kernelINS0_14default_configENS1_35adjacent_difference_config_selectorILb0EjEEZNS1_24adjacent_difference_implIS3_Lb0ELb0EPjS7_N6thrust23THRUST_200600_302600_NS4plusIjEEEE10hipError_tPvRmT2_T3_mT4_P12ihipStream_tbEUlT_E_NS1_11comp_targetILNS1_3genE3ELNS1_11target_archE908ELNS1_3gpuE7ELNS1_3repE0EEENS1_30default_config_static_selectorELNS0_4arch9wavefront6targetE1EEEvT1_ ; -- Begin function _ZN7rocprim17ROCPRIM_400000_NS6detail17trampoline_kernelINS0_14default_configENS1_35adjacent_difference_config_selectorILb0EjEEZNS1_24adjacent_difference_implIS3_Lb0ELb0EPjS7_N6thrust23THRUST_200600_302600_NS4plusIjEEEE10hipError_tPvRmT2_T3_mT4_P12ihipStream_tbEUlT_E_NS1_11comp_targetILNS1_3genE3ELNS1_11target_archE908ELNS1_3gpuE7ELNS1_3repE0EEENS1_30default_config_static_selectorELNS0_4arch9wavefront6targetE1EEEvT1_
	.globl	_ZN7rocprim17ROCPRIM_400000_NS6detail17trampoline_kernelINS0_14default_configENS1_35adjacent_difference_config_selectorILb0EjEEZNS1_24adjacent_difference_implIS3_Lb0ELb0EPjS7_N6thrust23THRUST_200600_302600_NS4plusIjEEEE10hipError_tPvRmT2_T3_mT4_P12ihipStream_tbEUlT_E_NS1_11comp_targetILNS1_3genE3ELNS1_11target_archE908ELNS1_3gpuE7ELNS1_3repE0EEENS1_30default_config_static_selectorELNS0_4arch9wavefront6targetE1EEEvT1_
	.p2align	8
	.type	_ZN7rocprim17ROCPRIM_400000_NS6detail17trampoline_kernelINS0_14default_configENS1_35adjacent_difference_config_selectorILb0EjEEZNS1_24adjacent_difference_implIS3_Lb0ELb0EPjS7_N6thrust23THRUST_200600_302600_NS4plusIjEEEE10hipError_tPvRmT2_T3_mT4_P12ihipStream_tbEUlT_E_NS1_11comp_targetILNS1_3genE3ELNS1_11target_archE908ELNS1_3gpuE7ELNS1_3repE0EEENS1_30default_config_static_selectorELNS0_4arch9wavefront6targetE1EEEvT1_,@function
_ZN7rocprim17ROCPRIM_400000_NS6detail17trampoline_kernelINS0_14default_configENS1_35adjacent_difference_config_selectorILb0EjEEZNS1_24adjacent_difference_implIS3_Lb0ELb0EPjS7_N6thrust23THRUST_200600_302600_NS4plusIjEEEE10hipError_tPvRmT2_T3_mT4_P12ihipStream_tbEUlT_E_NS1_11comp_targetILNS1_3genE3ELNS1_11target_archE908ELNS1_3gpuE7ELNS1_3repE0EEENS1_30default_config_static_selectorELNS0_4arch9wavefront6targetE1EEEvT1_: ; @_ZN7rocprim17ROCPRIM_400000_NS6detail17trampoline_kernelINS0_14default_configENS1_35adjacent_difference_config_selectorILb0EjEEZNS1_24adjacent_difference_implIS3_Lb0ELb0EPjS7_N6thrust23THRUST_200600_302600_NS4plusIjEEEE10hipError_tPvRmT2_T3_mT4_P12ihipStream_tbEUlT_E_NS1_11comp_targetILNS1_3genE3ELNS1_11target_archE908ELNS1_3gpuE7ELNS1_3repE0EEENS1_30default_config_static_selectorELNS0_4arch9wavefront6targetE1EEEvT1_
; %bb.0:
	.section	.rodata,"a",@progbits
	.p2align	6, 0x0
	.amdhsa_kernel _ZN7rocprim17ROCPRIM_400000_NS6detail17trampoline_kernelINS0_14default_configENS1_35adjacent_difference_config_selectorILb0EjEEZNS1_24adjacent_difference_implIS3_Lb0ELb0EPjS7_N6thrust23THRUST_200600_302600_NS4plusIjEEEE10hipError_tPvRmT2_T3_mT4_P12ihipStream_tbEUlT_E_NS1_11comp_targetILNS1_3genE3ELNS1_11target_archE908ELNS1_3gpuE7ELNS1_3repE0EEENS1_30default_config_static_selectorELNS0_4arch9wavefront6targetE1EEEvT1_
		.amdhsa_group_segment_fixed_size 0
		.amdhsa_private_segment_fixed_size 0
		.amdhsa_kernarg_size 56
		.amdhsa_user_sgpr_count 6
		.amdhsa_user_sgpr_private_segment_buffer 1
		.amdhsa_user_sgpr_dispatch_ptr 0
		.amdhsa_user_sgpr_queue_ptr 0
		.amdhsa_user_sgpr_kernarg_segment_ptr 1
		.amdhsa_user_sgpr_dispatch_id 0
		.amdhsa_user_sgpr_flat_scratch_init 0
		.amdhsa_user_sgpr_private_segment_size 0
		.amdhsa_uses_dynamic_stack 0
		.amdhsa_system_sgpr_private_segment_wavefront_offset 0
		.amdhsa_system_sgpr_workgroup_id_x 1
		.amdhsa_system_sgpr_workgroup_id_y 0
		.amdhsa_system_sgpr_workgroup_id_z 0
		.amdhsa_system_sgpr_workgroup_info 0
		.amdhsa_system_vgpr_workitem_id 0
		.amdhsa_next_free_vgpr 1
		.amdhsa_next_free_sgpr 0
		.amdhsa_reserve_vcc 0
		.amdhsa_reserve_flat_scratch 0
		.amdhsa_float_round_mode_32 0
		.amdhsa_float_round_mode_16_64 0
		.amdhsa_float_denorm_mode_32 3
		.amdhsa_float_denorm_mode_16_64 3
		.amdhsa_dx10_clamp 1
		.amdhsa_ieee_mode 1
		.amdhsa_fp16_overflow 0
		.amdhsa_exception_fp_ieee_invalid_op 0
		.amdhsa_exception_fp_denorm_src 0
		.amdhsa_exception_fp_ieee_div_zero 0
		.amdhsa_exception_fp_ieee_overflow 0
		.amdhsa_exception_fp_ieee_underflow 0
		.amdhsa_exception_fp_ieee_inexact 0
		.amdhsa_exception_int_div_zero 0
	.end_amdhsa_kernel
	.section	.text._ZN7rocprim17ROCPRIM_400000_NS6detail17trampoline_kernelINS0_14default_configENS1_35adjacent_difference_config_selectorILb0EjEEZNS1_24adjacent_difference_implIS3_Lb0ELb0EPjS7_N6thrust23THRUST_200600_302600_NS4plusIjEEEE10hipError_tPvRmT2_T3_mT4_P12ihipStream_tbEUlT_E_NS1_11comp_targetILNS1_3genE3ELNS1_11target_archE908ELNS1_3gpuE7ELNS1_3repE0EEENS1_30default_config_static_selectorELNS0_4arch9wavefront6targetE1EEEvT1_,"axG",@progbits,_ZN7rocprim17ROCPRIM_400000_NS6detail17trampoline_kernelINS0_14default_configENS1_35adjacent_difference_config_selectorILb0EjEEZNS1_24adjacent_difference_implIS3_Lb0ELb0EPjS7_N6thrust23THRUST_200600_302600_NS4plusIjEEEE10hipError_tPvRmT2_T3_mT4_P12ihipStream_tbEUlT_E_NS1_11comp_targetILNS1_3genE3ELNS1_11target_archE908ELNS1_3gpuE7ELNS1_3repE0EEENS1_30default_config_static_selectorELNS0_4arch9wavefront6targetE1EEEvT1_,comdat
.Lfunc_end184:
	.size	_ZN7rocprim17ROCPRIM_400000_NS6detail17trampoline_kernelINS0_14default_configENS1_35adjacent_difference_config_selectorILb0EjEEZNS1_24adjacent_difference_implIS3_Lb0ELb0EPjS7_N6thrust23THRUST_200600_302600_NS4plusIjEEEE10hipError_tPvRmT2_T3_mT4_P12ihipStream_tbEUlT_E_NS1_11comp_targetILNS1_3genE3ELNS1_11target_archE908ELNS1_3gpuE7ELNS1_3repE0EEENS1_30default_config_static_selectorELNS0_4arch9wavefront6targetE1EEEvT1_, .Lfunc_end184-_ZN7rocprim17ROCPRIM_400000_NS6detail17trampoline_kernelINS0_14default_configENS1_35adjacent_difference_config_selectorILb0EjEEZNS1_24adjacent_difference_implIS3_Lb0ELb0EPjS7_N6thrust23THRUST_200600_302600_NS4plusIjEEEE10hipError_tPvRmT2_T3_mT4_P12ihipStream_tbEUlT_E_NS1_11comp_targetILNS1_3genE3ELNS1_11target_archE908ELNS1_3gpuE7ELNS1_3repE0EEENS1_30default_config_static_selectorELNS0_4arch9wavefront6targetE1EEEvT1_
                                        ; -- End function
	.set _ZN7rocprim17ROCPRIM_400000_NS6detail17trampoline_kernelINS0_14default_configENS1_35adjacent_difference_config_selectorILb0EjEEZNS1_24adjacent_difference_implIS3_Lb0ELb0EPjS7_N6thrust23THRUST_200600_302600_NS4plusIjEEEE10hipError_tPvRmT2_T3_mT4_P12ihipStream_tbEUlT_E_NS1_11comp_targetILNS1_3genE3ELNS1_11target_archE908ELNS1_3gpuE7ELNS1_3repE0EEENS1_30default_config_static_selectorELNS0_4arch9wavefront6targetE1EEEvT1_.num_vgpr, 0
	.set _ZN7rocprim17ROCPRIM_400000_NS6detail17trampoline_kernelINS0_14default_configENS1_35adjacent_difference_config_selectorILb0EjEEZNS1_24adjacent_difference_implIS3_Lb0ELb0EPjS7_N6thrust23THRUST_200600_302600_NS4plusIjEEEE10hipError_tPvRmT2_T3_mT4_P12ihipStream_tbEUlT_E_NS1_11comp_targetILNS1_3genE3ELNS1_11target_archE908ELNS1_3gpuE7ELNS1_3repE0EEENS1_30default_config_static_selectorELNS0_4arch9wavefront6targetE1EEEvT1_.num_agpr, 0
	.set _ZN7rocprim17ROCPRIM_400000_NS6detail17trampoline_kernelINS0_14default_configENS1_35adjacent_difference_config_selectorILb0EjEEZNS1_24adjacent_difference_implIS3_Lb0ELb0EPjS7_N6thrust23THRUST_200600_302600_NS4plusIjEEEE10hipError_tPvRmT2_T3_mT4_P12ihipStream_tbEUlT_E_NS1_11comp_targetILNS1_3genE3ELNS1_11target_archE908ELNS1_3gpuE7ELNS1_3repE0EEENS1_30default_config_static_selectorELNS0_4arch9wavefront6targetE1EEEvT1_.numbered_sgpr, 0
	.set _ZN7rocprim17ROCPRIM_400000_NS6detail17trampoline_kernelINS0_14default_configENS1_35adjacent_difference_config_selectorILb0EjEEZNS1_24adjacent_difference_implIS3_Lb0ELb0EPjS7_N6thrust23THRUST_200600_302600_NS4plusIjEEEE10hipError_tPvRmT2_T3_mT4_P12ihipStream_tbEUlT_E_NS1_11comp_targetILNS1_3genE3ELNS1_11target_archE908ELNS1_3gpuE7ELNS1_3repE0EEENS1_30default_config_static_selectorELNS0_4arch9wavefront6targetE1EEEvT1_.num_named_barrier, 0
	.set _ZN7rocprim17ROCPRIM_400000_NS6detail17trampoline_kernelINS0_14default_configENS1_35adjacent_difference_config_selectorILb0EjEEZNS1_24adjacent_difference_implIS3_Lb0ELb0EPjS7_N6thrust23THRUST_200600_302600_NS4plusIjEEEE10hipError_tPvRmT2_T3_mT4_P12ihipStream_tbEUlT_E_NS1_11comp_targetILNS1_3genE3ELNS1_11target_archE908ELNS1_3gpuE7ELNS1_3repE0EEENS1_30default_config_static_selectorELNS0_4arch9wavefront6targetE1EEEvT1_.private_seg_size, 0
	.set _ZN7rocprim17ROCPRIM_400000_NS6detail17trampoline_kernelINS0_14default_configENS1_35adjacent_difference_config_selectorILb0EjEEZNS1_24adjacent_difference_implIS3_Lb0ELb0EPjS7_N6thrust23THRUST_200600_302600_NS4plusIjEEEE10hipError_tPvRmT2_T3_mT4_P12ihipStream_tbEUlT_E_NS1_11comp_targetILNS1_3genE3ELNS1_11target_archE908ELNS1_3gpuE7ELNS1_3repE0EEENS1_30default_config_static_selectorELNS0_4arch9wavefront6targetE1EEEvT1_.uses_vcc, 0
	.set _ZN7rocprim17ROCPRIM_400000_NS6detail17trampoline_kernelINS0_14default_configENS1_35adjacent_difference_config_selectorILb0EjEEZNS1_24adjacent_difference_implIS3_Lb0ELb0EPjS7_N6thrust23THRUST_200600_302600_NS4plusIjEEEE10hipError_tPvRmT2_T3_mT4_P12ihipStream_tbEUlT_E_NS1_11comp_targetILNS1_3genE3ELNS1_11target_archE908ELNS1_3gpuE7ELNS1_3repE0EEENS1_30default_config_static_selectorELNS0_4arch9wavefront6targetE1EEEvT1_.uses_flat_scratch, 0
	.set _ZN7rocprim17ROCPRIM_400000_NS6detail17trampoline_kernelINS0_14default_configENS1_35adjacent_difference_config_selectorILb0EjEEZNS1_24adjacent_difference_implIS3_Lb0ELb0EPjS7_N6thrust23THRUST_200600_302600_NS4plusIjEEEE10hipError_tPvRmT2_T3_mT4_P12ihipStream_tbEUlT_E_NS1_11comp_targetILNS1_3genE3ELNS1_11target_archE908ELNS1_3gpuE7ELNS1_3repE0EEENS1_30default_config_static_selectorELNS0_4arch9wavefront6targetE1EEEvT1_.has_dyn_sized_stack, 0
	.set _ZN7rocprim17ROCPRIM_400000_NS6detail17trampoline_kernelINS0_14default_configENS1_35adjacent_difference_config_selectorILb0EjEEZNS1_24adjacent_difference_implIS3_Lb0ELb0EPjS7_N6thrust23THRUST_200600_302600_NS4plusIjEEEE10hipError_tPvRmT2_T3_mT4_P12ihipStream_tbEUlT_E_NS1_11comp_targetILNS1_3genE3ELNS1_11target_archE908ELNS1_3gpuE7ELNS1_3repE0EEENS1_30default_config_static_selectorELNS0_4arch9wavefront6targetE1EEEvT1_.has_recursion, 0
	.set _ZN7rocprim17ROCPRIM_400000_NS6detail17trampoline_kernelINS0_14default_configENS1_35adjacent_difference_config_selectorILb0EjEEZNS1_24adjacent_difference_implIS3_Lb0ELb0EPjS7_N6thrust23THRUST_200600_302600_NS4plusIjEEEE10hipError_tPvRmT2_T3_mT4_P12ihipStream_tbEUlT_E_NS1_11comp_targetILNS1_3genE3ELNS1_11target_archE908ELNS1_3gpuE7ELNS1_3repE0EEENS1_30default_config_static_selectorELNS0_4arch9wavefront6targetE1EEEvT1_.has_indirect_call, 0
	.section	.AMDGPU.csdata,"",@progbits
; Kernel info:
; codeLenInByte = 0
; TotalNumSgprs: 4
; NumVgprs: 0
; ScratchSize: 0
; MemoryBound: 0
; FloatMode: 240
; IeeeMode: 1
; LDSByteSize: 0 bytes/workgroup (compile time only)
; SGPRBlocks: 0
; VGPRBlocks: 0
; NumSGPRsForWavesPerEU: 4
; NumVGPRsForWavesPerEU: 1
; Occupancy: 10
; WaveLimiterHint : 0
; COMPUTE_PGM_RSRC2:SCRATCH_EN: 0
; COMPUTE_PGM_RSRC2:USER_SGPR: 6
; COMPUTE_PGM_RSRC2:TRAP_HANDLER: 0
; COMPUTE_PGM_RSRC2:TGID_X_EN: 1
; COMPUTE_PGM_RSRC2:TGID_Y_EN: 0
; COMPUTE_PGM_RSRC2:TGID_Z_EN: 0
; COMPUTE_PGM_RSRC2:TIDIG_COMP_CNT: 0
	.section	.text._ZN7rocprim17ROCPRIM_400000_NS6detail17trampoline_kernelINS0_14default_configENS1_35adjacent_difference_config_selectorILb0EjEEZNS1_24adjacent_difference_implIS3_Lb0ELb0EPjS7_N6thrust23THRUST_200600_302600_NS4plusIjEEEE10hipError_tPvRmT2_T3_mT4_P12ihipStream_tbEUlT_E_NS1_11comp_targetILNS1_3genE2ELNS1_11target_archE906ELNS1_3gpuE6ELNS1_3repE0EEENS1_30default_config_static_selectorELNS0_4arch9wavefront6targetE1EEEvT1_,"axG",@progbits,_ZN7rocprim17ROCPRIM_400000_NS6detail17trampoline_kernelINS0_14default_configENS1_35adjacent_difference_config_selectorILb0EjEEZNS1_24adjacent_difference_implIS3_Lb0ELb0EPjS7_N6thrust23THRUST_200600_302600_NS4plusIjEEEE10hipError_tPvRmT2_T3_mT4_P12ihipStream_tbEUlT_E_NS1_11comp_targetILNS1_3genE2ELNS1_11target_archE906ELNS1_3gpuE6ELNS1_3repE0EEENS1_30default_config_static_selectorELNS0_4arch9wavefront6targetE1EEEvT1_,comdat
	.protected	_ZN7rocprim17ROCPRIM_400000_NS6detail17trampoline_kernelINS0_14default_configENS1_35adjacent_difference_config_selectorILb0EjEEZNS1_24adjacent_difference_implIS3_Lb0ELb0EPjS7_N6thrust23THRUST_200600_302600_NS4plusIjEEEE10hipError_tPvRmT2_T3_mT4_P12ihipStream_tbEUlT_E_NS1_11comp_targetILNS1_3genE2ELNS1_11target_archE906ELNS1_3gpuE6ELNS1_3repE0EEENS1_30default_config_static_selectorELNS0_4arch9wavefront6targetE1EEEvT1_ ; -- Begin function _ZN7rocprim17ROCPRIM_400000_NS6detail17trampoline_kernelINS0_14default_configENS1_35adjacent_difference_config_selectorILb0EjEEZNS1_24adjacent_difference_implIS3_Lb0ELb0EPjS7_N6thrust23THRUST_200600_302600_NS4plusIjEEEE10hipError_tPvRmT2_T3_mT4_P12ihipStream_tbEUlT_E_NS1_11comp_targetILNS1_3genE2ELNS1_11target_archE906ELNS1_3gpuE6ELNS1_3repE0EEENS1_30default_config_static_selectorELNS0_4arch9wavefront6targetE1EEEvT1_
	.globl	_ZN7rocprim17ROCPRIM_400000_NS6detail17trampoline_kernelINS0_14default_configENS1_35adjacent_difference_config_selectorILb0EjEEZNS1_24adjacent_difference_implIS3_Lb0ELb0EPjS7_N6thrust23THRUST_200600_302600_NS4plusIjEEEE10hipError_tPvRmT2_T3_mT4_P12ihipStream_tbEUlT_E_NS1_11comp_targetILNS1_3genE2ELNS1_11target_archE906ELNS1_3gpuE6ELNS1_3repE0EEENS1_30default_config_static_selectorELNS0_4arch9wavefront6targetE1EEEvT1_
	.p2align	8
	.type	_ZN7rocprim17ROCPRIM_400000_NS6detail17trampoline_kernelINS0_14default_configENS1_35adjacent_difference_config_selectorILb0EjEEZNS1_24adjacent_difference_implIS3_Lb0ELb0EPjS7_N6thrust23THRUST_200600_302600_NS4plusIjEEEE10hipError_tPvRmT2_T3_mT4_P12ihipStream_tbEUlT_E_NS1_11comp_targetILNS1_3genE2ELNS1_11target_archE906ELNS1_3gpuE6ELNS1_3repE0EEENS1_30default_config_static_selectorELNS0_4arch9wavefront6targetE1EEEvT1_,@function
_ZN7rocprim17ROCPRIM_400000_NS6detail17trampoline_kernelINS0_14default_configENS1_35adjacent_difference_config_selectorILb0EjEEZNS1_24adjacent_difference_implIS3_Lb0ELb0EPjS7_N6thrust23THRUST_200600_302600_NS4plusIjEEEE10hipError_tPvRmT2_T3_mT4_P12ihipStream_tbEUlT_E_NS1_11comp_targetILNS1_3genE2ELNS1_11target_archE906ELNS1_3gpuE6ELNS1_3repE0EEENS1_30default_config_static_selectorELNS0_4arch9wavefront6targetE1EEEvT1_: ; @_ZN7rocprim17ROCPRIM_400000_NS6detail17trampoline_kernelINS0_14default_configENS1_35adjacent_difference_config_selectorILb0EjEEZNS1_24adjacent_difference_implIS3_Lb0ELb0EPjS7_N6thrust23THRUST_200600_302600_NS4plusIjEEEE10hipError_tPvRmT2_T3_mT4_P12ihipStream_tbEUlT_E_NS1_11comp_targetILNS1_3genE2ELNS1_11target_archE906ELNS1_3gpuE6ELNS1_3repE0EEENS1_30default_config_static_selectorELNS0_4arch9wavefront6targetE1EEEvT1_
; %bb.0:
	s_load_dwordx8 s[8:15], s[4:5], 0x0
	s_load_dwordx2 s[0:1], s[4:5], 0x30
	s_mul_i32 s16, s6, 0x1400
	s_mov_b32 s17, 0
	s_waitcnt lgkmcnt(0)
	s_lshl_b64 s[18:19], s[10:11], 2
	s_add_u32 s20, s8, s18
	s_addc_u32 s21, s9, s19
	s_mul_i32 s5, s15, 0xcccccccd
	s_mul_hi_u32 s7, s14, 0xcccccccd
	s_mul_hi_u32 s4, s15, 0xcccccccd
	s_add_u32 s5, s5, s7
	s_mul_i32 s3, s14, 0xcccccccc
	s_addc_u32 s4, s4, 0
	s_mul_hi_u32 s2, s14, 0xcccccccc
	s_add_u32 s3, s3, s5
	s_addc_u32 s2, s2, 0
	s_add_u32 s2, s4, s2
	s_addc_u32 s3, 0, 0
	s_mul_i32 s5, s15, 0xcccccccc
	s_mul_hi_u32 s4, s15, 0xcccccccc
	s_add_u32 s2, s5, s2
	s_addc_u32 s3, s4, s3
	s_lshr_b64 s[4:5], s[2:3], 12
	s_lshr_b32 s2, s3, 12
	s_mulk_i32 s2, 0x1400
	s_mul_hi_u32 s3, s4, 0x1400
	s_add_i32 s3, s3, s2
	s_mul_i32 s2, s4, 0x1400
	s_sub_u32 s2, s14, s2
	s_subb_u32 s3, s15, s3
	s_cmp_lg_u64 s[2:3], 0
	s_cselect_b64 s[2:3], -1, 0
	v_cndmask_b32_e64 v1, 0, 1, s[2:3]
	v_readfirstlane_b32 s2, v1
	s_add_u32 s2, s4, s2
	s_addc_u32 s3, s5, 0
	s_add_u32 s4, s0, s6
	s_addc_u32 s5, s1, 0
	s_add_u32 s6, s2, -1
	s_addc_u32 s7, s3, -1
	v_mov_b32_e32 v1, s6
	v_mov_b32_e32 v2, s7
	v_cmp_ge_u64_e64 s[0:1], s[4:5], v[1:2]
	s_mov_b64 s[8:9], -1
	s_and_b64 vcc, exec, s[0:1]
	s_mul_i32 s15, s6, 0xffffec00
	s_cbranch_vccz .LBB185_12
; %bb.1:
	s_add_i32 s22, s15, s14
	s_lshl_b64 s[8:9], s[16:17], 2
	s_add_u32 s8, s20, s8
	v_mov_b32_e32 v1, 0
	s_addc_u32 s9, s21, s9
	v_cmp_gt_u32_e32 vcc, s22, v0
	v_mov_b32_e32 v2, v1
	v_mov_b32_e32 v3, v1
	;; [unrolled: 1-line block ×4, first 2 shown]
	s_and_saveexec_b64 s[10:11], vcc
	s_cbranch_execz .LBB185_3
; %bb.2:
	v_lshlrev_b32_e32 v2, 2, v0
	global_load_dword v2, v2, s[8:9]
	v_mov_b32_e32 v3, v1
	v_mov_b32_e32 v4, v1
	;; [unrolled: 1-line block ×4, first 2 shown]
	s_waitcnt vmcnt(0)
	v_mov_b32_e32 v1, v2
	v_mov_b32_e32 v2, v3
	;; [unrolled: 1-line block ×5, first 2 shown]
.LBB185_3:
	s_or_b64 exec, exec, s[10:11]
	v_or_b32_e32 v6, 0x400, v0
	v_cmp_gt_u32_e32 vcc, s22, v6
	s_and_saveexec_b64 s[10:11], vcc
	s_cbranch_execz .LBB185_5
; %bb.4:
	v_lshlrev_b32_e32 v2, 2, v6
	global_load_dword v2, v2, s[8:9]
.LBB185_5:
	s_or_b64 exec, exec, s[10:11]
	v_or_b32_e32 v6, 0x800, v0
	v_cmp_gt_u32_e32 vcc, s22, v6
	s_and_saveexec_b64 s[10:11], vcc
	s_cbranch_execz .LBB185_7
; %bb.6:
	v_lshlrev_b32_e32 v3, 2, v6
	global_load_dword v3, v3, s[8:9]
.LBB185_7:
	s_or_b64 exec, exec, s[10:11]
	v_or_b32_e32 v6, 0xc00, v0
	v_cmp_gt_u32_e32 vcc, s22, v6
	s_and_saveexec_b64 s[10:11], vcc
	s_cbranch_execz .LBB185_9
; %bb.8:
	v_lshlrev_b32_e32 v4, 2, v6
	global_load_dword v4, v4, s[8:9]
.LBB185_9:
	s_or_b64 exec, exec, s[10:11]
	v_or_b32_e32 v6, 0x1000, v0
	v_cmp_gt_u32_e32 vcc, s22, v6
	s_and_saveexec_b64 s[10:11], vcc
	s_cbranch_execz .LBB185_11
; %bb.10:
	v_lshlrev_b32_e32 v5, 2, v6
	global_load_dword v5, v5, s[8:9]
.LBB185_11:
	s_or_b64 exec, exec, s[10:11]
	v_lshlrev_b32_e32 v6, 2, v0
	s_mov_b64 s[8:9], 0
	s_waitcnt vmcnt(0)
	ds_write2st64_b32 v6, v1, v2 offset1:16
	ds_write2st64_b32 v6, v3, v4 offset0:32 offset1:48
	ds_write_b32 v6, v5 offset:16384
	s_waitcnt lgkmcnt(0)
	s_barrier
.LBB185_12:
	s_and_b64 vcc, exec, s[8:9]
	v_lshlrev_b32_e32 v8, 2, v0
	s_cbranch_vccz .LBB185_14
; %bb.13:
	s_lshl_b64 s[8:9], s[16:17], 2
	s_add_u32 s8, s20, s8
	s_addc_u32 s9, s21, s9
	v_mov_b32_e32 v1, s9
	v_add_co_u32_e32 v7, vcc, s8, v8
	v_addc_co_u32_e32 v10, vcc, 0, v1, vcc
	v_add_co_u32_e32 v1, vcc, 0x1000, v7
	v_addc_co_u32_e32 v2, vcc, 0, v10, vcc
	v_add_co_u32_e32 v3, vcc, 0x2000, v7
	v_addc_co_u32_e32 v4, vcc, 0, v10, vcc
	v_add_co_u32_e32 v5, vcc, 0x3000, v7
	v_addc_co_u32_e32 v6, vcc, 0, v10, vcc
	v_add_co_u32_e32 v9, vcc, 0x4000, v7
	v_addc_co_u32_e32 v10, vcc, 0, v10, vcc
	global_load_dword v7, v8, s[8:9]
	global_load_dword v11, v[1:2], off
	global_load_dword v12, v[3:4], off
	;; [unrolled: 1-line block ×4, first 2 shown]
	s_waitcnt vmcnt(3)
	ds_write2st64_b32 v8, v7, v11 offset1:16
	s_waitcnt vmcnt(1)
	ds_write2st64_b32 v8, v12, v13 offset0:32 offset1:48
	s_waitcnt vmcnt(0)
	ds_write_b32 v8, v14 offset:16384
	s_waitcnt lgkmcnt(0)
	s_barrier
.LBB185_14:
	v_mul_u32_u24_e32 v9, 20, v0
	ds_read2_b32 v[1:2], v9 offset1:1
	ds_read2_b32 v[3:4], v9 offset0:2 offset1:3
	ds_read_b32 v5, v9 offset:16
	s_cmp_eq_u64 s[4:5], 0
	s_waitcnt lgkmcnt(0)
	s_barrier
	s_cbranch_scc1 .LBB185_19
; %bb.15:
	s_lshl_b64 s[8:9], s[16:17], 2
	s_add_u32 s8, s20, s8
	s_addc_u32 s9, s21, s9
	s_add_u32 s8, s8, -4
	s_addc_u32 s9, s9, -1
	s_load_dword s8, s[8:9], 0x0
	s_cmp_eq_u64 s[4:5], s[6:7]
	s_cbranch_scc1 .LBB185_20
; %bb.16:
	v_cmp_ne_u32_e32 vcc, 0, v0
	s_waitcnt lgkmcnt(0)
	v_mov_b32_e32 v6, s8
	ds_write_b32 v8, v5
	s_waitcnt lgkmcnt(0)
	s_barrier
	s_and_saveexec_b64 s[6:7], vcc
; %bb.17:
	v_add_u32_e32 v6, -4, v8
	ds_read_b32 v6, v6
; %bb.18:
	s_or_b64 exec, exec, s[6:7]
	v_add_u32_e32 v10, v5, v4
	v_add_u32_e32 v11, v4, v3
	;; [unrolled: 1-line block ×4, first 2 shown]
	s_cbranch_execz .LBB185_21
	s_branch .LBB185_24
.LBB185_19:
	s_mov_b64 s[20:21], 0
                                        ; implicit-def: $vgpr6
                                        ; implicit-def: $vgpr10
                                        ; implicit-def: $vgpr11
                                        ; implicit-def: $vgpr12
                                        ; implicit-def: $vgpr13
	s_branch .LBB185_25
.LBB185_20:
                                        ; implicit-def: $vgpr10
                                        ; implicit-def: $vgpr11
                                        ; implicit-def: $vgpr12
                                        ; implicit-def: $vgpr13
                                        ; implicit-def: $vgpr6
.LBB185_21:
	s_waitcnt lgkmcnt(0)
	v_mul_u32_u24_e32 v6, 5, v0
	v_cmp_ne_u32_e32 vcc, 0, v0
	v_mov_b32_e32 v7, s8
	ds_write_b32 v8, v5
	s_waitcnt lgkmcnt(0)
	s_barrier
	s_and_saveexec_b64 s[6:7], vcc
; %bb.22:
	v_add_u32_e32 v7, -4, v8
	ds_read_b32 v7, v7
; %bb.23:
	s_or_b64 exec, exec, s[6:7]
	s_mulk_i32 s4, 0xec00
	s_add_i32 s4, s4, s14
	v_add_u32_e32 v10, 4, v6
	v_add_u32_e32 v11, v5, v4
	v_cmp_gt_u32_e32 vcc, s4, v10
	v_cndmask_b32_e32 v10, v5, v11, vcc
	v_add_u32_e32 v11, 3, v6
	v_add_u32_e32 v12, v4, v3
	v_cmp_gt_u32_e32 vcc, s4, v11
	v_cndmask_b32_e32 v11, v4, v12, vcc
	;; [unrolled: 4-line block ×4, first 2 shown]
	v_cmp_gt_u32_e32 vcc, s4, v6
	s_waitcnt lgkmcnt(0)
	v_cndmask_b32_e32 v6, 0, v7, vcc
.LBB185_24:
	s_mov_b64 s[20:21], -1
	s_cbranch_execnz .LBB185_33
.LBB185_25:
	s_cmp_lg_u64 s[2:3], 1
	v_add_u32_e32 v10, v5, v4
	v_add_u32_e32 v11, v4, v3
	;; [unrolled: 1-line block ×4, first 2 shown]
	v_cmp_ne_u32_e32 vcc, 0, v0
	s_cbranch_scc0 .LBB185_29
; %bb.26:
	ds_write_b32 v8, v5
	s_waitcnt lgkmcnt(0)
	s_barrier
                                        ; implicit-def: $vgpr6
	s_and_saveexec_b64 s[2:3], vcc
; %bb.27:
	v_add_u32_e32 v6, -4, v8
	ds_read_b32 v6, v6
	s_or_b64 s[20:21], s[20:21], exec
; %bb.28:
	s_or_b64 exec, exec, s[2:3]
	s_branch .LBB185_33
.LBB185_29:
                                        ; implicit-def: $vgpr6
	s_cbranch_execz .LBB185_33
; %bb.30:
	v_mad_u32_u24 v7, v0, 5, 4
	v_cmp_gt_u32_e32 vcc, s14, v7
	v_mad_u32_u24 v7, v0, 5, 3
	s_waitcnt lgkmcnt(0)
	v_mul_u32_u24_e32 v6, 5, v0
	v_cmp_gt_u32_e64 s[2:3], s14, v7
	v_mad_u32_u24 v7, v0, 5, 2
	v_cmp_gt_u32_e64 s[4:5], s14, v7
	v_mad_u32_u24 v7, v0, 5, 1
	v_cmp_ne_u32_e64 s[8:9], 0, v0
	v_cmp_gt_u32_e64 s[10:11], s14, v6
	v_cmp_gt_u32_e64 s[6:7], s14, v7
	s_and_b64 s[10:11], s[8:9], s[10:11]
	ds_write_b32 v8, v5
	s_waitcnt lgkmcnt(0)
	s_barrier
                                        ; implicit-def: $vgpr6
	s_and_saveexec_b64 s[8:9], s[10:11]
; %bb.31:
	v_add_u32_e32 v6, -4, v8
	ds_read_b32 v6, v6
	s_or_b64 s[20:21], s[20:21], exec
; %bb.32:
	s_or_b64 exec, exec, s[8:9]
	v_cndmask_b32_e32 v10, v5, v10, vcc
	v_cndmask_b32_e64 v11, v4, v11, s[2:3]
	v_cndmask_b32_e64 v12, v3, v12, s[4:5]
	;; [unrolled: 1-line block ×3, first 2 shown]
.LBB185_33:
	s_and_saveexec_b64 s[2:3], s[20:21]
	s_cbranch_execz .LBB185_35
; %bb.34:
	s_waitcnt lgkmcnt(0)
	v_add_u32_e32 v1, v6, v1
.LBB185_35:
	s_or_b64 exec, exec, s[2:3]
	s_add_u32 s4, s12, s18
	s_addc_u32 s5, s13, s19
	s_and_b64 vcc, exec, s[0:1]
	v_lshlrev_b32_e32 v14, 4, v0
	s_waitcnt lgkmcnt(0)
	s_barrier
	s_cbranch_vccz .LBB185_45
; %bb.36:
	s_add_i32 s15, s15, s14
	s_lshl_b64 s[0:1], s[16:17], 2
	v_sub_u32_e32 v2, v9, v14
	s_add_u32 s0, s4, s0
	ds_write2_b32 v9, v1, v13 offset1:1
	ds_write2_b32 v9, v12, v11 offset0:2 offset1:3
	ds_write_b32 v9, v10 offset:16
	s_waitcnt lgkmcnt(0)
	s_barrier
	ds_read2st64_b32 v[6:7], v2 offset0:16 offset1:32
	ds_read2st64_b32 v[2:3], v2 offset0:48 offset1:64
	s_addc_u32 s1, s5, s1
	v_mov_b32_e32 v5, s1
	v_add_co_u32_e32 v4, vcc, s0, v8
	v_addc_co_u32_e32 v5, vcc, 0, v5, vcc
	v_cmp_gt_u32_e32 vcc, s15, v0
	s_and_saveexec_b64 s[0:1], vcc
	s_cbranch_execz .LBB185_38
; %bb.37:
	v_sub_u32_e32 v15, 0, v14
	v_add_u32_e32 v15, v9, v15
	ds_read_b32 v15, v15
	s_waitcnt lgkmcnt(0)
	global_store_dword v[4:5], v15, off
.LBB185_38:
	s_or_b64 exec, exec, s[0:1]
	v_or_b32_e32 v15, 0x400, v0
	v_cmp_gt_u32_e32 vcc, s15, v15
	s_and_saveexec_b64 s[0:1], vcc
	s_cbranch_execz .LBB185_40
; %bb.39:
	v_add_co_u32_e32 v15, vcc, 0x1000, v4
	v_addc_co_u32_e32 v16, vcc, 0, v5, vcc
	s_waitcnt lgkmcnt(1)
	global_store_dword v[15:16], v6, off
.LBB185_40:
	s_or_b64 exec, exec, s[0:1]
	s_waitcnt lgkmcnt(1)
	v_or_b32_e32 v6, 0x800, v0
	v_cmp_gt_u32_e32 vcc, s15, v6
	s_and_saveexec_b64 s[0:1], vcc
	s_cbranch_execz .LBB185_42
; %bb.41:
	v_add_co_u32_e32 v15, vcc, 0x2000, v4
	v_addc_co_u32_e32 v16, vcc, 0, v5, vcc
	global_store_dword v[15:16], v7, off
.LBB185_42:
	s_or_b64 exec, exec, s[0:1]
	v_or_b32_e32 v6, 0xc00, v0
	v_cmp_gt_u32_e32 vcc, s15, v6
	s_and_saveexec_b64 s[0:1], vcc
	s_cbranch_execz .LBB185_44
; %bb.43:
	v_add_co_u32_e32 v6, vcc, 0x3000, v4
	v_addc_co_u32_e32 v7, vcc, 0, v5, vcc
	s_waitcnt lgkmcnt(0)
	global_store_dword v[6:7], v2, off
.LBB185_44:
	s_or_b64 exec, exec, s[0:1]
	v_or_b32_e32 v0, 0x1000, v0
	v_cmp_gt_u32_e64 s[0:1], s15, v0
	s_branch .LBB185_47
.LBB185_45:
	s_mov_b64 s[0:1], 0
                                        ; implicit-def: $vgpr3
                                        ; implicit-def: $vgpr4_vgpr5
	s_cbranch_execz .LBB185_47
; %bb.46:
	s_lshl_b64 s[2:3], s[16:17], 2
	s_waitcnt lgkmcnt(0)
	v_sub_u32_e32 v2, v9, v14
	s_add_u32 s2, s4, s2
	ds_write2_b32 v9, v1, v13 offset1:1
	ds_write2_b32 v9, v12, v11 offset0:2 offset1:3
	ds_write_b32 v9, v10 offset:16
	s_waitcnt vmcnt(0) lgkmcnt(0)
	s_barrier
	ds_read2st64_b32 v[0:1], v2 offset1:16
	ds_read2st64_b32 v[6:7], v2 offset0:32 offset1:48
	ds_read_b32 v3, v2 offset:16384
	s_addc_u32 s3, s5, s3
	v_mov_b32_e32 v2, s3
	v_add_co_u32_e32 v4, vcc, s2, v8
	v_addc_co_u32_e32 v5, vcc, 0, v2, vcc
	s_waitcnt lgkmcnt(2)
	global_store_dword v8, v0, s[2:3]
	s_movk_i32 s2, 0x1000
	v_add_co_u32_e32 v8, vcc, s2, v4
	v_addc_co_u32_e32 v9, vcc, 0, v5, vcc
	v_add_co_u32_e32 v0, vcc, 0x2000, v4
	global_store_dword v[8:9], v1, off
	v_addc_co_u32_e32 v1, vcc, 0, v5, vcc
	s_waitcnt lgkmcnt(1)
	global_store_dword v[0:1], v6, off
	v_add_co_u32_e32 v0, vcc, 0x3000, v4
	v_addc_co_u32_e32 v1, vcc, 0, v5, vcc
	s_or_b64 s[0:1], s[0:1], exec
	global_store_dword v[0:1], v7, off
.LBB185_47:
	s_and_saveexec_b64 s[2:3], s[0:1]
	s_cbranch_execnz .LBB185_49
; %bb.48:
	s_endpgm
.LBB185_49:
	v_add_co_u32_e32 v0, vcc, 0x4000, v4
	v_addc_co_u32_e32 v1, vcc, 0, v5, vcc
	s_waitcnt lgkmcnt(0)
	global_store_dword v[0:1], v3, off
	s_endpgm
	.section	.rodata,"a",@progbits
	.p2align	6, 0x0
	.amdhsa_kernel _ZN7rocprim17ROCPRIM_400000_NS6detail17trampoline_kernelINS0_14default_configENS1_35adjacent_difference_config_selectorILb0EjEEZNS1_24adjacent_difference_implIS3_Lb0ELb0EPjS7_N6thrust23THRUST_200600_302600_NS4plusIjEEEE10hipError_tPvRmT2_T3_mT4_P12ihipStream_tbEUlT_E_NS1_11comp_targetILNS1_3genE2ELNS1_11target_archE906ELNS1_3gpuE6ELNS1_3repE0EEENS1_30default_config_static_selectorELNS0_4arch9wavefront6targetE1EEEvT1_
		.amdhsa_group_segment_fixed_size 20480
		.amdhsa_private_segment_fixed_size 0
		.amdhsa_kernarg_size 56
		.amdhsa_user_sgpr_count 6
		.amdhsa_user_sgpr_private_segment_buffer 1
		.amdhsa_user_sgpr_dispatch_ptr 0
		.amdhsa_user_sgpr_queue_ptr 0
		.amdhsa_user_sgpr_kernarg_segment_ptr 1
		.amdhsa_user_sgpr_dispatch_id 0
		.amdhsa_user_sgpr_flat_scratch_init 0
		.amdhsa_user_sgpr_private_segment_size 0
		.amdhsa_uses_dynamic_stack 0
		.amdhsa_system_sgpr_private_segment_wavefront_offset 0
		.amdhsa_system_sgpr_workgroup_id_x 1
		.amdhsa_system_sgpr_workgroup_id_y 0
		.amdhsa_system_sgpr_workgroup_id_z 0
		.amdhsa_system_sgpr_workgroup_info 0
		.amdhsa_system_vgpr_workitem_id 0
		.amdhsa_next_free_vgpr 29
		.amdhsa_next_free_sgpr 61
		.amdhsa_reserve_vcc 1
		.amdhsa_reserve_flat_scratch 0
		.amdhsa_float_round_mode_32 0
		.amdhsa_float_round_mode_16_64 0
		.amdhsa_float_denorm_mode_32 3
		.amdhsa_float_denorm_mode_16_64 3
		.amdhsa_dx10_clamp 1
		.amdhsa_ieee_mode 1
		.amdhsa_fp16_overflow 0
		.amdhsa_exception_fp_ieee_invalid_op 0
		.amdhsa_exception_fp_denorm_src 0
		.amdhsa_exception_fp_ieee_div_zero 0
		.amdhsa_exception_fp_ieee_overflow 0
		.amdhsa_exception_fp_ieee_underflow 0
		.amdhsa_exception_fp_ieee_inexact 0
		.amdhsa_exception_int_div_zero 0
	.end_amdhsa_kernel
	.section	.text._ZN7rocprim17ROCPRIM_400000_NS6detail17trampoline_kernelINS0_14default_configENS1_35adjacent_difference_config_selectorILb0EjEEZNS1_24adjacent_difference_implIS3_Lb0ELb0EPjS7_N6thrust23THRUST_200600_302600_NS4plusIjEEEE10hipError_tPvRmT2_T3_mT4_P12ihipStream_tbEUlT_E_NS1_11comp_targetILNS1_3genE2ELNS1_11target_archE906ELNS1_3gpuE6ELNS1_3repE0EEENS1_30default_config_static_selectorELNS0_4arch9wavefront6targetE1EEEvT1_,"axG",@progbits,_ZN7rocprim17ROCPRIM_400000_NS6detail17trampoline_kernelINS0_14default_configENS1_35adjacent_difference_config_selectorILb0EjEEZNS1_24adjacent_difference_implIS3_Lb0ELb0EPjS7_N6thrust23THRUST_200600_302600_NS4plusIjEEEE10hipError_tPvRmT2_T3_mT4_P12ihipStream_tbEUlT_E_NS1_11comp_targetILNS1_3genE2ELNS1_11target_archE906ELNS1_3gpuE6ELNS1_3repE0EEENS1_30default_config_static_selectorELNS0_4arch9wavefront6targetE1EEEvT1_,comdat
.Lfunc_end185:
	.size	_ZN7rocprim17ROCPRIM_400000_NS6detail17trampoline_kernelINS0_14default_configENS1_35adjacent_difference_config_selectorILb0EjEEZNS1_24adjacent_difference_implIS3_Lb0ELb0EPjS7_N6thrust23THRUST_200600_302600_NS4plusIjEEEE10hipError_tPvRmT2_T3_mT4_P12ihipStream_tbEUlT_E_NS1_11comp_targetILNS1_3genE2ELNS1_11target_archE906ELNS1_3gpuE6ELNS1_3repE0EEENS1_30default_config_static_selectorELNS0_4arch9wavefront6targetE1EEEvT1_, .Lfunc_end185-_ZN7rocprim17ROCPRIM_400000_NS6detail17trampoline_kernelINS0_14default_configENS1_35adjacent_difference_config_selectorILb0EjEEZNS1_24adjacent_difference_implIS3_Lb0ELb0EPjS7_N6thrust23THRUST_200600_302600_NS4plusIjEEEE10hipError_tPvRmT2_T3_mT4_P12ihipStream_tbEUlT_E_NS1_11comp_targetILNS1_3genE2ELNS1_11target_archE906ELNS1_3gpuE6ELNS1_3repE0EEENS1_30default_config_static_selectorELNS0_4arch9wavefront6targetE1EEEvT1_
                                        ; -- End function
	.set _ZN7rocprim17ROCPRIM_400000_NS6detail17trampoline_kernelINS0_14default_configENS1_35adjacent_difference_config_selectorILb0EjEEZNS1_24adjacent_difference_implIS3_Lb0ELb0EPjS7_N6thrust23THRUST_200600_302600_NS4plusIjEEEE10hipError_tPvRmT2_T3_mT4_P12ihipStream_tbEUlT_E_NS1_11comp_targetILNS1_3genE2ELNS1_11target_archE906ELNS1_3gpuE6ELNS1_3repE0EEENS1_30default_config_static_selectorELNS0_4arch9wavefront6targetE1EEEvT1_.num_vgpr, 17
	.set _ZN7rocprim17ROCPRIM_400000_NS6detail17trampoline_kernelINS0_14default_configENS1_35adjacent_difference_config_selectorILb0EjEEZNS1_24adjacent_difference_implIS3_Lb0ELb0EPjS7_N6thrust23THRUST_200600_302600_NS4plusIjEEEE10hipError_tPvRmT2_T3_mT4_P12ihipStream_tbEUlT_E_NS1_11comp_targetILNS1_3genE2ELNS1_11target_archE906ELNS1_3gpuE6ELNS1_3repE0EEENS1_30default_config_static_selectorELNS0_4arch9wavefront6targetE1EEEvT1_.num_agpr, 0
	.set _ZN7rocprim17ROCPRIM_400000_NS6detail17trampoline_kernelINS0_14default_configENS1_35adjacent_difference_config_selectorILb0EjEEZNS1_24adjacent_difference_implIS3_Lb0ELb0EPjS7_N6thrust23THRUST_200600_302600_NS4plusIjEEEE10hipError_tPvRmT2_T3_mT4_P12ihipStream_tbEUlT_E_NS1_11comp_targetILNS1_3genE2ELNS1_11target_archE906ELNS1_3gpuE6ELNS1_3repE0EEENS1_30default_config_static_selectorELNS0_4arch9wavefront6targetE1EEEvT1_.numbered_sgpr, 23
	.set _ZN7rocprim17ROCPRIM_400000_NS6detail17trampoline_kernelINS0_14default_configENS1_35adjacent_difference_config_selectorILb0EjEEZNS1_24adjacent_difference_implIS3_Lb0ELb0EPjS7_N6thrust23THRUST_200600_302600_NS4plusIjEEEE10hipError_tPvRmT2_T3_mT4_P12ihipStream_tbEUlT_E_NS1_11comp_targetILNS1_3genE2ELNS1_11target_archE906ELNS1_3gpuE6ELNS1_3repE0EEENS1_30default_config_static_selectorELNS0_4arch9wavefront6targetE1EEEvT1_.num_named_barrier, 0
	.set _ZN7rocprim17ROCPRIM_400000_NS6detail17trampoline_kernelINS0_14default_configENS1_35adjacent_difference_config_selectorILb0EjEEZNS1_24adjacent_difference_implIS3_Lb0ELb0EPjS7_N6thrust23THRUST_200600_302600_NS4plusIjEEEE10hipError_tPvRmT2_T3_mT4_P12ihipStream_tbEUlT_E_NS1_11comp_targetILNS1_3genE2ELNS1_11target_archE906ELNS1_3gpuE6ELNS1_3repE0EEENS1_30default_config_static_selectorELNS0_4arch9wavefront6targetE1EEEvT1_.private_seg_size, 0
	.set _ZN7rocprim17ROCPRIM_400000_NS6detail17trampoline_kernelINS0_14default_configENS1_35adjacent_difference_config_selectorILb0EjEEZNS1_24adjacent_difference_implIS3_Lb0ELb0EPjS7_N6thrust23THRUST_200600_302600_NS4plusIjEEEE10hipError_tPvRmT2_T3_mT4_P12ihipStream_tbEUlT_E_NS1_11comp_targetILNS1_3genE2ELNS1_11target_archE906ELNS1_3gpuE6ELNS1_3repE0EEENS1_30default_config_static_selectorELNS0_4arch9wavefront6targetE1EEEvT1_.uses_vcc, 1
	.set _ZN7rocprim17ROCPRIM_400000_NS6detail17trampoline_kernelINS0_14default_configENS1_35adjacent_difference_config_selectorILb0EjEEZNS1_24adjacent_difference_implIS3_Lb0ELb0EPjS7_N6thrust23THRUST_200600_302600_NS4plusIjEEEE10hipError_tPvRmT2_T3_mT4_P12ihipStream_tbEUlT_E_NS1_11comp_targetILNS1_3genE2ELNS1_11target_archE906ELNS1_3gpuE6ELNS1_3repE0EEENS1_30default_config_static_selectorELNS0_4arch9wavefront6targetE1EEEvT1_.uses_flat_scratch, 0
	.set _ZN7rocprim17ROCPRIM_400000_NS6detail17trampoline_kernelINS0_14default_configENS1_35adjacent_difference_config_selectorILb0EjEEZNS1_24adjacent_difference_implIS3_Lb0ELb0EPjS7_N6thrust23THRUST_200600_302600_NS4plusIjEEEE10hipError_tPvRmT2_T3_mT4_P12ihipStream_tbEUlT_E_NS1_11comp_targetILNS1_3genE2ELNS1_11target_archE906ELNS1_3gpuE6ELNS1_3repE0EEENS1_30default_config_static_selectorELNS0_4arch9wavefront6targetE1EEEvT1_.has_dyn_sized_stack, 0
	.set _ZN7rocprim17ROCPRIM_400000_NS6detail17trampoline_kernelINS0_14default_configENS1_35adjacent_difference_config_selectorILb0EjEEZNS1_24adjacent_difference_implIS3_Lb0ELb0EPjS7_N6thrust23THRUST_200600_302600_NS4plusIjEEEE10hipError_tPvRmT2_T3_mT4_P12ihipStream_tbEUlT_E_NS1_11comp_targetILNS1_3genE2ELNS1_11target_archE906ELNS1_3gpuE6ELNS1_3repE0EEENS1_30default_config_static_selectorELNS0_4arch9wavefront6targetE1EEEvT1_.has_recursion, 0
	.set _ZN7rocprim17ROCPRIM_400000_NS6detail17trampoline_kernelINS0_14default_configENS1_35adjacent_difference_config_selectorILb0EjEEZNS1_24adjacent_difference_implIS3_Lb0ELb0EPjS7_N6thrust23THRUST_200600_302600_NS4plusIjEEEE10hipError_tPvRmT2_T3_mT4_P12ihipStream_tbEUlT_E_NS1_11comp_targetILNS1_3genE2ELNS1_11target_archE906ELNS1_3gpuE6ELNS1_3repE0EEENS1_30default_config_static_selectorELNS0_4arch9wavefront6targetE1EEEvT1_.has_indirect_call, 0
	.section	.AMDGPU.csdata,"",@progbits
; Kernel info:
; codeLenInByte = 1800
; TotalNumSgprs: 27
; NumVgprs: 17
; ScratchSize: 0
; MemoryBound: 0
; FloatMode: 240
; IeeeMode: 1
; LDSByteSize: 20480 bytes/workgroup (compile time only)
; SGPRBlocks: 8
; VGPRBlocks: 7
; NumSGPRsForWavesPerEU: 65
; NumVGPRsForWavesPerEU: 29
; Occupancy: 8
; WaveLimiterHint : 1
; COMPUTE_PGM_RSRC2:SCRATCH_EN: 0
; COMPUTE_PGM_RSRC2:USER_SGPR: 6
; COMPUTE_PGM_RSRC2:TRAP_HANDLER: 0
; COMPUTE_PGM_RSRC2:TGID_X_EN: 1
; COMPUTE_PGM_RSRC2:TGID_Y_EN: 0
; COMPUTE_PGM_RSRC2:TGID_Z_EN: 0
; COMPUTE_PGM_RSRC2:TIDIG_COMP_CNT: 0
	.section	.text._ZN7rocprim17ROCPRIM_400000_NS6detail17trampoline_kernelINS0_14default_configENS1_35adjacent_difference_config_selectorILb0EjEEZNS1_24adjacent_difference_implIS3_Lb0ELb0EPjS7_N6thrust23THRUST_200600_302600_NS4plusIjEEEE10hipError_tPvRmT2_T3_mT4_P12ihipStream_tbEUlT_E_NS1_11comp_targetILNS1_3genE9ELNS1_11target_archE1100ELNS1_3gpuE3ELNS1_3repE0EEENS1_30default_config_static_selectorELNS0_4arch9wavefront6targetE1EEEvT1_,"axG",@progbits,_ZN7rocprim17ROCPRIM_400000_NS6detail17trampoline_kernelINS0_14default_configENS1_35adjacent_difference_config_selectorILb0EjEEZNS1_24adjacent_difference_implIS3_Lb0ELb0EPjS7_N6thrust23THRUST_200600_302600_NS4plusIjEEEE10hipError_tPvRmT2_T3_mT4_P12ihipStream_tbEUlT_E_NS1_11comp_targetILNS1_3genE9ELNS1_11target_archE1100ELNS1_3gpuE3ELNS1_3repE0EEENS1_30default_config_static_selectorELNS0_4arch9wavefront6targetE1EEEvT1_,comdat
	.protected	_ZN7rocprim17ROCPRIM_400000_NS6detail17trampoline_kernelINS0_14default_configENS1_35adjacent_difference_config_selectorILb0EjEEZNS1_24adjacent_difference_implIS3_Lb0ELb0EPjS7_N6thrust23THRUST_200600_302600_NS4plusIjEEEE10hipError_tPvRmT2_T3_mT4_P12ihipStream_tbEUlT_E_NS1_11comp_targetILNS1_3genE9ELNS1_11target_archE1100ELNS1_3gpuE3ELNS1_3repE0EEENS1_30default_config_static_selectorELNS0_4arch9wavefront6targetE1EEEvT1_ ; -- Begin function _ZN7rocprim17ROCPRIM_400000_NS6detail17trampoline_kernelINS0_14default_configENS1_35adjacent_difference_config_selectorILb0EjEEZNS1_24adjacent_difference_implIS3_Lb0ELb0EPjS7_N6thrust23THRUST_200600_302600_NS4plusIjEEEE10hipError_tPvRmT2_T3_mT4_P12ihipStream_tbEUlT_E_NS1_11comp_targetILNS1_3genE9ELNS1_11target_archE1100ELNS1_3gpuE3ELNS1_3repE0EEENS1_30default_config_static_selectorELNS0_4arch9wavefront6targetE1EEEvT1_
	.globl	_ZN7rocprim17ROCPRIM_400000_NS6detail17trampoline_kernelINS0_14default_configENS1_35adjacent_difference_config_selectorILb0EjEEZNS1_24adjacent_difference_implIS3_Lb0ELb0EPjS7_N6thrust23THRUST_200600_302600_NS4plusIjEEEE10hipError_tPvRmT2_T3_mT4_P12ihipStream_tbEUlT_E_NS1_11comp_targetILNS1_3genE9ELNS1_11target_archE1100ELNS1_3gpuE3ELNS1_3repE0EEENS1_30default_config_static_selectorELNS0_4arch9wavefront6targetE1EEEvT1_
	.p2align	8
	.type	_ZN7rocprim17ROCPRIM_400000_NS6detail17trampoline_kernelINS0_14default_configENS1_35adjacent_difference_config_selectorILb0EjEEZNS1_24adjacent_difference_implIS3_Lb0ELb0EPjS7_N6thrust23THRUST_200600_302600_NS4plusIjEEEE10hipError_tPvRmT2_T3_mT4_P12ihipStream_tbEUlT_E_NS1_11comp_targetILNS1_3genE9ELNS1_11target_archE1100ELNS1_3gpuE3ELNS1_3repE0EEENS1_30default_config_static_selectorELNS0_4arch9wavefront6targetE1EEEvT1_,@function
_ZN7rocprim17ROCPRIM_400000_NS6detail17trampoline_kernelINS0_14default_configENS1_35adjacent_difference_config_selectorILb0EjEEZNS1_24adjacent_difference_implIS3_Lb0ELb0EPjS7_N6thrust23THRUST_200600_302600_NS4plusIjEEEE10hipError_tPvRmT2_T3_mT4_P12ihipStream_tbEUlT_E_NS1_11comp_targetILNS1_3genE9ELNS1_11target_archE1100ELNS1_3gpuE3ELNS1_3repE0EEENS1_30default_config_static_selectorELNS0_4arch9wavefront6targetE1EEEvT1_: ; @_ZN7rocprim17ROCPRIM_400000_NS6detail17trampoline_kernelINS0_14default_configENS1_35adjacent_difference_config_selectorILb0EjEEZNS1_24adjacent_difference_implIS3_Lb0ELb0EPjS7_N6thrust23THRUST_200600_302600_NS4plusIjEEEE10hipError_tPvRmT2_T3_mT4_P12ihipStream_tbEUlT_E_NS1_11comp_targetILNS1_3genE9ELNS1_11target_archE1100ELNS1_3gpuE3ELNS1_3repE0EEENS1_30default_config_static_selectorELNS0_4arch9wavefront6targetE1EEEvT1_
; %bb.0:
	.section	.rodata,"a",@progbits
	.p2align	6, 0x0
	.amdhsa_kernel _ZN7rocprim17ROCPRIM_400000_NS6detail17trampoline_kernelINS0_14default_configENS1_35adjacent_difference_config_selectorILb0EjEEZNS1_24adjacent_difference_implIS3_Lb0ELb0EPjS7_N6thrust23THRUST_200600_302600_NS4plusIjEEEE10hipError_tPvRmT2_T3_mT4_P12ihipStream_tbEUlT_E_NS1_11comp_targetILNS1_3genE9ELNS1_11target_archE1100ELNS1_3gpuE3ELNS1_3repE0EEENS1_30default_config_static_selectorELNS0_4arch9wavefront6targetE1EEEvT1_
		.amdhsa_group_segment_fixed_size 0
		.amdhsa_private_segment_fixed_size 0
		.amdhsa_kernarg_size 56
		.amdhsa_user_sgpr_count 6
		.amdhsa_user_sgpr_private_segment_buffer 1
		.amdhsa_user_sgpr_dispatch_ptr 0
		.amdhsa_user_sgpr_queue_ptr 0
		.amdhsa_user_sgpr_kernarg_segment_ptr 1
		.amdhsa_user_sgpr_dispatch_id 0
		.amdhsa_user_sgpr_flat_scratch_init 0
		.amdhsa_user_sgpr_private_segment_size 0
		.amdhsa_uses_dynamic_stack 0
		.amdhsa_system_sgpr_private_segment_wavefront_offset 0
		.amdhsa_system_sgpr_workgroup_id_x 1
		.amdhsa_system_sgpr_workgroup_id_y 0
		.amdhsa_system_sgpr_workgroup_id_z 0
		.amdhsa_system_sgpr_workgroup_info 0
		.amdhsa_system_vgpr_workitem_id 0
		.amdhsa_next_free_vgpr 1
		.amdhsa_next_free_sgpr 0
		.amdhsa_reserve_vcc 0
		.amdhsa_reserve_flat_scratch 0
		.amdhsa_float_round_mode_32 0
		.amdhsa_float_round_mode_16_64 0
		.amdhsa_float_denorm_mode_32 3
		.amdhsa_float_denorm_mode_16_64 3
		.amdhsa_dx10_clamp 1
		.amdhsa_ieee_mode 1
		.amdhsa_fp16_overflow 0
		.amdhsa_exception_fp_ieee_invalid_op 0
		.amdhsa_exception_fp_denorm_src 0
		.amdhsa_exception_fp_ieee_div_zero 0
		.amdhsa_exception_fp_ieee_overflow 0
		.amdhsa_exception_fp_ieee_underflow 0
		.amdhsa_exception_fp_ieee_inexact 0
		.amdhsa_exception_int_div_zero 0
	.end_amdhsa_kernel
	.section	.text._ZN7rocprim17ROCPRIM_400000_NS6detail17trampoline_kernelINS0_14default_configENS1_35adjacent_difference_config_selectorILb0EjEEZNS1_24adjacent_difference_implIS3_Lb0ELb0EPjS7_N6thrust23THRUST_200600_302600_NS4plusIjEEEE10hipError_tPvRmT2_T3_mT4_P12ihipStream_tbEUlT_E_NS1_11comp_targetILNS1_3genE9ELNS1_11target_archE1100ELNS1_3gpuE3ELNS1_3repE0EEENS1_30default_config_static_selectorELNS0_4arch9wavefront6targetE1EEEvT1_,"axG",@progbits,_ZN7rocprim17ROCPRIM_400000_NS6detail17trampoline_kernelINS0_14default_configENS1_35adjacent_difference_config_selectorILb0EjEEZNS1_24adjacent_difference_implIS3_Lb0ELb0EPjS7_N6thrust23THRUST_200600_302600_NS4plusIjEEEE10hipError_tPvRmT2_T3_mT4_P12ihipStream_tbEUlT_E_NS1_11comp_targetILNS1_3genE9ELNS1_11target_archE1100ELNS1_3gpuE3ELNS1_3repE0EEENS1_30default_config_static_selectorELNS0_4arch9wavefront6targetE1EEEvT1_,comdat
.Lfunc_end186:
	.size	_ZN7rocprim17ROCPRIM_400000_NS6detail17trampoline_kernelINS0_14default_configENS1_35adjacent_difference_config_selectorILb0EjEEZNS1_24adjacent_difference_implIS3_Lb0ELb0EPjS7_N6thrust23THRUST_200600_302600_NS4plusIjEEEE10hipError_tPvRmT2_T3_mT4_P12ihipStream_tbEUlT_E_NS1_11comp_targetILNS1_3genE9ELNS1_11target_archE1100ELNS1_3gpuE3ELNS1_3repE0EEENS1_30default_config_static_selectorELNS0_4arch9wavefront6targetE1EEEvT1_, .Lfunc_end186-_ZN7rocprim17ROCPRIM_400000_NS6detail17trampoline_kernelINS0_14default_configENS1_35adjacent_difference_config_selectorILb0EjEEZNS1_24adjacent_difference_implIS3_Lb0ELb0EPjS7_N6thrust23THRUST_200600_302600_NS4plusIjEEEE10hipError_tPvRmT2_T3_mT4_P12ihipStream_tbEUlT_E_NS1_11comp_targetILNS1_3genE9ELNS1_11target_archE1100ELNS1_3gpuE3ELNS1_3repE0EEENS1_30default_config_static_selectorELNS0_4arch9wavefront6targetE1EEEvT1_
                                        ; -- End function
	.set _ZN7rocprim17ROCPRIM_400000_NS6detail17trampoline_kernelINS0_14default_configENS1_35adjacent_difference_config_selectorILb0EjEEZNS1_24adjacent_difference_implIS3_Lb0ELb0EPjS7_N6thrust23THRUST_200600_302600_NS4plusIjEEEE10hipError_tPvRmT2_T3_mT4_P12ihipStream_tbEUlT_E_NS1_11comp_targetILNS1_3genE9ELNS1_11target_archE1100ELNS1_3gpuE3ELNS1_3repE0EEENS1_30default_config_static_selectorELNS0_4arch9wavefront6targetE1EEEvT1_.num_vgpr, 0
	.set _ZN7rocprim17ROCPRIM_400000_NS6detail17trampoline_kernelINS0_14default_configENS1_35adjacent_difference_config_selectorILb0EjEEZNS1_24adjacent_difference_implIS3_Lb0ELb0EPjS7_N6thrust23THRUST_200600_302600_NS4plusIjEEEE10hipError_tPvRmT2_T3_mT4_P12ihipStream_tbEUlT_E_NS1_11comp_targetILNS1_3genE9ELNS1_11target_archE1100ELNS1_3gpuE3ELNS1_3repE0EEENS1_30default_config_static_selectorELNS0_4arch9wavefront6targetE1EEEvT1_.num_agpr, 0
	.set _ZN7rocprim17ROCPRIM_400000_NS6detail17trampoline_kernelINS0_14default_configENS1_35adjacent_difference_config_selectorILb0EjEEZNS1_24adjacent_difference_implIS3_Lb0ELb0EPjS7_N6thrust23THRUST_200600_302600_NS4plusIjEEEE10hipError_tPvRmT2_T3_mT4_P12ihipStream_tbEUlT_E_NS1_11comp_targetILNS1_3genE9ELNS1_11target_archE1100ELNS1_3gpuE3ELNS1_3repE0EEENS1_30default_config_static_selectorELNS0_4arch9wavefront6targetE1EEEvT1_.numbered_sgpr, 0
	.set _ZN7rocprim17ROCPRIM_400000_NS6detail17trampoline_kernelINS0_14default_configENS1_35adjacent_difference_config_selectorILb0EjEEZNS1_24adjacent_difference_implIS3_Lb0ELb0EPjS7_N6thrust23THRUST_200600_302600_NS4plusIjEEEE10hipError_tPvRmT2_T3_mT4_P12ihipStream_tbEUlT_E_NS1_11comp_targetILNS1_3genE9ELNS1_11target_archE1100ELNS1_3gpuE3ELNS1_3repE0EEENS1_30default_config_static_selectorELNS0_4arch9wavefront6targetE1EEEvT1_.num_named_barrier, 0
	.set _ZN7rocprim17ROCPRIM_400000_NS6detail17trampoline_kernelINS0_14default_configENS1_35adjacent_difference_config_selectorILb0EjEEZNS1_24adjacent_difference_implIS3_Lb0ELb0EPjS7_N6thrust23THRUST_200600_302600_NS4plusIjEEEE10hipError_tPvRmT2_T3_mT4_P12ihipStream_tbEUlT_E_NS1_11comp_targetILNS1_3genE9ELNS1_11target_archE1100ELNS1_3gpuE3ELNS1_3repE0EEENS1_30default_config_static_selectorELNS0_4arch9wavefront6targetE1EEEvT1_.private_seg_size, 0
	.set _ZN7rocprim17ROCPRIM_400000_NS6detail17trampoline_kernelINS0_14default_configENS1_35adjacent_difference_config_selectorILb0EjEEZNS1_24adjacent_difference_implIS3_Lb0ELb0EPjS7_N6thrust23THRUST_200600_302600_NS4plusIjEEEE10hipError_tPvRmT2_T3_mT4_P12ihipStream_tbEUlT_E_NS1_11comp_targetILNS1_3genE9ELNS1_11target_archE1100ELNS1_3gpuE3ELNS1_3repE0EEENS1_30default_config_static_selectorELNS0_4arch9wavefront6targetE1EEEvT1_.uses_vcc, 0
	.set _ZN7rocprim17ROCPRIM_400000_NS6detail17trampoline_kernelINS0_14default_configENS1_35adjacent_difference_config_selectorILb0EjEEZNS1_24adjacent_difference_implIS3_Lb0ELb0EPjS7_N6thrust23THRUST_200600_302600_NS4plusIjEEEE10hipError_tPvRmT2_T3_mT4_P12ihipStream_tbEUlT_E_NS1_11comp_targetILNS1_3genE9ELNS1_11target_archE1100ELNS1_3gpuE3ELNS1_3repE0EEENS1_30default_config_static_selectorELNS0_4arch9wavefront6targetE1EEEvT1_.uses_flat_scratch, 0
	.set _ZN7rocprim17ROCPRIM_400000_NS6detail17trampoline_kernelINS0_14default_configENS1_35adjacent_difference_config_selectorILb0EjEEZNS1_24adjacent_difference_implIS3_Lb0ELb0EPjS7_N6thrust23THRUST_200600_302600_NS4plusIjEEEE10hipError_tPvRmT2_T3_mT4_P12ihipStream_tbEUlT_E_NS1_11comp_targetILNS1_3genE9ELNS1_11target_archE1100ELNS1_3gpuE3ELNS1_3repE0EEENS1_30default_config_static_selectorELNS0_4arch9wavefront6targetE1EEEvT1_.has_dyn_sized_stack, 0
	.set _ZN7rocprim17ROCPRIM_400000_NS6detail17trampoline_kernelINS0_14default_configENS1_35adjacent_difference_config_selectorILb0EjEEZNS1_24adjacent_difference_implIS3_Lb0ELb0EPjS7_N6thrust23THRUST_200600_302600_NS4plusIjEEEE10hipError_tPvRmT2_T3_mT4_P12ihipStream_tbEUlT_E_NS1_11comp_targetILNS1_3genE9ELNS1_11target_archE1100ELNS1_3gpuE3ELNS1_3repE0EEENS1_30default_config_static_selectorELNS0_4arch9wavefront6targetE1EEEvT1_.has_recursion, 0
	.set _ZN7rocprim17ROCPRIM_400000_NS6detail17trampoline_kernelINS0_14default_configENS1_35adjacent_difference_config_selectorILb0EjEEZNS1_24adjacent_difference_implIS3_Lb0ELb0EPjS7_N6thrust23THRUST_200600_302600_NS4plusIjEEEE10hipError_tPvRmT2_T3_mT4_P12ihipStream_tbEUlT_E_NS1_11comp_targetILNS1_3genE9ELNS1_11target_archE1100ELNS1_3gpuE3ELNS1_3repE0EEENS1_30default_config_static_selectorELNS0_4arch9wavefront6targetE1EEEvT1_.has_indirect_call, 0
	.section	.AMDGPU.csdata,"",@progbits
; Kernel info:
; codeLenInByte = 0
; TotalNumSgprs: 4
; NumVgprs: 0
; ScratchSize: 0
; MemoryBound: 0
; FloatMode: 240
; IeeeMode: 1
; LDSByteSize: 0 bytes/workgroup (compile time only)
; SGPRBlocks: 0
; VGPRBlocks: 0
; NumSGPRsForWavesPerEU: 4
; NumVGPRsForWavesPerEU: 1
; Occupancy: 10
; WaveLimiterHint : 0
; COMPUTE_PGM_RSRC2:SCRATCH_EN: 0
; COMPUTE_PGM_RSRC2:USER_SGPR: 6
; COMPUTE_PGM_RSRC2:TRAP_HANDLER: 0
; COMPUTE_PGM_RSRC2:TGID_X_EN: 1
; COMPUTE_PGM_RSRC2:TGID_Y_EN: 0
; COMPUTE_PGM_RSRC2:TGID_Z_EN: 0
; COMPUTE_PGM_RSRC2:TIDIG_COMP_CNT: 0
	.section	.text._ZN7rocprim17ROCPRIM_400000_NS6detail17trampoline_kernelINS0_14default_configENS1_35adjacent_difference_config_selectorILb0EjEEZNS1_24adjacent_difference_implIS3_Lb0ELb0EPjS7_N6thrust23THRUST_200600_302600_NS4plusIjEEEE10hipError_tPvRmT2_T3_mT4_P12ihipStream_tbEUlT_E_NS1_11comp_targetILNS1_3genE8ELNS1_11target_archE1030ELNS1_3gpuE2ELNS1_3repE0EEENS1_30default_config_static_selectorELNS0_4arch9wavefront6targetE1EEEvT1_,"axG",@progbits,_ZN7rocprim17ROCPRIM_400000_NS6detail17trampoline_kernelINS0_14default_configENS1_35adjacent_difference_config_selectorILb0EjEEZNS1_24adjacent_difference_implIS3_Lb0ELb0EPjS7_N6thrust23THRUST_200600_302600_NS4plusIjEEEE10hipError_tPvRmT2_T3_mT4_P12ihipStream_tbEUlT_E_NS1_11comp_targetILNS1_3genE8ELNS1_11target_archE1030ELNS1_3gpuE2ELNS1_3repE0EEENS1_30default_config_static_selectorELNS0_4arch9wavefront6targetE1EEEvT1_,comdat
	.protected	_ZN7rocprim17ROCPRIM_400000_NS6detail17trampoline_kernelINS0_14default_configENS1_35adjacent_difference_config_selectorILb0EjEEZNS1_24adjacent_difference_implIS3_Lb0ELb0EPjS7_N6thrust23THRUST_200600_302600_NS4plusIjEEEE10hipError_tPvRmT2_T3_mT4_P12ihipStream_tbEUlT_E_NS1_11comp_targetILNS1_3genE8ELNS1_11target_archE1030ELNS1_3gpuE2ELNS1_3repE0EEENS1_30default_config_static_selectorELNS0_4arch9wavefront6targetE1EEEvT1_ ; -- Begin function _ZN7rocprim17ROCPRIM_400000_NS6detail17trampoline_kernelINS0_14default_configENS1_35adjacent_difference_config_selectorILb0EjEEZNS1_24adjacent_difference_implIS3_Lb0ELb0EPjS7_N6thrust23THRUST_200600_302600_NS4plusIjEEEE10hipError_tPvRmT2_T3_mT4_P12ihipStream_tbEUlT_E_NS1_11comp_targetILNS1_3genE8ELNS1_11target_archE1030ELNS1_3gpuE2ELNS1_3repE0EEENS1_30default_config_static_selectorELNS0_4arch9wavefront6targetE1EEEvT1_
	.globl	_ZN7rocprim17ROCPRIM_400000_NS6detail17trampoline_kernelINS0_14default_configENS1_35adjacent_difference_config_selectorILb0EjEEZNS1_24adjacent_difference_implIS3_Lb0ELb0EPjS7_N6thrust23THRUST_200600_302600_NS4plusIjEEEE10hipError_tPvRmT2_T3_mT4_P12ihipStream_tbEUlT_E_NS1_11comp_targetILNS1_3genE8ELNS1_11target_archE1030ELNS1_3gpuE2ELNS1_3repE0EEENS1_30default_config_static_selectorELNS0_4arch9wavefront6targetE1EEEvT1_
	.p2align	8
	.type	_ZN7rocprim17ROCPRIM_400000_NS6detail17trampoline_kernelINS0_14default_configENS1_35adjacent_difference_config_selectorILb0EjEEZNS1_24adjacent_difference_implIS3_Lb0ELb0EPjS7_N6thrust23THRUST_200600_302600_NS4plusIjEEEE10hipError_tPvRmT2_T3_mT4_P12ihipStream_tbEUlT_E_NS1_11comp_targetILNS1_3genE8ELNS1_11target_archE1030ELNS1_3gpuE2ELNS1_3repE0EEENS1_30default_config_static_selectorELNS0_4arch9wavefront6targetE1EEEvT1_,@function
_ZN7rocprim17ROCPRIM_400000_NS6detail17trampoline_kernelINS0_14default_configENS1_35adjacent_difference_config_selectorILb0EjEEZNS1_24adjacent_difference_implIS3_Lb0ELb0EPjS7_N6thrust23THRUST_200600_302600_NS4plusIjEEEE10hipError_tPvRmT2_T3_mT4_P12ihipStream_tbEUlT_E_NS1_11comp_targetILNS1_3genE8ELNS1_11target_archE1030ELNS1_3gpuE2ELNS1_3repE0EEENS1_30default_config_static_selectorELNS0_4arch9wavefront6targetE1EEEvT1_: ; @_ZN7rocprim17ROCPRIM_400000_NS6detail17trampoline_kernelINS0_14default_configENS1_35adjacent_difference_config_selectorILb0EjEEZNS1_24adjacent_difference_implIS3_Lb0ELb0EPjS7_N6thrust23THRUST_200600_302600_NS4plusIjEEEE10hipError_tPvRmT2_T3_mT4_P12ihipStream_tbEUlT_E_NS1_11comp_targetILNS1_3genE8ELNS1_11target_archE1030ELNS1_3gpuE2ELNS1_3repE0EEENS1_30default_config_static_selectorELNS0_4arch9wavefront6targetE1EEEvT1_
; %bb.0:
	.section	.rodata,"a",@progbits
	.p2align	6, 0x0
	.amdhsa_kernel _ZN7rocprim17ROCPRIM_400000_NS6detail17trampoline_kernelINS0_14default_configENS1_35adjacent_difference_config_selectorILb0EjEEZNS1_24adjacent_difference_implIS3_Lb0ELb0EPjS7_N6thrust23THRUST_200600_302600_NS4plusIjEEEE10hipError_tPvRmT2_T3_mT4_P12ihipStream_tbEUlT_E_NS1_11comp_targetILNS1_3genE8ELNS1_11target_archE1030ELNS1_3gpuE2ELNS1_3repE0EEENS1_30default_config_static_selectorELNS0_4arch9wavefront6targetE1EEEvT1_
		.amdhsa_group_segment_fixed_size 0
		.amdhsa_private_segment_fixed_size 0
		.amdhsa_kernarg_size 56
		.amdhsa_user_sgpr_count 6
		.amdhsa_user_sgpr_private_segment_buffer 1
		.amdhsa_user_sgpr_dispatch_ptr 0
		.amdhsa_user_sgpr_queue_ptr 0
		.amdhsa_user_sgpr_kernarg_segment_ptr 1
		.amdhsa_user_sgpr_dispatch_id 0
		.amdhsa_user_sgpr_flat_scratch_init 0
		.amdhsa_user_sgpr_private_segment_size 0
		.amdhsa_uses_dynamic_stack 0
		.amdhsa_system_sgpr_private_segment_wavefront_offset 0
		.amdhsa_system_sgpr_workgroup_id_x 1
		.amdhsa_system_sgpr_workgroup_id_y 0
		.amdhsa_system_sgpr_workgroup_id_z 0
		.amdhsa_system_sgpr_workgroup_info 0
		.amdhsa_system_vgpr_workitem_id 0
		.amdhsa_next_free_vgpr 1
		.amdhsa_next_free_sgpr 0
		.amdhsa_reserve_vcc 0
		.amdhsa_reserve_flat_scratch 0
		.amdhsa_float_round_mode_32 0
		.amdhsa_float_round_mode_16_64 0
		.amdhsa_float_denorm_mode_32 3
		.amdhsa_float_denorm_mode_16_64 3
		.amdhsa_dx10_clamp 1
		.amdhsa_ieee_mode 1
		.amdhsa_fp16_overflow 0
		.amdhsa_exception_fp_ieee_invalid_op 0
		.amdhsa_exception_fp_denorm_src 0
		.amdhsa_exception_fp_ieee_div_zero 0
		.amdhsa_exception_fp_ieee_overflow 0
		.amdhsa_exception_fp_ieee_underflow 0
		.amdhsa_exception_fp_ieee_inexact 0
		.amdhsa_exception_int_div_zero 0
	.end_amdhsa_kernel
	.section	.text._ZN7rocprim17ROCPRIM_400000_NS6detail17trampoline_kernelINS0_14default_configENS1_35adjacent_difference_config_selectorILb0EjEEZNS1_24adjacent_difference_implIS3_Lb0ELb0EPjS7_N6thrust23THRUST_200600_302600_NS4plusIjEEEE10hipError_tPvRmT2_T3_mT4_P12ihipStream_tbEUlT_E_NS1_11comp_targetILNS1_3genE8ELNS1_11target_archE1030ELNS1_3gpuE2ELNS1_3repE0EEENS1_30default_config_static_selectorELNS0_4arch9wavefront6targetE1EEEvT1_,"axG",@progbits,_ZN7rocprim17ROCPRIM_400000_NS6detail17trampoline_kernelINS0_14default_configENS1_35adjacent_difference_config_selectorILb0EjEEZNS1_24adjacent_difference_implIS3_Lb0ELb0EPjS7_N6thrust23THRUST_200600_302600_NS4plusIjEEEE10hipError_tPvRmT2_T3_mT4_P12ihipStream_tbEUlT_E_NS1_11comp_targetILNS1_3genE8ELNS1_11target_archE1030ELNS1_3gpuE2ELNS1_3repE0EEENS1_30default_config_static_selectorELNS0_4arch9wavefront6targetE1EEEvT1_,comdat
.Lfunc_end187:
	.size	_ZN7rocprim17ROCPRIM_400000_NS6detail17trampoline_kernelINS0_14default_configENS1_35adjacent_difference_config_selectorILb0EjEEZNS1_24adjacent_difference_implIS3_Lb0ELb0EPjS7_N6thrust23THRUST_200600_302600_NS4plusIjEEEE10hipError_tPvRmT2_T3_mT4_P12ihipStream_tbEUlT_E_NS1_11comp_targetILNS1_3genE8ELNS1_11target_archE1030ELNS1_3gpuE2ELNS1_3repE0EEENS1_30default_config_static_selectorELNS0_4arch9wavefront6targetE1EEEvT1_, .Lfunc_end187-_ZN7rocprim17ROCPRIM_400000_NS6detail17trampoline_kernelINS0_14default_configENS1_35adjacent_difference_config_selectorILb0EjEEZNS1_24adjacent_difference_implIS3_Lb0ELb0EPjS7_N6thrust23THRUST_200600_302600_NS4plusIjEEEE10hipError_tPvRmT2_T3_mT4_P12ihipStream_tbEUlT_E_NS1_11comp_targetILNS1_3genE8ELNS1_11target_archE1030ELNS1_3gpuE2ELNS1_3repE0EEENS1_30default_config_static_selectorELNS0_4arch9wavefront6targetE1EEEvT1_
                                        ; -- End function
	.set _ZN7rocprim17ROCPRIM_400000_NS6detail17trampoline_kernelINS0_14default_configENS1_35adjacent_difference_config_selectorILb0EjEEZNS1_24adjacent_difference_implIS3_Lb0ELb0EPjS7_N6thrust23THRUST_200600_302600_NS4plusIjEEEE10hipError_tPvRmT2_T3_mT4_P12ihipStream_tbEUlT_E_NS1_11comp_targetILNS1_3genE8ELNS1_11target_archE1030ELNS1_3gpuE2ELNS1_3repE0EEENS1_30default_config_static_selectorELNS0_4arch9wavefront6targetE1EEEvT1_.num_vgpr, 0
	.set _ZN7rocprim17ROCPRIM_400000_NS6detail17trampoline_kernelINS0_14default_configENS1_35adjacent_difference_config_selectorILb0EjEEZNS1_24adjacent_difference_implIS3_Lb0ELb0EPjS7_N6thrust23THRUST_200600_302600_NS4plusIjEEEE10hipError_tPvRmT2_T3_mT4_P12ihipStream_tbEUlT_E_NS1_11comp_targetILNS1_3genE8ELNS1_11target_archE1030ELNS1_3gpuE2ELNS1_3repE0EEENS1_30default_config_static_selectorELNS0_4arch9wavefront6targetE1EEEvT1_.num_agpr, 0
	.set _ZN7rocprim17ROCPRIM_400000_NS6detail17trampoline_kernelINS0_14default_configENS1_35adjacent_difference_config_selectorILb0EjEEZNS1_24adjacent_difference_implIS3_Lb0ELb0EPjS7_N6thrust23THRUST_200600_302600_NS4plusIjEEEE10hipError_tPvRmT2_T3_mT4_P12ihipStream_tbEUlT_E_NS1_11comp_targetILNS1_3genE8ELNS1_11target_archE1030ELNS1_3gpuE2ELNS1_3repE0EEENS1_30default_config_static_selectorELNS0_4arch9wavefront6targetE1EEEvT1_.numbered_sgpr, 0
	.set _ZN7rocprim17ROCPRIM_400000_NS6detail17trampoline_kernelINS0_14default_configENS1_35adjacent_difference_config_selectorILb0EjEEZNS1_24adjacent_difference_implIS3_Lb0ELb0EPjS7_N6thrust23THRUST_200600_302600_NS4plusIjEEEE10hipError_tPvRmT2_T3_mT4_P12ihipStream_tbEUlT_E_NS1_11comp_targetILNS1_3genE8ELNS1_11target_archE1030ELNS1_3gpuE2ELNS1_3repE0EEENS1_30default_config_static_selectorELNS0_4arch9wavefront6targetE1EEEvT1_.num_named_barrier, 0
	.set _ZN7rocprim17ROCPRIM_400000_NS6detail17trampoline_kernelINS0_14default_configENS1_35adjacent_difference_config_selectorILb0EjEEZNS1_24adjacent_difference_implIS3_Lb0ELb0EPjS7_N6thrust23THRUST_200600_302600_NS4plusIjEEEE10hipError_tPvRmT2_T3_mT4_P12ihipStream_tbEUlT_E_NS1_11comp_targetILNS1_3genE8ELNS1_11target_archE1030ELNS1_3gpuE2ELNS1_3repE0EEENS1_30default_config_static_selectorELNS0_4arch9wavefront6targetE1EEEvT1_.private_seg_size, 0
	.set _ZN7rocprim17ROCPRIM_400000_NS6detail17trampoline_kernelINS0_14default_configENS1_35adjacent_difference_config_selectorILb0EjEEZNS1_24adjacent_difference_implIS3_Lb0ELb0EPjS7_N6thrust23THRUST_200600_302600_NS4plusIjEEEE10hipError_tPvRmT2_T3_mT4_P12ihipStream_tbEUlT_E_NS1_11comp_targetILNS1_3genE8ELNS1_11target_archE1030ELNS1_3gpuE2ELNS1_3repE0EEENS1_30default_config_static_selectorELNS0_4arch9wavefront6targetE1EEEvT1_.uses_vcc, 0
	.set _ZN7rocprim17ROCPRIM_400000_NS6detail17trampoline_kernelINS0_14default_configENS1_35adjacent_difference_config_selectorILb0EjEEZNS1_24adjacent_difference_implIS3_Lb0ELb0EPjS7_N6thrust23THRUST_200600_302600_NS4plusIjEEEE10hipError_tPvRmT2_T3_mT4_P12ihipStream_tbEUlT_E_NS1_11comp_targetILNS1_3genE8ELNS1_11target_archE1030ELNS1_3gpuE2ELNS1_3repE0EEENS1_30default_config_static_selectorELNS0_4arch9wavefront6targetE1EEEvT1_.uses_flat_scratch, 0
	.set _ZN7rocprim17ROCPRIM_400000_NS6detail17trampoline_kernelINS0_14default_configENS1_35adjacent_difference_config_selectorILb0EjEEZNS1_24adjacent_difference_implIS3_Lb0ELb0EPjS7_N6thrust23THRUST_200600_302600_NS4plusIjEEEE10hipError_tPvRmT2_T3_mT4_P12ihipStream_tbEUlT_E_NS1_11comp_targetILNS1_3genE8ELNS1_11target_archE1030ELNS1_3gpuE2ELNS1_3repE0EEENS1_30default_config_static_selectorELNS0_4arch9wavefront6targetE1EEEvT1_.has_dyn_sized_stack, 0
	.set _ZN7rocprim17ROCPRIM_400000_NS6detail17trampoline_kernelINS0_14default_configENS1_35adjacent_difference_config_selectorILb0EjEEZNS1_24adjacent_difference_implIS3_Lb0ELb0EPjS7_N6thrust23THRUST_200600_302600_NS4plusIjEEEE10hipError_tPvRmT2_T3_mT4_P12ihipStream_tbEUlT_E_NS1_11comp_targetILNS1_3genE8ELNS1_11target_archE1030ELNS1_3gpuE2ELNS1_3repE0EEENS1_30default_config_static_selectorELNS0_4arch9wavefront6targetE1EEEvT1_.has_recursion, 0
	.set _ZN7rocprim17ROCPRIM_400000_NS6detail17trampoline_kernelINS0_14default_configENS1_35adjacent_difference_config_selectorILb0EjEEZNS1_24adjacent_difference_implIS3_Lb0ELb0EPjS7_N6thrust23THRUST_200600_302600_NS4plusIjEEEE10hipError_tPvRmT2_T3_mT4_P12ihipStream_tbEUlT_E_NS1_11comp_targetILNS1_3genE8ELNS1_11target_archE1030ELNS1_3gpuE2ELNS1_3repE0EEENS1_30default_config_static_selectorELNS0_4arch9wavefront6targetE1EEEvT1_.has_indirect_call, 0
	.section	.AMDGPU.csdata,"",@progbits
; Kernel info:
; codeLenInByte = 0
; TotalNumSgprs: 4
; NumVgprs: 0
; ScratchSize: 0
; MemoryBound: 0
; FloatMode: 240
; IeeeMode: 1
; LDSByteSize: 0 bytes/workgroup (compile time only)
; SGPRBlocks: 0
; VGPRBlocks: 0
; NumSGPRsForWavesPerEU: 4
; NumVGPRsForWavesPerEU: 1
; Occupancy: 10
; WaveLimiterHint : 0
; COMPUTE_PGM_RSRC2:SCRATCH_EN: 0
; COMPUTE_PGM_RSRC2:USER_SGPR: 6
; COMPUTE_PGM_RSRC2:TRAP_HANDLER: 0
; COMPUTE_PGM_RSRC2:TGID_X_EN: 1
; COMPUTE_PGM_RSRC2:TGID_Y_EN: 0
; COMPUTE_PGM_RSRC2:TGID_Z_EN: 0
; COMPUTE_PGM_RSRC2:TIDIG_COMP_CNT: 0
	.section	.text._ZN7rocprim17ROCPRIM_400000_NS6detail17trampoline_kernelINS0_14default_configENS1_25transform_config_selectorIjLb0EEEZNS1_14transform_implILb0ES3_S5_NS0_18transform_iteratorINS0_17counting_iteratorImlEEZNS1_24adjacent_difference_implIS3_Lb1ELb0EPjSB_N6thrust23THRUST_200600_302600_NS4plusIjEEEE10hipError_tPvRmT2_T3_mT4_P12ihipStream_tbEUlmE_jEESB_NS0_8identityIvEEEESG_SJ_SK_mSL_SN_bEUlT_E_NS1_11comp_targetILNS1_3genE0ELNS1_11target_archE4294967295ELNS1_3gpuE0ELNS1_3repE0EEENS1_30default_config_static_selectorELNS0_4arch9wavefront6targetE1EEEvT1_,"axG",@progbits,_ZN7rocprim17ROCPRIM_400000_NS6detail17trampoline_kernelINS0_14default_configENS1_25transform_config_selectorIjLb0EEEZNS1_14transform_implILb0ES3_S5_NS0_18transform_iteratorINS0_17counting_iteratorImlEEZNS1_24adjacent_difference_implIS3_Lb1ELb0EPjSB_N6thrust23THRUST_200600_302600_NS4plusIjEEEE10hipError_tPvRmT2_T3_mT4_P12ihipStream_tbEUlmE_jEESB_NS0_8identityIvEEEESG_SJ_SK_mSL_SN_bEUlT_E_NS1_11comp_targetILNS1_3genE0ELNS1_11target_archE4294967295ELNS1_3gpuE0ELNS1_3repE0EEENS1_30default_config_static_selectorELNS0_4arch9wavefront6targetE1EEEvT1_,comdat
	.protected	_ZN7rocprim17ROCPRIM_400000_NS6detail17trampoline_kernelINS0_14default_configENS1_25transform_config_selectorIjLb0EEEZNS1_14transform_implILb0ES3_S5_NS0_18transform_iteratorINS0_17counting_iteratorImlEEZNS1_24adjacent_difference_implIS3_Lb1ELb0EPjSB_N6thrust23THRUST_200600_302600_NS4plusIjEEEE10hipError_tPvRmT2_T3_mT4_P12ihipStream_tbEUlmE_jEESB_NS0_8identityIvEEEESG_SJ_SK_mSL_SN_bEUlT_E_NS1_11comp_targetILNS1_3genE0ELNS1_11target_archE4294967295ELNS1_3gpuE0ELNS1_3repE0EEENS1_30default_config_static_selectorELNS0_4arch9wavefront6targetE1EEEvT1_ ; -- Begin function _ZN7rocprim17ROCPRIM_400000_NS6detail17trampoline_kernelINS0_14default_configENS1_25transform_config_selectorIjLb0EEEZNS1_14transform_implILb0ES3_S5_NS0_18transform_iteratorINS0_17counting_iteratorImlEEZNS1_24adjacent_difference_implIS3_Lb1ELb0EPjSB_N6thrust23THRUST_200600_302600_NS4plusIjEEEE10hipError_tPvRmT2_T3_mT4_P12ihipStream_tbEUlmE_jEESB_NS0_8identityIvEEEESG_SJ_SK_mSL_SN_bEUlT_E_NS1_11comp_targetILNS1_3genE0ELNS1_11target_archE4294967295ELNS1_3gpuE0ELNS1_3repE0EEENS1_30default_config_static_selectorELNS0_4arch9wavefront6targetE1EEEvT1_
	.globl	_ZN7rocprim17ROCPRIM_400000_NS6detail17trampoline_kernelINS0_14default_configENS1_25transform_config_selectorIjLb0EEEZNS1_14transform_implILb0ES3_S5_NS0_18transform_iteratorINS0_17counting_iteratorImlEEZNS1_24adjacent_difference_implIS3_Lb1ELb0EPjSB_N6thrust23THRUST_200600_302600_NS4plusIjEEEE10hipError_tPvRmT2_T3_mT4_P12ihipStream_tbEUlmE_jEESB_NS0_8identityIvEEEESG_SJ_SK_mSL_SN_bEUlT_E_NS1_11comp_targetILNS1_3genE0ELNS1_11target_archE4294967295ELNS1_3gpuE0ELNS1_3repE0EEENS1_30default_config_static_selectorELNS0_4arch9wavefront6targetE1EEEvT1_
	.p2align	8
	.type	_ZN7rocprim17ROCPRIM_400000_NS6detail17trampoline_kernelINS0_14default_configENS1_25transform_config_selectorIjLb0EEEZNS1_14transform_implILb0ES3_S5_NS0_18transform_iteratorINS0_17counting_iteratorImlEEZNS1_24adjacent_difference_implIS3_Lb1ELb0EPjSB_N6thrust23THRUST_200600_302600_NS4plusIjEEEE10hipError_tPvRmT2_T3_mT4_P12ihipStream_tbEUlmE_jEESB_NS0_8identityIvEEEESG_SJ_SK_mSL_SN_bEUlT_E_NS1_11comp_targetILNS1_3genE0ELNS1_11target_archE4294967295ELNS1_3gpuE0ELNS1_3repE0EEENS1_30default_config_static_selectorELNS0_4arch9wavefront6targetE1EEEvT1_,@function
_ZN7rocprim17ROCPRIM_400000_NS6detail17trampoline_kernelINS0_14default_configENS1_25transform_config_selectorIjLb0EEEZNS1_14transform_implILb0ES3_S5_NS0_18transform_iteratorINS0_17counting_iteratorImlEEZNS1_24adjacent_difference_implIS3_Lb1ELb0EPjSB_N6thrust23THRUST_200600_302600_NS4plusIjEEEE10hipError_tPvRmT2_T3_mT4_P12ihipStream_tbEUlmE_jEESB_NS0_8identityIvEEEESG_SJ_SK_mSL_SN_bEUlT_E_NS1_11comp_targetILNS1_3genE0ELNS1_11target_archE4294967295ELNS1_3gpuE0ELNS1_3repE0EEENS1_30default_config_static_selectorELNS0_4arch9wavefront6targetE1EEEvT1_: ; @_ZN7rocprim17ROCPRIM_400000_NS6detail17trampoline_kernelINS0_14default_configENS1_25transform_config_selectorIjLb0EEEZNS1_14transform_implILb0ES3_S5_NS0_18transform_iteratorINS0_17counting_iteratorImlEEZNS1_24adjacent_difference_implIS3_Lb1ELb0EPjSB_N6thrust23THRUST_200600_302600_NS4plusIjEEEE10hipError_tPvRmT2_T3_mT4_P12ihipStream_tbEUlmE_jEESB_NS0_8identityIvEEEESG_SJ_SK_mSL_SN_bEUlT_E_NS1_11comp_targetILNS1_3genE0ELNS1_11target_archE4294967295ELNS1_3gpuE0ELNS1_3repE0EEENS1_30default_config_static_selectorELNS0_4arch9wavefront6targetE1EEEvT1_
; %bb.0:
	.section	.rodata,"a",@progbits
	.p2align	6, 0x0
	.amdhsa_kernel _ZN7rocprim17ROCPRIM_400000_NS6detail17trampoline_kernelINS0_14default_configENS1_25transform_config_selectorIjLb0EEEZNS1_14transform_implILb0ES3_S5_NS0_18transform_iteratorINS0_17counting_iteratorImlEEZNS1_24adjacent_difference_implIS3_Lb1ELb0EPjSB_N6thrust23THRUST_200600_302600_NS4plusIjEEEE10hipError_tPvRmT2_T3_mT4_P12ihipStream_tbEUlmE_jEESB_NS0_8identityIvEEEESG_SJ_SK_mSL_SN_bEUlT_E_NS1_11comp_targetILNS1_3genE0ELNS1_11target_archE4294967295ELNS1_3gpuE0ELNS1_3repE0EEENS1_30default_config_static_selectorELNS0_4arch9wavefront6targetE1EEEvT1_
		.amdhsa_group_segment_fixed_size 0
		.amdhsa_private_segment_fixed_size 0
		.amdhsa_kernarg_size 56
		.amdhsa_user_sgpr_count 6
		.amdhsa_user_sgpr_private_segment_buffer 1
		.amdhsa_user_sgpr_dispatch_ptr 0
		.amdhsa_user_sgpr_queue_ptr 0
		.amdhsa_user_sgpr_kernarg_segment_ptr 1
		.amdhsa_user_sgpr_dispatch_id 0
		.amdhsa_user_sgpr_flat_scratch_init 0
		.amdhsa_user_sgpr_private_segment_size 0
		.amdhsa_uses_dynamic_stack 0
		.amdhsa_system_sgpr_private_segment_wavefront_offset 0
		.amdhsa_system_sgpr_workgroup_id_x 1
		.amdhsa_system_sgpr_workgroup_id_y 0
		.amdhsa_system_sgpr_workgroup_id_z 0
		.amdhsa_system_sgpr_workgroup_info 0
		.amdhsa_system_vgpr_workitem_id 0
		.amdhsa_next_free_vgpr 1
		.amdhsa_next_free_sgpr 0
		.amdhsa_reserve_vcc 0
		.amdhsa_reserve_flat_scratch 0
		.amdhsa_float_round_mode_32 0
		.amdhsa_float_round_mode_16_64 0
		.amdhsa_float_denorm_mode_32 3
		.amdhsa_float_denorm_mode_16_64 3
		.amdhsa_dx10_clamp 1
		.amdhsa_ieee_mode 1
		.amdhsa_fp16_overflow 0
		.amdhsa_exception_fp_ieee_invalid_op 0
		.amdhsa_exception_fp_denorm_src 0
		.amdhsa_exception_fp_ieee_div_zero 0
		.amdhsa_exception_fp_ieee_overflow 0
		.amdhsa_exception_fp_ieee_underflow 0
		.amdhsa_exception_fp_ieee_inexact 0
		.amdhsa_exception_int_div_zero 0
	.end_amdhsa_kernel
	.section	.text._ZN7rocprim17ROCPRIM_400000_NS6detail17trampoline_kernelINS0_14default_configENS1_25transform_config_selectorIjLb0EEEZNS1_14transform_implILb0ES3_S5_NS0_18transform_iteratorINS0_17counting_iteratorImlEEZNS1_24adjacent_difference_implIS3_Lb1ELb0EPjSB_N6thrust23THRUST_200600_302600_NS4plusIjEEEE10hipError_tPvRmT2_T3_mT4_P12ihipStream_tbEUlmE_jEESB_NS0_8identityIvEEEESG_SJ_SK_mSL_SN_bEUlT_E_NS1_11comp_targetILNS1_3genE0ELNS1_11target_archE4294967295ELNS1_3gpuE0ELNS1_3repE0EEENS1_30default_config_static_selectorELNS0_4arch9wavefront6targetE1EEEvT1_,"axG",@progbits,_ZN7rocprim17ROCPRIM_400000_NS6detail17trampoline_kernelINS0_14default_configENS1_25transform_config_selectorIjLb0EEEZNS1_14transform_implILb0ES3_S5_NS0_18transform_iteratorINS0_17counting_iteratorImlEEZNS1_24adjacent_difference_implIS3_Lb1ELb0EPjSB_N6thrust23THRUST_200600_302600_NS4plusIjEEEE10hipError_tPvRmT2_T3_mT4_P12ihipStream_tbEUlmE_jEESB_NS0_8identityIvEEEESG_SJ_SK_mSL_SN_bEUlT_E_NS1_11comp_targetILNS1_3genE0ELNS1_11target_archE4294967295ELNS1_3gpuE0ELNS1_3repE0EEENS1_30default_config_static_selectorELNS0_4arch9wavefront6targetE1EEEvT1_,comdat
.Lfunc_end188:
	.size	_ZN7rocprim17ROCPRIM_400000_NS6detail17trampoline_kernelINS0_14default_configENS1_25transform_config_selectorIjLb0EEEZNS1_14transform_implILb0ES3_S5_NS0_18transform_iteratorINS0_17counting_iteratorImlEEZNS1_24adjacent_difference_implIS3_Lb1ELb0EPjSB_N6thrust23THRUST_200600_302600_NS4plusIjEEEE10hipError_tPvRmT2_T3_mT4_P12ihipStream_tbEUlmE_jEESB_NS0_8identityIvEEEESG_SJ_SK_mSL_SN_bEUlT_E_NS1_11comp_targetILNS1_3genE0ELNS1_11target_archE4294967295ELNS1_3gpuE0ELNS1_3repE0EEENS1_30default_config_static_selectorELNS0_4arch9wavefront6targetE1EEEvT1_, .Lfunc_end188-_ZN7rocprim17ROCPRIM_400000_NS6detail17trampoline_kernelINS0_14default_configENS1_25transform_config_selectorIjLb0EEEZNS1_14transform_implILb0ES3_S5_NS0_18transform_iteratorINS0_17counting_iteratorImlEEZNS1_24adjacent_difference_implIS3_Lb1ELb0EPjSB_N6thrust23THRUST_200600_302600_NS4plusIjEEEE10hipError_tPvRmT2_T3_mT4_P12ihipStream_tbEUlmE_jEESB_NS0_8identityIvEEEESG_SJ_SK_mSL_SN_bEUlT_E_NS1_11comp_targetILNS1_3genE0ELNS1_11target_archE4294967295ELNS1_3gpuE0ELNS1_3repE0EEENS1_30default_config_static_selectorELNS0_4arch9wavefront6targetE1EEEvT1_
                                        ; -- End function
	.set _ZN7rocprim17ROCPRIM_400000_NS6detail17trampoline_kernelINS0_14default_configENS1_25transform_config_selectorIjLb0EEEZNS1_14transform_implILb0ES3_S5_NS0_18transform_iteratorINS0_17counting_iteratorImlEEZNS1_24adjacent_difference_implIS3_Lb1ELb0EPjSB_N6thrust23THRUST_200600_302600_NS4plusIjEEEE10hipError_tPvRmT2_T3_mT4_P12ihipStream_tbEUlmE_jEESB_NS0_8identityIvEEEESG_SJ_SK_mSL_SN_bEUlT_E_NS1_11comp_targetILNS1_3genE0ELNS1_11target_archE4294967295ELNS1_3gpuE0ELNS1_3repE0EEENS1_30default_config_static_selectorELNS0_4arch9wavefront6targetE1EEEvT1_.num_vgpr, 0
	.set _ZN7rocprim17ROCPRIM_400000_NS6detail17trampoline_kernelINS0_14default_configENS1_25transform_config_selectorIjLb0EEEZNS1_14transform_implILb0ES3_S5_NS0_18transform_iteratorINS0_17counting_iteratorImlEEZNS1_24adjacent_difference_implIS3_Lb1ELb0EPjSB_N6thrust23THRUST_200600_302600_NS4plusIjEEEE10hipError_tPvRmT2_T3_mT4_P12ihipStream_tbEUlmE_jEESB_NS0_8identityIvEEEESG_SJ_SK_mSL_SN_bEUlT_E_NS1_11comp_targetILNS1_3genE0ELNS1_11target_archE4294967295ELNS1_3gpuE0ELNS1_3repE0EEENS1_30default_config_static_selectorELNS0_4arch9wavefront6targetE1EEEvT1_.num_agpr, 0
	.set _ZN7rocprim17ROCPRIM_400000_NS6detail17trampoline_kernelINS0_14default_configENS1_25transform_config_selectorIjLb0EEEZNS1_14transform_implILb0ES3_S5_NS0_18transform_iteratorINS0_17counting_iteratorImlEEZNS1_24adjacent_difference_implIS3_Lb1ELb0EPjSB_N6thrust23THRUST_200600_302600_NS4plusIjEEEE10hipError_tPvRmT2_T3_mT4_P12ihipStream_tbEUlmE_jEESB_NS0_8identityIvEEEESG_SJ_SK_mSL_SN_bEUlT_E_NS1_11comp_targetILNS1_3genE0ELNS1_11target_archE4294967295ELNS1_3gpuE0ELNS1_3repE0EEENS1_30default_config_static_selectorELNS0_4arch9wavefront6targetE1EEEvT1_.numbered_sgpr, 0
	.set _ZN7rocprim17ROCPRIM_400000_NS6detail17trampoline_kernelINS0_14default_configENS1_25transform_config_selectorIjLb0EEEZNS1_14transform_implILb0ES3_S5_NS0_18transform_iteratorINS0_17counting_iteratorImlEEZNS1_24adjacent_difference_implIS3_Lb1ELb0EPjSB_N6thrust23THRUST_200600_302600_NS4plusIjEEEE10hipError_tPvRmT2_T3_mT4_P12ihipStream_tbEUlmE_jEESB_NS0_8identityIvEEEESG_SJ_SK_mSL_SN_bEUlT_E_NS1_11comp_targetILNS1_3genE0ELNS1_11target_archE4294967295ELNS1_3gpuE0ELNS1_3repE0EEENS1_30default_config_static_selectorELNS0_4arch9wavefront6targetE1EEEvT1_.num_named_barrier, 0
	.set _ZN7rocprim17ROCPRIM_400000_NS6detail17trampoline_kernelINS0_14default_configENS1_25transform_config_selectorIjLb0EEEZNS1_14transform_implILb0ES3_S5_NS0_18transform_iteratorINS0_17counting_iteratorImlEEZNS1_24adjacent_difference_implIS3_Lb1ELb0EPjSB_N6thrust23THRUST_200600_302600_NS4plusIjEEEE10hipError_tPvRmT2_T3_mT4_P12ihipStream_tbEUlmE_jEESB_NS0_8identityIvEEEESG_SJ_SK_mSL_SN_bEUlT_E_NS1_11comp_targetILNS1_3genE0ELNS1_11target_archE4294967295ELNS1_3gpuE0ELNS1_3repE0EEENS1_30default_config_static_selectorELNS0_4arch9wavefront6targetE1EEEvT1_.private_seg_size, 0
	.set _ZN7rocprim17ROCPRIM_400000_NS6detail17trampoline_kernelINS0_14default_configENS1_25transform_config_selectorIjLb0EEEZNS1_14transform_implILb0ES3_S5_NS0_18transform_iteratorINS0_17counting_iteratorImlEEZNS1_24adjacent_difference_implIS3_Lb1ELb0EPjSB_N6thrust23THRUST_200600_302600_NS4plusIjEEEE10hipError_tPvRmT2_T3_mT4_P12ihipStream_tbEUlmE_jEESB_NS0_8identityIvEEEESG_SJ_SK_mSL_SN_bEUlT_E_NS1_11comp_targetILNS1_3genE0ELNS1_11target_archE4294967295ELNS1_3gpuE0ELNS1_3repE0EEENS1_30default_config_static_selectorELNS0_4arch9wavefront6targetE1EEEvT1_.uses_vcc, 0
	.set _ZN7rocprim17ROCPRIM_400000_NS6detail17trampoline_kernelINS0_14default_configENS1_25transform_config_selectorIjLb0EEEZNS1_14transform_implILb0ES3_S5_NS0_18transform_iteratorINS0_17counting_iteratorImlEEZNS1_24adjacent_difference_implIS3_Lb1ELb0EPjSB_N6thrust23THRUST_200600_302600_NS4plusIjEEEE10hipError_tPvRmT2_T3_mT4_P12ihipStream_tbEUlmE_jEESB_NS0_8identityIvEEEESG_SJ_SK_mSL_SN_bEUlT_E_NS1_11comp_targetILNS1_3genE0ELNS1_11target_archE4294967295ELNS1_3gpuE0ELNS1_3repE0EEENS1_30default_config_static_selectorELNS0_4arch9wavefront6targetE1EEEvT1_.uses_flat_scratch, 0
	.set _ZN7rocprim17ROCPRIM_400000_NS6detail17trampoline_kernelINS0_14default_configENS1_25transform_config_selectorIjLb0EEEZNS1_14transform_implILb0ES3_S5_NS0_18transform_iteratorINS0_17counting_iteratorImlEEZNS1_24adjacent_difference_implIS3_Lb1ELb0EPjSB_N6thrust23THRUST_200600_302600_NS4plusIjEEEE10hipError_tPvRmT2_T3_mT4_P12ihipStream_tbEUlmE_jEESB_NS0_8identityIvEEEESG_SJ_SK_mSL_SN_bEUlT_E_NS1_11comp_targetILNS1_3genE0ELNS1_11target_archE4294967295ELNS1_3gpuE0ELNS1_3repE0EEENS1_30default_config_static_selectorELNS0_4arch9wavefront6targetE1EEEvT1_.has_dyn_sized_stack, 0
	.set _ZN7rocprim17ROCPRIM_400000_NS6detail17trampoline_kernelINS0_14default_configENS1_25transform_config_selectorIjLb0EEEZNS1_14transform_implILb0ES3_S5_NS0_18transform_iteratorINS0_17counting_iteratorImlEEZNS1_24adjacent_difference_implIS3_Lb1ELb0EPjSB_N6thrust23THRUST_200600_302600_NS4plusIjEEEE10hipError_tPvRmT2_T3_mT4_P12ihipStream_tbEUlmE_jEESB_NS0_8identityIvEEEESG_SJ_SK_mSL_SN_bEUlT_E_NS1_11comp_targetILNS1_3genE0ELNS1_11target_archE4294967295ELNS1_3gpuE0ELNS1_3repE0EEENS1_30default_config_static_selectorELNS0_4arch9wavefront6targetE1EEEvT1_.has_recursion, 0
	.set _ZN7rocprim17ROCPRIM_400000_NS6detail17trampoline_kernelINS0_14default_configENS1_25transform_config_selectorIjLb0EEEZNS1_14transform_implILb0ES3_S5_NS0_18transform_iteratorINS0_17counting_iteratorImlEEZNS1_24adjacent_difference_implIS3_Lb1ELb0EPjSB_N6thrust23THRUST_200600_302600_NS4plusIjEEEE10hipError_tPvRmT2_T3_mT4_P12ihipStream_tbEUlmE_jEESB_NS0_8identityIvEEEESG_SJ_SK_mSL_SN_bEUlT_E_NS1_11comp_targetILNS1_3genE0ELNS1_11target_archE4294967295ELNS1_3gpuE0ELNS1_3repE0EEENS1_30default_config_static_selectorELNS0_4arch9wavefront6targetE1EEEvT1_.has_indirect_call, 0
	.section	.AMDGPU.csdata,"",@progbits
; Kernel info:
; codeLenInByte = 0
; TotalNumSgprs: 4
; NumVgprs: 0
; ScratchSize: 0
; MemoryBound: 0
; FloatMode: 240
; IeeeMode: 1
; LDSByteSize: 0 bytes/workgroup (compile time only)
; SGPRBlocks: 0
; VGPRBlocks: 0
; NumSGPRsForWavesPerEU: 4
; NumVGPRsForWavesPerEU: 1
; Occupancy: 10
; WaveLimiterHint : 0
; COMPUTE_PGM_RSRC2:SCRATCH_EN: 0
; COMPUTE_PGM_RSRC2:USER_SGPR: 6
; COMPUTE_PGM_RSRC2:TRAP_HANDLER: 0
; COMPUTE_PGM_RSRC2:TGID_X_EN: 1
; COMPUTE_PGM_RSRC2:TGID_Y_EN: 0
; COMPUTE_PGM_RSRC2:TGID_Z_EN: 0
; COMPUTE_PGM_RSRC2:TIDIG_COMP_CNT: 0
	.section	.text._ZN7rocprim17ROCPRIM_400000_NS6detail17trampoline_kernelINS0_14default_configENS1_25transform_config_selectorIjLb0EEEZNS1_14transform_implILb0ES3_S5_NS0_18transform_iteratorINS0_17counting_iteratorImlEEZNS1_24adjacent_difference_implIS3_Lb1ELb0EPjSB_N6thrust23THRUST_200600_302600_NS4plusIjEEEE10hipError_tPvRmT2_T3_mT4_P12ihipStream_tbEUlmE_jEESB_NS0_8identityIvEEEESG_SJ_SK_mSL_SN_bEUlT_E_NS1_11comp_targetILNS1_3genE5ELNS1_11target_archE942ELNS1_3gpuE9ELNS1_3repE0EEENS1_30default_config_static_selectorELNS0_4arch9wavefront6targetE1EEEvT1_,"axG",@progbits,_ZN7rocprim17ROCPRIM_400000_NS6detail17trampoline_kernelINS0_14default_configENS1_25transform_config_selectorIjLb0EEEZNS1_14transform_implILb0ES3_S5_NS0_18transform_iteratorINS0_17counting_iteratorImlEEZNS1_24adjacent_difference_implIS3_Lb1ELb0EPjSB_N6thrust23THRUST_200600_302600_NS4plusIjEEEE10hipError_tPvRmT2_T3_mT4_P12ihipStream_tbEUlmE_jEESB_NS0_8identityIvEEEESG_SJ_SK_mSL_SN_bEUlT_E_NS1_11comp_targetILNS1_3genE5ELNS1_11target_archE942ELNS1_3gpuE9ELNS1_3repE0EEENS1_30default_config_static_selectorELNS0_4arch9wavefront6targetE1EEEvT1_,comdat
	.protected	_ZN7rocprim17ROCPRIM_400000_NS6detail17trampoline_kernelINS0_14default_configENS1_25transform_config_selectorIjLb0EEEZNS1_14transform_implILb0ES3_S5_NS0_18transform_iteratorINS0_17counting_iteratorImlEEZNS1_24adjacent_difference_implIS3_Lb1ELb0EPjSB_N6thrust23THRUST_200600_302600_NS4plusIjEEEE10hipError_tPvRmT2_T3_mT4_P12ihipStream_tbEUlmE_jEESB_NS0_8identityIvEEEESG_SJ_SK_mSL_SN_bEUlT_E_NS1_11comp_targetILNS1_3genE5ELNS1_11target_archE942ELNS1_3gpuE9ELNS1_3repE0EEENS1_30default_config_static_selectorELNS0_4arch9wavefront6targetE1EEEvT1_ ; -- Begin function _ZN7rocprim17ROCPRIM_400000_NS6detail17trampoline_kernelINS0_14default_configENS1_25transform_config_selectorIjLb0EEEZNS1_14transform_implILb0ES3_S5_NS0_18transform_iteratorINS0_17counting_iteratorImlEEZNS1_24adjacent_difference_implIS3_Lb1ELb0EPjSB_N6thrust23THRUST_200600_302600_NS4plusIjEEEE10hipError_tPvRmT2_T3_mT4_P12ihipStream_tbEUlmE_jEESB_NS0_8identityIvEEEESG_SJ_SK_mSL_SN_bEUlT_E_NS1_11comp_targetILNS1_3genE5ELNS1_11target_archE942ELNS1_3gpuE9ELNS1_3repE0EEENS1_30default_config_static_selectorELNS0_4arch9wavefront6targetE1EEEvT1_
	.globl	_ZN7rocprim17ROCPRIM_400000_NS6detail17trampoline_kernelINS0_14default_configENS1_25transform_config_selectorIjLb0EEEZNS1_14transform_implILb0ES3_S5_NS0_18transform_iteratorINS0_17counting_iteratorImlEEZNS1_24adjacent_difference_implIS3_Lb1ELb0EPjSB_N6thrust23THRUST_200600_302600_NS4plusIjEEEE10hipError_tPvRmT2_T3_mT4_P12ihipStream_tbEUlmE_jEESB_NS0_8identityIvEEEESG_SJ_SK_mSL_SN_bEUlT_E_NS1_11comp_targetILNS1_3genE5ELNS1_11target_archE942ELNS1_3gpuE9ELNS1_3repE0EEENS1_30default_config_static_selectorELNS0_4arch9wavefront6targetE1EEEvT1_
	.p2align	8
	.type	_ZN7rocprim17ROCPRIM_400000_NS6detail17trampoline_kernelINS0_14default_configENS1_25transform_config_selectorIjLb0EEEZNS1_14transform_implILb0ES3_S5_NS0_18transform_iteratorINS0_17counting_iteratorImlEEZNS1_24adjacent_difference_implIS3_Lb1ELb0EPjSB_N6thrust23THRUST_200600_302600_NS4plusIjEEEE10hipError_tPvRmT2_T3_mT4_P12ihipStream_tbEUlmE_jEESB_NS0_8identityIvEEEESG_SJ_SK_mSL_SN_bEUlT_E_NS1_11comp_targetILNS1_3genE5ELNS1_11target_archE942ELNS1_3gpuE9ELNS1_3repE0EEENS1_30default_config_static_selectorELNS0_4arch9wavefront6targetE1EEEvT1_,@function
_ZN7rocprim17ROCPRIM_400000_NS6detail17trampoline_kernelINS0_14default_configENS1_25transform_config_selectorIjLb0EEEZNS1_14transform_implILb0ES3_S5_NS0_18transform_iteratorINS0_17counting_iteratorImlEEZNS1_24adjacent_difference_implIS3_Lb1ELb0EPjSB_N6thrust23THRUST_200600_302600_NS4plusIjEEEE10hipError_tPvRmT2_T3_mT4_P12ihipStream_tbEUlmE_jEESB_NS0_8identityIvEEEESG_SJ_SK_mSL_SN_bEUlT_E_NS1_11comp_targetILNS1_3genE5ELNS1_11target_archE942ELNS1_3gpuE9ELNS1_3repE0EEENS1_30default_config_static_selectorELNS0_4arch9wavefront6targetE1EEEvT1_: ; @_ZN7rocprim17ROCPRIM_400000_NS6detail17trampoline_kernelINS0_14default_configENS1_25transform_config_selectorIjLb0EEEZNS1_14transform_implILb0ES3_S5_NS0_18transform_iteratorINS0_17counting_iteratorImlEEZNS1_24adjacent_difference_implIS3_Lb1ELb0EPjSB_N6thrust23THRUST_200600_302600_NS4plusIjEEEE10hipError_tPvRmT2_T3_mT4_P12ihipStream_tbEUlmE_jEESB_NS0_8identityIvEEEESG_SJ_SK_mSL_SN_bEUlT_E_NS1_11comp_targetILNS1_3genE5ELNS1_11target_archE942ELNS1_3gpuE9ELNS1_3repE0EEENS1_30default_config_static_selectorELNS0_4arch9wavefront6targetE1EEEvT1_
; %bb.0:
	.section	.rodata,"a",@progbits
	.p2align	6, 0x0
	.amdhsa_kernel _ZN7rocprim17ROCPRIM_400000_NS6detail17trampoline_kernelINS0_14default_configENS1_25transform_config_selectorIjLb0EEEZNS1_14transform_implILb0ES3_S5_NS0_18transform_iteratorINS0_17counting_iteratorImlEEZNS1_24adjacent_difference_implIS3_Lb1ELb0EPjSB_N6thrust23THRUST_200600_302600_NS4plusIjEEEE10hipError_tPvRmT2_T3_mT4_P12ihipStream_tbEUlmE_jEESB_NS0_8identityIvEEEESG_SJ_SK_mSL_SN_bEUlT_E_NS1_11comp_targetILNS1_3genE5ELNS1_11target_archE942ELNS1_3gpuE9ELNS1_3repE0EEENS1_30default_config_static_selectorELNS0_4arch9wavefront6targetE1EEEvT1_
		.amdhsa_group_segment_fixed_size 0
		.amdhsa_private_segment_fixed_size 0
		.amdhsa_kernarg_size 56
		.amdhsa_user_sgpr_count 6
		.amdhsa_user_sgpr_private_segment_buffer 1
		.amdhsa_user_sgpr_dispatch_ptr 0
		.amdhsa_user_sgpr_queue_ptr 0
		.amdhsa_user_sgpr_kernarg_segment_ptr 1
		.amdhsa_user_sgpr_dispatch_id 0
		.amdhsa_user_sgpr_flat_scratch_init 0
		.amdhsa_user_sgpr_private_segment_size 0
		.amdhsa_uses_dynamic_stack 0
		.amdhsa_system_sgpr_private_segment_wavefront_offset 0
		.amdhsa_system_sgpr_workgroup_id_x 1
		.amdhsa_system_sgpr_workgroup_id_y 0
		.amdhsa_system_sgpr_workgroup_id_z 0
		.amdhsa_system_sgpr_workgroup_info 0
		.amdhsa_system_vgpr_workitem_id 0
		.amdhsa_next_free_vgpr 1
		.amdhsa_next_free_sgpr 0
		.amdhsa_reserve_vcc 0
		.amdhsa_reserve_flat_scratch 0
		.amdhsa_float_round_mode_32 0
		.amdhsa_float_round_mode_16_64 0
		.amdhsa_float_denorm_mode_32 3
		.amdhsa_float_denorm_mode_16_64 3
		.amdhsa_dx10_clamp 1
		.amdhsa_ieee_mode 1
		.amdhsa_fp16_overflow 0
		.amdhsa_exception_fp_ieee_invalid_op 0
		.amdhsa_exception_fp_denorm_src 0
		.amdhsa_exception_fp_ieee_div_zero 0
		.amdhsa_exception_fp_ieee_overflow 0
		.amdhsa_exception_fp_ieee_underflow 0
		.amdhsa_exception_fp_ieee_inexact 0
		.amdhsa_exception_int_div_zero 0
	.end_amdhsa_kernel
	.section	.text._ZN7rocprim17ROCPRIM_400000_NS6detail17trampoline_kernelINS0_14default_configENS1_25transform_config_selectorIjLb0EEEZNS1_14transform_implILb0ES3_S5_NS0_18transform_iteratorINS0_17counting_iteratorImlEEZNS1_24adjacent_difference_implIS3_Lb1ELb0EPjSB_N6thrust23THRUST_200600_302600_NS4plusIjEEEE10hipError_tPvRmT2_T3_mT4_P12ihipStream_tbEUlmE_jEESB_NS0_8identityIvEEEESG_SJ_SK_mSL_SN_bEUlT_E_NS1_11comp_targetILNS1_3genE5ELNS1_11target_archE942ELNS1_3gpuE9ELNS1_3repE0EEENS1_30default_config_static_selectorELNS0_4arch9wavefront6targetE1EEEvT1_,"axG",@progbits,_ZN7rocprim17ROCPRIM_400000_NS6detail17trampoline_kernelINS0_14default_configENS1_25transform_config_selectorIjLb0EEEZNS1_14transform_implILb0ES3_S5_NS0_18transform_iteratorINS0_17counting_iteratorImlEEZNS1_24adjacent_difference_implIS3_Lb1ELb0EPjSB_N6thrust23THRUST_200600_302600_NS4plusIjEEEE10hipError_tPvRmT2_T3_mT4_P12ihipStream_tbEUlmE_jEESB_NS0_8identityIvEEEESG_SJ_SK_mSL_SN_bEUlT_E_NS1_11comp_targetILNS1_3genE5ELNS1_11target_archE942ELNS1_3gpuE9ELNS1_3repE0EEENS1_30default_config_static_selectorELNS0_4arch9wavefront6targetE1EEEvT1_,comdat
.Lfunc_end189:
	.size	_ZN7rocprim17ROCPRIM_400000_NS6detail17trampoline_kernelINS0_14default_configENS1_25transform_config_selectorIjLb0EEEZNS1_14transform_implILb0ES3_S5_NS0_18transform_iteratorINS0_17counting_iteratorImlEEZNS1_24adjacent_difference_implIS3_Lb1ELb0EPjSB_N6thrust23THRUST_200600_302600_NS4plusIjEEEE10hipError_tPvRmT2_T3_mT4_P12ihipStream_tbEUlmE_jEESB_NS0_8identityIvEEEESG_SJ_SK_mSL_SN_bEUlT_E_NS1_11comp_targetILNS1_3genE5ELNS1_11target_archE942ELNS1_3gpuE9ELNS1_3repE0EEENS1_30default_config_static_selectorELNS0_4arch9wavefront6targetE1EEEvT1_, .Lfunc_end189-_ZN7rocprim17ROCPRIM_400000_NS6detail17trampoline_kernelINS0_14default_configENS1_25transform_config_selectorIjLb0EEEZNS1_14transform_implILb0ES3_S5_NS0_18transform_iteratorINS0_17counting_iteratorImlEEZNS1_24adjacent_difference_implIS3_Lb1ELb0EPjSB_N6thrust23THRUST_200600_302600_NS4plusIjEEEE10hipError_tPvRmT2_T3_mT4_P12ihipStream_tbEUlmE_jEESB_NS0_8identityIvEEEESG_SJ_SK_mSL_SN_bEUlT_E_NS1_11comp_targetILNS1_3genE5ELNS1_11target_archE942ELNS1_3gpuE9ELNS1_3repE0EEENS1_30default_config_static_selectorELNS0_4arch9wavefront6targetE1EEEvT1_
                                        ; -- End function
	.set _ZN7rocprim17ROCPRIM_400000_NS6detail17trampoline_kernelINS0_14default_configENS1_25transform_config_selectorIjLb0EEEZNS1_14transform_implILb0ES3_S5_NS0_18transform_iteratorINS0_17counting_iteratorImlEEZNS1_24adjacent_difference_implIS3_Lb1ELb0EPjSB_N6thrust23THRUST_200600_302600_NS4plusIjEEEE10hipError_tPvRmT2_T3_mT4_P12ihipStream_tbEUlmE_jEESB_NS0_8identityIvEEEESG_SJ_SK_mSL_SN_bEUlT_E_NS1_11comp_targetILNS1_3genE5ELNS1_11target_archE942ELNS1_3gpuE9ELNS1_3repE0EEENS1_30default_config_static_selectorELNS0_4arch9wavefront6targetE1EEEvT1_.num_vgpr, 0
	.set _ZN7rocprim17ROCPRIM_400000_NS6detail17trampoline_kernelINS0_14default_configENS1_25transform_config_selectorIjLb0EEEZNS1_14transform_implILb0ES3_S5_NS0_18transform_iteratorINS0_17counting_iteratorImlEEZNS1_24adjacent_difference_implIS3_Lb1ELb0EPjSB_N6thrust23THRUST_200600_302600_NS4plusIjEEEE10hipError_tPvRmT2_T3_mT4_P12ihipStream_tbEUlmE_jEESB_NS0_8identityIvEEEESG_SJ_SK_mSL_SN_bEUlT_E_NS1_11comp_targetILNS1_3genE5ELNS1_11target_archE942ELNS1_3gpuE9ELNS1_3repE0EEENS1_30default_config_static_selectorELNS0_4arch9wavefront6targetE1EEEvT1_.num_agpr, 0
	.set _ZN7rocprim17ROCPRIM_400000_NS6detail17trampoline_kernelINS0_14default_configENS1_25transform_config_selectorIjLb0EEEZNS1_14transform_implILb0ES3_S5_NS0_18transform_iteratorINS0_17counting_iteratorImlEEZNS1_24adjacent_difference_implIS3_Lb1ELb0EPjSB_N6thrust23THRUST_200600_302600_NS4plusIjEEEE10hipError_tPvRmT2_T3_mT4_P12ihipStream_tbEUlmE_jEESB_NS0_8identityIvEEEESG_SJ_SK_mSL_SN_bEUlT_E_NS1_11comp_targetILNS1_3genE5ELNS1_11target_archE942ELNS1_3gpuE9ELNS1_3repE0EEENS1_30default_config_static_selectorELNS0_4arch9wavefront6targetE1EEEvT1_.numbered_sgpr, 0
	.set _ZN7rocprim17ROCPRIM_400000_NS6detail17trampoline_kernelINS0_14default_configENS1_25transform_config_selectorIjLb0EEEZNS1_14transform_implILb0ES3_S5_NS0_18transform_iteratorINS0_17counting_iteratorImlEEZNS1_24adjacent_difference_implIS3_Lb1ELb0EPjSB_N6thrust23THRUST_200600_302600_NS4plusIjEEEE10hipError_tPvRmT2_T3_mT4_P12ihipStream_tbEUlmE_jEESB_NS0_8identityIvEEEESG_SJ_SK_mSL_SN_bEUlT_E_NS1_11comp_targetILNS1_3genE5ELNS1_11target_archE942ELNS1_3gpuE9ELNS1_3repE0EEENS1_30default_config_static_selectorELNS0_4arch9wavefront6targetE1EEEvT1_.num_named_barrier, 0
	.set _ZN7rocprim17ROCPRIM_400000_NS6detail17trampoline_kernelINS0_14default_configENS1_25transform_config_selectorIjLb0EEEZNS1_14transform_implILb0ES3_S5_NS0_18transform_iteratorINS0_17counting_iteratorImlEEZNS1_24adjacent_difference_implIS3_Lb1ELb0EPjSB_N6thrust23THRUST_200600_302600_NS4plusIjEEEE10hipError_tPvRmT2_T3_mT4_P12ihipStream_tbEUlmE_jEESB_NS0_8identityIvEEEESG_SJ_SK_mSL_SN_bEUlT_E_NS1_11comp_targetILNS1_3genE5ELNS1_11target_archE942ELNS1_3gpuE9ELNS1_3repE0EEENS1_30default_config_static_selectorELNS0_4arch9wavefront6targetE1EEEvT1_.private_seg_size, 0
	.set _ZN7rocprim17ROCPRIM_400000_NS6detail17trampoline_kernelINS0_14default_configENS1_25transform_config_selectorIjLb0EEEZNS1_14transform_implILb0ES3_S5_NS0_18transform_iteratorINS0_17counting_iteratorImlEEZNS1_24adjacent_difference_implIS3_Lb1ELb0EPjSB_N6thrust23THRUST_200600_302600_NS4plusIjEEEE10hipError_tPvRmT2_T3_mT4_P12ihipStream_tbEUlmE_jEESB_NS0_8identityIvEEEESG_SJ_SK_mSL_SN_bEUlT_E_NS1_11comp_targetILNS1_3genE5ELNS1_11target_archE942ELNS1_3gpuE9ELNS1_3repE0EEENS1_30default_config_static_selectorELNS0_4arch9wavefront6targetE1EEEvT1_.uses_vcc, 0
	.set _ZN7rocprim17ROCPRIM_400000_NS6detail17trampoline_kernelINS0_14default_configENS1_25transform_config_selectorIjLb0EEEZNS1_14transform_implILb0ES3_S5_NS0_18transform_iteratorINS0_17counting_iteratorImlEEZNS1_24adjacent_difference_implIS3_Lb1ELb0EPjSB_N6thrust23THRUST_200600_302600_NS4plusIjEEEE10hipError_tPvRmT2_T3_mT4_P12ihipStream_tbEUlmE_jEESB_NS0_8identityIvEEEESG_SJ_SK_mSL_SN_bEUlT_E_NS1_11comp_targetILNS1_3genE5ELNS1_11target_archE942ELNS1_3gpuE9ELNS1_3repE0EEENS1_30default_config_static_selectorELNS0_4arch9wavefront6targetE1EEEvT1_.uses_flat_scratch, 0
	.set _ZN7rocprim17ROCPRIM_400000_NS6detail17trampoline_kernelINS0_14default_configENS1_25transform_config_selectorIjLb0EEEZNS1_14transform_implILb0ES3_S5_NS0_18transform_iteratorINS0_17counting_iteratorImlEEZNS1_24adjacent_difference_implIS3_Lb1ELb0EPjSB_N6thrust23THRUST_200600_302600_NS4plusIjEEEE10hipError_tPvRmT2_T3_mT4_P12ihipStream_tbEUlmE_jEESB_NS0_8identityIvEEEESG_SJ_SK_mSL_SN_bEUlT_E_NS1_11comp_targetILNS1_3genE5ELNS1_11target_archE942ELNS1_3gpuE9ELNS1_3repE0EEENS1_30default_config_static_selectorELNS0_4arch9wavefront6targetE1EEEvT1_.has_dyn_sized_stack, 0
	.set _ZN7rocprim17ROCPRIM_400000_NS6detail17trampoline_kernelINS0_14default_configENS1_25transform_config_selectorIjLb0EEEZNS1_14transform_implILb0ES3_S5_NS0_18transform_iteratorINS0_17counting_iteratorImlEEZNS1_24adjacent_difference_implIS3_Lb1ELb0EPjSB_N6thrust23THRUST_200600_302600_NS4plusIjEEEE10hipError_tPvRmT2_T3_mT4_P12ihipStream_tbEUlmE_jEESB_NS0_8identityIvEEEESG_SJ_SK_mSL_SN_bEUlT_E_NS1_11comp_targetILNS1_3genE5ELNS1_11target_archE942ELNS1_3gpuE9ELNS1_3repE0EEENS1_30default_config_static_selectorELNS0_4arch9wavefront6targetE1EEEvT1_.has_recursion, 0
	.set _ZN7rocprim17ROCPRIM_400000_NS6detail17trampoline_kernelINS0_14default_configENS1_25transform_config_selectorIjLb0EEEZNS1_14transform_implILb0ES3_S5_NS0_18transform_iteratorINS0_17counting_iteratorImlEEZNS1_24adjacent_difference_implIS3_Lb1ELb0EPjSB_N6thrust23THRUST_200600_302600_NS4plusIjEEEE10hipError_tPvRmT2_T3_mT4_P12ihipStream_tbEUlmE_jEESB_NS0_8identityIvEEEESG_SJ_SK_mSL_SN_bEUlT_E_NS1_11comp_targetILNS1_3genE5ELNS1_11target_archE942ELNS1_3gpuE9ELNS1_3repE0EEENS1_30default_config_static_selectorELNS0_4arch9wavefront6targetE1EEEvT1_.has_indirect_call, 0
	.section	.AMDGPU.csdata,"",@progbits
; Kernel info:
; codeLenInByte = 0
; TotalNumSgprs: 4
; NumVgprs: 0
; ScratchSize: 0
; MemoryBound: 0
; FloatMode: 240
; IeeeMode: 1
; LDSByteSize: 0 bytes/workgroup (compile time only)
; SGPRBlocks: 0
; VGPRBlocks: 0
; NumSGPRsForWavesPerEU: 4
; NumVGPRsForWavesPerEU: 1
; Occupancy: 10
; WaveLimiterHint : 0
; COMPUTE_PGM_RSRC2:SCRATCH_EN: 0
; COMPUTE_PGM_RSRC2:USER_SGPR: 6
; COMPUTE_PGM_RSRC2:TRAP_HANDLER: 0
; COMPUTE_PGM_RSRC2:TGID_X_EN: 1
; COMPUTE_PGM_RSRC2:TGID_Y_EN: 0
; COMPUTE_PGM_RSRC2:TGID_Z_EN: 0
; COMPUTE_PGM_RSRC2:TIDIG_COMP_CNT: 0
	.section	.text._ZN7rocprim17ROCPRIM_400000_NS6detail17trampoline_kernelINS0_14default_configENS1_25transform_config_selectorIjLb0EEEZNS1_14transform_implILb0ES3_S5_NS0_18transform_iteratorINS0_17counting_iteratorImlEEZNS1_24adjacent_difference_implIS3_Lb1ELb0EPjSB_N6thrust23THRUST_200600_302600_NS4plusIjEEEE10hipError_tPvRmT2_T3_mT4_P12ihipStream_tbEUlmE_jEESB_NS0_8identityIvEEEESG_SJ_SK_mSL_SN_bEUlT_E_NS1_11comp_targetILNS1_3genE4ELNS1_11target_archE910ELNS1_3gpuE8ELNS1_3repE0EEENS1_30default_config_static_selectorELNS0_4arch9wavefront6targetE1EEEvT1_,"axG",@progbits,_ZN7rocprim17ROCPRIM_400000_NS6detail17trampoline_kernelINS0_14default_configENS1_25transform_config_selectorIjLb0EEEZNS1_14transform_implILb0ES3_S5_NS0_18transform_iteratorINS0_17counting_iteratorImlEEZNS1_24adjacent_difference_implIS3_Lb1ELb0EPjSB_N6thrust23THRUST_200600_302600_NS4plusIjEEEE10hipError_tPvRmT2_T3_mT4_P12ihipStream_tbEUlmE_jEESB_NS0_8identityIvEEEESG_SJ_SK_mSL_SN_bEUlT_E_NS1_11comp_targetILNS1_3genE4ELNS1_11target_archE910ELNS1_3gpuE8ELNS1_3repE0EEENS1_30default_config_static_selectorELNS0_4arch9wavefront6targetE1EEEvT1_,comdat
	.protected	_ZN7rocprim17ROCPRIM_400000_NS6detail17trampoline_kernelINS0_14default_configENS1_25transform_config_selectorIjLb0EEEZNS1_14transform_implILb0ES3_S5_NS0_18transform_iteratorINS0_17counting_iteratorImlEEZNS1_24adjacent_difference_implIS3_Lb1ELb0EPjSB_N6thrust23THRUST_200600_302600_NS4plusIjEEEE10hipError_tPvRmT2_T3_mT4_P12ihipStream_tbEUlmE_jEESB_NS0_8identityIvEEEESG_SJ_SK_mSL_SN_bEUlT_E_NS1_11comp_targetILNS1_3genE4ELNS1_11target_archE910ELNS1_3gpuE8ELNS1_3repE0EEENS1_30default_config_static_selectorELNS0_4arch9wavefront6targetE1EEEvT1_ ; -- Begin function _ZN7rocprim17ROCPRIM_400000_NS6detail17trampoline_kernelINS0_14default_configENS1_25transform_config_selectorIjLb0EEEZNS1_14transform_implILb0ES3_S5_NS0_18transform_iteratorINS0_17counting_iteratorImlEEZNS1_24adjacent_difference_implIS3_Lb1ELb0EPjSB_N6thrust23THRUST_200600_302600_NS4plusIjEEEE10hipError_tPvRmT2_T3_mT4_P12ihipStream_tbEUlmE_jEESB_NS0_8identityIvEEEESG_SJ_SK_mSL_SN_bEUlT_E_NS1_11comp_targetILNS1_3genE4ELNS1_11target_archE910ELNS1_3gpuE8ELNS1_3repE0EEENS1_30default_config_static_selectorELNS0_4arch9wavefront6targetE1EEEvT1_
	.globl	_ZN7rocprim17ROCPRIM_400000_NS6detail17trampoline_kernelINS0_14default_configENS1_25transform_config_selectorIjLb0EEEZNS1_14transform_implILb0ES3_S5_NS0_18transform_iteratorINS0_17counting_iteratorImlEEZNS1_24adjacent_difference_implIS3_Lb1ELb0EPjSB_N6thrust23THRUST_200600_302600_NS4plusIjEEEE10hipError_tPvRmT2_T3_mT4_P12ihipStream_tbEUlmE_jEESB_NS0_8identityIvEEEESG_SJ_SK_mSL_SN_bEUlT_E_NS1_11comp_targetILNS1_3genE4ELNS1_11target_archE910ELNS1_3gpuE8ELNS1_3repE0EEENS1_30default_config_static_selectorELNS0_4arch9wavefront6targetE1EEEvT1_
	.p2align	8
	.type	_ZN7rocprim17ROCPRIM_400000_NS6detail17trampoline_kernelINS0_14default_configENS1_25transform_config_selectorIjLb0EEEZNS1_14transform_implILb0ES3_S5_NS0_18transform_iteratorINS0_17counting_iteratorImlEEZNS1_24adjacent_difference_implIS3_Lb1ELb0EPjSB_N6thrust23THRUST_200600_302600_NS4plusIjEEEE10hipError_tPvRmT2_T3_mT4_P12ihipStream_tbEUlmE_jEESB_NS0_8identityIvEEEESG_SJ_SK_mSL_SN_bEUlT_E_NS1_11comp_targetILNS1_3genE4ELNS1_11target_archE910ELNS1_3gpuE8ELNS1_3repE0EEENS1_30default_config_static_selectorELNS0_4arch9wavefront6targetE1EEEvT1_,@function
_ZN7rocprim17ROCPRIM_400000_NS6detail17trampoline_kernelINS0_14default_configENS1_25transform_config_selectorIjLb0EEEZNS1_14transform_implILb0ES3_S5_NS0_18transform_iteratorINS0_17counting_iteratorImlEEZNS1_24adjacent_difference_implIS3_Lb1ELb0EPjSB_N6thrust23THRUST_200600_302600_NS4plusIjEEEE10hipError_tPvRmT2_T3_mT4_P12ihipStream_tbEUlmE_jEESB_NS0_8identityIvEEEESG_SJ_SK_mSL_SN_bEUlT_E_NS1_11comp_targetILNS1_3genE4ELNS1_11target_archE910ELNS1_3gpuE8ELNS1_3repE0EEENS1_30default_config_static_selectorELNS0_4arch9wavefront6targetE1EEEvT1_: ; @_ZN7rocprim17ROCPRIM_400000_NS6detail17trampoline_kernelINS0_14default_configENS1_25transform_config_selectorIjLb0EEEZNS1_14transform_implILb0ES3_S5_NS0_18transform_iteratorINS0_17counting_iteratorImlEEZNS1_24adjacent_difference_implIS3_Lb1ELb0EPjSB_N6thrust23THRUST_200600_302600_NS4plusIjEEEE10hipError_tPvRmT2_T3_mT4_P12ihipStream_tbEUlmE_jEESB_NS0_8identityIvEEEESG_SJ_SK_mSL_SN_bEUlT_E_NS1_11comp_targetILNS1_3genE4ELNS1_11target_archE910ELNS1_3gpuE8ELNS1_3repE0EEENS1_30default_config_static_selectorELNS0_4arch9wavefront6targetE1EEEvT1_
; %bb.0:
	.section	.rodata,"a",@progbits
	.p2align	6, 0x0
	.amdhsa_kernel _ZN7rocprim17ROCPRIM_400000_NS6detail17trampoline_kernelINS0_14default_configENS1_25transform_config_selectorIjLb0EEEZNS1_14transform_implILb0ES3_S5_NS0_18transform_iteratorINS0_17counting_iteratorImlEEZNS1_24adjacent_difference_implIS3_Lb1ELb0EPjSB_N6thrust23THRUST_200600_302600_NS4plusIjEEEE10hipError_tPvRmT2_T3_mT4_P12ihipStream_tbEUlmE_jEESB_NS0_8identityIvEEEESG_SJ_SK_mSL_SN_bEUlT_E_NS1_11comp_targetILNS1_3genE4ELNS1_11target_archE910ELNS1_3gpuE8ELNS1_3repE0EEENS1_30default_config_static_selectorELNS0_4arch9wavefront6targetE1EEEvT1_
		.amdhsa_group_segment_fixed_size 0
		.amdhsa_private_segment_fixed_size 0
		.amdhsa_kernarg_size 56
		.amdhsa_user_sgpr_count 6
		.amdhsa_user_sgpr_private_segment_buffer 1
		.amdhsa_user_sgpr_dispatch_ptr 0
		.amdhsa_user_sgpr_queue_ptr 0
		.amdhsa_user_sgpr_kernarg_segment_ptr 1
		.amdhsa_user_sgpr_dispatch_id 0
		.amdhsa_user_sgpr_flat_scratch_init 0
		.amdhsa_user_sgpr_private_segment_size 0
		.amdhsa_uses_dynamic_stack 0
		.amdhsa_system_sgpr_private_segment_wavefront_offset 0
		.amdhsa_system_sgpr_workgroup_id_x 1
		.amdhsa_system_sgpr_workgroup_id_y 0
		.amdhsa_system_sgpr_workgroup_id_z 0
		.amdhsa_system_sgpr_workgroup_info 0
		.amdhsa_system_vgpr_workitem_id 0
		.amdhsa_next_free_vgpr 1
		.amdhsa_next_free_sgpr 0
		.amdhsa_reserve_vcc 0
		.amdhsa_reserve_flat_scratch 0
		.amdhsa_float_round_mode_32 0
		.amdhsa_float_round_mode_16_64 0
		.amdhsa_float_denorm_mode_32 3
		.amdhsa_float_denorm_mode_16_64 3
		.amdhsa_dx10_clamp 1
		.amdhsa_ieee_mode 1
		.amdhsa_fp16_overflow 0
		.amdhsa_exception_fp_ieee_invalid_op 0
		.amdhsa_exception_fp_denorm_src 0
		.amdhsa_exception_fp_ieee_div_zero 0
		.amdhsa_exception_fp_ieee_overflow 0
		.amdhsa_exception_fp_ieee_underflow 0
		.amdhsa_exception_fp_ieee_inexact 0
		.amdhsa_exception_int_div_zero 0
	.end_amdhsa_kernel
	.section	.text._ZN7rocprim17ROCPRIM_400000_NS6detail17trampoline_kernelINS0_14default_configENS1_25transform_config_selectorIjLb0EEEZNS1_14transform_implILb0ES3_S5_NS0_18transform_iteratorINS0_17counting_iteratorImlEEZNS1_24adjacent_difference_implIS3_Lb1ELb0EPjSB_N6thrust23THRUST_200600_302600_NS4plusIjEEEE10hipError_tPvRmT2_T3_mT4_P12ihipStream_tbEUlmE_jEESB_NS0_8identityIvEEEESG_SJ_SK_mSL_SN_bEUlT_E_NS1_11comp_targetILNS1_3genE4ELNS1_11target_archE910ELNS1_3gpuE8ELNS1_3repE0EEENS1_30default_config_static_selectorELNS0_4arch9wavefront6targetE1EEEvT1_,"axG",@progbits,_ZN7rocprim17ROCPRIM_400000_NS6detail17trampoline_kernelINS0_14default_configENS1_25transform_config_selectorIjLb0EEEZNS1_14transform_implILb0ES3_S5_NS0_18transform_iteratorINS0_17counting_iteratorImlEEZNS1_24adjacent_difference_implIS3_Lb1ELb0EPjSB_N6thrust23THRUST_200600_302600_NS4plusIjEEEE10hipError_tPvRmT2_T3_mT4_P12ihipStream_tbEUlmE_jEESB_NS0_8identityIvEEEESG_SJ_SK_mSL_SN_bEUlT_E_NS1_11comp_targetILNS1_3genE4ELNS1_11target_archE910ELNS1_3gpuE8ELNS1_3repE0EEENS1_30default_config_static_selectorELNS0_4arch9wavefront6targetE1EEEvT1_,comdat
.Lfunc_end190:
	.size	_ZN7rocprim17ROCPRIM_400000_NS6detail17trampoline_kernelINS0_14default_configENS1_25transform_config_selectorIjLb0EEEZNS1_14transform_implILb0ES3_S5_NS0_18transform_iteratorINS0_17counting_iteratorImlEEZNS1_24adjacent_difference_implIS3_Lb1ELb0EPjSB_N6thrust23THRUST_200600_302600_NS4plusIjEEEE10hipError_tPvRmT2_T3_mT4_P12ihipStream_tbEUlmE_jEESB_NS0_8identityIvEEEESG_SJ_SK_mSL_SN_bEUlT_E_NS1_11comp_targetILNS1_3genE4ELNS1_11target_archE910ELNS1_3gpuE8ELNS1_3repE0EEENS1_30default_config_static_selectorELNS0_4arch9wavefront6targetE1EEEvT1_, .Lfunc_end190-_ZN7rocprim17ROCPRIM_400000_NS6detail17trampoline_kernelINS0_14default_configENS1_25transform_config_selectorIjLb0EEEZNS1_14transform_implILb0ES3_S5_NS0_18transform_iteratorINS0_17counting_iteratorImlEEZNS1_24adjacent_difference_implIS3_Lb1ELb0EPjSB_N6thrust23THRUST_200600_302600_NS4plusIjEEEE10hipError_tPvRmT2_T3_mT4_P12ihipStream_tbEUlmE_jEESB_NS0_8identityIvEEEESG_SJ_SK_mSL_SN_bEUlT_E_NS1_11comp_targetILNS1_3genE4ELNS1_11target_archE910ELNS1_3gpuE8ELNS1_3repE0EEENS1_30default_config_static_selectorELNS0_4arch9wavefront6targetE1EEEvT1_
                                        ; -- End function
	.set _ZN7rocprim17ROCPRIM_400000_NS6detail17trampoline_kernelINS0_14default_configENS1_25transform_config_selectorIjLb0EEEZNS1_14transform_implILb0ES3_S5_NS0_18transform_iteratorINS0_17counting_iteratorImlEEZNS1_24adjacent_difference_implIS3_Lb1ELb0EPjSB_N6thrust23THRUST_200600_302600_NS4plusIjEEEE10hipError_tPvRmT2_T3_mT4_P12ihipStream_tbEUlmE_jEESB_NS0_8identityIvEEEESG_SJ_SK_mSL_SN_bEUlT_E_NS1_11comp_targetILNS1_3genE4ELNS1_11target_archE910ELNS1_3gpuE8ELNS1_3repE0EEENS1_30default_config_static_selectorELNS0_4arch9wavefront6targetE1EEEvT1_.num_vgpr, 0
	.set _ZN7rocprim17ROCPRIM_400000_NS6detail17trampoline_kernelINS0_14default_configENS1_25transform_config_selectorIjLb0EEEZNS1_14transform_implILb0ES3_S5_NS0_18transform_iteratorINS0_17counting_iteratorImlEEZNS1_24adjacent_difference_implIS3_Lb1ELb0EPjSB_N6thrust23THRUST_200600_302600_NS4plusIjEEEE10hipError_tPvRmT2_T3_mT4_P12ihipStream_tbEUlmE_jEESB_NS0_8identityIvEEEESG_SJ_SK_mSL_SN_bEUlT_E_NS1_11comp_targetILNS1_3genE4ELNS1_11target_archE910ELNS1_3gpuE8ELNS1_3repE0EEENS1_30default_config_static_selectorELNS0_4arch9wavefront6targetE1EEEvT1_.num_agpr, 0
	.set _ZN7rocprim17ROCPRIM_400000_NS6detail17trampoline_kernelINS0_14default_configENS1_25transform_config_selectorIjLb0EEEZNS1_14transform_implILb0ES3_S5_NS0_18transform_iteratorINS0_17counting_iteratorImlEEZNS1_24adjacent_difference_implIS3_Lb1ELb0EPjSB_N6thrust23THRUST_200600_302600_NS4plusIjEEEE10hipError_tPvRmT2_T3_mT4_P12ihipStream_tbEUlmE_jEESB_NS0_8identityIvEEEESG_SJ_SK_mSL_SN_bEUlT_E_NS1_11comp_targetILNS1_3genE4ELNS1_11target_archE910ELNS1_3gpuE8ELNS1_3repE0EEENS1_30default_config_static_selectorELNS0_4arch9wavefront6targetE1EEEvT1_.numbered_sgpr, 0
	.set _ZN7rocprim17ROCPRIM_400000_NS6detail17trampoline_kernelINS0_14default_configENS1_25transform_config_selectorIjLb0EEEZNS1_14transform_implILb0ES3_S5_NS0_18transform_iteratorINS0_17counting_iteratorImlEEZNS1_24adjacent_difference_implIS3_Lb1ELb0EPjSB_N6thrust23THRUST_200600_302600_NS4plusIjEEEE10hipError_tPvRmT2_T3_mT4_P12ihipStream_tbEUlmE_jEESB_NS0_8identityIvEEEESG_SJ_SK_mSL_SN_bEUlT_E_NS1_11comp_targetILNS1_3genE4ELNS1_11target_archE910ELNS1_3gpuE8ELNS1_3repE0EEENS1_30default_config_static_selectorELNS0_4arch9wavefront6targetE1EEEvT1_.num_named_barrier, 0
	.set _ZN7rocprim17ROCPRIM_400000_NS6detail17trampoline_kernelINS0_14default_configENS1_25transform_config_selectorIjLb0EEEZNS1_14transform_implILb0ES3_S5_NS0_18transform_iteratorINS0_17counting_iteratorImlEEZNS1_24adjacent_difference_implIS3_Lb1ELb0EPjSB_N6thrust23THRUST_200600_302600_NS4plusIjEEEE10hipError_tPvRmT2_T3_mT4_P12ihipStream_tbEUlmE_jEESB_NS0_8identityIvEEEESG_SJ_SK_mSL_SN_bEUlT_E_NS1_11comp_targetILNS1_3genE4ELNS1_11target_archE910ELNS1_3gpuE8ELNS1_3repE0EEENS1_30default_config_static_selectorELNS0_4arch9wavefront6targetE1EEEvT1_.private_seg_size, 0
	.set _ZN7rocprim17ROCPRIM_400000_NS6detail17trampoline_kernelINS0_14default_configENS1_25transform_config_selectorIjLb0EEEZNS1_14transform_implILb0ES3_S5_NS0_18transform_iteratorINS0_17counting_iteratorImlEEZNS1_24adjacent_difference_implIS3_Lb1ELb0EPjSB_N6thrust23THRUST_200600_302600_NS4plusIjEEEE10hipError_tPvRmT2_T3_mT4_P12ihipStream_tbEUlmE_jEESB_NS0_8identityIvEEEESG_SJ_SK_mSL_SN_bEUlT_E_NS1_11comp_targetILNS1_3genE4ELNS1_11target_archE910ELNS1_3gpuE8ELNS1_3repE0EEENS1_30default_config_static_selectorELNS0_4arch9wavefront6targetE1EEEvT1_.uses_vcc, 0
	.set _ZN7rocprim17ROCPRIM_400000_NS6detail17trampoline_kernelINS0_14default_configENS1_25transform_config_selectorIjLb0EEEZNS1_14transform_implILb0ES3_S5_NS0_18transform_iteratorINS0_17counting_iteratorImlEEZNS1_24adjacent_difference_implIS3_Lb1ELb0EPjSB_N6thrust23THRUST_200600_302600_NS4plusIjEEEE10hipError_tPvRmT2_T3_mT4_P12ihipStream_tbEUlmE_jEESB_NS0_8identityIvEEEESG_SJ_SK_mSL_SN_bEUlT_E_NS1_11comp_targetILNS1_3genE4ELNS1_11target_archE910ELNS1_3gpuE8ELNS1_3repE0EEENS1_30default_config_static_selectorELNS0_4arch9wavefront6targetE1EEEvT1_.uses_flat_scratch, 0
	.set _ZN7rocprim17ROCPRIM_400000_NS6detail17trampoline_kernelINS0_14default_configENS1_25transform_config_selectorIjLb0EEEZNS1_14transform_implILb0ES3_S5_NS0_18transform_iteratorINS0_17counting_iteratorImlEEZNS1_24adjacent_difference_implIS3_Lb1ELb0EPjSB_N6thrust23THRUST_200600_302600_NS4plusIjEEEE10hipError_tPvRmT2_T3_mT4_P12ihipStream_tbEUlmE_jEESB_NS0_8identityIvEEEESG_SJ_SK_mSL_SN_bEUlT_E_NS1_11comp_targetILNS1_3genE4ELNS1_11target_archE910ELNS1_3gpuE8ELNS1_3repE0EEENS1_30default_config_static_selectorELNS0_4arch9wavefront6targetE1EEEvT1_.has_dyn_sized_stack, 0
	.set _ZN7rocprim17ROCPRIM_400000_NS6detail17trampoline_kernelINS0_14default_configENS1_25transform_config_selectorIjLb0EEEZNS1_14transform_implILb0ES3_S5_NS0_18transform_iteratorINS0_17counting_iteratorImlEEZNS1_24adjacent_difference_implIS3_Lb1ELb0EPjSB_N6thrust23THRUST_200600_302600_NS4plusIjEEEE10hipError_tPvRmT2_T3_mT4_P12ihipStream_tbEUlmE_jEESB_NS0_8identityIvEEEESG_SJ_SK_mSL_SN_bEUlT_E_NS1_11comp_targetILNS1_3genE4ELNS1_11target_archE910ELNS1_3gpuE8ELNS1_3repE0EEENS1_30default_config_static_selectorELNS0_4arch9wavefront6targetE1EEEvT1_.has_recursion, 0
	.set _ZN7rocprim17ROCPRIM_400000_NS6detail17trampoline_kernelINS0_14default_configENS1_25transform_config_selectorIjLb0EEEZNS1_14transform_implILb0ES3_S5_NS0_18transform_iteratorINS0_17counting_iteratorImlEEZNS1_24adjacent_difference_implIS3_Lb1ELb0EPjSB_N6thrust23THRUST_200600_302600_NS4plusIjEEEE10hipError_tPvRmT2_T3_mT4_P12ihipStream_tbEUlmE_jEESB_NS0_8identityIvEEEESG_SJ_SK_mSL_SN_bEUlT_E_NS1_11comp_targetILNS1_3genE4ELNS1_11target_archE910ELNS1_3gpuE8ELNS1_3repE0EEENS1_30default_config_static_selectorELNS0_4arch9wavefront6targetE1EEEvT1_.has_indirect_call, 0
	.section	.AMDGPU.csdata,"",@progbits
; Kernel info:
; codeLenInByte = 0
; TotalNumSgprs: 4
; NumVgprs: 0
; ScratchSize: 0
; MemoryBound: 0
; FloatMode: 240
; IeeeMode: 1
; LDSByteSize: 0 bytes/workgroup (compile time only)
; SGPRBlocks: 0
; VGPRBlocks: 0
; NumSGPRsForWavesPerEU: 4
; NumVGPRsForWavesPerEU: 1
; Occupancy: 10
; WaveLimiterHint : 0
; COMPUTE_PGM_RSRC2:SCRATCH_EN: 0
; COMPUTE_PGM_RSRC2:USER_SGPR: 6
; COMPUTE_PGM_RSRC2:TRAP_HANDLER: 0
; COMPUTE_PGM_RSRC2:TGID_X_EN: 1
; COMPUTE_PGM_RSRC2:TGID_Y_EN: 0
; COMPUTE_PGM_RSRC2:TGID_Z_EN: 0
; COMPUTE_PGM_RSRC2:TIDIG_COMP_CNT: 0
	.section	.text._ZN7rocprim17ROCPRIM_400000_NS6detail17trampoline_kernelINS0_14default_configENS1_25transform_config_selectorIjLb0EEEZNS1_14transform_implILb0ES3_S5_NS0_18transform_iteratorINS0_17counting_iteratorImlEEZNS1_24adjacent_difference_implIS3_Lb1ELb0EPjSB_N6thrust23THRUST_200600_302600_NS4plusIjEEEE10hipError_tPvRmT2_T3_mT4_P12ihipStream_tbEUlmE_jEESB_NS0_8identityIvEEEESG_SJ_SK_mSL_SN_bEUlT_E_NS1_11comp_targetILNS1_3genE3ELNS1_11target_archE908ELNS1_3gpuE7ELNS1_3repE0EEENS1_30default_config_static_selectorELNS0_4arch9wavefront6targetE1EEEvT1_,"axG",@progbits,_ZN7rocprim17ROCPRIM_400000_NS6detail17trampoline_kernelINS0_14default_configENS1_25transform_config_selectorIjLb0EEEZNS1_14transform_implILb0ES3_S5_NS0_18transform_iteratorINS0_17counting_iteratorImlEEZNS1_24adjacent_difference_implIS3_Lb1ELb0EPjSB_N6thrust23THRUST_200600_302600_NS4plusIjEEEE10hipError_tPvRmT2_T3_mT4_P12ihipStream_tbEUlmE_jEESB_NS0_8identityIvEEEESG_SJ_SK_mSL_SN_bEUlT_E_NS1_11comp_targetILNS1_3genE3ELNS1_11target_archE908ELNS1_3gpuE7ELNS1_3repE0EEENS1_30default_config_static_selectorELNS0_4arch9wavefront6targetE1EEEvT1_,comdat
	.protected	_ZN7rocprim17ROCPRIM_400000_NS6detail17trampoline_kernelINS0_14default_configENS1_25transform_config_selectorIjLb0EEEZNS1_14transform_implILb0ES3_S5_NS0_18transform_iteratorINS0_17counting_iteratorImlEEZNS1_24adjacent_difference_implIS3_Lb1ELb0EPjSB_N6thrust23THRUST_200600_302600_NS4plusIjEEEE10hipError_tPvRmT2_T3_mT4_P12ihipStream_tbEUlmE_jEESB_NS0_8identityIvEEEESG_SJ_SK_mSL_SN_bEUlT_E_NS1_11comp_targetILNS1_3genE3ELNS1_11target_archE908ELNS1_3gpuE7ELNS1_3repE0EEENS1_30default_config_static_selectorELNS0_4arch9wavefront6targetE1EEEvT1_ ; -- Begin function _ZN7rocprim17ROCPRIM_400000_NS6detail17trampoline_kernelINS0_14default_configENS1_25transform_config_selectorIjLb0EEEZNS1_14transform_implILb0ES3_S5_NS0_18transform_iteratorINS0_17counting_iteratorImlEEZNS1_24adjacent_difference_implIS3_Lb1ELb0EPjSB_N6thrust23THRUST_200600_302600_NS4plusIjEEEE10hipError_tPvRmT2_T3_mT4_P12ihipStream_tbEUlmE_jEESB_NS0_8identityIvEEEESG_SJ_SK_mSL_SN_bEUlT_E_NS1_11comp_targetILNS1_3genE3ELNS1_11target_archE908ELNS1_3gpuE7ELNS1_3repE0EEENS1_30default_config_static_selectorELNS0_4arch9wavefront6targetE1EEEvT1_
	.globl	_ZN7rocprim17ROCPRIM_400000_NS6detail17trampoline_kernelINS0_14default_configENS1_25transform_config_selectorIjLb0EEEZNS1_14transform_implILb0ES3_S5_NS0_18transform_iteratorINS0_17counting_iteratorImlEEZNS1_24adjacent_difference_implIS3_Lb1ELb0EPjSB_N6thrust23THRUST_200600_302600_NS4plusIjEEEE10hipError_tPvRmT2_T3_mT4_P12ihipStream_tbEUlmE_jEESB_NS0_8identityIvEEEESG_SJ_SK_mSL_SN_bEUlT_E_NS1_11comp_targetILNS1_3genE3ELNS1_11target_archE908ELNS1_3gpuE7ELNS1_3repE0EEENS1_30default_config_static_selectorELNS0_4arch9wavefront6targetE1EEEvT1_
	.p2align	8
	.type	_ZN7rocprim17ROCPRIM_400000_NS6detail17trampoline_kernelINS0_14default_configENS1_25transform_config_selectorIjLb0EEEZNS1_14transform_implILb0ES3_S5_NS0_18transform_iteratorINS0_17counting_iteratorImlEEZNS1_24adjacent_difference_implIS3_Lb1ELb0EPjSB_N6thrust23THRUST_200600_302600_NS4plusIjEEEE10hipError_tPvRmT2_T3_mT4_P12ihipStream_tbEUlmE_jEESB_NS0_8identityIvEEEESG_SJ_SK_mSL_SN_bEUlT_E_NS1_11comp_targetILNS1_3genE3ELNS1_11target_archE908ELNS1_3gpuE7ELNS1_3repE0EEENS1_30default_config_static_selectorELNS0_4arch9wavefront6targetE1EEEvT1_,@function
_ZN7rocprim17ROCPRIM_400000_NS6detail17trampoline_kernelINS0_14default_configENS1_25transform_config_selectorIjLb0EEEZNS1_14transform_implILb0ES3_S5_NS0_18transform_iteratorINS0_17counting_iteratorImlEEZNS1_24adjacent_difference_implIS3_Lb1ELb0EPjSB_N6thrust23THRUST_200600_302600_NS4plusIjEEEE10hipError_tPvRmT2_T3_mT4_P12ihipStream_tbEUlmE_jEESB_NS0_8identityIvEEEESG_SJ_SK_mSL_SN_bEUlT_E_NS1_11comp_targetILNS1_3genE3ELNS1_11target_archE908ELNS1_3gpuE7ELNS1_3repE0EEENS1_30default_config_static_selectorELNS0_4arch9wavefront6targetE1EEEvT1_: ; @_ZN7rocprim17ROCPRIM_400000_NS6detail17trampoline_kernelINS0_14default_configENS1_25transform_config_selectorIjLb0EEEZNS1_14transform_implILb0ES3_S5_NS0_18transform_iteratorINS0_17counting_iteratorImlEEZNS1_24adjacent_difference_implIS3_Lb1ELb0EPjSB_N6thrust23THRUST_200600_302600_NS4plusIjEEEE10hipError_tPvRmT2_T3_mT4_P12ihipStream_tbEUlmE_jEESB_NS0_8identityIvEEEESG_SJ_SK_mSL_SN_bEUlT_E_NS1_11comp_targetILNS1_3genE3ELNS1_11target_archE908ELNS1_3gpuE7ELNS1_3repE0EEENS1_30default_config_static_selectorELNS0_4arch9wavefront6targetE1EEEvT1_
; %bb.0:
	.section	.rodata,"a",@progbits
	.p2align	6, 0x0
	.amdhsa_kernel _ZN7rocprim17ROCPRIM_400000_NS6detail17trampoline_kernelINS0_14default_configENS1_25transform_config_selectorIjLb0EEEZNS1_14transform_implILb0ES3_S5_NS0_18transform_iteratorINS0_17counting_iteratorImlEEZNS1_24adjacent_difference_implIS3_Lb1ELb0EPjSB_N6thrust23THRUST_200600_302600_NS4plusIjEEEE10hipError_tPvRmT2_T3_mT4_P12ihipStream_tbEUlmE_jEESB_NS0_8identityIvEEEESG_SJ_SK_mSL_SN_bEUlT_E_NS1_11comp_targetILNS1_3genE3ELNS1_11target_archE908ELNS1_3gpuE7ELNS1_3repE0EEENS1_30default_config_static_selectorELNS0_4arch9wavefront6targetE1EEEvT1_
		.amdhsa_group_segment_fixed_size 0
		.amdhsa_private_segment_fixed_size 0
		.amdhsa_kernarg_size 56
		.amdhsa_user_sgpr_count 6
		.amdhsa_user_sgpr_private_segment_buffer 1
		.amdhsa_user_sgpr_dispatch_ptr 0
		.amdhsa_user_sgpr_queue_ptr 0
		.amdhsa_user_sgpr_kernarg_segment_ptr 1
		.amdhsa_user_sgpr_dispatch_id 0
		.amdhsa_user_sgpr_flat_scratch_init 0
		.amdhsa_user_sgpr_private_segment_size 0
		.amdhsa_uses_dynamic_stack 0
		.amdhsa_system_sgpr_private_segment_wavefront_offset 0
		.amdhsa_system_sgpr_workgroup_id_x 1
		.amdhsa_system_sgpr_workgroup_id_y 0
		.amdhsa_system_sgpr_workgroup_id_z 0
		.amdhsa_system_sgpr_workgroup_info 0
		.amdhsa_system_vgpr_workitem_id 0
		.amdhsa_next_free_vgpr 1
		.amdhsa_next_free_sgpr 0
		.amdhsa_reserve_vcc 0
		.amdhsa_reserve_flat_scratch 0
		.amdhsa_float_round_mode_32 0
		.amdhsa_float_round_mode_16_64 0
		.amdhsa_float_denorm_mode_32 3
		.amdhsa_float_denorm_mode_16_64 3
		.amdhsa_dx10_clamp 1
		.amdhsa_ieee_mode 1
		.amdhsa_fp16_overflow 0
		.amdhsa_exception_fp_ieee_invalid_op 0
		.amdhsa_exception_fp_denorm_src 0
		.amdhsa_exception_fp_ieee_div_zero 0
		.amdhsa_exception_fp_ieee_overflow 0
		.amdhsa_exception_fp_ieee_underflow 0
		.amdhsa_exception_fp_ieee_inexact 0
		.amdhsa_exception_int_div_zero 0
	.end_amdhsa_kernel
	.section	.text._ZN7rocprim17ROCPRIM_400000_NS6detail17trampoline_kernelINS0_14default_configENS1_25transform_config_selectorIjLb0EEEZNS1_14transform_implILb0ES3_S5_NS0_18transform_iteratorINS0_17counting_iteratorImlEEZNS1_24adjacent_difference_implIS3_Lb1ELb0EPjSB_N6thrust23THRUST_200600_302600_NS4plusIjEEEE10hipError_tPvRmT2_T3_mT4_P12ihipStream_tbEUlmE_jEESB_NS0_8identityIvEEEESG_SJ_SK_mSL_SN_bEUlT_E_NS1_11comp_targetILNS1_3genE3ELNS1_11target_archE908ELNS1_3gpuE7ELNS1_3repE0EEENS1_30default_config_static_selectorELNS0_4arch9wavefront6targetE1EEEvT1_,"axG",@progbits,_ZN7rocprim17ROCPRIM_400000_NS6detail17trampoline_kernelINS0_14default_configENS1_25transform_config_selectorIjLb0EEEZNS1_14transform_implILb0ES3_S5_NS0_18transform_iteratorINS0_17counting_iteratorImlEEZNS1_24adjacent_difference_implIS3_Lb1ELb0EPjSB_N6thrust23THRUST_200600_302600_NS4plusIjEEEE10hipError_tPvRmT2_T3_mT4_P12ihipStream_tbEUlmE_jEESB_NS0_8identityIvEEEESG_SJ_SK_mSL_SN_bEUlT_E_NS1_11comp_targetILNS1_3genE3ELNS1_11target_archE908ELNS1_3gpuE7ELNS1_3repE0EEENS1_30default_config_static_selectorELNS0_4arch9wavefront6targetE1EEEvT1_,comdat
.Lfunc_end191:
	.size	_ZN7rocprim17ROCPRIM_400000_NS6detail17trampoline_kernelINS0_14default_configENS1_25transform_config_selectorIjLb0EEEZNS1_14transform_implILb0ES3_S5_NS0_18transform_iteratorINS0_17counting_iteratorImlEEZNS1_24adjacent_difference_implIS3_Lb1ELb0EPjSB_N6thrust23THRUST_200600_302600_NS4plusIjEEEE10hipError_tPvRmT2_T3_mT4_P12ihipStream_tbEUlmE_jEESB_NS0_8identityIvEEEESG_SJ_SK_mSL_SN_bEUlT_E_NS1_11comp_targetILNS1_3genE3ELNS1_11target_archE908ELNS1_3gpuE7ELNS1_3repE0EEENS1_30default_config_static_selectorELNS0_4arch9wavefront6targetE1EEEvT1_, .Lfunc_end191-_ZN7rocprim17ROCPRIM_400000_NS6detail17trampoline_kernelINS0_14default_configENS1_25transform_config_selectorIjLb0EEEZNS1_14transform_implILb0ES3_S5_NS0_18transform_iteratorINS0_17counting_iteratorImlEEZNS1_24adjacent_difference_implIS3_Lb1ELb0EPjSB_N6thrust23THRUST_200600_302600_NS4plusIjEEEE10hipError_tPvRmT2_T3_mT4_P12ihipStream_tbEUlmE_jEESB_NS0_8identityIvEEEESG_SJ_SK_mSL_SN_bEUlT_E_NS1_11comp_targetILNS1_3genE3ELNS1_11target_archE908ELNS1_3gpuE7ELNS1_3repE0EEENS1_30default_config_static_selectorELNS0_4arch9wavefront6targetE1EEEvT1_
                                        ; -- End function
	.set _ZN7rocprim17ROCPRIM_400000_NS6detail17trampoline_kernelINS0_14default_configENS1_25transform_config_selectorIjLb0EEEZNS1_14transform_implILb0ES3_S5_NS0_18transform_iteratorINS0_17counting_iteratorImlEEZNS1_24adjacent_difference_implIS3_Lb1ELb0EPjSB_N6thrust23THRUST_200600_302600_NS4plusIjEEEE10hipError_tPvRmT2_T3_mT4_P12ihipStream_tbEUlmE_jEESB_NS0_8identityIvEEEESG_SJ_SK_mSL_SN_bEUlT_E_NS1_11comp_targetILNS1_3genE3ELNS1_11target_archE908ELNS1_3gpuE7ELNS1_3repE0EEENS1_30default_config_static_selectorELNS0_4arch9wavefront6targetE1EEEvT1_.num_vgpr, 0
	.set _ZN7rocprim17ROCPRIM_400000_NS6detail17trampoline_kernelINS0_14default_configENS1_25transform_config_selectorIjLb0EEEZNS1_14transform_implILb0ES3_S5_NS0_18transform_iteratorINS0_17counting_iteratorImlEEZNS1_24adjacent_difference_implIS3_Lb1ELb0EPjSB_N6thrust23THRUST_200600_302600_NS4plusIjEEEE10hipError_tPvRmT2_T3_mT4_P12ihipStream_tbEUlmE_jEESB_NS0_8identityIvEEEESG_SJ_SK_mSL_SN_bEUlT_E_NS1_11comp_targetILNS1_3genE3ELNS1_11target_archE908ELNS1_3gpuE7ELNS1_3repE0EEENS1_30default_config_static_selectorELNS0_4arch9wavefront6targetE1EEEvT1_.num_agpr, 0
	.set _ZN7rocprim17ROCPRIM_400000_NS6detail17trampoline_kernelINS0_14default_configENS1_25transform_config_selectorIjLb0EEEZNS1_14transform_implILb0ES3_S5_NS0_18transform_iteratorINS0_17counting_iteratorImlEEZNS1_24adjacent_difference_implIS3_Lb1ELb0EPjSB_N6thrust23THRUST_200600_302600_NS4plusIjEEEE10hipError_tPvRmT2_T3_mT4_P12ihipStream_tbEUlmE_jEESB_NS0_8identityIvEEEESG_SJ_SK_mSL_SN_bEUlT_E_NS1_11comp_targetILNS1_3genE3ELNS1_11target_archE908ELNS1_3gpuE7ELNS1_3repE0EEENS1_30default_config_static_selectorELNS0_4arch9wavefront6targetE1EEEvT1_.numbered_sgpr, 0
	.set _ZN7rocprim17ROCPRIM_400000_NS6detail17trampoline_kernelINS0_14default_configENS1_25transform_config_selectorIjLb0EEEZNS1_14transform_implILb0ES3_S5_NS0_18transform_iteratorINS0_17counting_iteratorImlEEZNS1_24adjacent_difference_implIS3_Lb1ELb0EPjSB_N6thrust23THRUST_200600_302600_NS4plusIjEEEE10hipError_tPvRmT2_T3_mT4_P12ihipStream_tbEUlmE_jEESB_NS0_8identityIvEEEESG_SJ_SK_mSL_SN_bEUlT_E_NS1_11comp_targetILNS1_3genE3ELNS1_11target_archE908ELNS1_3gpuE7ELNS1_3repE0EEENS1_30default_config_static_selectorELNS0_4arch9wavefront6targetE1EEEvT1_.num_named_barrier, 0
	.set _ZN7rocprim17ROCPRIM_400000_NS6detail17trampoline_kernelINS0_14default_configENS1_25transform_config_selectorIjLb0EEEZNS1_14transform_implILb0ES3_S5_NS0_18transform_iteratorINS0_17counting_iteratorImlEEZNS1_24adjacent_difference_implIS3_Lb1ELb0EPjSB_N6thrust23THRUST_200600_302600_NS4plusIjEEEE10hipError_tPvRmT2_T3_mT4_P12ihipStream_tbEUlmE_jEESB_NS0_8identityIvEEEESG_SJ_SK_mSL_SN_bEUlT_E_NS1_11comp_targetILNS1_3genE3ELNS1_11target_archE908ELNS1_3gpuE7ELNS1_3repE0EEENS1_30default_config_static_selectorELNS0_4arch9wavefront6targetE1EEEvT1_.private_seg_size, 0
	.set _ZN7rocprim17ROCPRIM_400000_NS6detail17trampoline_kernelINS0_14default_configENS1_25transform_config_selectorIjLb0EEEZNS1_14transform_implILb0ES3_S5_NS0_18transform_iteratorINS0_17counting_iteratorImlEEZNS1_24adjacent_difference_implIS3_Lb1ELb0EPjSB_N6thrust23THRUST_200600_302600_NS4plusIjEEEE10hipError_tPvRmT2_T3_mT4_P12ihipStream_tbEUlmE_jEESB_NS0_8identityIvEEEESG_SJ_SK_mSL_SN_bEUlT_E_NS1_11comp_targetILNS1_3genE3ELNS1_11target_archE908ELNS1_3gpuE7ELNS1_3repE0EEENS1_30default_config_static_selectorELNS0_4arch9wavefront6targetE1EEEvT1_.uses_vcc, 0
	.set _ZN7rocprim17ROCPRIM_400000_NS6detail17trampoline_kernelINS0_14default_configENS1_25transform_config_selectorIjLb0EEEZNS1_14transform_implILb0ES3_S5_NS0_18transform_iteratorINS0_17counting_iteratorImlEEZNS1_24adjacent_difference_implIS3_Lb1ELb0EPjSB_N6thrust23THRUST_200600_302600_NS4plusIjEEEE10hipError_tPvRmT2_T3_mT4_P12ihipStream_tbEUlmE_jEESB_NS0_8identityIvEEEESG_SJ_SK_mSL_SN_bEUlT_E_NS1_11comp_targetILNS1_3genE3ELNS1_11target_archE908ELNS1_3gpuE7ELNS1_3repE0EEENS1_30default_config_static_selectorELNS0_4arch9wavefront6targetE1EEEvT1_.uses_flat_scratch, 0
	.set _ZN7rocprim17ROCPRIM_400000_NS6detail17trampoline_kernelINS0_14default_configENS1_25transform_config_selectorIjLb0EEEZNS1_14transform_implILb0ES3_S5_NS0_18transform_iteratorINS0_17counting_iteratorImlEEZNS1_24adjacent_difference_implIS3_Lb1ELb0EPjSB_N6thrust23THRUST_200600_302600_NS4plusIjEEEE10hipError_tPvRmT2_T3_mT4_P12ihipStream_tbEUlmE_jEESB_NS0_8identityIvEEEESG_SJ_SK_mSL_SN_bEUlT_E_NS1_11comp_targetILNS1_3genE3ELNS1_11target_archE908ELNS1_3gpuE7ELNS1_3repE0EEENS1_30default_config_static_selectorELNS0_4arch9wavefront6targetE1EEEvT1_.has_dyn_sized_stack, 0
	.set _ZN7rocprim17ROCPRIM_400000_NS6detail17trampoline_kernelINS0_14default_configENS1_25transform_config_selectorIjLb0EEEZNS1_14transform_implILb0ES3_S5_NS0_18transform_iteratorINS0_17counting_iteratorImlEEZNS1_24adjacent_difference_implIS3_Lb1ELb0EPjSB_N6thrust23THRUST_200600_302600_NS4plusIjEEEE10hipError_tPvRmT2_T3_mT4_P12ihipStream_tbEUlmE_jEESB_NS0_8identityIvEEEESG_SJ_SK_mSL_SN_bEUlT_E_NS1_11comp_targetILNS1_3genE3ELNS1_11target_archE908ELNS1_3gpuE7ELNS1_3repE0EEENS1_30default_config_static_selectorELNS0_4arch9wavefront6targetE1EEEvT1_.has_recursion, 0
	.set _ZN7rocprim17ROCPRIM_400000_NS6detail17trampoline_kernelINS0_14default_configENS1_25transform_config_selectorIjLb0EEEZNS1_14transform_implILb0ES3_S5_NS0_18transform_iteratorINS0_17counting_iteratorImlEEZNS1_24adjacent_difference_implIS3_Lb1ELb0EPjSB_N6thrust23THRUST_200600_302600_NS4plusIjEEEE10hipError_tPvRmT2_T3_mT4_P12ihipStream_tbEUlmE_jEESB_NS0_8identityIvEEEESG_SJ_SK_mSL_SN_bEUlT_E_NS1_11comp_targetILNS1_3genE3ELNS1_11target_archE908ELNS1_3gpuE7ELNS1_3repE0EEENS1_30default_config_static_selectorELNS0_4arch9wavefront6targetE1EEEvT1_.has_indirect_call, 0
	.section	.AMDGPU.csdata,"",@progbits
; Kernel info:
; codeLenInByte = 0
; TotalNumSgprs: 4
; NumVgprs: 0
; ScratchSize: 0
; MemoryBound: 0
; FloatMode: 240
; IeeeMode: 1
; LDSByteSize: 0 bytes/workgroup (compile time only)
; SGPRBlocks: 0
; VGPRBlocks: 0
; NumSGPRsForWavesPerEU: 4
; NumVGPRsForWavesPerEU: 1
; Occupancy: 10
; WaveLimiterHint : 0
; COMPUTE_PGM_RSRC2:SCRATCH_EN: 0
; COMPUTE_PGM_RSRC2:USER_SGPR: 6
; COMPUTE_PGM_RSRC2:TRAP_HANDLER: 0
; COMPUTE_PGM_RSRC2:TGID_X_EN: 1
; COMPUTE_PGM_RSRC2:TGID_Y_EN: 0
; COMPUTE_PGM_RSRC2:TGID_Z_EN: 0
; COMPUTE_PGM_RSRC2:TIDIG_COMP_CNT: 0
	.section	.text._ZN7rocprim17ROCPRIM_400000_NS6detail17trampoline_kernelINS0_14default_configENS1_25transform_config_selectorIjLb0EEEZNS1_14transform_implILb0ES3_S5_NS0_18transform_iteratorINS0_17counting_iteratorImlEEZNS1_24adjacent_difference_implIS3_Lb1ELb0EPjSB_N6thrust23THRUST_200600_302600_NS4plusIjEEEE10hipError_tPvRmT2_T3_mT4_P12ihipStream_tbEUlmE_jEESB_NS0_8identityIvEEEESG_SJ_SK_mSL_SN_bEUlT_E_NS1_11comp_targetILNS1_3genE2ELNS1_11target_archE906ELNS1_3gpuE6ELNS1_3repE0EEENS1_30default_config_static_selectorELNS0_4arch9wavefront6targetE1EEEvT1_,"axG",@progbits,_ZN7rocprim17ROCPRIM_400000_NS6detail17trampoline_kernelINS0_14default_configENS1_25transform_config_selectorIjLb0EEEZNS1_14transform_implILb0ES3_S5_NS0_18transform_iteratorINS0_17counting_iteratorImlEEZNS1_24adjacent_difference_implIS3_Lb1ELb0EPjSB_N6thrust23THRUST_200600_302600_NS4plusIjEEEE10hipError_tPvRmT2_T3_mT4_P12ihipStream_tbEUlmE_jEESB_NS0_8identityIvEEEESG_SJ_SK_mSL_SN_bEUlT_E_NS1_11comp_targetILNS1_3genE2ELNS1_11target_archE906ELNS1_3gpuE6ELNS1_3repE0EEENS1_30default_config_static_selectorELNS0_4arch9wavefront6targetE1EEEvT1_,comdat
	.protected	_ZN7rocprim17ROCPRIM_400000_NS6detail17trampoline_kernelINS0_14default_configENS1_25transform_config_selectorIjLb0EEEZNS1_14transform_implILb0ES3_S5_NS0_18transform_iteratorINS0_17counting_iteratorImlEEZNS1_24adjacent_difference_implIS3_Lb1ELb0EPjSB_N6thrust23THRUST_200600_302600_NS4plusIjEEEE10hipError_tPvRmT2_T3_mT4_P12ihipStream_tbEUlmE_jEESB_NS0_8identityIvEEEESG_SJ_SK_mSL_SN_bEUlT_E_NS1_11comp_targetILNS1_3genE2ELNS1_11target_archE906ELNS1_3gpuE6ELNS1_3repE0EEENS1_30default_config_static_selectorELNS0_4arch9wavefront6targetE1EEEvT1_ ; -- Begin function _ZN7rocprim17ROCPRIM_400000_NS6detail17trampoline_kernelINS0_14default_configENS1_25transform_config_selectorIjLb0EEEZNS1_14transform_implILb0ES3_S5_NS0_18transform_iteratorINS0_17counting_iteratorImlEEZNS1_24adjacent_difference_implIS3_Lb1ELb0EPjSB_N6thrust23THRUST_200600_302600_NS4plusIjEEEE10hipError_tPvRmT2_T3_mT4_P12ihipStream_tbEUlmE_jEESB_NS0_8identityIvEEEESG_SJ_SK_mSL_SN_bEUlT_E_NS1_11comp_targetILNS1_3genE2ELNS1_11target_archE906ELNS1_3gpuE6ELNS1_3repE0EEENS1_30default_config_static_selectorELNS0_4arch9wavefront6targetE1EEEvT1_
	.globl	_ZN7rocprim17ROCPRIM_400000_NS6detail17trampoline_kernelINS0_14default_configENS1_25transform_config_selectorIjLb0EEEZNS1_14transform_implILb0ES3_S5_NS0_18transform_iteratorINS0_17counting_iteratorImlEEZNS1_24adjacent_difference_implIS3_Lb1ELb0EPjSB_N6thrust23THRUST_200600_302600_NS4plusIjEEEE10hipError_tPvRmT2_T3_mT4_P12ihipStream_tbEUlmE_jEESB_NS0_8identityIvEEEESG_SJ_SK_mSL_SN_bEUlT_E_NS1_11comp_targetILNS1_3genE2ELNS1_11target_archE906ELNS1_3gpuE6ELNS1_3repE0EEENS1_30default_config_static_selectorELNS0_4arch9wavefront6targetE1EEEvT1_
	.p2align	8
	.type	_ZN7rocprim17ROCPRIM_400000_NS6detail17trampoline_kernelINS0_14default_configENS1_25transform_config_selectorIjLb0EEEZNS1_14transform_implILb0ES3_S5_NS0_18transform_iteratorINS0_17counting_iteratorImlEEZNS1_24adjacent_difference_implIS3_Lb1ELb0EPjSB_N6thrust23THRUST_200600_302600_NS4plusIjEEEE10hipError_tPvRmT2_T3_mT4_P12ihipStream_tbEUlmE_jEESB_NS0_8identityIvEEEESG_SJ_SK_mSL_SN_bEUlT_E_NS1_11comp_targetILNS1_3genE2ELNS1_11target_archE906ELNS1_3gpuE6ELNS1_3repE0EEENS1_30default_config_static_selectorELNS0_4arch9wavefront6targetE1EEEvT1_,@function
_ZN7rocprim17ROCPRIM_400000_NS6detail17trampoline_kernelINS0_14default_configENS1_25transform_config_selectorIjLb0EEEZNS1_14transform_implILb0ES3_S5_NS0_18transform_iteratorINS0_17counting_iteratorImlEEZNS1_24adjacent_difference_implIS3_Lb1ELb0EPjSB_N6thrust23THRUST_200600_302600_NS4plusIjEEEE10hipError_tPvRmT2_T3_mT4_P12ihipStream_tbEUlmE_jEESB_NS0_8identityIvEEEESG_SJ_SK_mSL_SN_bEUlT_E_NS1_11comp_targetILNS1_3genE2ELNS1_11target_archE906ELNS1_3gpuE6ELNS1_3repE0EEENS1_30default_config_static_selectorELNS0_4arch9wavefront6targetE1EEEvT1_: ; @_ZN7rocprim17ROCPRIM_400000_NS6detail17trampoline_kernelINS0_14default_configENS1_25transform_config_selectorIjLb0EEEZNS1_14transform_implILb0ES3_S5_NS0_18transform_iteratorINS0_17counting_iteratorImlEEZNS1_24adjacent_difference_implIS3_Lb1ELb0EPjSB_N6thrust23THRUST_200600_302600_NS4plusIjEEEE10hipError_tPvRmT2_T3_mT4_P12ihipStream_tbEUlmE_jEESB_NS0_8identityIvEEEESG_SJ_SK_mSL_SN_bEUlT_E_NS1_11comp_targetILNS1_3genE2ELNS1_11target_archE906ELNS1_3gpuE6ELNS1_3repE0EEENS1_30default_config_static_selectorELNS0_4arch9wavefront6targetE1EEEvT1_
; %bb.0:
	s_load_dwordx4 s[0:3], s[4:5], 0x18
	s_load_dwordx2 s[14:15], s[4:5], 0x28
	s_load_dwordx4 s[8:11], s[4:5], 0x0
	s_load_dword s12, s[4:5], 0x10
	s_waitcnt lgkmcnt(0)
	s_load_dword s3, s[4:5], 0x38
                                        ; kill: killed $sgpr4_sgpr5
	s_lshl_b64 s[4:5], s[0:1], 2
	s_add_u32 s14, s14, s4
	s_addc_u32 s15, s15, s5
	s_lshl_b32 s4, s6, 11
	s_waitcnt lgkmcnt(0)
	s_add_i32 s3, s3, -1
	s_add_u32 s7, s8, s4
	s_addc_u32 s8, s9, 0
	s_add_u32 s16, s7, s0
	s_addc_u32 s17, s8, s1
	s_mov_b32 s5, 0
	s_cmp_lg_u32 s6, s3
	v_lshlrev_b32_e32 v5, 2, v0
	s_cbranch_scc0 .LBB192_2
; %bb.1:
	v_mov_b32_e32 v1, s17
	v_add_co_u32_e32 v2, vcc, s16, v0
	v_addc_co_u32_e32 v3, vcc, 0, v1, vcc
	v_mad_u64_u32 v[1:2], s[0:1], v2, s12, 0
	s_mov_b32 s13, s5
	s_lshl_b64 s[6:7], s[4:5], 2
	v_mad_u64_u32 v[2:3], s[0:1], v3, s12, v[2:3]
	v_mov_b32_e32 v3, s11
	s_lshl_b64 s[0:1], s[12:13], 12
	v_lshlrev_b64 v[1:2], 2, v[1:2]
	s_add_u32 s6, s14, s6
	v_add_co_u32_e32 v1, vcc, s10, v1
	v_addc_co_u32_e32 v2, vcc, v3, v2, vcc
	global_load_dword v6, v[1:2], off
	v_mov_b32_e32 v3, s1
	v_add_co_u32_e32 v1, vcc, s0, v1
	v_addc_co_u32_e32 v2, vcc, v2, v3, vcc
	global_load_dword v1, v[1:2], off
	s_addc_u32 s7, s15, s7
	v_mov_b32_e32 v2, s7
	v_add_co_u32_e32 v3, vcc, s6, v5
	v_addc_co_u32_e32 v4, vcc, 0, v2, vcc
	s_waitcnt vmcnt(1)
	global_store_dword v5, v6, s[6:7]
	s_mov_b64 s[6:7], -1
	s_cbranch_execz .LBB192_3
	s_branch .LBB192_12
.LBB192_2:
	s_mov_b64 s[6:7], 0
                                        ; implicit-def: $vgpr1
                                        ; implicit-def: $vgpr3_vgpr4
.LBB192_3:
	s_sub_i32 s8, s2, s4
	s_waitcnt vmcnt(1)
	v_mov_b32_e32 v1, 0
	v_cmp_gt_u32_e32 vcc, s8, v0
	v_mov_b32_e32 v2, v1
	s_and_saveexec_b64 s[2:3], vcc
	s_cbranch_execz .LBB192_5
; %bb.4:
	v_mov_b32_e32 v2, s17
	v_add_co_u32_e64 v3, s[0:1], s16, v0
	v_addc_co_u32_e64 v4, s[0:1], 0, v2, s[0:1]
	v_mad_u64_u32 v[2:3], s[0:1], v3, s12, 0
	v_mad_u64_u32 v[3:4], s[0:1], v4, s12, v[3:4]
	v_mov_b32_e32 v4, s11
	v_lshlrev_b64 v[2:3], 2, v[2:3]
	v_add_co_u32_e64 v2, s[0:1], s10, v2
	v_addc_co_u32_e64 v3, s[0:1], v4, v3, s[0:1]
	global_load_dword v2, v[2:3], off
	v_mov_b32_e32 v3, v1
	s_waitcnt vmcnt(0)
	v_mov_b32_e32 v1, v2
	v_mov_b32_e32 v2, v3
.LBB192_5:
	s_or_b64 exec, exec, s[2:3]
	v_or_b32_e32 v0, 0x400, v0
	v_cmp_gt_u32_e64 s[0:1], s8, v0
	s_and_saveexec_b64 s[8:9], s[0:1]
	s_cbranch_execz .LBB192_7
; %bb.6:
	v_mov_b32_e32 v2, s17
	v_add_co_u32_e64 v0, s[2:3], s16, v0
	v_addc_co_u32_e64 v4, s[2:3], 0, v2, s[2:3]
	v_mad_u64_u32 v[2:3], s[2:3], v0, s12, 0
	v_mov_b32_e32 v0, v3
	v_mad_u64_u32 v[3:4], s[2:3], v4, s12, v[0:1]
	v_mov_b32_e32 v0, s11
	v_lshlrev_b64 v[2:3], 2, v[2:3]
	v_add_co_u32_e64 v2, s[2:3], s10, v2
	v_addc_co_u32_e64 v3, s[2:3], v0, v3, s[2:3]
	global_load_dword v2, v[2:3], off
.LBB192_7:
	s_or_b64 exec, exec, s[8:9]
	s_lshl_b64 s[2:3], s[4:5], 2
	s_add_u32 s2, s14, s2
	s_addc_u32 s3, s15, s3
	v_cndmask_b32_e32 v0, 0, v1, vcc
	v_mov_b32_e32 v1, s3
	v_add_co_u32_e64 v3, s[2:3], s2, v5
	v_addc_co_u32_e64 v4, s[2:3], 0, v1, s[2:3]
	s_and_saveexec_b64 s[2:3], vcc
	s_cbranch_execz .LBB192_9
; %bb.8:
	global_store_dword v[3:4], v0, off
.LBB192_9:
	s_or_b64 exec, exec, s[2:3]
                                        ; implicit-def: $vgpr1
	s_and_saveexec_b64 s[2:3], s[0:1]
	s_cbranch_execz .LBB192_11
; %bb.10:
	s_waitcnt vmcnt(0)
	v_cndmask_b32_e64 v1, 0, v2, s[0:1]
	s_or_b64 s[6:7], s[6:7], exec
.LBB192_11:
	s_or_b64 exec, exec, s[2:3]
.LBB192_12:
	s_and_saveexec_b64 s[0:1], s[6:7]
	s_cbranch_execnz .LBB192_14
; %bb.13:
	s_endpgm
.LBB192_14:
	s_waitcnt vmcnt(0)
	v_add_co_u32_e32 v2, vcc, 0x1000, v3
	v_addc_co_u32_e32 v3, vcc, 0, v4, vcc
	global_store_dword v[2:3], v1, off
	s_endpgm
	.section	.rodata,"a",@progbits
	.p2align	6, 0x0
	.amdhsa_kernel _ZN7rocprim17ROCPRIM_400000_NS6detail17trampoline_kernelINS0_14default_configENS1_25transform_config_selectorIjLb0EEEZNS1_14transform_implILb0ES3_S5_NS0_18transform_iteratorINS0_17counting_iteratorImlEEZNS1_24adjacent_difference_implIS3_Lb1ELb0EPjSB_N6thrust23THRUST_200600_302600_NS4plusIjEEEE10hipError_tPvRmT2_T3_mT4_P12ihipStream_tbEUlmE_jEESB_NS0_8identityIvEEEESG_SJ_SK_mSL_SN_bEUlT_E_NS1_11comp_targetILNS1_3genE2ELNS1_11target_archE906ELNS1_3gpuE6ELNS1_3repE0EEENS1_30default_config_static_selectorELNS0_4arch9wavefront6targetE1EEEvT1_
		.amdhsa_group_segment_fixed_size 0
		.amdhsa_private_segment_fixed_size 0
		.amdhsa_kernarg_size 312
		.amdhsa_user_sgpr_count 6
		.amdhsa_user_sgpr_private_segment_buffer 1
		.amdhsa_user_sgpr_dispatch_ptr 0
		.amdhsa_user_sgpr_queue_ptr 0
		.amdhsa_user_sgpr_kernarg_segment_ptr 1
		.amdhsa_user_sgpr_dispatch_id 0
		.amdhsa_user_sgpr_flat_scratch_init 0
		.amdhsa_user_sgpr_private_segment_size 0
		.amdhsa_uses_dynamic_stack 0
		.amdhsa_system_sgpr_private_segment_wavefront_offset 0
		.amdhsa_system_sgpr_workgroup_id_x 1
		.amdhsa_system_sgpr_workgroup_id_y 0
		.amdhsa_system_sgpr_workgroup_id_z 0
		.amdhsa_system_sgpr_workgroup_info 0
		.amdhsa_system_vgpr_workitem_id 0
		.amdhsa_next_free_vgpr 7
		.amdhsa_next_free_sgpr 18
		.amdhsa_reserve_vcc 1
		.amdhsa_reserve_flat_scratch 0
		.amdhsa_float_round_mode_32 0
		.amdhsa_float_round_mode_16_64 0
		.amdhsa_float_denorm_mode_32 3
		.amdhsa_float_denorm_mode_16_64 3
		.amdhsa_dx10_clamp 1
		.amdhsa_ieee_mode 1
		.amdhsa_fp16_overflow 0
		.amdhsa_exception_fp_ieee_invalid_op 0
		.amdhsa_exception_fp_denorm_src 0
		.amdhsa_exception_fp_ieee_div_zero 0
		.amdhsa_exception_fp_ieee_overflow 0
		.amdhsa_exception_fp_ieee_underflow 0
		.amdhsa_exception_fp_ieee_inexact 0
		.amdhsa_exception_int_div_zero 0
	.end_amdhsa_kernel
	.section	.text._ZN7rocprim17ROCPRIM_400000_NS6detail17trampoline_kernelINS0_14default_configENS1_25transform_config_selectorIjLb0EEEZNS1_14transform_implILb0ES3_S5_NS0_18transform_iteratorINS0_17counting_iteratorImlEEZNS1_24adjacent_difference_implIS3_Lb1ELb0EPjSB_N6thrust23THRUST_200600_302600_NS4plusIjEEEE10hipError_tPvRmT2_T3_mT4_P12ihipStream_tbEUlmE_jEESB_NS0_8identityIvEEEESG_SJ_SK_mSL_SN_bEUlT_E_NS1_11comp_targetILNS1_3genE2ELNS1_11target_archE906ELNS1_3gpuE6ELNS1_3repE0EEENS1_30default_config_static_selectorELNS0_4arch9wavefront6targetE1EEEvT1_,"axG",@progbits,_ZN7rocprim17ROCPRIM_400000_NS6detail17trampoline_kernelINS0_14default_configENS1_25transform_config_selectorIjLb0EEEZNS1_14transform_implILb0ES3_S5_NS0_18transform_iteratorINS0_17counting_iteratorImlEEZNS1_24adjacent_difference_implIS3_Lb1ELb0EPjSB_N6thrust23THRUST_200600_302600_NS4plusIjEEEE10hipError_tPvRmT2_T3_mT4_P12ihipStream_tbEUlmE_jEESB_NS0_8identityIvEEEESG_SJ_SK_mSL_SN_bEUlT_E_NS1_11comp_targetILNS1_3genE2ELNS1_11target_archE906ELNS1_3gpuE6ELNS1_3repE0EEENS1_30default_config_static_selectorELNS0_4arch9wavefront6targetE1EEEvT1_,comdat
.Lfunc_end192:
	.size	_ZN7rocprim17ROCPRIM_400000_NS6detail17trampoline_kernelINS0_14default_configENS1_25transform_config_selectorIjLb0EEEZNS1_14transform_implILb0ES3_S5_NS0_18transform_iteratorINS0_17counting_iteratorImlEEZNS1_24adjacent_difference_implIS3_Lb1ELb0EPjSB_N6thrust23THRUST_200600_302600_NS4plusIjEEEE10hipError_tPvRmT2_T3_mT4_P12ihipStream_tbEUlmE_jEESB_NS0_8identityIvEEEESG_SJ_SK_mSL_SN_bEUlT_E_NS1_11comp_targetILNS1_3genE2ELNS1_11target_archE906ELNS1_3gpuE6ELNS1_3repE0EEENS1_30default_config_static_selectorELNS0_4arch9wavefront6targetE1EEEvT1_, .Lfunc_end192-_ZN7rocprim17ROCPRIM_400000_NS6detail17trampoline_kernelINS0_14default_configENS1_25transform_config_selectorIjLb0EEEZNS1_14transform_implILb0ES3_S5_NS0_18transform_iteratorINS0_17counting_iteratorImlEEZNS1_24adjacent_difference_implIS3_Lb1ELb0EPjSB_N6thrust23THRUST_200600_302600_NS4plusIjEEEE10hipError_tPvRmT2_T3_mT4_P12ihipStream_tbEUlmE_jEESB_NS0_8identityIvEEEESG_SJ_SK_mSL_SN_bEUlT_E_NS1_11comp_targetILNS1_3genE2ELNS1_11target_archE906ELNS1_3gpuE6ELNS1_3repE0EEENS1_30default_config_static_selectorELNS0_4arch9wavefront6targetE1EEEvT1_
                                        ; -- End function
	.set _ZN7rocprim17ROCPRIM_400000_NS6detail17trampoline_kernelINS0_14default_configENS1_25transform_config_selectorIjLb0EEEZNS1_14transform_implILb0ES3_S5_NS0_18transform_iteratorINS0_17counting_iteratorImlEEZNS1_24adjacent_difference_implIS3_Lb1ELb0EPjSB_N6thrust23THRUST_200600_302600_NS4plusIjEEEE10hipError_tPvRmT2_T3_mT4_P12ihipStream_tbEUlmE_jEESB_NS0_8identityIvEEEESG_SJ_SK_mSL_SN_bEUlT_E_NS1_11comp_targetILNS1_3genE2ELNS1_11target_archE906ELNS1_3gpuE6ELNS1_3repE0EEENS1_30default_config_static_selectorELNS0_4arch9wavefront6targetE1EEEvT1_.num_vgpr, 7
	.set _ZN7rocprim17ROCPRIM_400000_NS6detail17trampoline_kernelINS0_14default_configENS1_25transform_config_selectorIjLb0EEEZNS1_14transform_implILb0ES3_S5_NS0_18transform_iteratorINS0_17counting_iteratorImlEEZNS1_24adjacent_difference_implIS3_Lb1ELb0EPjSB_N6thrust23THRUST_200600_302600_NS4plusIjEEEE10hipError_tPvRmT2_T3_mT4_P12ihipStream_tbEUlmE_jEESB_NS0_8identityIvEEEESG_SJ_SK_mSL_SN_bEUlT_E_NS1_11comp_targetILNS1_3genE2ELNS1_11target_archE906ELNS1_3gpuE6ELNS1_3repE0EEENS1_30default_config_static_selectorELNS0_4arch9wavefront6targetE1EEEvT1_.num_agpr, 0
	.set _ZN7rocprim17ROCPRIM_400000_NS6detail17trampoline_kernelINS0_14default_configENS1_25transform_config_selectorIjLb0EEEZNS1_14transform_implILb0ES3_S5_NS0_18transform_iteratorINS0_17counting_iteratorImlEEZNS1_24adjacent_difference_implIS3_Lb1ELb0EPjSB_N6thrust23THRUST_200600_302600_NS4plusIjEEEE10hipError_tPvRmT2_T3_mT4_P12ihipStream_tbEUlmE_jEESB_NS0_8identityIvEEEESG_SJ_SK_mSL_SN_bEUlT_E_NS1_11comp_targetILNS1_3genE2ELNS1_11target_archE906ELNS1_3gpuE6ELNS1_3repE0EEENS1_30default_config_static_selectorELNS0_4arch9wavefront6targetE1EEEvT1_.numbered_sgpr, 18
	.set _ZN7rocprim17ROCPRIM_400000_NS6detail17trampoline_kernelINS0_14default_configENS1_25transform_config_selectorIjLb0EEEZNS1_14transform_implILb0ES3_S5_NS0_18transform_iteratorINS0_17counting_iteratorImlEEZNS1_24adjacent_difference_implIS3_Lb1ELb0EPjSB_N6thrust23THRUST_200600_302600_NS4plusIjEEEE10hipError_tPvRmT2_T3_mT4_P12ihipStream_tbEUlmE_jEESB_NS0_8identityIvEEEESG_SJ_SK_mSL_SN_bEUlT_E_NS1_11comp_targetILNS1_3genE2ELNS1_11target_archE906ELNS1_3gpuE6ELNS1_3repE0EEENS1_30default_config_static_selectorELNS0_4arch9wavefront6targetE1EEEvT1_.num_named_barrier, 0
	.set _ZN7rocprim17ROCPRIM_400000_NS6detail17trampoline_kernelINS0_14default_configENS1_25transform_config_selectorIjLb0EEEZNS1_14transform_implILb0ES3_S5_NS0_18transform_iteratorINS0_17counting_iteratorImlEEZNS1_24adjacent_difference_implIS3_Lb1ELb0EPjSB_N6thrust23THRUST_200600_302600_NS4plusIjEEEE10hipError_tPvRmT2_T3_mT4_P12ihipStream_tbEUlmE_jEESB_NS0_8identityIvEEEESG_SJ_SK_mSL_SN_bEUlT_E_NS1_11comp_targetILNS1_3genE2ELNS1_11target_archE906ELNS1_3gpuE6ELNS1_3repE0EEENS1_30default_config_static_selectorELNS0_4arch9wavefront6targetE1EEEvT1_.private_seg_size, 0
	.set _ZN7rocprim17ROCPRIM_400000_NS6detail17trampoline_kernelINS0_14default_configENS1_25transform_config_selectorIjLb0EEEZNS1_14transform_implILb0ES3_S5_NS0_18transform_iteratorINS0_17counting_iteratorImlEEZNS1_24adjacent_difference_implIS3_Lb1ELb0EPjSB_N6thrust23THRUST_200600_302600_NS4plusIjEEEE10hipError_tPvRmT2_T3_mT4_P12ihipStream_tbEUlmE_jEESB_NS0_8identityIvEEEESG_SJ_SK_mSL_SN_bEUlT_E_NS1_11comp_targetILNS1_3genE2ELNS1_11target_archE906ELNS1_3gpuE6ELNS1_3repE0EEENS1_30default_config_static_selectorELNS0_4arch9wavefront6targetE1EEEvT1_.uses_vcc, 1
	.set _ZN7rocprim17ROCPRIM_400000_NS6detail17trampoline_kernelINS0_14default_configENS1_25transform_config_selectorIjLb0EEEZNS1_14transform_implILb0ES3_S5_NS0_18transform_iteratorINS0_17counting_iteratorImlEEZNS1_24adjacent_difference_implIS3_Lb1ELb0EPjSB_N6thrust23THRUST_200600_302600_NS4plusIjEEEE10hipError_tPvRmT2_T3_mT4_P12ihipStream_tbEUlmE_jEESB_NS0_8identityIvEEEESG_SJ_SK_mSL_SN_bEUlT_E_NS1_11comp_targetILNS1_3genE2ELNS1_11target_archE906ELNS1_3gpuE6ELNS1_3repE0EEENS1_30default_config_static_selectorELNS0_4arch9wavefront6targetE1EEEvT1_.uses_flat_scratch, 0
	.set _ZN7rocprim17ROCPRIM_400000_NS6detail17trampoline_kernelINS0_14default_configENS1_25transform_config_selectorIjLb0EEEZNS1_14transform_implILb0ES3_S5_NS0_18transform_iteratorINS0_17counting_iteratorImlEEZNS1_24adjacent_difference_implIS3_Lb1ELb0EPjSB_N6thrust23THRUST_200600_302600_NS4plusIjEEEE10hipError_tPvRmT2_T3_mT4_P12ihipStream_tbEUlmE_jEESB_NS0_8identityIvEEEESG_SJ_SK_mSL_SN_bEUlT_E_NS1_11comp_targetILNS1_3genE2ELNS1_11target_archE906ELNS1_3gpuE6ELNS1_3repE0EEENS1_30default_config_static_selectorELNS0_4arch9wavefront6targetE1EEEvT1_.has_dyn_sized_stack, 0
	.set _ZN7rocprim17ROCPRIM_400000_NS6detail17trampoline_kernelINS0_14default_configENS1_25transform_config_selectorIjLb0EEEZNS1_14transform_implILb0ES3_S5_NS0_18transform_iteratorINS0_17counting_iteratorImlEEZNS1_24adjacent_difference_implIS3_Lb1ELb0EPjSB_N6thrust23THRUST_200600_302600_NS4plusIjEEEE10hipError_tPvRmT2_T3_mT4_P12ihipStream_tbEUlmE_jEESB_NS0_8identityIvEEEESG_SJ_SK_mSL_SN_bEUlT_E_NS1_11comp_targetILNS1_3genE2ELNS1_11target_archE906ELNS1_3gpuE6ELNS1_3repE0EEENS1_30default_config_static_selectorELNS0_4arch9wavefront6targetE1EEEvT1_.has_recursion, 0
	.set _ZN7rocprim17ROCPRIM_400000_NS6detail17trampoline_kernelINS0_14default_configENS1_25transform_config_selectorIjLb0EEEZNS1_14transform_implILb0ES3_S5_NS0_18transform_iteratorINS0_17counting_iteratorImlEEZNS1_24adjacent_difference_implIS3_Lb1ELb0EPjSB_N6thrust23THRUST_200600_302600_NS4plusIjEEEE10hipError_tPvRmT2_T3_mT4_P12ihipStream_tbEUlmE_jEESB_NS0_8identityIvEEEESG_SJ_SK_mSL_SN_bEUlT_E_NS1_11comp_targetILNS1_3genE2ELNS1_11target_archE906ELNS1_3gpuE6ELNS1_3repE0EEENS1_30default_config_static_selectorELNS0_4arch9wavefront6targetE1EEEvT1_.has_indirect_call, 0
	.section	.AMDGPU.csdata,"",@progbits
; Kernel info:
; codeLenInByte = 584
; TotalNumSgprs: 22
; NumVgprs: 7
; ScratchSize: 0
; MemoryBound: 0
; FloatMode: 240
; IeeeMode: 1
; LDSByteSize: 0 bytes/workgroup (compile time only)
; SGPRBlocks: 2
; VGPRBlocks: 1
; NumSGPRsForWavesPerEU: 22
; NumVGPRsForWavesPerEU: 7
; Occupancy: 10
; WaveLimiterHint : 0
; COMPUTE_PGM_RSRC2:SCRATCH_EN: 0
; COMPUTE_PGM_RSRC2:USER_SGPR: 6
; COMPUTE_PGM_RSRC2:TRAP_HANDLER: 0
; COMPUTE_PGM_RSRC2:TGID_X_EN: 1
; COMPUTE_PGM_RSRC2:TGID_Y_EN: 0
; COMPUTE_PGM_RSRC2:TGID_Z_EN: 0
; COMPUTE_PGM_RSRC2:TIDIG_COMP_CNT: 0
	.section	.text._ZN7rocprim17ROCPRIM_400000_NS6detail17trampoline_kernelINS0_14default_configENS1_25transform_config_selectorIjLb0EEEZNS1_14transform_implILb0ES3_S5_NS0_18transform_iteratorINS0_17counting_iteratorImlEEZNS1_24adjacent_difference_implIS3_Lb1ELb0EPjSB_N6thrust23THRUST_200600_302600_NS4plusIjEEEE10hipError_tPvRmT2_T3_mT4_P12ihipStream_tbEUlmE_jEESB_NS0_8identityIvEEEESG_SJ_SK_mSL_SN_bEUlT_E_NS1_11comp_targetILNS1_3genE10ELNS1_11target_archE1201ELNS1_3gpuE5ELNS1_3repE0EEENS1_30default_config_static_selectorELNS0_4arch9wavefront6targetE1EEEvT1_,"axG",@progbits,_ZN7rocprim17ROCPRIM_400000_NS6detail17trampoline_kernelINS0_14default_configENS1_25transform_config_selectorIjLb0EEEZNS1_14transform_implILb0ES3_S5_NS0_18transform_iteratorINS0_17counting_iteratorImlEEZNS1_24adjacent_difference_implIS3_Lb1ELb0EPjSB_N6thrust23THRUST_200600_302600_NS4plusIjEEEE10hipError_tPvRmT2_T3_mT4_P12ihipStream_tbEUlmE_jEESB_NS0_8identityIvEEEESG_SJ_SK_mSL_SN_bEUlT_E_NS1_11comp_targetILNS1_3genE10ELNS1_11target_archE1201ELNS1_3gpuE5ELNS1_3repE0EEENS1_30default_config_static_selectorELNS0_4arch9wavefront6targetE1EEEvT1_,comdat
	.protected	_ZN7rocprim17ROCPRIM_400000_NS6detail17trampoline_kernelINS0_14default_configENS1_25transform_config_selectorIjLb0EEEZNS1_14transform_implILb0ES3_S5_NS0_18transform_iteratorINS0_17counting_iteratorImlEEZNS1_24adjacent_difference_implIS3_Lb1ELb0EPjSB_N6thrust23THRUST_200600_302600_NS4plusIjEEEE10hipError_tPvRmT2_T3_mT4_P12ihipStream_tbEUlmE_jEESB_NS0_8identityIvEEEESG_SJ_SK_mSL_SN_bEUlT_E_NS1_11comp_targetILNS1_3genE10ELNS1_11target_archE1201ELNS1_3gpuE5ELNS1_3repE0EEENS1_30default_config_static_selectorELNS0_4arch9wavefront6targetE1EEEvT1_ ; -- Begin function _ZN7rocprim17ROCPRIM_400000_NS6detail17trampoline_kernelINS0_14default_configENS1_25transform_config_selectorIjLb0EEEZNS1_14transform_implILb0ES3_S5_NS0_18transform_iteratorINS0_17counting_iteratorImlEEZNS1_24adjacent_difference_implIS3_Lb1ELb0EPjSB_N6thrust23THRUST_200600_302600_NS4plusIjEEEE10hipError_tPvRmT2_T3_mT4_P12ihipStream_tbEUlmE_jEESB_NS0_8identityIvEEEESG_SJ_SK_mSL_SN_bEUlT_E_NS1_11comp_targetILNS1_3genE10ELNS1_11target_archE1201ELNS1_3gpuE5ELNS1_3repE0EEENS1_30default_config_static_selectorELNS0_4arch9wavefront6targetE1EEEvT1_
	.globl	_ZN7rocprim17ROCPRIM_400000_NS6detail17trampoline_kernelINS0_14default_configENS1_25transform_config_selectorIjLb0EEEZNS1_14transform_implILb0ES3_S5_NS0_18transform_iteratorINS0_17counting_iteratorImlEEZNS1_24adjacent_difference_implIS3_Lb1ELb0EPjSB_N6thrust23THRUST_200600_302600_NS4plusIjEEEE10hipError_tPvRmT2_T3_mT4_P12ihipStream_tbEUlmE_jEESB_NS0_8identityIvEEEESG_SJ_SK_mSL_SN_bEUlT_E_NS1_11comp_targetILNS1_3genE10ELNS1_11target_archE1201ELNS1_3gpuE5ELNS1_3repE0EEENS1_30default_config_static_selectorELNS0_4arch9wavefront6targetE1EEEvT1_
	.p2align	8
	.type	_ZN7rocprim17ROCPRIM_400000_NS6detail17trampoline_kernelINS0_14default_configENS1_25transform_config_selectorIjLb0EEEZNS1_14transform_implILb0ES3_S5_NS0_18transform_iteratorINS0_17counting_iteratorImlEEZNS1_24adjacent_difference_implIS3_Lb1ELb0EPjSB_N6thrust23THRUST_200600_302600_NS4plusIjEEEE10hipError_tPvRmT2_T3_mT4_P12ihipStream_tbEUlmE_jEESB_NS0_8identityIvEEEESG_SJ_SK_mSL_SN_bEUlT_E_NS1_11comp_targetILNS1_3genE10ELNS1_11target_archE1201ELNS1_3gpuE5ELNS1_3repE0EEENS1_30default_config_static_selectorELNS0_4arch9wavefront6targetE1EEEvT1_,@function
_ZN7rocprim17ROCPRIM_400000_NS6detail17trampoline_kernelINS0_14default_configENS1_25transform_config_selectorIjLb0EEEZNS1_14transform_implILb0ES3_S5_NS0_18transform_iteratorINS0_17counting_iteratorImlEEZNS1_24adjacent_difference_implIS3_Lb1ELb0EPjSB_N6thrust23THRUST_200600_302600_NS4plusIjEEEE10hipError_tPvRmT2_T3_mT4_P12ihipStream_tbEUlmE_jEESB_NS0_8identityIvEEEESG_SJ_SK_mSL_SN_bEUlT_E_NS1_11comp_targetILNS1_3genE10ELNS1_11target_archE1201ELNS1_3gpuE5ELNS1_3repE0EEENS1_30default_config_static_selectorELNS0_4arch9wavefront6targetE1EEEvT1_: ; @_ZN7rocprim17ROCPRIM_400000_NS6detail17trampoline_kernelINS0_14default_configENS1_25transform_config_selectorIjLb0EEEZNS1_14transform_implILb0ES3_S5_NS0_18transform_iteratorINS0_17counting_iteratorImlEEZNS1_24adjacent_difference_implIS3_Lb1ELb0EPjSB_N6thrust23THRUST_200600_302600_NS4plusIjEEEE10hipError_tPvRmT2_T3_mT4_P12ihipStream_tbEUlmE_jEESB_NS0_8identityIvEEEESG_SJ_SK_mSL_SN_bEUlT_E_NS1_11comp_targetILNS1_3genE10ELNS1_11target_archE1201ELNS1_3gpuE5ELNS1_3repE0EEENS1_30default_config_static_selectorELNS0_4arch9wavefront6targetE1EEEvT1_
; %bb.0:
	.section	.rodata,"a",@progbits
	.p2align	6, 0x0
	.amdhsa_kernel _ZN7rocprim17ROCPRIM_400000_NS6detail17trampoline_kernelINS0_14default_configENS1_25transform_config_selectorIjLb0EEEZNS1_14transform_implILb0ES3_S5_NS0_18transform_iteratorINS0_17counting_iteratorImlEEZNS1_24adjacent_difference_implIS3_Lb1ELb0EPjSB_N6thrust23THRUST_200600_302600_NS4plusIjEEEE10hipError_tPvRmT2_T3_mT4_P12ihipStream_tbEUlmE_jEESB_NS0_8identityIvEEEESG_SJ_SK_mSL_SN_bEUlT_E_NS1_11comp_targetILNS1_3genE10ELNS1_11target_archE1201ELNS1_3gpuE5ELNS1_3repE0EEENS1_30default_config_static_selectorELNS0_4arch9wavefront6targetE1EEEvT1_
		.amdhsa_group_segment_fixed_size 0
		.amdhsa_private_segment_fixed_size 0
		.amdhsa_kernarg_size 56
		.amdhsa_user_sgpr_count 6
		.amdhsa_user_sgpr_private_segment_buffer 1
		.amdhsa_user_sgpr_dispatch_ptr 0
		.amdhsa_user_sgpr_queue_ptr 0
		.amdhsa_user_sgpr_kernarg_segment_ptr 1
		.amdhsa_user_sgpr_dispatch_id 0
		.amdhsa_user_sgpr_flat_scratch_init 0
		.amdhsa_user_sgpr_private_segment_size 0
		.amdhsa_uses_dynamic_stack 0
		.amdhsa_system_sgpr_private_segment_wavefront_offset 0
		.amdhsa_system_sgpr_workgroup_id_x 1
		.amdhsa_system_sgpr_workgroup_id_y 0
		.amdhsa_system_sgpr_workgroup_id_z 0
		.amdhsa_system_sgpr_workgroup_info 0
		.amdhsa_system_vgpr_workitem_id 0
		.amdhsa_next_free_vgpr 1
		.amdhsa_next_free_sgpr 0
		.amdhsa_reserve_vcc 0
		.amdhsa_reserve_flat_scratch 0
		.amdhsa_float_round_mode_32 0
		.amdhsa_float_round_mode_16_64 0
		.amdhsa_float_denorm_mode_32 3
		.amdhsa_float_denorm_mode_16_64 3
		.amdhsa_dx10_clamp 1
		.amdhsa_ieee_mode 1
		.amdhsa_fp16_overflow 0
		.amdhsa_exception_fp_ieee_invalid_op 0
		.amdhsa_exception_fp_denorm_src 0
		.amdhsa_exception_fp_ieee_div_zero 0
		.amdhsa_exception_fp_ieee_overflow 0
		.amdhsa_exception_fp_ieee_underflow 0
		.amdhsa_exception_fp_ieee_inexact 0
		.amdhsa_exception_int_div_zero 0
	.end_amdhsa_kernel
	.section	.text._ZN7rocprim17ROCPRIM_400000_NS6detail17trampoline_kernelINS0_14default_configENS1_25transform_config_selectorIjLb0EEEZNS1_14transform_implILb0ES3_S5_NS0_18transform_iteratorINS0_17counting_iteratorImlEEZNS1_24adjacent_difference_implIS3_Lb1ELb0EPjSB_N6thrust23THRUST_200600_302600_NS4plusIjEEEE10hipError_tPvRmT2_T3_mT4_P12ihipStream_tbEUlmE_jEESB_NS0_8identityIvEEEESG_SJ_SK_mSL_SN_bEUlT_E_NS1_11comp_targetILNS1_3genE10ELNS1_11target_archE1201ELNS1_3gpuE5ELNS1_3repE0EEENS1_30default_config_static_selectorELNS0_4arch9wavefront6targetE1EEEvT1_,"axG",@progbits,_ZN7rocprim17ROCPRIM_400000_NS6detail17trampoline_kernelINS0_14default_configENS1_25transform_config_selectorIjLb0EEEZNS1_14transform_implILb0ES3_S5_NS0_18transform_iteratorINS0_17counting_iteratorImlEEZNS1_24adjacent_difference_implIS3_Lb1ELb0EPjSB_N6thrust23THRUST_200600_302600_NS4plusIjEEEE10hipError_tPvRmT2_T3_mT4_P12ihipStream_tbEUlmE_jEESB_NS0_8identityIvEEEESG_SJ_SK_mSL_SN_bEUlT_E_NS1_11comp_targetILNS1_3genE10ELNS1_11target_archE1201ELNS1_3gpuE5ELNS1_3repE0EEENS1_30default_config_static_selectorELNS0_4arch9wavefront6targetE1EEEvT1_,comdat
.Lfunc_end193:
	.size	_ZN7rocprim17ROCPRIM_400000_NS6detail17trampoline_kernelINS0_14default_configENS1_25transform_config_selectorIjLb0EEEZNS1_14transform_implILb0ES3_S5_NS0_18transform_iteratorINS0_17counting_iteratorImlEEZNS1_24adjacent_difference_implIS3_Lb1ELb0EPjSB_N6thrust23THRUST_200600_302600_NS4plusIjEEEE10hipError_tPvRmT2_T3_mT4_P12ihipStream_tbEUlmE_jEESB_NS0_8identityIvEEEESG_SJ_SK_mSL_SN_bEUlT_E_NS1_11comp_targetILNS1_3genE10ELNS1_11target_archE1201ELNS1_3gpuE5ELNS1_3repE0EEENS1_30default_config_static_selectorELNS0_4arch9wavefront6targetE1EEEvT1_, .Lfunc_end193-_ZN7rocprim17ROCPRIM_400000_NS6detail17trampoline_kernelINS0_14default_configENS1_25transform_config_selectorIjLb0EEEZNS1_14transform_implILb0ES3_S5_NS0_18transform_iteratorINS0_17counting_iteratorImlEEZNS1_24adjacent_difference_implIS3_Lb1ELb0EPjSB_N6thrust23THRUST_200600_302600_NS4plusIjEEEE10hipError_tPvRmT2_T3_mT4_P12ihipStream_tbEUlmE_jEESB_NS0_8identityIvEEEESG_SJ_SK_mSL_SN_bEUlT_E_NS1_11comp_targetILNS1_3genE10ELNS1_11target_archE1201ELNS1_3gpuE5ELNS1_3repE0EEENS1_30default_config_static_selectorELNS0_4arch9wavefront6targetE1EEEvT1_
                                        ; -- End function
	.set _ZN7rocprim17ROCPRIM_400000_NS6detail17trampoline_kernelINS0_14default_configENS1_25transform_config_selectorIjLb0EEEZNS1_14transform_implILb0ES3_S5_NS0_18transform_iteratorINS0_17counting_iteratorImlEEZNS1_24adjacent_difference_implIS3_Lb1ELb0EPjSB_N6thrust23THRUST_200600_302600_NS4plusIjEEEE10hipError_tPvRmT2_T3_mT4_P12ihipStream_tbEUlmE_jEESB_NS0_8identityIvEEEESG_SJ_SK_mSL_SN_bEUlT_E_NS1_11comp_targetILNS1_3genE10ELNS1_11target_archE1201ELNS1_3gpuE5ELNS1_3repE0EEENS1_30default_config_static_selectorELNS0_4arch9wavefront6targetE1EEEvT1_.num_vgpr, 0
	.set _ZN7rocprim17ROCPRIM_400000_NS6detail17trampoline_kernelINS0_14default_configENS1_25transform_config_selectorIjLb0EEEZNS1_14transform_implILb0ES3_S5_NS0_18transform_iteratorINS0_17counting_iteratorImlEEZNS1_24adjacent_difference_implIS3_Lb1ELb0EPjSB_N6thrust23THRUST_200600_302600_NS4plusIjEEEE10hipError_tPvRmT2_T3_mT4_P12ihipStream_tbEUlmE_jEESB_NS0_8identityIvEEEESG_SJ_SK_mSL_SN_bEUlT_E_NS1_11comp_targetILNS1_3genE10ELNS1_11target_archE1201ELNS1_3gpuE5ELNS1_3repE0EEENS1_30default_config_static_selectorELNS0_4arch9wavefront6targetE1EEEvT1_.num_agpr, 0
	.set _ZN7rocprim17ROCPRIM_400000_NS6detail17trampoline_kernelINS0_14default_configENS1_25transform_config_selectorIjLb0EEEZNS1_14transform_implILb0ES3_S5_NS0_18transform_iteratorINS0_17counting_iteratorImlEEZNS1_24adjacent_difference_implIS3_Lb1ELb0EPjSB_N6thrust23THRUST_200600_302600_NS4plusIjEEEE10hipError_tPvRmT2_T3_mT4_P12ihipStream_tbEUlmE_jEESB_NS0_8identityIvEEEESG_SJ_SK_mSL_SN_bEUlT_E_NS1_11comp_targetILNS1_3genE10ELNS1_11target_archE1201ELNS1_3gpuE5ELNS1_3repE0EEENS1_30default_config_static_selectorELNS0_4arch9wavefront6targetE1EEEvT1_.numbered_sgpr, 0
	.set _ZN7rocprim17ROCPRIM_400000_NS6detail17trampoline_kernelINS0_14default_configENS1_25transform_config_selectorIjLb0EEEZNS1_14transform_implILb0ES3_S5_NS0_18transform_iteratorINS0_17counting_iteratorImlEEZNS1_24adjacent_difference_implIS3_Lb1ELb0EPjSB_N6thrust23THRUST_200600_302600_NS4plusIjEEEE10hipError_tPvRmT2_T3_mT4_P12ihipStream_tbEUlmE_jEESB_NS0_8identityIvEEEESG_SJ_SK_mSL_SN_bEUlT_E_NS1_11comp_targetILNS1_3genE10ELNS1_11target_archE1201ELNS1_3gpuE5ELNS1_3repE0EEENS1_30default_config_static_selectorELNS0_4arch9wavefront6targetE1EEEvT1_.num_named_barrier, 0
	.set _ZN7rocprim17ROCPRIM_400000_NS6detail17trampoline_kernelINS0_14default_configENS1_25transform_config_selectorIjLb0EEEZNS1_14transform_implILb0ES3_S5_NS0_18transform_iteratorINS0_17counting_iteratorImlEEZNS1_24adjacent_difference_implIS3_Lb1ELb0EPjSB_N6thrust23THRUST_200600_302600_NS4plusIjEEEE10hipError_tPvRmT2_T3_mT4_P12ihipStream_tbEUlmE_jEESB_NS0_8identityIvEEEESG_SJ_SK_mSL_SN_bEUlT_E_NS1_11comp_targetILNS1_3genE10ELNS1_11target_archE1201ELNS1_3gpuE5ELNS1_3repE0EEENS1_30default_config_static_selectorELNS0_4arch9wavefront6targetE1EEEvT1_.private_seg_size, 0
	.set _ZN7rocprim17ROCPRIM_400000_NS6detail17trampoline_kernelINS0_14default_configENS1_25transform_config_selectorIjLb0EEEZNS1_14transform_implILb0ES3_S5_NS0_18transform_iteratorINS0_17counting_iteratorImlEEZNS1_24adjacent_difference_implIS3_Lb1ELb0EPjSB_N6thrust23THRUST_200600_302600_NS4plusIjEEEE10hipError_tPvRmT2_T3_mT4_P12ihipStream_tbEUlmE_jEESB_NS0_8identityIvEEEESG_SJ_SK_mSL_SN_bEUlT_E_NS1_11comp_targetILNS1_3genE10ELNS1_11target_archE1201ELNS1_3gpuE5ELNS1_3repE0EEENS1_30default_config_static_selectorELNS0_4arch9wavefront6targetE1EEEvT1_.uses_vcc, 0
	.set _ZN7rocprim17ROCPRIM_400000_NS6detail17trampoline_kernelINS0_14default_configENS1_25transform_config_selectorIjLb0EEEZNS1_14transform_implILb0ES3_S5_NS0_18transform_iteratorINS0_17counting_iteratorImlEEZNS1_24adjacent_difference_implIS3_Lb1ELb0EPjSB_N6thrust23THRUST_200600_302600_NS4plusIjEEEE10hipError_tPvRmT2_T3_mT4_P12ihipStream_tbEUlmE_jEESB_NS0_8identityIvEEEESG_SJ_SK_mSL_SN_bEUlT_E_NS1_11comp_targetILNS1_3genE10ELNS1_11target_archE1201ELNS1_3gpuE5ELNS1_3repE0EEENS1_30default_config_static_selectorELNS0_4arch9wavefront6targetE1EEEvT1_.uses_flat_scratch, 0
	.set _ZN7rocprim17ROCPRIM_400000_NS6detail17trampoline_kernelINS0_14default_configENS1_25transform_config_selectorIjLb0EEEZNS1_14transform_implILb0ES3_S5_NS0_18transform_iteratorINS0_17counting_iteratorImlEEZNS1_24adjacent_difference_implIS3_Lb1ELb0EPjSB_N6thrust23THRUST_200600_302600_NS4plusIjEEEE10hipError_tPvRmT2_T3_mT4_P12ihipStream_tbEUlmE_jEESB_NS0_8identityIvEEEESG_SJ_SK_mSL_SN_bEUlT_E_NS1_11comp_targetILNS1_3genE10ELNS1_11target_archE1201ELNS1_3gpuE5ELNS1_3repE0EEENS1_30default_config_static_selectorELNS0_4arch9wavefront6targetE1EEEvT1_.has_dyn_sized_stack, 0
	.set _ZN7rocprim17ROCPRIM_400000_NS6detail17trampoline_kernelINS0_14default_configENS1_25transform_config_selectorIjLb0EEEZNS1_14transform_implILb0ES3_S5_NS0_18transform_iteratorINS0_17counting_iteratorImlEEZNS1_24adjacent_difference_implIS3_Lb1ELb0EPjSB_N6thrust23THRUST_200600_302600_NS4plusIjEEEE10hipError_tPvRmT2_T3_mT4_P12ihipStream_tbEUlmE_jEESB_NS0_8identityIvEEEESG_SJ_SK_mSL_SN_bEUlT_E_NS1_11comp_targetILNS1_3genE10ELNS1_11target_archE1201ELNS1_3gpuE5ELNS1_3repE0EEENS1_30default_config_static_selectorELNS0_4arch9wavefront6targetE1EEEvT1_.has_recursion, 0
	.set _ZN7rocprim17ROCPRIM_400000_NS6detail17trampoline_kernelINS0_14default_configENS1_25transform_config_selectorIjLb0EEEZNS1_14transform_implILb0ES3_S5_NS0_18transform_iteratorINS0_17counting_iteratorImlEEZNS1_24adjacent_difference_implIS3_Lb1ELb0EPjSB_N6thrust23THRUST_200600_302600_NS4plusIjEEEE10hipError_tPvRmT2_T3_mT4_P12ihipStream_tbEUlmE_jEESB_NS0_8identityIvEEEESG_SJ_SK_mSL_SN_bEUlT_E_NS1_11comp_targetILNS1_3genE10ELNS1_11target_archE1201ELNS1_3gpuE5ELNS1_3repE0EEENS1_30default_config_static_selectorELNS0_4arch9wavefront6targetE1EEEvT1_.has_indirect_call, 0
	.section	.AMDGPU.csdata,"",@progbits
; Kernel info:
; codeLenInByte = 0
; TotalNumSgprs: 4
; NumVgprs: 0
; ScratchSize: 0
; MemoryBound: 0
; FloatMode: 240
; IeeeMode: 1
; LDSByteSize: 0 bytes/workgroup (compile time only)
; SGPRBlocks: 0
; VGPRBlocks: 0
; NumSGPRsForWavesPerEU: 4
; NumVGPRsForWavesPerEU: 1
; Occupancy: 10
; WaveLimiterHint : 0
; COMPUTE_PGM_RSRC2:SCRATCH_EN: 0
; COMPUTE_PGM_RSRC2:USER_SGPR: 6
; COMPUTE_PGM_RSRC2:TRAP_HANDLER: 0
; COMPUTE_PGM_RSRC2:TGID_X_EN: 1
; COMPUTE_PGM_RSRC2:TGID_Y_EN: 0
; COMPUTE_PGM_RSRC2:TGID_Z_EN: 0
; COMPUTE_PGM_RSRC2:TIDIG_COMP_CNT: 0
	.section	.text._ZN7rocprim17ROCPRIM_400000_NS6detail17trampoline_kernelINS0_14default_configENS1_25transform_config_selectorIjLb0EEEZNS1_14transform_implILb0ES3_S5_NS0_18transform_iteratorINS0_17counting_iteratorImlEEZNS1_24adjacent_difference_implIS3_Lb1ELb0EPjSB_N6thrust23THRUST_200600_302600_NS4plusIjEEEE10hipError_tPvRmT2_T3_mT4_P12ihipStream_tbEUlmE_jEESB_NS0_8identityIvEEEESG_SJ_SK_mSL_SN_bEUlT_E_NS1_11comp_targetILNS1_3genE10ELNS1_11target_archE1200ELNS1_3gpuE4ELNS1_3repE0EEENS1_30default_config_static_selectorELNS0_4arch9wavefront6targetE1EEEvT1_,"axG",@progbits,_ZN7rocprim17ROCPRIM_400000_NS6detail17trampoline_kernelINS0_14default_configENS1_25transform_config_selectorIjLb0EEEZNS1_14transform_implILb0ES3_S5_NS0_18transform_iteratorINS0_17counting_iteratorImlEEZNS1_24adjacent_difference_implIS3_Lb1ELb0EPjSB_N6thrust23THRUST_200600_302600_NS4plusIjEEEE10hipError_tPvRmT2_T3_mT4_P12ihipStream_tbEUlmE_jEESB_NS0_8identityIvEEEESG_SJ_SK_mSL_SN_bEUlT_E_NS1_11comp_targetILNS1_3genE10ELNS1_11target_archE1200ELNS1_3gpuE4ELNS1_3repE0EEENS1_30default_config_static_selectorELNS0_4arch9wavefront6targetE1EEEvT1_,comdat
	.protected	_ZN7rocprim17ROCPRIM_400000_NS6detail17trampoline_kernelINS0_14default_configENS1_25transform_config_selectorIjLb0EEEZNS1_14transform_implILb0ES3_S5_NS0_18transform_iteratorINS0_17counting_iteratorImlEEZNS1_24adjacent_difference_implIS3_Lb1ELb0EPjSB_N6thrust23THRUST_200600_302600_NS4plusIjEEEE10hipError_tPvRmT2_T3_mT4_P12ihipStream_tbEUlmE_jEESB_NS0_8identityIvEEEESG_SJ_SK_mSL_SN_bEUlT_E_NS1_11comp_targetILNS1_3genE10ELNS1_11target_archE1200ELNS1_3gpuE4ELNS1_3repE0EEENS1_30default_config_static_selectorELNS0_4arch9wavefront6targetE1EEEvT1_ ; -- Begin function _ZN7rocprim17ROCPRIM_400000_NS6detail17trampoline_kernelINS0_14default_configENS1_25transform_config_selectorIjLb0EEEZNS1_14transform_implILb0ES3_S5_NS0_18transform_iteratorINS0_17counting_iteratorImlEEZNS1_24adjacent_difference_implIS3_Lb1ELb0EPjSB_N6thrust23THRUST_200600_302600_NS4plusIjEEEE10hipError_tPvRmT2_T3_mT4_P12ihipStream_tbEUlmE_jEESB_NS0_8identityIvEEEESG_SJ_SK_mSL_SN_bEUlT_E_NS1_11comp_targetILNS1_3genE10ELNS1_11target_archE1200ELNS1_3gpuE4ELNS1_3repE0EEENS1_30default_config_static_selectorELNS0_4arch9wavefront6targetE1EEEvT1_
	.globl	_ZN7rocprim17ROCPRIM_400000_NS6detail17trampoline_kernelINS0_14default_configENS1_25transform_config_selectorIjLb0EEEZNS1_14transform_implILb0ES3_S5_NS0_18transform_iteratorINS0_17counting_iteratorImlEEZNS1_24adjacent_difference_implIS3_Lb1ELb0EPjSB_N6thrust23THRUST_200600_302600_NS4plusIjEEEE10hipError_tPvRmT2_T3_mT4_P12ihipStream_tbEUlmE_jEESB_NS0_8identityIvEEEESG_SJ_SK_mSL_SN_bEUlT_E_NS1_11comp_targetILNS1_3genE10ELNS1_11target_archE1200ELNS1_3gpuE4ELNS1_3repE0EEENS1_30default_config_static_selectorELNS0_4arch9wavefront6targetE1EEEvT1_
	.p2align	8
	.type	_ZN7rocprim17ROCPRIM_400000_NS6detail17trampoline_kernelINS0_14default_configENS1_25transform_config_selectorIjLb0EEEZNS1_14transform_implILb0ES3_S5_NS0_18transform_iteratorINS0_17counting_iteratorImlEEZNS1_24adjacent_difference_implIS3_Lb1ELb0EPjSB_N6thrust23THRUST_200600_302600_NS4plusIjEEEE10hipError_tPvRmT2_T3_mT4_P12ihipStream_tbEUlmE_jEESB_NS0_8identityIvEEEESG_SJ_SK_mSL_SN_bEUlT_E_NS1_11comp_targetILNS1_3genE10ELNS1_11target_archE1200ELNS1_3gpuE4ELNS1_3repE0EEENS1_30default_config_static_selectorELNS0_4arch9wavefront6targetE1EEEvT1_,@function
_ZN7rocprim17ROCPRIM_400000_NS6detail17trampoline_kernelINS0_14default_configENS1_25transform_config_selectorIjLb0EEEZNS1_14transform_implILb0ES3_S5_NS0_18transform_iteratorINS0_17counting_iteratorImlEEZNS1_24adjacent_difference_implIS3_Lb1ELb0EPjSB_N6thrust23THRUST_200600_302600_NS4plusIjEEEE10hipError_tPvRmT2_T3_mT4_P12ihipStream_tbEUlmE_jEESB_NS0_8identityIvEEEESG_SJ_SK_mSL_SN_bEUlT_E_NS1_11comp_targetILNS1_3genE10ELNS1_11target_archE1200ELNS1_3gpuE4ELNS1_3repE0EEENS1_30default_config_static_selectorELNS0_4arch9wavefront6targetE1EEEvT1_: ; @_ZN7rocprim17ROCPRIM_400000_NS6detail17trampoline_kernelINS0_14default_configENS1_25transform_config_selectorIjLb0EEEZNS1_14transform_implILb0ES3_S5_NS0_18transform_iteratorINS0_17counting_iteratorImlEEZNS1_24adjacent_difference_implIS3_Lb1ELb0EPjSB_N6thrust23THRUST_200600_302600_NS4plusIjEEEE10hipError_tPvRmT2_T3_mT4_P12ihipStream_tbEUlmE_jEESB_NS0_8identityIvEEEESG_SJ_SK_mSL_SN_bEUlT_E_NS1_11comp_targetILNS1_3genE10ELNS1_11target_archE1200ELNS1_3gpuE4ELNS1_3repE0EEENS1_30default_config_static_selectorELNS0_4arch9wavefront6targetE1EEEvT1_
; %bb.0:
	.section	.rodata,"a",@progbits
	.p2align	6, 0x0
	.amdhsa_kernel _ZN7rocprim17ROCPRIM_400000_NS6detail17trampoline_kernelINS0_14default_configENS1_25transform_config_selectorIjLb0EEEZNS1_14transform_implILb0ES3_S5_NS0_18transform_iteratorINS0_17counting_iteratorImlEEZNS1_24adjacent_difference_implIS3_Lb1ELb0EPjSB_N6thrust23THRUST_200600_302600_NS4plusIjEEEE10hipError_tPvRmT2_T3_mT4_P12ihipStream_tbEUlmE_jEESB_NS0_8identityIvEEEESG_SJ_SK_mSL_SN_bEUlT_E_NS1_11comp_targetILNS1_3genE10ELNS1_11target_archE1200ELNS1_3gpuE4ELNS1_3repE0EEENS1_30default_config_static_selectorELNS0_4arch9wavefront6targetE1EEEvT1_
		.amdhsa_group_segment_fixed_size 0
		.amdhsa_private_segment_fixed_size 0
		.amdhsa_kernarg_size 56
		.amdhsa_user_sgpr_count 6
		.amdhsa_user_sgpr_private_segment_buffer 1
		.amdhsa_user_sgpr_dispatch_ptr 0
		.amdhsa_user_sgpr_queue_ptr 0
		.amdhsa_user_sgpr_kernarg_segment_ptr 1
		.amdhsa_user_sgpr_dispatch_id 0
		.amdhsa_user_sgpr_flat_scratch_init 0
		.amdhsa_user_sgpr_private_segment_size 0
		.amdhsa_uses_dynamic_stack 0
		.amdhsa_system_sgpr_private_segment_wavefront_offset 0
		.amdhsa_system_sgpr_workgroup_id_x 1
		.amdhsa_system_sgpr_workgroup_id_y 0
		.amdhsa_system_sgpr_workgroup_id_z 0
		.amdhsa_system_sgpr_workgroup_info 0
		.amdhsa_system_vgpr_workitem_id 0
		.amdhsa_next_free_vgpr 1
		.amdhsa_next_free_sgpr 0
		.amdhsa_reserve_vcc 0
		.amdhsa_reserve_flat_scratch 0
		.amdhsa_float_round_mode_32 0
		.amdhsa_float_round_mode_16_64 0
		.amdhsa_float_denorm_mode_32 3
		.amdhsa_float_denorm_mode_16_64 3
		.amdhsa_dx10_clamp 1
		.amdhsa_ieee_mode 1
		.amdhsa_fp16_overflow 0
		.amdhsa_exception_fp_ieee_invalid_op 0
		.amdhsa_exception_fp_denorm_src 0
		.amdhsa_exception_fp_ieee_div_zero 0
		.amdhsa_exception_fp_ieee_overflow 0
		.amdhsa_exception_fp_ieee_underflow 0
		.amdhsa_exception_fp_ieee_inexact 0
		.amdhsa_exception_int_div_zero 0
	.end_amdhsa_kernel
	.section	.text._ZN7rocprim17ROCPRIM_400000_NS6detail17trampoline_kernelINS0_14default_configENS1_25transform_config_selectorIjLb0EEEZNS1_14transform_implILb0ES3_S5_NS0_18transform_iteratorINS0_17counting_iteratorImlEEZNS1_24adjacent_difference_implIS3_Lb1ELb0EPjSB_N6thrust23THRUST_200600_302600_NS4plusIjEEEE10hipError_tPvRmT2_T3_mT4_P12ihipStream_tbEUlmE_jEESB_NS0_8identityIvEEEESG_SJ_SK_mSL_SN_bEUlT_E_NS1_11comp_targetILNS1_3genE10ELNS1_11target_archE1200ELNS1_3gpuE4ELNS1_3repE0EEENS1_30default_config_static_selectorELNS0_4arch9wavefront6targetE1EEEvT1_,"axG",@progbits,_ZN7rocprim17ROCPRIM_400000_NS6detail17trampoline_kernelINS0_14default_configENS1_25transform_config_selectorIjLb0EEEZNS1_14transform_implILb0ES3_S5_NS0_18transform_iteratorINS0_17counting_iteratorImlEEZNS1_24adjacent_difference_implIS3_Lb1ELb0EPjSB_N6thrust23THRUST_200600_302600_NS4plusIjEEEE10hipError_tPvRmT2_T3_mT4_P12ihipStream_tbEUlmE_jEESB_NS0_8identityIvEEEESG_SJ_SK_mSL_SN_bEUlT_E_NS1_11comp_targetILNS1_3genE10ELNS1_11target_archE1200ELNS1_3gpuE4ELNS1_3repE0EEENS1_30default_config_static_selectorELNS0_4arch9wavefront6targetE1EEEvT1_,comdat
.Lfunc_end194:
	.size	_ZN7rocprim17ROCPRIM_400000_NS6detail17trampoline_kernelINS0_14default_configENS1_25transform_config_selectorIjLb0EEEZNS1_14transform_implILb0ES3_S5_NS0_18transform_iteratorINS0_17counting_iteratorImlEEZNS1_24adjacent_difference_implIS3_Lb1ELb0EPjSB_N6thrust23THRUST_200600_302600_NS4plusIjEEEE10hipError_tPvRmT2_T3_mT4_P12ihipStream_tbEUlmE_jEESB_NS0_8identityIvEEEESG_SJ_SK_mSL_SN_bEUlT_E_NS1_11comp_targetILNS1_3genE10ELNS1_11target_archE1200ELNS1_3gpuE4ELNS1_3repE0EEENS1_30default_config_static_selectorELNS0_4arch9wavefront6targetE1EEEvT1_, .Lfunc_end194-_ZN7rocprim17ROCPRIM_400000_NS6detail17trampoline_kernelINS0_14default_configENS1_25transform_config_selectorIjLb0EEEZNS1_14transform_implILb0ES3_S5_NS0_18transform_iteratorINS0_17counting_iteratorImlEEZNS1_24adjacent_difference_implIS3_Lb1ELb0EPjSB_N6thrust23THRUST_200600_302600_NS4plusIjEEEE10hipError_tPvRmT2_T3_mT4_P12ihipStream_tbEUlmE_jEESB_NS0_8identityIvEEEESG_SJ_SK_mSL_SN_bEUlT_E_NS1_11comp_targetILNS1_3genE10ELNS1_11target_archE1200ELNS1_3gpuE4ELNS1_3repE0EEENS1_30default_config_static_selectorELNS0_4arch9wavefront6targetE1EEEvT1_
                                        ; -- End function
	.set _ZN7rocprim17ROCPRIM_400000_NS6detail17trampoline_kernelINS0_14default_configENS1_25transform_config_selectorIjLb0EEEZNS1_14transform_implILb0ES3_S5_NS0_18transform_iteratorINS0_17counting_iteratorImlEEZNS1_24adjacent_difference_implIS3_Lb1ELb0EPjSB_N6thrust23THRUST_200600_302600_NS4plusIjEEEE10hipError_tPvRmT2_T3_mT4_P12ihipStream_tbEUlmE_jEESB_NS0_8identityIvEEEESG_SJ_SK_mSL_SN_bEUlT_E_NS1_11comp_targetILNS1_3genE10ELNS1_11target_archE1200ELNS1_3gpuE4ELNS1_3repE0EEENS1_30default_config_static_selectorELNS0_4arch9wavefront6targetE1EEEvT1_.num_vgpr, 0
	.set _ZN7rocprim17ROCPRIM_400000_NS6detail17trampoline_kernelINS0_14default_configENS1_25transform_config_selectorIjLb0EEEZNS1_14transform_implILb0ES3_S5_NS0_18transform_iteratorINS0_17counting_iteratorImlEEZNS1_24adjacent_difference_implIS3_Lb1ELb0EPjSB_N6thrust23THRUST_200600_302600_NS4plusIjEEEE10hipError_tPvRmT2_T3_mT4_P12ihipStream_tbEUlmE_jEESB_NS0_8identityIvEEEESG_SJ_SK_mSL_SN_bEUlT_E_NS1_11comp_targetILNS1_3genE10ELNS1_11target_archE1200ELNS1_3gpuE4ELNS1_3repE0EEENS1_30default_config_static_selectorELNS0_4arch9wavefront6targetE1EEEvT1_.num_agpr, 0
	.set _ZN7rocprim17ROCPRIM_400000_NS6detail17trampoline_kernelINS0_14default_configENS1_25transform_config_selectorIjLb0EEEZNS1_14transform_implILb0ES3_S5_NS0_18transform_iteratorINS0_17counting_iteratorImlEEZNS1_24adjacent_difference_implIS3_Lb1ELb0EPjSB_N6thrust23THRUST_200600_302600_NS4plusIjEEEE10hipError_tPvRmT2_T3_mT4_P12ihipStream_tbEUlmE_jEESB_NS0_8identityIvEEEESG_SJ_SK_mSL_SN_bEUlT_E_NS1_11comp_targetILNS1_3genE10ELNS1_11target_archE1200ELNS1_3gpuE4ELNS1_3repE0EEENS1_30default_config_static_selectorELNS0_4arch9wavefront6targetE1EEEvT1_.numbered_sgpr, 0
	.set _ZN7rocprim17ROCPRIM_400000_NS6detail17trampoline_kernelINS0_14default_configENS1_25transform_config_selectorIjLb0EEEZNS1_14transform_implILb0ES3_S5_NS0_18transform_iteratorINS0_17counting_iteratorImlEEZNS1_24adjacent_difference_implIS3_Lb1ELb0EPjSB_N6thrust23THRUST_200600_302600_NS4plusIjEEEE10hipError_tPvRmT2_T3_mT4_P12ihipStream_tbEUlmE_jEESB_NS0_8identityIvEEEESG_SJ_SK_mSL_SN_bEUlT_E_NS1_11comp_targetILNS1_3genE10ELNS1_11target_archE1200ELNS1_3gpuE4ELNS1_3repE0EEENS1_30default_config_static_selectorELNS0_4arch9wavefront6targetE1EEEvT1_.num_named_barrier, 0
	.set _ZN7rocprim17ROCPRIM_400000_NS6detail17trampoline_kernelINS0_14default_configENS1_25transform_config_selectorIjLb0EEEZNS1_14transform_implILb0ES3_S5_NS0_18transform_iteratorINS0_17counting_iteratorImlEEZNS1_24adjacent_difference_implIS3_Lb1ELb0EPjSB_N6thrust23THRUST_200600_302600_NS4plusIjEEEE10hipError_tPvRmT2_T3_mT4_P12ihipStream_tbEUlmE_jEESB_NS0_8identityIvEEEESG_SJ_SK_mSL_SN_bEUlT_E_NS1_11comp_targetILNS1_3genE10ELNS1_11target_archE1200ELNS1_3gpuE4ELNS1_3repE0EEENS1_30default_config_static_selectorELNS0_4arch9wavefront6targetE1EEEvT1_.private_seg_size, 0
	.set _ZN7rocprim17ROCPRIM_400000_NS6detail17trampoline_kernelINS0_14default_configENS1_25transform_config_selectorIjLb0EEEZNS1_14transform_implILb0ES3_S5_NS0_18transform_iteratorINS0_17counting_iteratorImlEEZNS1_24adjacent_difference_implIS3_Lb1ELb0EPjSB_N6thrust23THRUST_200600_302600_NS4plusIjEEEE10hipError_tPvRmT2_T3_mT4_P12ihipStream_tbEUlmE_jEESB_NS0_8identityIvEEEESG_SJ_SK_mSL_SN_bEUlT_E_NS1_11comp_targetILNS1_3genE10ELNS1_11target_archE1200ELNS1_3gpuE4ELNS1_3repE0EEENS1_30default_config_static_selectorELNS0_4arch9wavefront6targetE1EEEvT1_.uses_vcc, 0
	.set _ZN7rocprim17ROCPRIM_400000_NS6detail17trampoline_kernelINS0_14default_configENS1_25transform_config_selectorIjLb0EEEZNS1_14transform_implILb0ES3_S5_NS0_18transform_iteratorINS0_17counting_iteratorImlEEZNS1_24adjacent_difference_implIS3_Lb1ELb0EPjSB_N6thrust23THRUST_200600_302600_NS4plusIjEEEE10hipError_tPvRmT2_T3_mT4_P12ihipStream_tbEUlmE_jEESB_NS0_8identityIvEEEESG_SJ_SK_mSL_SN_bEUlT_E_NS1_11comp_targetILNS1_3genE10ELNS1_11target_archE1200ELNS1_3gpuE4ELNS1_3repE0EEENS1_30default_config_static_selectorELNS0_4arch9wavefront6targetE1EEEvT1_.uses_flat_scratch, 0
	.set _ZN7rocprim17ROCPRIM_400000_NS6detail17trampoline_kernelINS0_14default_configENS1_25transform_config_selectorIjLb0EEEZNS1_14transform_implILb0ES3_S5_NS0_18transform_iteratorINS0_17counting_iteratorImlEEZNS1_24adjacent_difference_implIS3_Lb1ELb0EPjSB_N6thrust23THRUST_200600_302600_NS4plusIjEEEE10hipError_tPvRmT2_T3_mT4_P12ihipStream_tbEUlmE_jEESB_NS0_8identityIvEEEESG_SJ_SK_mSL_SN_bEUlT_E_NS1_11comp_targetILNS1_3genE10ELNS1_11target_archE1200ELNS1_3gpuE4ELNS1_3repE0EEENS1_30default_config_static_selectorELNS0_4arch9wavefront6targetE1EEEvT1_.has_dyn_sized_stack, 0
	.set _ZN7rocprim17ROCPRIM_400000_NS6detail17trampoline_kernelINS0_14default_configENS1_25transform_config_selectorIjLb0EEEZNS1_14transform_implILb0ES3_S5_NS0_18transform_iteratorINS0_17counting_iteratorImlEEZNS1_24adjacent_difference_implIS3_Lb1ELb0EPjSB_N6thrust23THRUST_200600_302600_NS4plusIjEEEE10hipError_tPvRmT2_T3_mT4_P12ihipStream_tbEUlmE_jEESB_NS0_8identityIvEEEESG_SJ_SK_mSL_SN_bEUlT_E_NS1_11comp_targetILNS1_3genE10ELNS1_11target_archE1200ELNS1_3gpuE4ELNS1_3repE0EEENS1_30default_config_static_selectorELNS0_4arch9wavefront6targetE1EEEvT1_.has_recursion, 0
	.set _ZN7rocprim17ROCPRIM_400000_NS6detail17trampoline_kernelINS0_14default_configENS1_25transform_config_selectorIjLb0EEEZNS1_14transform_implILb0ES3_S5_NS0_18transform_iteratorINS0_17counting_iteratorImlEEZNS1_24adjacent_difference_implIS3_Lb1ELb0EPjSB_N6thrust23THRUST_200600_302600_NS4plusIjEEEE10hipError_tPvRmT2_T3_mT4_P12ihipStream_tbEUlmE_jEESB_NS0_8identityIvEEEESG_SJ_SK_mSL_SN_bEUlT_E_NS1_11comp_targetILNS1_3genE10ELNS1_11target_archE1200ELNS1_3gpuE4ELNS1_3repE0EEENS1_30default_config_static_selectorELNS0_4arch9wavefront6targetE1EEEvT1_.has_indirect_call, 0
	.section	.AMDGPU.csdata,"",@progbits
; Kernel info:
; codeLenInByte = 0
; TotalNumSgprs: 4
; NumVgprs: 0
; ScratchSize: 0
; MemoryBound: 0
; FloatMode: 240
; IeeeMode: 1
; LDSByteSize: 0 bytes/workgroup (compile time only)
; SGPRBlocks: 0
; VGPRBlocks: 0
; NumSGPRsForWavesPerEU: 4
; NumVGPRsForWavesPerEU: 1
; Occupancy: 10
; WaveLimiterHint : 0
; COMPUTE_PGM_RSRC2:SCRATCH_EN: 0
; COMPUTE_PGM_RSRC2:USER_SGPR: 6
; COMPUTE_PGM_RSRC2:TRAP_HANDLER: 0
; COMPUTE_PGM_RSRC2:TGID_X_EN: 1
; COMPUTE_PGM_RSRC2:TGID_Y_EN: 0
; COMPUTE_PGM_RSRC2:TGID_Z_EN: 0
; COMPUTE_PGM_RSRC2:TIDIG_COMP_CNT: 0
	.section	.text._ZN7rocprim17ROCPRIM_400000_NS6detail17trampoline_kernelINS0_14default_configENS1_25transform_config_selectorIjLb0EEEZNS1_14transform_implILb0ES3_S5_NS0_18transform_iteratorINS0_17counting_iteratorImlEEZNS1_24adjacent_difference_implIS3_Lb1ELb0EPjSB_N6thrust23THRUST_200600_302600_NS4plusIjEEEE10hipError_tPvRmT2_T3_mT4_P12ihipStream_tbEUlmE_jEESB_NS0_8identityIvEEEESG_SJ_SK_mSL_SN_bEUlT_E_NS1_11comp_targetILNS1_3genE9ELNS1_11target_archE1100ELNS1_3gpuE3ELNS1_3repE0EEENS1_30default_config_static_selectorELNS0_4arch9wavefront6targetE1EEEvT1_,"axG",@progbits,_ZN7rocprim17ROCPRIM_400000_NS6detail17trampoline_kernelINS0_14default_configENS1_25transform_config_selectorIjLb0EEEZNS1_14transform_implILb0ES3_S5_NS0_18transform_iteratorINS0_17counting_iteratorImlEEZNS1_24adjacent_difference_implIS3_Lb1ELb0EPjSB_N6thrust23THRUST_200600_302600_NS4plusIjEEEE10hipError_tPvRmT2_T3_mT4_P12ihipStream_tbEUlmE_jEESB_NS0_8identityIvEEEESG_SJ_SK_mSL_SN_bEUlT_E_NS1_11comp_targetILNS1_3genE9ELNS1_11target_archE1100ELNS1_3gpuE3ELNS1_3repE0EEENS1_30default_config_static_selectorELNS0_4arch9wavefront6targetE1EEEvT1_,comdat
	.protected	_ZN7rocprim17ROCPRIM_400000_NS6detail17trampoline_kernelINS0_14default_configENS1_25transform_config_selectorIjLb0EEEZNS1_14transform_implILb0ES3_S5_NS0_18transform_iteratorINS0_17counting_iteratorImlEEZNS1_24adjacent_difference_implIS3_Lb1ELb0EPjSB_N6thrust23THRUST_200600_302600_NS4plusIjEEEE10hipError_tPvRmT2_T3_mT4_P12ihipStream_tbEUlmE_jEESB_NS0_8identityIvEEEESG_SJ_SK_mSL_SN_bEUlT_E_NS1_11comp_targetILNS1_3genE9ELNS1_11target_archE1100ELNS1_3gpuE3ELNS1_3repE0EEENS1_30default_config_static_selectorELNS0_4arch9wavefront6targetE1EEEvT1_ ; -- Begin function _ZN7rocprim17ROCPRIM_400000_NS6detail17trampoline_kernelINS0_14default_configENS1_25transform_config_selectorIjLb0EEEZNS1_14transform_implILb0ES3_S5_NS0_18transform_iteratorINS0_17counting_iteratorImlEEZNS1_24adjacent_difference_implIS3_Lb1ELb0EPjSB_N6thrust23THRUST_200600_302600_NS4plusIjEEEE10hipError_tPvRmT2_T3_mT4_P12ihipStream_tbEUlmE_jEESB_NS0_8identityIvEEEESG_SJ_SK_mSL_SN_bEUlT_E_NS1_11comp_targetILNS1_3genE9ELNS1_11target_archE1100ELNS1_3gpuE3ELNS1_3repE0EEENS1_30default_config_static_selectorELNS0_4arch9wavefront6targetE1EEEvT1_
	.globl	_ZN7rocprim17ROCPRIM_400000_NS6detail17trampoline_kernelINS0_14default_configENS1_25transform_config_selectorIjLb0EEEZNS1_14transform_implILb0ES3_S5_NS0_18transform_iteratorINS0_17counting_iteratorImlEEZNS1_24adjacent_difference_implIS3_Lb1ELb0EPjSB_N6thrust23THRUST_200600_302600_NS4plusIjEEEE10hipError_tPvRmT2_T3_mT4_P12ihipStream_tbEUlmE_jEESB_NS0_8identityIvEEEESG_SJ_SK_mSL_SN_bEUlT_E_NS1_11comp_targetILNS1_3genE9ELNS1_11target_archE1100ELNS1_3gpuE3ELNS1_3repE0EEENS1_30default_config_static_selectorELNS0_4arch9wavefront6targetE1EEEvT1_
	.p2align	8
	.type	_ZN7rocprim17ROCPRIM_400000_NS6detail17trampoline_kernelINS0_14default_configENS1_25transform_config_selectorIjLb0EEEZNS1_14transform_implILb0ES3_S5_NS0_18transform_iteratorINS0_17counting_iteratorImlEEZNS1_24adjacent_difference_implIS3_Lb1ELb0EPjSB_N6thrust23THRUST_200600_302600_NS4plusIjEEEE10hipError_tPvRmT2_T3_mT4_P12ihipStream_tbEUlmE_jEESB_NS0_8identityIvEEEESG_SJ_SK_mSL_SN_bEUlT_E_NS1_11comp_targetILNS1_3genE9ELNS1_11target_archE1100ELNS1_3gpuE3ELNS1_3repE0EEENS1_30default_config_static_selectorELNS0_4arch9wavefront6targetE1EEEvT1_,@function
_ZN7rocprim17ROCPRIM_400000_NS6detail17trampoline_kernelINS0_14default_configENS1_25transform_config_selectorIjLb0EEEZNS1_14transform_implILb0ES3_S5_NS0_18transform_iteratorINS0_17counting_iteratorImlEEZNS1_24adjacent_difference_implIS3_Lb1ELb0EPjSB_N6thrust23THRUST_200600_302600_NS4plusIjEEEE10hipError_tPvRmT2_T3_mT4_P12ihipStream_tbEUlmE_jEESB_NS0_8identityIvEEEESG_SJ_SK_mSL_SN_bEUlT_E_NS1_11comp_targetILNS1_3genE9ELNS1_11target_archE1100ELNS1_3gpuE3ELNS1_3repE0EEENS1_30default_config_static_selectorELNS0_4arch9wavefront6targetE1EEEvT1_: ; @_ZN7rocprim17ROCPRIM_400000_NS6detail17trampoline_kernelINS0_14default_configENS1_25transform_config_selectorIjLb0EEEZNS1_14transform_implILb0ES3_S5_NS0_18transform_iteratorINS0_17counting_iteratorImlEEZNS1_24adjacent_difference_implIS3_Lb1ELb0EPjSB_N6thrust23THRUST_200600_302600_NS4plusIjEEEE10hipError_tPvRmT2_T3_mT4_P12ihipStream_tbEUlmE_jEESB_NS0_8identityIvEEEESG_SJ_SK_mSL_SN_bEUlT_E_NS1_11comp_targetILNS1_3genE9ELNS1_11target_archE1100ELNS1_3gpuE3ELNS1_3repE0EEENS1_30default_config_static_selectorELNS0_4arch9wavefront6targetE1EEEvT1_
; %bb.0:
	.section	.rodata,"a",@progbits
	.p2align	6, 0x0
	.amdhsa_kernel _ZN7rocprim17ROCPRIM_400000_NS6detail17trampoline_kernelINS0_14default_configENS1_25transform_config_selectorIjLb0EEEZNS1_14transform_implILb0ES3_S5_NS0_18transform_iteratorINS0_17counting_iteratorImlEEZNS1_24adjacent_difference_implIS3_Lb1ELb0EPjSB_N6thrust23THRUST_200600_302600_NS4plusIjEEEE10hipError_tPvRmT2_T3_mT4_P12ihipStream_tbEUlmE_jEESB_NS0_8identityIvEEEESG_SJ_SK_mSL_SN_bEUlT_E_NS1_11comp_targetILNS1_3genE9ELNS1_11target_archE1100ELNS1_3gpuE3ELNS1_3repE0EEENS1_30default_config_static_selectorELNS0_4arch9wavefront6targetE1EEEvT1_
		.amdhsa_group_segment_fixed_size 0
		.amdhsa_private_segment_fixed_size 0
		.amdhsa_kernarg_size 56
		.amdhsa_user_sgpr_count 6
		.amdhsa_user_sgpr_private_segment_buffer 1
		.amdhsa_user_sgpr_dispatch_ptr 0
		.amdhsa_user_sgpr_queue_ptr 0
		.amdhsa_user_sgpr_kernarg_segment_ptr 1
		.amdhsa_user_sgpr_dispatch_id 0
		.amdhsa_user_sgpr_flat_scratch_init 0
		.amdhsa_user_sgpr_private_segment_size 0
		.amdhsa_uses_dynamic_stack 0
		.amdhsa_system_sgpr_private_segment_wavefront_offset 0
		.amdhsa_system_sgpr_workgroup_id_x 1
		.amdhsa_system_sgpr_workgroup_id_y 0
		.amdhsa_system_sgpr_workgroup_id_z 0
		.amdhsa_system_sgpr_workgroup_info 0
		.amdhsa_system_vgpr_workitem_id 0
		.amdhsa_next_free_vgpr 1
		.amdhsa_next_free_sgpr 0
		.amdhsa_reserve_vcc 0
		.amdhsa_reserve_flat_scratch 0
		.amdhsa_float_round_mode_32 0
		.amdhsa_float_round_mode_16_64 0
		.amdhsa_float_denorm_mode_32 3
		.amdhsa_float_denorm_mode_16_64 3
		.amdhsa_dx10_clamp 1
		.amdhsa_ieee_mode 1
		.amdhsa_fp16_overflow 0
		.amdhsa_exception_fp_ieee_invalid_op 0
		.amdhsa_exception_fp_denorm_src 0
		.amdhsa_exception_fp_ieee_div_zero 0
		.amdhsa_exception_fp_ieee_overflow 0
		.amdhsa_exception_fp_ieee_underflow 0
		.amdhsa_exception_fp_ieee_inexact 0
		.amdhsa_exception_int_div_zero 0
	.end_amdhsa_kernel
	.section	.text._ZN7rocprim17ROCPRIM_400000_NS6detail17trampoline_kernelINS0_14default_configENS1_25transform_config_selectorIjLb0EEEZNS1_14transform_implILb0ES3_S5_NS0_18transform_iteratorINS0_17counting_iteratorImlEEZNS1_24adjacent_difference_implIS3_Lb1ELb0EPjSB_N6thrust23THRUST_200600_302600_NS4plusIjEEEE10hipError_tPvRmT2_T3_mT4_P12ihipStream_tbEUlmE_jEESB_NS0_8identityIvEEEESG_SJ_SK_mSL_SN_bEUlT_E_NS1_11comp_targetILNS1_3genE9ELNS1_11target_archE1100ELNS1_3gpuE3ELNS1_3repE0EEENS1_30default_config_static_selectorELNS0_4arch9wavefront6targetE1EEEvT1_,"axG",@progbits,_ZN7rocprim17ROCPRIM_400000_NS6detail17trampoline_kernelINS0_14default_configENS1_25transform_config_selectorIjLb0EEEZNS1_14transform_implILb0ES3_S5_NS0_18transform_iteratorINS0_17counting_iteratorImlEEZNS1_24adjacent_difference_implIS3_Lb1ELb0EPjSB_N6thrust23THRUST_200600_302600_NS4plusIjEEEE10hipError_tPvRmT2_T3_mT4_P12ihipStream_tbEUlmE_jEESB_NS0_8identityIvEEEESG_SJ_SK_mSL_SN_bEUlT_E_NS1_11comp_targetILNS1_3genE9ELNS1_11target_archE1100ELNS1_3gpuE3ELNS1_3repE0EEENS1_30default_config_static_selectorELNS0_4arch9wavefront6targetE1EEEvT1_,comdat
.Lfunc_end195:
	.size	_ZN7rocprim17ROCPRIM_400000_NS6detail17trampoline_kernelINS0_14default_configENS1_25transform_config_selectorIjLb0EEEZNS1_14transform_implILb0ES3_S5_NS0_18transform_iteratorINS0_17counting_iteratorImlEEZNS1_24adjacent_difference_implIS3_Lb1ELb0EPjSB_N6thrust23THRUST_200600_302600_NS4plusIjEEEE10hipError_tPvRmT2_T3_mT4_P12ihipStream_tbEUlmE_jEESB_NS0_8identityIvEEEESG_SJ_SK_mSL_SN_bEUlT_E_NS1_11comp_targetILNS1_3genE9ELNS1_11target_archE1100ELNS1_3gpuE3ELNS1_3repE0EEENS1_30default_config_static_selectorELNS0_4arch9wavefront6targetE1EEEvT1_, .Lfunc_end195-_ZN7rocprim17ROCPRIM_400000_NS6detail17trampoline_kernelINS0_14default_configENS1_25transform_config_selectorIjLb0EEEZNS1_14transform_implILb0ES3_S5_NS0_18transform_iteratorINS0_17counting_iteratorImlEEZNS1_24adjacent_difference_implIS3_Lb1ELb0EPjSB_N6thrust23THRUST_200600_302600_NS4plusIjEEEE10hipError_tPvRmT2_T3_mT4_P12ihipStream_tbEUlmE_jEESB_NS0_8identityIvEEEESG_SJ_SK_mSL_SN_bEUlT_E_NS1_11comp_targetILNS1_3genE9ELNS1_11target_archE1100ELNS1_3gpuE3ELNS1_3repE0EEENS1_30default_config_static_selectorELNS0_4arch9wavefront6targetE1EEEvT1_
                                        ; -- End function
	.set _ZN7rocprim17ROCPRIM_400000_NS6detail17trampoline_kernelINS0_14default_configENS1_25transform_config_selectorIjLb0EEEZNS1_14transform_implILb0ES3_S5_NS0_18transform_iteratorINS0_17counting_iteratorImlEEZNS1_24adjacent_difference_implIS3_Lb1ELb0EPjSB_N6thrust23THRUST_200600_302600_NS4plusIjEEEE10hipError_tPvRmT2_T3_mT4_P12ihipStream_tbEUlmE_jEESB_NS0_8identityIvEEEESG_SJ_SK_mSL_SN_bEUlT_E_NS1_11comp_targetILNS1_3genE9ELNS1_11target_archE1100ELNS1_3gpuE3ELNS1_3repE0EEENS1_30default_config_static_selectorELNS0_4arch9wavefront6targetE1EEEvT1_.num_vgpr, 0
	.set _ZN7rocprim17ROCPRIM_400000_NS6detail17trampoline_kernelINS0_14default_configENS1_25transform_config_selectorIjLb0EEEZNS1_14transform_implILb0ES3_S5_NS0_18transform_iteratorINS0_17counting_iteratorImlEEZNS1_24adjacent_difference_implIS3_Lb1ELb0EPjSB_N6thrust23THRUST_200600_302600_NS4plusIjEEEE10hipError_tPvRmT2_T3_mT4_P12ihipStream_tbEUlmE_jEESB_NS0_8identityIvEEEESG_SJ_SK_mSL_SN_bEUlT_E_NS1_11comp_targetILNS1_3genE9ELNS1_11target_archE1100ELNS1_3gpuE3ELNS1_3repE0EEENS1_30default_config_static_selectorELNS0_4arch9wavefront6targetE1EEEvT1_.num_agpr, 0
	.set _ZN7rocprim17ROCPRIM_400000_NS6detail17trampoline_kernelINS0_14default_configENS1_25transform_config_selectorIjLb0EEEZNS1_14transform_implILb0ES3_S5_NS0_18transform_iteratorINS0_17counting_iteratorImlEEZNS1_24adjacent_difference_implIS3_Lb1ELb0EPjSB_N6thrust23THRUST_200600_302600_NS4plusIjEEEE10hipError_tPvRmT2_T3_mT4_P12ihipStream_tbEUlmE_jEESB_NS0_8identityIvEEEESG_SJ_SK_mSL_SN_bEUlT_E_NS1_11comp_targetILNS1_3genE9ELNS1_11target_archE1100ELNS1_3gpuE3ELNS1_3repE0EEENS1_30default_config_static_selectorELNS0_4arch9wavefront6targetE1EEEvT1_.numbered_sgpr, 0
	.set _ZN7rocprim17ROCPRIM_400000_NS6detail17trampoline_kernelINS0_14default_configENS1_25transform_config_selectorIjLb0EEEZNS1_14transform_implILb0ES3_S5_NS0_18transform_iteratorINS0_17counting_iteratorImlEEZNS1_24adjacent_difference_implIS3_Lb1ELb0EPjSB_N6thrust23THRUST_200600_302600_NS4plusIjEEEE10hipError_tPvRmT2_T3_mT4_P12ihipStream_tbEUlmE_jEESB_NS0_8identityIvEEEESG_SJ_SK_mSL_SN_bEUlT_E_NS1_11comp_targetILNS1_3genE9ELNS1_11target_archE1100ELNS1_3gpuE3ELNS1_3repE0EEENS1_30default_config_static_selectorELNS0_4arch9wavefront6targetE1EEEvT1_.num_named_barrier, 0
	.set _ZN7rocprim17ROCPRIM_400000_NS6detail17trampoline_kernelINS0_14default_configENS1_25transform_config_selectorIjLb0EEEZNS1_14transform_implILb0ES3_S5_NS0_18transform_iteratorINS0_17counting_iteratorImlEEZNS1_24adjacent_difference_implIS3_Lb1ELb0EPjSB_N6thrust23THRUST_200600_302600_NS4plusIjEEEE10hipError_tPvRmT2_T3_mT4_P12ihipStream_tbEUlmE_jEESB_NS0_8identityIvEEEESG_SJ_SK_mSL_SN_bEUlT_E_NS1_11comp_targetILNS1_3genE9ELNS1_11target_archE1100ELNS1_3gpuE3ELNS1_3repE0EEENS1_30default_config_static_selectorELNS0_4arch9wavefront6targetE1EEEvT1_.private_seg_size, 0
	.set _ZN7rocprim17ROCPRIM_400000_NS6detail17trampoline_kernelINS0_14default_configENS1_25transform_config_selectorIjLb0EEEZNS1_14transform_implILb0ES3_S5_NS0_18transform_iteratorINS0_17counting_iteratorImlEEZNS1_24adjacent_difference_implIS3_Lb1ELb0EPjSB_N6thrust23THRUST_200600_302600_NS4plusIjEEEE10hipError_tPvRmT2_T3_mT4_P12ihipStream_tbEUlmE_jEESB_NS0_8identityIvEEEESG_SJ_SK_mSL_SN_bEUlT_E_NS1_11comp_targetILNS1_3genE9ELNS1_11target_archE1100ELNS1_3gpuE3ELNS1_3repE0EEENS1_30default_config_static_selectorELNS0_4arch9wavefront6targetE1EEEvT1_.uses_vcc, 0
	.set _ZN7rocprim17ROCPRIM_400000_NS6detail17trampoline_kernelINS0_14default_configENS1_25transform_config_selectorIjLb0EEEZNS1_14transform_implILb0ES3_S5_NS0_18transform_iteratorINS0_17counting_iteratorImlEEZNS1_24adjacent_difference_implIS3_Lb1ELb0EPjSB_N6thrust23THRUST_200600_302600_NS4plusIjEEEE10hipError_tPvRmT2_T3_mT4_P12ihipStream_tbEUlmE_jEESB_NS0_8identityIvEEEESG_SJ_SK_mSL_SN_bEUlT_E_NS1_11comp_targetILNS1_3genE9ELNS1_11target_archE1100ELNS1_3gpuE3ELNS1_3repE0EEENS1_30default_config_static_selectorELNS0_4arch9wavefront6targetE1EEEvT1_.uses_flat_scratch, 0
	.set _ZN7rocprim17ROCPRIM_400000_NS6detail17trampoline_kernelINS0_14default_configENS1_25transform_config_selectorIjLb0EEEZNS1_14transform_implILb0ES3_S5_NS0_18transform_iteratorINS0_17counting_iteratorImlEEZNS1_24adjacent_difference_implIS3_Lb1ELb0EPjSB_N6thrust23THRUST_200600_302600_NS4plusIjEEEE10hipError_tPvRmT2_T3_mT4_P12ihipStream_tbEUlmE_jEESB_NS0_8identityIvEEEESG_SJ_SK_mSL_SN_bEUlT_E_NS1_11comp_targetILNS1_3genE9ELNS1_11target_archE1100ELNS1_3gpuE3ELNS1_3repE0EEENS1_30default_config_static_selectorELNS0_4arch9wavefront6targetE1EEEvT1_.has_dyn_sized_stack, 0
	.set _ZN7rocprim17ROCPRIM_400000_NS6detail17trampoline_kernelINS0_14default_configENS1_25transform_config_selectorIjLb0EEEZNS1_14transform_implILb0ES3_S5_NS0_18transform_iteratorINS0_17counting_iteratorImlEEZNS1_24adjacent_difference_implIS3_Lb1ELb0EPjSB_N6thrust23THRUST_200600_302600_NS4plusIjEEEE10hipError_tPvRmT2_T3_mT4_P12ihipStream_tbEUlmE_jEESB_NS0_8identityIvEEEESG_SJ_SK_mSL_SN_bEUlT_E_NS1_11comp_targetILNS1_3genE9ELNS1_11target_archE1100ELNS1_3gpuE3ELNS1_3repE0EEENS1_30default_config_static_selectorELNS0_4arch9wavefront6targetE1EEEvT1_.has_recursion, 0
	.set _ZN7rocprim17ROCPRIM_400000_NS6detail17trampoline_kernelINS0_14default_configENS1_25transform_config_selectorIjLb0EEEZNS1_14transform_implILb0ES3_S5_NS0_18transform_iteratorINS0_17counting_iteratorImlEEZNS1_24adjacent_difference_implIS3_Lb1ELb0EPjSB_N6thrust23THRUST_200600_302600_NS4plusIjEEEE10hipError_tPvRmT2_T3_mT4_P12ihipStream_tbEUlmE_jEESB_NS0_8identityIvEEEESG_SJ_SK_mSL_SN_bEUlT_E_NS1_11comp_targetILNS1_3genE9ELNS1_11target_archE1100ELNS1_3gpuE3ELNS1_3repE0EEENS1_30default_config_static_selectorELNS0_4arch9wavefront6targetE1EEEvT1_.has_indirect_call, 0
	.section	.AMDGPU.csdata,"",@progbits
; Kernel info:
; codeLenInByte = 0
; TotalNumSgprs: 4
; NumVgprs: 0
; ScratchSize: 0
; MemoryBound: 0
; FloatMode: 240
; IeeeMode: 1
; LDSByteSize: 0 bytes/workgroup (compile time only)
; SGPRBlocks: 0
; VGPRBlocks: 0
; NumSGPRsForWavesPerEU: 4
; NumVGPRsForWavesPerEU: 1
; Occupancy: 10
; WaveLimiterHint : 0
; COMPUTE_PGM_RSRC2:SCRATCH_EN: 0
; COMPUTE_PGM_RSRC2:USER_SGPR: 6
; COMPUTE_PGM_RSRC2:TRAP_HANDLER: 0
; COMPUTE_PGM_RSRC2:TGID_X_EN: 1
; COMPUTE_PGM_RSRC2:TGID_Y_EN: 0
; COMPUTE_PGM_RSRC2:TGID_Z_EN: 0
; COMPUTE_PGM_RSRC2:TIDIG_COMP_CNT: 0
	.section	.text._ZN7rocprim17ROCPRIM_400000_NS6detail17trampoline_kernelINS0_14default_configENS1_25transform_config_selectorIjLb0EEEZNS1_14transform_implILb0ES3_S5_NS0_18transform_iteratorINS0_17counting_iteratorImlEEZNS1_24adjacent_difference_implIS3_Lb1ELb0EPjSB_N6thrust23THRUST_200600_302600_NS4plusIjEEEE10hipError_tPvRmT2_T3_mT4_P12ihipStream_tbEUlmE_jEESB_NS0_8identityIvEEEESG_SJ_SK_mSL_SN_bEUlT_E_NS1_11comp_targetILNS1_3genE8ELNS1_11target_archE1030ELNS1_3gpuE2ELNS1_3repE0EEENS1_30default_config_static_selectorELNS0_4arch9wavefront6targetE1EEEvT1_,"axG",@progbits,_ZN7rocprim17ROCPRIM_400000_NS6detail17trampoline_kernelINS0_14default_configENS1_25transform_config_selectorIjLb0EEEZNS1_14transform_implILb0ES3_S5_NS0_18transform_iteratorINS0_17counting_iteratorImlEEZNS1_24adjacent_difference_implIS3_Lb1ELb0EPjSB_N6thrust23THRUST_200600_302600_NS4plusIjEEEE10hipError_tPvRmT2_T3_mT4_P12ihipStream_tbEUlmE_jEESB_NS0_8identityIvEEEESG_SJ_SK_mSL_SN_bEUlT_E_NS1_11comp_targetILNS1_3genE8ELNS1_11target_archE1030ELNS1_3gpuE2ELNS1_3repE0EEENS1_30default_config_static_selectorELNS0_4arch9wavefront6targetE1EEEvT1_,comdat
	.protected	_ZN7rocprim17ROCPRIM_400000_NS6detail17trampoline_kernelINS0_14default_configENS1_25transform_config_selectorIjLb0EEEZNS1_14transform_implILb0ES3_S5_NS0_18transform_iteratorINS0_17counting_iteratorImlEEZNS1_24adjacent_difference_implIS3_Lb1ELb0EPjSB_N6thrust23THRUST_200600_302600_NS4plusIjEEEE10hipError_tPvRmT2_T3_mT4_P12ihipStream_tbEUlmE_jEESB_NS0_8identityIvEEEESG_SJ_SK_mSL_SN_bEUlT_E_NS1_11comp_targetILNS1_3genE8ELNS1_11target_archE1030ELNS1_3gpuE2ELNS1_3repE0EEENS1_30default_config_static_selectorELNS0_4arch9wavefront6targetE1EEEvT1_ ; -- Begin function _ZN7rocprim17ROCPRIM_400000_NS6detail17trampoline_kernelINS0_14default_configENS1_25transform_config_selectorIjLb0EEEZNS1_14transform_implILb0ES3_S5_NS0_18transform_iteratorINS0_17counting_iteratorImlEEZNS1_24adjacent_difference_implIS3_Lb1ELb0EPjSB_N6thrust23THRUST_200600_302600_NS4plusIjEEEE10hipError_tPvRmT2_T3_mT4_P12ihipStream_tbEUlmE_jEESB_NS0_8identityIvEEEESG_SJ_SK_mSL_SN_bEUlT_E_NS1_11comp_targetILNS1_3genE8ELNS1_11target_archE1030ELNS1_3gpuE2ELNS1_3repE0EEENS1_30default_config_static_selectorELNS0_4arch9wavefront6targetE1EEEvT1_
	.globl	_ZN7rocprim17ROCPRIM_400000_NS6detail17trampoline_kernelINS0_14default_configENS1_25transform_config_selectorIjLb0EEEZNS1_14transform_implILb0ES3_S5_NS0_18transform_iteratorINS0_17counting_iteratorImlEEZNS1_24adjacent_difference_implIS3_Lb1ELb0EPjSB_N6thrust23THRUST_200600_302600_NS4plusIjEEEE10hipError_tPvRmT2_T3_mT4_P12ihipStream_tbEUlmE_jEESB_NS0_8identityIvEEEESG_SJ_SK_mSL_SN_bEUlT_E_NS1_11comp_targetILNS1_3genE8ELNS1_11target_archE1030ELNS1_3gpuE2ELNS1_3repE0EEENS1_30default_config_static_selectorELNS0_4arch9wavefront6targetE1EEEvT1_
	.p2align	8
	.type	_ZN7rocprim17ROCPRIM_400000_NS6detail17trampoline_kernelINS0_14default_configENS1_25transform_config_selectorIjLb0EEEZNS1_14transform_implILb0ES3_S5_NS0_18transform_iteratorINS0_17counting_iteratorImlEEZNS1_24adjacent_difference_implIS3_Lb1ELb0EPjSB_N6thrust23THRUST_200600_302600_NS4plusIjEEEE10hipError_tPvRmT2_T3_mT4_P12ihipStream_tbEUlmE_jEESB_NS0_8identityIvEEEESG_SJ_SK_mSL_SN_bEUlT_E_NS1_11comp_targetILNS1_3genE8ELNS1_11target_archE1030ELNS1_3gpuE2ELNS1_3repE0EEENS1_30default_config_static_selectorELNS0_4arch9wavefront6targetE1EEEvT1_,@function
_ZN7rocprim17ROCPRIM_400000_NS6detail17trampoline_kernelINS0_14default_configENS1_25transform_config_selectorIjLb0EEEZNS1_14transform_implILb0ES3_S5_NS0_18transform_iteratorINS0_17counting_iteratorImlEEZNS1_24adjacent_difference_implIS3_Lb1ELb0EPjSB_N6thrust23THRUST_200600_302600_NS4plusIjEEEE10hipError_tPvRmT2_T3_mT4_P12ihipStream_tbEUlmE_jEESB_NS0_8identityIvEEEESG_SJ_SK_mSL_SN_bEUlT_E_NS1_11comp_targetILNS1_3genE8ELNS1_11target_archE1030ELNS1_3gpuE2ELNS1_3repE0EEENS1_30default_config_static_selectorELNS0_4arch9wavefront6targetE1EEEvT1_: ; @_ZN7rocprim17ROCPRIM_400000_NS6detail17trampoline_kernelINS0_14default_configENS1_25transform_config_selectorIjLb0EEEZNS1_14transform_implILb0ES3_S5_NS0_18transform_iteratorINS0_17counting_iteratorImlEEZNS1_24adjacent_difference_implIS3_Lb1ELb0EPjSB_N6thrust23THRUST_200600_302600_NS4plusIjEEEE10hipError_tPvRmT2_T3_mT4_P12ihipStream_tbEUlmE_jEESB_NS0_8identityIvEEEESG_SJ_SK_mSL_SN_bEUlT_E_NS1_11comp_targetILNS1_3genE8ELNS1_11target_archE1030ELNS1_3gpuE2ELNS1_3repE0EEENS1_30default_config_static_selectorELNS0_4arch9wavefront6targetE1EEEvT1_
; %bb.0:
	.section	.rodata,"a",@progbits
	.p2align	6, 0x0
	.amdhsa_kernel _ZN7rocprim17ROCPRIM_400000_NS6detail17trampoline_kernelINS0_14default_configENS1_25transform_config_selectorIjLb0EEEZNS1_14transform_implILb0ES3_S5_NS0_18transform_iteratorINS0_17counting_iteratorImlEEZNS1_24adjacent_difference_implIS3_Lb1ELb0EPjSB_N6thrust23THRUST_200600_302600_NS4plusIjEEEE10hipError_tPvRmT2_T3_mT4_P12ihipStream_tbEUlmE_jEESB_NS0_8identityIvEEEESG_SJ_SK_mSL_SN_bEUlT_E_NS1_11comp_targetILNS1_3genE8ELNS1_11target_archE1030ELNS1_3gpuE2ELNS1_3repE0EEENS1_30default_config_static_selectorELNS0_4arch9wavefront6targetE1EEEvT1_
		.amdhsa_group_segment_fixed_size 0
		.amdhsa_private_segment_fixed_size 0
		.amdhsa_kernarg_size 56
		.amdhsa_user_sgpr_count 6
		.amdhsa_user_sgpr_private_segment_buffer 1
		.amdhsa_user_sgpr_dispatch_ptr 0
		.amdhsa_user_sgpr_queue_ptr 0
		.amdhsa_user_sgpr_kernarg_segment_ptr 1
		.amdhsa_user_sgpr_dispatch_id 0
		.amdhsa_user_sgpr_flat_scratch_init 0
		.amdhsa_user_sgpr_private_segment_size 0
		.amdhsa_uses_dynamic_stack 0
		.amdhsa_system_sgpr_private_segment_wavefront_offset 0
		.amdhsa_system_sgpr_workgroup_id_x 1
		.amdhsa_system_sgpr_workgroup_id_y 0
		.amdhsa_system_sgpr_workgroup_id_z 0
		.amdhsa_system_sgpr_workgroup_info 0
		.amdhsa_system_vgpr_workitem_id 0
		.amdhsa_next_free_vgpr 1
		.amdhsa_next_free_sgpr 0
		.amdhsa_reserve_vcc 0
		.amdhsa_reserve_flat_scratch 0
		.amdhsa_float_round_mode_32 0
		.amdhsa_float_round_mode_16_64 0
		.amdhsa_float_denorm_mode_32 3
		.amdhsa_float_denorm_mode_16_64 3
		.amdhsa_dx10_clamp 1
		.amdhsa_ieee_mode 1
		.amdhsa_fp16_overflow 0
		.amdhsa_exception_fp_ieee_invalid_op 0
		.amdhsa_exception_fp_denorm_src 0
		.amdhsa_exception_fp_ieee_div_zero 0
		.amdhsa_exception_fp_ieee_overflow 0
		.amdhsa_exception_fp_ieee_underflow 0
		.amdhsa_exception_fp_ieee_inexact 0
		.amdhsa_exception_int_div_zero 0
	.end_amdhsa_kernel
	.section	.text._ZN7rocprim17ROCPRIM_400000_NS6detail17trampoline_kernelINS0_14default_configENS1_25transform_config_selectorIjLb0EEEZNS1_14transform_implILb0ES3_S5_NS0_18transform_iteratorINS0_17counting_iteratorImlEEZNS1_24adjacent_difference_implIS3_Lb1ELb0EPjSB_N6thrust23THRUST_200600_302600_NS4plusIjEEEE10hipError_tPvRmT2_T3_mT4_P12ihipStream_tbEUlmE_jEESB_NS0_8identityIvEEEESG_SJ_SK_mSL_SN_bEUlT_E_NS1_11comp_targetILNS1_3genE8ELNS1_11target_archE1030ELNS1_3gpuE2ELNS1_3repE0EEENS1_30default_config_static_selectorELNS0_4arch9wavefront6targetE1EEEvT1_,"axG",@progbits,_ZN7rocprim17ROCPRIM_400000_NS6detail17trampoline_kernelINS0_14default_configENS1_25transform_config_selectorIjLb0EEEZNS1_14transform_implILb0ES3_S5_NS0_18transform_iteratorINS0_17counting_iteratorImlEEZNS1_24adjacent_difference_implIS3_Lb1ELb0EPjSB_N6thrust23THRUST_200600_302600_NS4plusIjEEEE10hipError_tPvRmT2_T3_mT4_P12ihipStream_tbEUlmE_jEESB_NS0_8identityIvEEEESG_SJ_SK_mSL_SN_bEUlT_E_NS1_11comp_targetILNS1_3genE8ELNS1_11target_archE1030ELNS1_3gpuE2ELNS1_3repE0EEENS1_30default_config_static_selectorELNS0_4arch9wavefront6targetE1EEEvT1_,comdat
.Lfunc_end196:
	.size	_ZN7rocprim17ROCPRIM_400000_NS6detail17trampoline_kernelINS0_14default_configENS1_25transform_config_selectorIjLb0EEEZNS1_14transform_implILb0ES3_S5_NS0_18transform_iteratorINS0_17counting_iteratorImlEEZNS1_24adjacent_difference_implIS3_Lb1ELb0EPjSB_N6thrust23THRUST_200600_302600_NS4plusIjEEEE10hipError_tPvRmT2_T3_mT4_P12ihipStream_tbEUlmE_jEESB_NS0_8identityIvEEEESG_SJ_SK_mSL_SN_bEUlT_E_NS1_11comp_targetILNS1_3genE8ELNS1_11target_archE1030ELNS1_3gpuE2ELNS1_3repE0EEENS1_30default_config_static_selectorELNS0_4arch9wavefront6targetE1EEEvT1_, .Lfunc_end196-_ZN7rocprim17ROCPRIM_400000_NS6detail17trampoline_kernelINS0_14default_configENS1_25transform_config_selectorIjLb0EEEZNS1_14transform_implILb0ES3_S5_NS0_18transform_iteratorINS0_17counting_iteratorImlEEZNS1_24adjacent_difference_implIS3_Lb1ELb0EPjSB_N6thrust23THRUST_200600_302600_NS4plusIjEEEE10hipError_tPvRmT2_T3_mT4_P12ihipStream_tbEUlmE_jEESB_NS0_8identityIvEEEESG_SJ_SK_mSL_SN_bEUlT_E_NS1_11comp_targetILNS1_3genE8ELNS1_11target_archE1030ELNS1_3gpuE2ELNS1_3repE0EEENS1_30default_config_static_selectorELNS0_4arch9wavefront6targetE1EEEvT1_
                                        ; -- End function
	.set _ZN7rocprim17ROCPRIM_400000_NS6detail17trampoline_kernelINS0_14default_configENS1_25transform_config_selectorIjLb0EEEZNS1_14transform_implILb0ES3_S5_NS0_18transform_iteratorINS0_17counting_iteratorImlEEZNS1_24adjacent_difference_implIS3_Lb1ELb0EPjSB_N6thrust23THRUST_200600_302600_NS4plusIjEEEE10hipError_tPvRmT2_T3_mT4_P12ihipStream_tbEUlmE_jEESB_NS0_8identityIvEEEESG_SJ_SK_mSL_SN_bEUlT_E_NS1_11comp_targetILNS1_3genE8ELNS1_11target_archE1030ELNS1_3gpuE2ELNS1_3repE0EEENS1_30default_config_static_selectorELNS0_4arch9wavefront6targetE1EEEvT1_.num_vgpr, 0
	.set _ZN7rocprim17ROCPRIM_400000_NS6detail17trampoline_kernelINS0_14default_configENS1_25transform_config_selectorIjLb0EEEZNS1_14transform_implILb0ES3_S5_NS0_18transform_iteratorINS0_17counting_iteratorImlEEZNS1_24adjacent_difference_implIS3_Lb1ELb0EPjSB_N6thrust23THRUST_200600_302600_NS4plusIjEEEE10hipError_tPvRmT2_T3_mT4_P12ihipStream_tbEUlmE_jEESB_NS0_8identityIvEEEESG_SJ_SK_mSL_SN_bEUlT_E_NS1_11comp_targetILNS1_3genE8ELNS1_11target_archE1030ELNS1_3gpuE2ELNS1_3repE0EEENS1_30default_config_static_selectorELNS0_4arch9wavefront6targetE1EEEvT1_.num_agpr, 0
	.set _ZN7rocprim17ROCPRIM_400000_NS6detail17trampoline_kernelINS0_14default_configENS1_25transform_config_selectorIjLb0EEEZNS1_14transform_implILb0ES3_S5_NS0_18transform_iteratorINS0_17counting_iteratorImlEEZNS1_24adjacent_difference_implIS3_Lb1ELb0EPjSB_N6thrust23THRUST_200600_302600_NS4plusIjEEEE10hipError_tPvRmT2_T3_mT4_P12ihipStream_tbEUlmE_jEESB_NS0_8identityIvEEEESG_SJ_SK_mSL_SN_bEUlT_E_NS1_11comp_targetILNS1_3genE8ELNS1_11target_archE1030ELNS1_3gpuE2ELNS1_3repE0EEENS1_30default_config_static_selectorELNS0_4arch9wavefront6targetE1EEEvT1_.numbered_sgpr, 0
	.set _ZN7rocprim17ROCPRIM_400000_NS6detail17trampoline_kernelINS0_14default_configENS1_25transform_config_selectorIjLb0EEEZNS1_14transform_implILb0ES3_S5_NS0_18transform_iteratorINS0_17counting_iteratorImlEEZNS1_24adjacent_difference_implIS3_Lb1ELb0EPjSB_N6thrust23THRUST_200600_302600_NS4plusIjEEEE10hipError_tPvRmT2_T3_mT4_P12ihipStream_tbEUlmE_jEESB_NS0_8identityIvEEEESG_SJ_SK_mSL_SN_bEUlT_E_NS1_11comp_targetILNS1_3genE8ELNS1_11target_archE1030ELNS1_3gpuE2ELNS1_3repE0EEENS1_30default_config_static_selectorELNS0_4arch9wavefront6targetE1EEEvT1_.num_named_barrier, 0
	.set _ZN7rocprim17ROCPRIM_400000_NS6detail17trampoline_kernelINS0_14default_configENS1_25transform_config_selectorIjLb0EEEZNS1_14transform_implILb0ES3_S5_NS0_18transform_iteratorINS0_17counting_iteratorImlEEZNS1_24adjacent_difference_implIS3_Lb1ELb0EPjSB_N6thrust23THRUST_200600_302600_NS4plusIjEEEE10hipError_tPvRmT2_T3_mT4_P12ihipStream_tbEUlmE_jEESB_NS0_8identityIvEEEESG_SJ_SK_mSL_SN_bEUlT_E_NS1_11comp_targetILNS1_3genE8ELNS1_11target_archE1030ELNS1_3gpuE2ELNS1_3repE0EEENS1_30default_config_static_selectorELNS0_4arch9wavefront6targetE1EEEvT1_.private_seg_size, 0
	.set _ZN7rocprim17ROCPRIM_400000_NS6detail17trampoline_kernelINS0_14default_configENS1_25transform_config_selectorIjLb0EEEZNS1_14transform_implILb0ES3_S5_NS0_18transform_iteratorINS0_17counting_iteratorImlEEZNS1_24adjacent_difference_implIS3_Lb1ELb0EPjSB_N6thrust23THRUST_200600_302600_NS4plusIjEEEE10hipError_tPvRmT2_T3_mT4_P12ihipStream_tbEUlmE_jEESB_NS0_8identityIvEEEESG_SJ_SK_mSL_SN_bEUlT_E_NS1_11comp_targetILNS1_3genE8ELNS1_11target_archE1030ELNS1_3gpuE2ELNS1_3repE0EEENS1_30default_config_static_selectorELNS0_4arch9wavefront6targetE1EEEvT1_.uses_vcc, 0
	.set _ZN7rocprim17ROCPRIM_400000_NS6detail17trampoline_kernelINS0_14default_configENS1_25transform_config_selectorIjLb0EEEZNS1_14transform_implILb0ES3_S5_NS0_18transform_iteratorINS0_17counting_iteratorImlEEZNS1_24adjacent_difference_implIS3_Lb1ELb0EPjSB_N6thrust23THRUST_200600_302600_NS4plusIjEEEE10hipError_tPvRmT2_T3_mT4_P12ihipStream_tbEUlmE_jEESB_NS0_8identityIvEEEESG_SJ_SK_mSL_SN_bEUlT_E_NS1_11comp_targetILNS1_3genE8ELNS1_11target_archE1030ELNS1_3gpuE2ELNS1_3repE0EEENS1_30default_config_static_selectorELNS0_4arch9wavefront6targetE1EEEvT1_.uses_flat_scratch, 0
	.set _ZN7rocprim17ROCPRIM_400000_NS6detail17trampoline_kernelINS0_14default_configENS1_25transform_config_selectorIjLb0EEEZNS1_14transform_implILb0ES3_S5_NS0_18transform_iteratorINS0_17counting_iteratorImlEEZNS1_24adjacent_difference_implIS3_Lb1ELb0EPjSB_N6thrust23THRUST_200600_302600_NS4plusIjEEEE10hipError_tPvRmT2_T3_mT4_P12ihipStream_tbEUlmE_jEESB_NS0_8identityIvEEEESG_SJ_SK_mSL_SN_bEUlT_E_NS1_11comp_targetILNS1_3genE8ELNS1_11target_archE1030ELNS1_3gpuE2ELNS1_3repE0EEENS1_30default_config_static_selectorELNS0_4arch9wavefront6targetE1EEEvT1_.has_dyn_sized_stack, 0
	.set _ZN7rocprim17ROCPRIM_400000_NS6detail17trampoline_kernelINS0_14default_configENS1_25transform_config_selectorIjLb0EEEZNS1_14transform_implILb0ES3_S5_NS0_18transform_iteratorINS0_17counting_iteratorImlEEZNS1_24adjacent_difference_implIS3_Lb1ELb0EPjSB_N6thrust23THRUST_200600_302600_NS4plusIjEEEE10hipError_tPvRmT2_T3_mT4_P12ihipStream_tbEUlmE_jEESB_NS0_8identityIvEEEESG_SJ_SK_mSL_SN_bEUlT_E_NS1_11comp_targetILNS1_3genE8ELNS1_11target_archE1030ELNS1_3gpuE2ELNS1_3repE0EEENS1_30default_config_static_selectorELNS0_4arch9wavefront6targetE1EEEvT1_.has_recursion, 0
	.set _ZN7rocprim17ROCPRIM_400000_NS6detail17trampoline_kernelINS0_14default_configENS1_25transform_config_selectorIjLb0EEEZNS1_14transform_implILb0ES3_S5_NS0_18transform_iteratorINS0_17counting_iteratorImlEEZNS1_24adjacent_difference_implIS3_Lb1ELb0EPjSB_N6thrust23THRUST_200600_302600_NS4plusIjEEEE10hipError_tPvRmT2_T3_mT4_P12ihipStream_tbEUlmE_jEESB_NS0_8identityIvEEEESG_SJ_SK_mSL_SN_bEUlT_E_NS1_11comp_targetILNS1_3genE8ELNS1_11target_archE1030ELNS1_3gpuE2ELNS1_3repE0EEENS1_30default_config_static_selectorELNS0_4arch9wavefront6targetE1EEEvT1_.has_indirect_call, 0
	.section	.AMDGPU.csdata,"",@progbits
; Kernel info:
; codeLenInByte = 0
; TotalNumSgprs: 4
; NumVgprs: 0
; ScratchSize: 0
; MemoryBound: 0
; FloatMode: 240
; IeeeMode: 1
; LDSByteSize: 0 bytes/workgroup (compile time only)
; SGPRBlocks: 0
; VGPRBlocks: 0
; NumSGPRsForWavesPerEU: 4
; NumVGPRsForWavesPerEU: 1
; Occupancy: 10
; WaveLimiterHint : 0
; COMPUTE_PGM_RSRC2:SCRATCH_EN: 0
; COMPUTE_PGM_RSRC2:USER_SGPR: 6
; COMPUTE_PGM_RSRC2:TRAP_HANDLER: 0
; COMPUTE_PGM_RSRC2:TGID_X_EN: 1
; COMPUTE_PGM_RSRC2:TGID_Y_EN: 0
; COMPUTE_PGM_RSRC2:TGID_Z_EN: 0
; COMPUTE_PGM_RSRC2:TIDIG_COMP_CNT: 0
	.section	.text._ZN7rocprim17ROCPRIM_400000_NS6detail17trampoline_kernelINS0_14default_configENS1_35adjacent_difference_config_selectorILb1EjEEZNS1_24adjacent_difference_implIS3_Lb1ELb0EPjS7_N6thrust23THRUST_200600_302600_NS4plusIjEEEE10hipError_tPvRmT2_T3_mT4_P12ihipStream_tbEUlT_E_NS1_11comp_targetILNS1_3genE0ELNS1_11target_archE4294967295ELNS1_3gpuE0ELNS1_3repE0EEENS1_30default_config_static_selectorELNS0_4arch9wavefront6targetE1EEEvT1_,"axG",@progbits,_ZN7rocprim17ROCPRIM_400000_NS6detail17trampoline_kernelINS0_14default_configENS1_35adjacent_difference_config_selectorILb1EjEEZNS1_24adjacent_difference_implIS3_Lb1ELb0EPjS7_N6thrust23THRUST_200600_302600_NS4plusIjEEEE10hipError_tPvRmT2_T3_mT4_P12ihipStream_tbEUlT_E_NS1_11comp_targetILNS1_3genE0ELNS1_11target_archE4294967295ELNS1_3gpuE0ELNS1_3repE0EEENS1_30default_config_static_selectorELNS0_4arch9wavefront6targetE1EEEvT1_,comdat
	.protected	_ZN7rocprim17ROCPRIM_400000_NS6detail17trampoline_kernelINS0_14default_configENS1_35adjacent_difference_config_selectorILb1EjEEZNS1_24adjacent_difference_implIS3_Lb1ELb0EPjS7_N6thrust23THRUST_200600_302600_NS4plusIjEEEE10hipError_tPvRmT2_T3_mT4_P12ihipStream_tbEUlT_E_NS1_11comp_targetILNS1_3genE0ELNS1_11target_archE4294967295ELNS1_3gpuE0ELNS1_3repE0EEENS1_30default_config_static_selectorELNS0_4arch9wavefront6targetE1EEEvT1_ ; -- Begin function _ZN7rocprim17ROCPRIM_400000_NS6detail17trampoline_kernelINS0_14default_configENS1_35adjacent_difference_config_selectorILb1EjEEZNS1_24adjacent_difference_implIS3_Lb1ELb0EPjS7_N6thrust23THRUST_200600_302600_NS4plusIjEEEE10hipError_tPvRmT2_T3_mT4_P12ihipStream_tbEUlT_E_NS1_11comp_targetILNS1_3genE0ELNS1_11target_archE4294967295ELNS1_3gpuE0ELNS1_3repE0EEENS1_30default_config_static_selectorELNS0_4arch9wavefront6targetE1EEEvT1_
	.globl	_ZN7rocprim17ROCPRIM_400000_NS6detail17trampoline_kernelINS0_14default_configENS1_35adjacent_difference_config_selectorILb1EjEEZNS1_24adjacent_difference_implIS3_Lb1ELb0EPjS7_N6thrust23THRUST_200600_302600_NS4plusIjEEEE10hipError_tPvRmT2_T3_mT4_P12ihipStream_tbEUlT_E_NS1_11comp_targetILNS1_3genE0ELNS1_11target_archE4294967295ELNS1_3gpuE0ELNS1_3repE0EEENS1_30default_config_static_selectorELNS0_4arch9wavefront6targetE1EEEvT1_
	.p2align	8
	.type	_ZN7rocprim17ROCPRIM_400000_NS6detail17trampoline_kernelINS0_14default_configENS1_35adjacent_difference_config_selectorILb1EjEEZNS1_24adjacent_difference_implIS3_Lb1ELb0EPjS7_N6thrust23THRUST_200600_302600_NS4plusIjEEEE10hipError_tPvRmT2_T3_mT4_P12ihipStream_tbEUlT_E_NS1_11comp_targetILNS1_3genE0ELNS1_11target_archE4294967295ELNS1_3gpuE0ELNS1_3repE0EEENS1_30default_config_static_selectorELNS0_4arch9wavefront6targetE1EEEvT1_,@function
_ZN7rocprim17ROCPRIM_400000_NS6detail17trampoline_kernelINS0_14default_configENS1_35adjacent_difference_config_selectorILb1EjEEZNS1_24adjacent_difference_implIS3_Lb1ELb0EPjS7_N6thrust23THRUST_200600_302600_NS4plusIjEEEE10hipError_tPvRmT2_T3_mT4_P12ihipStream_tbEUlT_E_NS1_11comp_targetILNS1_3genE0ELNS1_11target_archE4294967295ELNS1_3gpuE0ELNS1_3repE0EEENS1_30default_config_static_selectorELNS0_4arch9wavefront6targetE1EEEvT1_: ; @_ZN7rocprim17ROCPRIM_400000_NS6detail17trampoline_kernelINS0_14default_configENS1_35adjacent_difference_config_selectorILb1EjEEZNS1_24adjacent_difference_implIS3_Lb1ELb0EPjS7_N6thrust23THRUST_200600_302600_NS4plusIjEEEE10hipError_tPvRmT2_T3_mT4_P12ihipStream_tbEUlT_E_NS1_11comp_targetILNS1_3genE0ELNS1_11target_archE4294967295ELNS1_3gpuE0ELNS1_3repE0EEENS1_30default_config_static_selectorELNS0_4arch9wavefront6targetE1EEEvT1_
; %bb.0:
	.section	.rodata,"a",@progbits
	.p2align	6, 0x0
	.amdhsa_kernel _ZN7rocprim17ROCPRIM_400000_NS6detail17trampoline_kernelINS0_14default_configENS1_35adjacent_difference_config_selectorILb1EjEEZNS1_24adjacent_difference_implIS3_Lb1ELb0EPjS7_N6thrust23THRUST_200600_302600_NS4plusIjEEEE10hipError_tPvRmT2_T3_mT4_P12ihipStream_tbEUlT_E_NS1_11comp_targetILNS1_3genE0ELNS1_11target_archE4294967295ELNS1_3gpuE0ELNS1_3repE0EEENS1_30default_config_static_selectorELNS0_4arch9wavefront6targetE1EEEvT1_
		.amdhsa_group_segment_fixed_size 0
		.amdhsa_private_segment_fixed_size 0
		.amdhsa_kernarg_size 56
		.amdhsa_user_sgpr_count 6
		.amdhsa_user_sgpr_private_segment_buffer 1
		.amdhsa_user_sgpr_dispatch_ptr 0
		.amdhsa_user_sgpr_queue_ptr 0
		.amdhsa_user_sgpr_kernarg_segment_ptr 1
		.amdhsa_user_sgpr_dispatch_id 0
		.amdhsa_user_sgpr_flat_scratch_init 0
		.amdhsa_user_sgpr_private_segment_size 0
		.amdhsa_uses_dynamic_stack 0
		.amdhsa_system_sgpr_private_segment_wavefront_offset 0
		.amdhsa_system_sgpr_workgroup_id_x 1
		.amdhsa_system_sgpr_workgroup_id_y 0
		.amdhsa_system_sgpr_workgroup_id_z 0
		.amdhsa_system_sgpr_workgroup_info 0
		.amdhsa_system_vgpr_workitem_id 0
		.amdhsa_next_free_vgpr 1
		.amdhsa_next_free_sgpr 0
		.amdhsa_reserve_vcc 0
		.amdhsa_reserve_flat_scratch 0
		.amdhsa_float_round_mode_32 0
		.amdhsa_float_round_mode_16_64 0
		.amdhsa_float_denorm_mode_32 3
		.amdhsa_float_denorm_mode_16_64 3
		.amdhsa_dx10_clamp 1
		.amdhsa_ieee_mode 1
		.amdhsa_fp16_overflow 0
		.amdhsa_exception_fp_ieee_invalid_op 0
		.amdhsa_exception_fp_denorm_src 0
		.amdhsa_exception_fp_ieee_div_zero 0
		.amdhsa_exception_fp_ieee_overflow 0
		.amdhsa_exception_fp_ieee_underflow 0
		.amdhsa_exception_fp_ieee_inexact 0
		.amdhsa_exception_int_div_zero 0
	.end_amdhsa_kernel
	.section	.text._ZN7rocprim17ROCPRIM_400000_NS6detail17trampoline_kernelINS0_14default_configENS1_35adjacent_difference_config_selectorILb1EjEEZNS1_24adjacent_difference_implIS3_Lb1ELb0EPjS7_N6thrust23THRUST_200600_302600_NS4plusIjEEEE10hipError_tPvRmT2_T3_mT4_P12ihipStream_tbEUlT_E_NS1_11comp_targetILNS1_3genE0ELNS1_11target_archE4294967295ELNS1_3gpuE0ELNS1_3repE0EEENS1_30default_config_static_selectorELNS0_4arch9wavefront6targetE1EEEvT1_,"axG",@progbits,_ZN7rocprim17ROCPRIM_400000_NS6detail17trampoline_kernelINS0_14default_configENS1_35adjacent_difference_config_selectorILb1EjEEZNS1_24adjacent_difference_implIS3_Lb1ELb0EPjS7_N6thrust23THRUST_200600_302600_NS4plusIjEEEE10hipError_tPvRmT2_T3_mT4_P12ihipStream_tbEUlT_E_NS1_11comp_targetILNS1_3genE0ELNS1_11target_archE4294967295ELNS1_3gpuE0ELNS1_3repE0EEENS1_30default_config_static_selectorELNS0_4arch9wavefront6targetE1EEEvT1_,comdat
.Lfunc_end197:
	.size	_ZN7rocprim17ROCPRIM_400000_NS6detail17trampoline_kernelINS0_14default_configENS1_35adjacent_difference_config_selectorILb1EjEEZNS1_24adjacent_difference_implIS3_Lb1ELb0EPjS7_N6thrust23THRUST_200600_302600_NS4plusIjEEEE10hipError_tPvRmT2_T3_mT4_P12ihipStream_tbEUlT_E_NS1_11comp_targetILNS1_3genE0ELNS1_11target_archE4294967295ELNS1_3gpuE0ELNS1_3repE0EEENS1_30default_config_static_selectorELNS0_4arch9wavefront6targetE1EEEvT1_, .Lfunc_end197-_ZN7rocprim17ROCPRIM_400000_NS6detail17trampoline_kernelINS0_14default_configENS1_35adjacent_difference_config_selectorILb1EjEEZNS1_24adjacent_difference_implIS3_Lb1ELb0EPjS7_N6thrust23THRUST_200600_302600_NS4plusIjEEEE10hipError_tPvRmT2_T3_mT4_P12ihipStream_tbEUlT_E_NS1_11comp_targetILNS1_3genE0ELNS1_11target_archE4294967295ELNS1_3gpuE0ELNS1_3repE0EEENS1_30default_config_static_selectorELNS0_4arch9wavefront6targetE1EEEvT1_
                                        ; -- End function
	.set _ZN7rocprim17ROCPRIM_400000_NS6detail17trampoline_kernelINS0_14default_configENS1_35adjacent_difference_config_selectorILb1EjEEZNS1_24adjacent_difference_implIS3_Lb1ELb0EPjS7_N6thrust23THRUST_200600_302600_NS4plusIjEEEE10hipError_tPvRmT2_T3_mT4_P12ihipStream_tbEUlT_E_NS1_11comp_targetILNS1_3genE0ELNS1_11target_archE4294967295ELNS1_3gpuE0ELNS1_3repE0EEENS1_30default_config_static_selectorELNS0_4arch9wavefront6targetE1EEEvT1_.num_vgpr, 0
	.set _ZN7rocprim17ROCPRIM_400000_NS6detail17trampoline_kernelINS0_14default_configENS1_35adjacent_difference_config_selectorILb1EjEEZNS1_24adjacent_difference_implIS3_Lb1ELb0EPjS7_N6thrust23THRUST_200600_302600_NS4plusIjEEEE10hipError_tPvRmT2_T3_mT4_P12ihipStream_tbEUlT_E_NS1_11comp_targetILNS1_3genE0ELNS1_11target_archE4294967295ELNS1_3gpuE0ELNS1_3repE0EEENS1_30default_config_static_selectorELNS0_4arch9wavefront6targetE1EEEvT1_.num_agpr, 0
	.set _ZN7rocprim17ROCPRIM_400000_NS6detail17trampoline_kernelINS0_14default_configENS1_35adjacent_difference_config_selectorILb1EjEEZNS1_24adjacent_difference_implIS3_Lb1ELb0EPjS7_N6thrust23THRUST_200600_302600_NS4plusIjEEEE10hipError_tPvRmT2_T3_mT4_P12ihipStream_tbEUlT_E_NS1_11comp_targetILNS1_3genE0ELNS1_11target_archE4294967295ELNS1_3gpuE0ELNS1_3repE0EEENS1_30default_config_static_selectorELNS0_4arch9wavefront6targetE1EEEvT1_.numbered_sgpr, 0
	.set _ZN7rocprim17ROCPRIM_400000_NS6detail17trampoline_kernelINS0_14default_configENS1_35adjacent_difference_config_selectorILb1EjEEZNS1_24adjacent_difference_implIS3_Lb1ELb0EPjS7_N6thrust23THRUST_200600_302600_NS4plusIjEEEE10hipError_tPvRmT2_T3_mT4_P12ihipStream_tbEUlT_E_NS1_11comp_targetILNS1_3genE0ELNS1_11target_archE4294967295ELNS1_3gpuE0ELNS1_3repE0EEENS1_30default_config_static_selectorELNS0_4arch9wavefront6targetE1EEEvT1_.num_named_barrier, 0
	.set _ZN7rocprim17ROCPRIM_400000_NS6detail17trampoline_kernelINS0_14default_configENS1_35adjacent_difference_config_selectorILb1EjEEZNS1_24adjacent_difference_implIS3_Lb1ELb0EPjS7_N6thrust23THRUST_200600_302600_NS4plusIjEEEE10hipError_tPvRmT2_T3_mT4_P12ihipStream_tbEUlT_E_NS1_11comp_targetILNS1_3genE0ELNS1_11target_archE4294967295ELNS1_3gpuE0ELNS1_3repE0EEENS1_30default_config_static_selectorELNS0_4arch9wavefront6targetE1EEEvT1_.private_seg_size, 0
	.set _ZN7rocprim17ROCPRIM_400000_NS6detail17trampoline_kernelINS0_14default_configENS1_35adjacent_difference_config_selectorILb1EjEEZNS1_24adjacent_difference_implIS3_Lb1ELb0EPjS7_N6thrust23THRUST_200600_302600_NS4plusIjEEEE10hipError_tPvRmT2_T3_mT4_P12ihipStream_tbEUlT_E_NS1_11comp_targetILNS1_3genE0ELNS1_11target_archE4294967295ELNS1_3gpuE0ELNS1_3repE0EEENS1_30default_config_static_selectorELNS0_4arch9wavefront6targetE1EEEvT1_.uses_vcc, 0
	.set _ZN7rocprim17ROCPRIM_400000_NS6detail17trampoline_kernelINS0_14default_configENS1_35adjacent_difference_config_selectorILb1EjEEZNS1_24adjacent_difference_implIS3_Lb1ELb0EPjS7_N6thrust23THRUST_200600_302600_NS4plusIjEEEE10hipError_tPvRmT2_T3_mT4_P12ihipStream_tbEUlT_E_NS1_11comp_targetILNS1_3genE0ELNS1_11target_archE4294967295ELNS1_3gpuE0ELNS1_3repE0EEENS1_30default_config_static_selectorELNS0_4arch9wavefront6targetE1EEEvT1_.uses_flat_scratch, 0
	.set _ZN7rocprim17ROCPRIM_400000_NS6detail17trampoline_kernelINS0_14default_configENS1_35adjacent_difference_config_selectorILb1EjEEZNS1_24adjacent_difference_implIS3_Lb1ELb0EPjS7_N6thrust23THRUST_200600_302600_NS4plusIjEEEE10hipError_tPvRmT2_T3_mT4_P12ihipStream_tbEUlT_E_NS1_11comp_targetILNS1_3genE0ELNS1_11target_archE4294967295ELNS1_3gpuE0ELNS1_3repE0EEENS1_30default_config_static_selectorELNS0_4arch9wavefront6targetE1EEEvT1_.has_dyn_sized_stack, 0
	.set _ZN7rocprim17ROCPRIM_400000_NS6detail17trampoline_kernelINS0_14default_configENS1_35adjacent_difference_config_selectorILb1EjEEZNS1_24adjacent_difference_implIS3_Lb1ELb0EPjS7_N6thrust23THRUST_200600_302600_NS4plusIjEEEE10hipError_tPvRmT2_T3_mT4_P12ihipStream_tbEUlT_E_NS1_11comp_targetILNS1_3genE0ELNS1_11target_archE4294967295ELNS1_3gpuE0ELNS1_3repE0EEENS1_30default_config_static_selectorELNS0_4arch9wavefront6targetE1EEEvT1_.has_recursion, 0
	.set _ZN7rocprim17ROCPRIM_400000_NS6detail17trampoline_kernelINS0_14default_configENS1_35adjacent_difference_config_selectorILb1EjEEZNS1_24adjacent_difference_implIS3_Lb1ELb0EPjS7_N6thrust23THRUST_200600_302600_NS4plusIjEEEE10hipError_tPvRmT2_T3_mT4_P12ihipStream_tbEUlT_E_NS1_11comp_targetILNS1_3genE0ELNS1_11target_archE4294967295ELNS1_3gpuE0ELNS1_3repE0EEENS1_30default_config_static_selectorELNS0_4arch9wavefront6targetE1EEEvT1_.has_indirect_call, 0
	.section	.AMDGPU.csdata,"",@progbits
; Kernel info:
; codeLenInByte = 0
; TotalNumSgprs: 4
; NumVgprs: 0
; ScratchSize: 0
; MemoryBound: 0
; FloatMode: 240
; IeeeMode: 1
; LDSByteSize: 0 bytes/workgroup (compile time only)
; SGPRBlocks: 0
; VGPRBlocks: 0
; NumSGPRsForWavesPerEU: 4
; NumVGPRsForWavesPerEU: 1
; Occupancy: 10
; WaveLimiterHint : 0
; COMPUTE_PGM_RSRC2:SCRATCH_EN: 0
; COMPUTE_PGM_RSRC2:USER_SGPR: 6
; COMPUTE_PGM_RSRC2:TRAP_HANDLER: 0
; COMPUTE_PGM_RSRC2:TGID_X_EN: 1
; COMPUTE_PGM_RSRC2:TGID_Y_EN: 0
; COMPUTE_PGM_RSRC2:TGID_Z_EN: 0
; COMPUTE_PGM_RSRC2:TIDIG_COMP_CNT: 0
	.section	.text._ZN7rocprim17ROCPRIM_400000_NS6detail17trampoline_kernelINS0_14default_configENS1_35adjacent_difference_config_selectorILb1EjEEZNS1_24adjacent_difference_implIS3_Lb1ELb0EPjS7_N6thrust23THRUST_200600_302600_NS4plusIjEEEE10hipError_tPvRmT2_T3_mT4_P12ihipStream_tbEUlT_E_NS1_11comp_targetILNS1_3genE10ELNS1_11target_archE1201ELNS1_3gpuE5ELNS1_3repE0EEENS1_30default_config_static_selectorELNS0_4arch9wavefront6targetE1EEEvT1_,"axG",@progbits,_ZN7rocprim17ROCPRIM_400000_NS6detail17trampoline_kernelINS0_14default_configENS1_35adjacent_difference_config_selectorILb1EjEEZNS1_24adjacent_difference_implIS3_Lb1ELb0EPjS7_N6thrust23THRUST_200600_302600_NS4plusIjEEEE10hipError_tPvRmT2_T3_mT4_P12ihipStream_tbEUlT_E_NS1_11comp_targetILNS1_3genE10ELNS1_11target_archE1201ELNS1_3gpuE5ELNS1_3repE0EEENS1_30default_config_static_selectorELNS0_4arch9wavefront6targetE1EEEvT1_,comdat
	.protected	_ZN7rocprim17ROCPRIM_400000_NS6detail17trampoline_kernelINS0_14default_configENS1_35adjacent_difference_config_selectorILb1EjEEZNS1_24adjacent_difference_implIS3_Lb1ELb0EPjS7_N6thrust23THRUST_200600_302600_NS4plusIjEEEE10hipError_tPvRmT2_T3_mT4_P12ihipStream_tbEUlT_E_NS1_11comp_targetILNS1_3genE10ELNS1_11target_archE1201ELNS1_3gpuE5ELNS1_3repE0EEENS1_30default_config_static_selectorELNS0_4arch9wavefront6targetE1EEEvT1_ ; -- Begin function _ZN7rocprim17ROCPRIM_400000_NS6detail17trampoline_kernelINS0_14default_configENS1_35adjacent_difference_config_selectorILb1EjEEZNS1_24adjacent_difference_implIS3_Lb1ELb0EPjS7_N6thrust23THRUST_200600_302600_NS4plusIjEEEE10hipError_tPvRmT2_T3_mT4_P12ihipStream_tbEUlT_E_NS1_11comp_targetILNS1_3genE10ELNS1_11target_archE1201ELNS1_3gpuE5ELNS1_3repE0EEENS1_30default_config_static_selectorELNS0_4arch9wavefront6targetE1EEEvT1_
	.globl	_ZN7rocprim17ROCPRIM_400000_NS6detail17trampoline_kernelINS0_14default_configENS1_35adjacent_difference_config_selectorILb1EjEEZNS1_24adjacent_difference_implIS3_Lb1ELb0EPjS7_N6thrust23THRUST_200600_302600_NS4plusIjEEEE10hipError_tPvRmT2_T3_mT4_P12ihipStream_tbEUlT_E_NS1_11comp_targetILNS1_3genE10ELNS1_11target_archE1201ELNS1_3gpuE5ELNS1_3repE0EEENS1_30default_config_static_selectorELNS0_4arch9wavefront6targetE1EEEvT1_
	.p2align	8
	.type	_ZN7rocprim17ROCPRIM_400000_NS6detail17trampoline_kernelINS0_14default_configENS1_35adjacent_difference_config_selectorILb1EjEEZNS1_24adjacent_difference_implIS3_Lb1ELb0EPjS7_N6thrust23THRUST_200600_302600_NS4plusIjEEEE10hipError_tPvRmT2_T3_mT4_P12ihipStream_tbEUlT_E_NS1_11comp_targetILNS1_3genE10ELNS1_11target_archE1201ELNS1_3gpuE5ELNS1_3repE0EEENS1_30default_config_static_selectorELNS0_4arch9wavefront6targetE1EEEvT1_,@function
_ZN7rocprim17ROCPRIM_400000_NS6detail17trampoline_kernelINS0_14default_configENS1_35adjacent_difference_config_selectorILb1EjEEZNS1_24adjacent_difference_implIS3_Lb1ELb0EPjS7_N6thrust23THRUST_200600_302600_NS4plusIjEEEE10hipError_tPvRmT2_T3_mT4_P12ihipStream_tbEUlT_E_NS1_11comp_targetILNS1_3genE10ELNS1_11target_archE1201ELNS1_3gpuE5ELNS1_3repE0EEENS1_30default_config_static_selectorELNS0_4arch9wavefront6targetE1EEEvT1_: ; @_ZN7rocprim17ROCPRIM_400000_NS6detail17trampoline_kernelINS0_14default_configENS1_35adjacent_difference_config_selectorILb1EjEEZNS1_24adjacent_difference_implIS3_Lb1ELb0EPjS7_N6thrust23THRUST_200600_302600_NS4plusIjEEEE10hipError_tPvRmT2_T3_mT4_P12ihipStream_tbEUlT_E_NS1_11comp_targetILNS1_3genE10ELNS1_11target_archE1201ELNS1_3gpuE5ELNS1_3repE0EEENS1_30default_config_static_selectorELNS0_4arch9wavefront6targetE1EEEvT1_
; %bb.0:
	.section	.rodata,"a",@progbits
	.p2align	6, 0x0
	.amdhsa_kernel _ZN7rocprim17ROCPRIM_400000_NS6detail17trampoline_kernelINS0_14default_configENS1_35adjacent_difference_config_selectorILb1EjEEZNS1_24adjacent_difference_implIS3_Lb1ELb0EPjS7_N6thrust23THRUST_200600_302600_NS4plusIjEEEE10hipError_tPvRmT2_T3_mT4_P12ihipStream_tbEUlT_E_NS1_11comp_targetILNS1_3genE10ELNS1_11target_archE1201ELNS1_3gpuE5ELNS1_3repE0EEENS1_30default_config_static_selectorELNS0_4arch9wavefront6targetE1EEEvT1_
		.amdhsa_group_segment_fixed_size 0
		.amdhsa_private_segment_fixed_size 0
		.amdhsa_kernarg_size 56
		.amdhsa_user_sgpr_count 6
		.amdhsa_user_sgpr_private_segment_buffer 1
		.amdhsa_user_sgpr_dispatch_ptr 0
		.amdhsa_user_sgpr_queue_ptr 0
		.amdhsa_user_sgpr_kernarg_segment_ptr 1
		.amdhsa_user_sgpr_dispatch_id 0
		.amdhsa_user_sgpr_flat_scratch_init 0
		.amdhsa_user_sgpr_private_segment_size 0
		.amdhsa_uses_dynamic_stack 0
		.amdhsa_system_sgpr_private_segment_wavefront_offset 0
		.amdhsa_system_sgpr_workgroup_id_x 1
		.amdhsa_system_sgpr_workgroup_id_y 0
		.amdhsa_system_sgpr_workgroup_id_z 0
		.amdhsa_system_sgpr_workgroup_info 0
		.amdhsa_system_vgpr_workitem_id 0
		.amdhsa_next_free_vgpr 1
		.amdhsa_next_free_sgpr 0
		.amdhsa_reserve_vcc 0
		.amdhsa_reserve_flat_scratch 0
		.amdhsa_float_round_mode_32 0
		.amdhsa_float_round_mode_16_64 0
		.amdhsa_float_denorm_mode_32 3
		.amdhsa_float_denorm_mode_16_64 3
		.amdhsa_dx10_clamp 1
		.amdhsa_ieee_mode 1
		.amdhsa_fp16_overflow 0
		.amdhsa_exception_fp_ieee_invalid_op 0
		.amdhsa_exception_fp_denorm_src 0
		.amdhsa_exception_fp_ieee_div_zero 0
		.amdhsa_exception_fp_ieee_overflow 0
		.amdhsa_exception_fp_ieee_underflow 0
		.amdhsa_exception_fp_ieee_inexact 0
		.amdhsa_exception_int_div_zero 0
	.end_amdhsa_kernel
	.section	.text._ZN7rocprim17ROCPRIM_400000_NS6detail17trampoline_kernelINS0_14default_configENS1_35adjacent_difference_config_selectorILb1EjEEZNS1_24adjacent_difference_implIS3_Lb1ELb0EPjS7_N6thrust23THRUST_200600_302600_NS4plusIjEEEE10hipError_tPvRmT2_T3_mT4_P12ihipStream_tbEUlT_E_NS1_11comp_targetILNS1_3genE10ELNS1_11target_archE1201ELNS1_3gpuE5ELNS1_3repE0EEENS1_30default_config_static_selectorELNS0_4arch9wavefront6targetE1EEEvT1_,"axG",@progbits,_ZN7rocprim17ROCPRIM_400000_NS6detail17trampoline_kernelINS0_14default_configENS1_35adjacent_difference_config_selectorILb1EjEEZNS1_24adjacent_difference_implIS3_Lb1ELb0EPjS7_N6thrust23THRUST_200600_302600_NS4plusIjEEEE10hipError_tPvRmT2_T3_mT4_P12ihipStream_tbEUlT_E_NS1_11comp_targetILNS1_3genE10ELNS1_11target_archE1201ELNS1_3gpuE5ELNS1_3repE0EEENS1_30default_config_static_selectorELNS0_4arch9wavefront6targetE1EEEvT1_,comdat
.Lfunc_end198:
	.size	_ZN7rocprim17ROCPRIM_400000_NS6detail17trampoline_kernelINS0_14default_configENS1_35adjacent_difference_config_selectorILb1EjEEZNS1_24adjacent_difference_implIS3_Lb1ELb0EPjS7_N6thrust23THRUST_200600_302600_NS4plusIjEEEE10hipError_tPvRmT2_T3_mT4_P12ihipStream_tbEUlT_E_NS1_11comp_targetILNS1_3genE10ELNS1_11target_archE1201ELNS1_3gpuE5ELNS1_3repE0EEENS1_30default_config_static_selectorELNS0_4arch9wavefront6targetE1EEEvT1_, .Lfunc_end198-_ZN7rocprim17ROCPRIM_400000_NS6detail17trampoline_kernelINS0_14default_configENS1_35adjacent_difference_config_selectorILb1EjEEZNS1_24adjacent_difference_implIS3_Lb1ELb0EPjS7_N6thrust23THRUST_200600_302600_NS4plusIjEEEE10hipError_tPvRmT2_T3_mT4_P12ihipStream_tbEUlT_E_NS1_11comp_targetILNS1_3genE10ELNS1_11target_archE1201ELNS1_3gpuE5ELNS1_3repE0EEENS1_30default_config_static_selectorELNS0_4arch9wavefront6targetE1EEEvT1_
                                        ; -- End function
	.set _ZN7rocprim17ROCPRIM_400000_NS6detail17trampoline_kernelINS0_14default_configENS1_35adjacent_difference_config_selectorILb1EjEEZNS1_24adjacent_difference_implIS3_Lb1ELb0EPjS7_N6thrust23THRUST_200600_302600_NS4plusIjEEEE10hipError_tPvRmT2_T3_mT4_P12ihipStream_tbEUlT_E_NS1_11comp_targetILNS1_3genE10ELNS1_11target_archE1201ELNS1_3gpuE5ELNS1_3repE0EEENS1_30default_config_static_selectorELNS0_4arch9wavefront6targetE1EEEvT1_.num_vgpr, 0
	.set _ZN7rocprim17ROCPRIM_400000_NS6detail17trampoline_kernelINS0_14default_configENS1_35adjacent_difference_config_selectorILb1EjEEZNS1_24adjacent_difference_implIS3_Lb1ELb0EPjS7_N6thrust23THRUST_200600_302600_NS4plusIjEEEE10hipError_tPvRmT2_T3_mT4_P12ihipStream_tbEUlT_E_NS1_11comp_targetILNS1_3genE10ELNS1_11target_archE1201ELNS1_3gpuE5ELNS1_3repE0EEENS1_30default_config_static_selectorELNS0_4arch9wavefront6targetE1EEEvT1_.num_agpr, 0
	.set _ZN7rocprim17ROCPRIM_400000_NS6detail17trampoline_kernelINS0_14default_configENS1_35adjacent_difference_config_selectorILb1EjEEZNS1_24adjacent_difference_implIS3_Lb1ELb0EPjS7_N6thrust23THRUST_200600_302600_NS4plusIjEEEE10hipError_tPvRmT2_T3_mT4_P12ihipStream_tbEUlT_E_NS1_11comp_targetILNS1_3genE10ELNS1_11target_archE1201ELNS1_3gpuE5ELNS1_3repE0EEENS1_30default_config_static_selectorELNS0_4arch9wavefront6targetE1EEEvT1_.numbered_sgpr, 0
	.set _ZN7rocprim17ROCPRIM_400000_NS6detail17trampoline_kernelINS0_14default_configENS1_35adjacent_difference_config_selectorILb1EjEEZNS1_24adjacent_difference_implIS3_Lb1ELb0EPjS7_N6thrust23THRUST_200600_302600_NS4plusIjEEEE10hipError_tPvRmT2_T3_mT4_P12ihipStream_tbEUlT_E_NS1_11comp_targetILNS1_3genE10ELNS1_11target_archE1201ELNS1_3gpuE5ELNS1_3repE0EEENS1_30default_config_static_selectorELNS0_4arch9wavefront6targetE1EEEvT1_.num_named_barrier, 0
	.set _ZN7rocprim17ROCPRIM_400000_NS6detail17trampoline_kernelINS0_14default_configENS1_35adjacent_difference_config_selectorILb1EjEEZNS1_24adjacent_difference_implIS3_Lb1ELb0EPjS7_N6thrust23THRUST_200600_302600_NS4plusIjEEEE10hipError_tPvRmT2_T3_mT4_P12ihipStream_tbEUlT_E_NS1_11comp_targetILNS1_3genE10ELNS1_11target_archE1201ELNS1_3gpuE5ELNS1_3repE0EEENS1_30default_config_static_selectorELNS0_4arch9wavefront6targetE1EEEvT1_.private_seg_size, 0
	.set _ZN7rocprim17ROCPRIM_400000_NS6detail17trampoline_kernelINS0_14default_configENS1_35adjacent_difference_config_selectorILb1EjEEZNS1_24adjacent_difference_implIS3_Lb1ELb0EPjS7_N6thrust23THRUST_200600_302600_NS4plusIjEEEE10hipError_tPvRmT2_T3_mT4_P12ihipStream_tbEUlT_E_NS1_11comp_targetILNS1_3genE10ELNS1_11target_archE1201ELNS1_3gpuE5ELNS1_3repE0EEENS1_30default_config_static_selectorELNS0_4arch9wavefront6targetE1EEEvT1_.uses_vcc, 0
	.set _ZN7rocprim17ROCPRIM_400000_NS6detail17trampoline_kernelINS0_14default_configENS1_35adjacent_difference_config_selectorILb1EjEEZNS1_24adjacent_difference_implIS3_Lb1ELb0EPjS7_N6thrust23THRUST_200600_302600_NS4plusIjEEEE10hipError_tPvRmT2_T3_mT4_P12ihipStream_tbEUlT_E_NS1_11comp_targetILNS1_3genE10ELNS1_11target_archE1201ELNS1_3gpuE5ELNS1_3repE0EEENS1_30default_config_static_selectorELNS0_4arch9wavefront6targetE1EEEvT1_.uses_flat_scratch, 0
	.set _ZN7rocprim17ROCPRIM_400000_NS6detail17trampoline_kernelINS0_14default_configENS1_35adjacent_difference_config_selectorILb1EjEEZNS1_24adjacent_difference_implIS3_Lb1ELb0EPjS7_N6thrust23THRUST_200600_302600_NS4plusIjEEEE10hipError_tPvRmT2_T3_mT4_P12ihipStream_tbEUlT_E_NS1_11comp_targetILNS1_3genE10ELNS1_11target_archE1201ELNS1_3gpuE5ELNS1_3repE0EEENS1_30default_config_static_selectorELNS0_4arch9wavefront6targetE1EEEvT1_.has_dyn_sized_stack, 0
	.set _ZN7rocprim17ROCPRIM_400000_NS6detail17trampoline_kernelINS0_14default_configENS1_35adjacent_difference_config_selectorILb1EjEEZNS1_24adjacent_difference_implIS3_Lb1ELb0EPjS7_N6thrust23THRUST_200600_302600_NS4plusIjEEEE10hipError_tPvRmT2_T3_mT4_P12ihipStream_tbEUlT_E_NS1_11comp_targetILNS1_3genE10ELNS1_11target_archE1201ELNS1_3gpuE5ELNS1_3repE0EEENS1_30default_config_static_selectorELNS0_4arch9wavefront6targetE1EEEvT1_.has_recursion, 0
	.set _ZN7rocprim17ROCPRIM_400000_NS6detail17trampoline_kernelINS0_14default_configENS1_35adjacent_difference_config_selectorILb1EjEEZNS1_24adjacent_difference_implIS3_Lb1ELb0EPjS7_N6thrust23THRUST_200600_302600_NS4plusIjEEEE10hipError_tPvRmT2_T3_mT4_P12ihipStream_tbEUlT_E_NS1_11comp_targetILNS1_3genE10ELNS1_11target_archE1201ELNS1_3gpuE5ELNS1_3repE0EEENS1_30default_config_static_selectorELNS0_4arch9wavefront6targetE1EEEvT1_.has_indirect_call, 0
	.section	.AMDGPU.csdata,"",@progbits
; Kernel info:
; codeLenInByte = 0
; TotalNumSgprs: 4
; NumVgprs: 0
; ScratchSize: 0
; MemoryBound: 0
; FloatMode: 240
; IeeeMode: 1
; LDSByteSize: 0 bytes/workgroup (compile time only)
; SGPRBlocks: 0
; VGPRBlocks: 0
; NumSGPRsForWavesPerEU: 4
; NumVGPRsForWavesPerEU: 1
; Occupancy: 10
; WaveLimiterHint : 0
; COMPUTE_PGM_RSRC2:SCRATCH_EN: 0
; COMPUTE_PGM_RSRC2:USER_SGPR: 6
; COMPUTE_PGM_RSRC2:TRAP_HANDLER: 0
; COMPUTE_PGM_RSRC2:TGID_X_EN: 1
; COMPUTE_PGM_RSRC2:TGID_Y_EN: 0
; COMPUTE_PGM_RSRC2:TGID_Z_EN: 0
; COMPUTE_PGM_RSRC2:TIDIG_COMP_CNT: 0
	.section	.text._ZN7rocprim17ROCPRIM_400000_NS6detail17trampoline_kernelINS0_14default_configENS1_35adjacent_difference_config_selectorILb1EjEEZNS1_24adjacent_difference_implIS3_Lb1ELb0EPjS7_N6thrust23THRUST_200600_302600_NS4plusIjEEEE10hipError_tPvRmT2_T3_mT4_P12ihipStream_tbEUlT_E_NS1_11comp_targetILNS1_3genE5ELNS1_11target_archE942ELNS1_3gpuE9ELNS1_3repE0EEENS1_30default_config_static_selectorELNS0_4arch9wavefront6targetE1EEEvT1_,"axG",@progbits,_ZN7rocprim17ROCPRIM_400000_NS6detail17trampoline_kernelINS0_14default_configENS1_35adjacent_difference_config_selectorILb1EjEEZNS1_24adjacent_difference_implIS3_Lb1ELb0EPjS7_N6thrust23THRUST_200600_302600_NS4plusIjEEEE10hipError_tPvRmT2_T3_mT4_P12ihipStream_tbEUlT_E_NS1_11comp_targetILNS1_3genE5ELNS1_11target_archE942ELNS1_3gpuE9ELNS1_3repE0EEENS1_30default_config_static_selectorELNS0_4arch9wavefront6targetE1EEEvT1_,comdat
	.protected	_ZN7rocprim17ROCPRIM_400000_NS6detail17trampoline_kernelINS0_14default_configENS1_35adjacent_difference_config_selectorILb1EjEEZNS1_24adjacent_difference_implIS3_Lb1ELb0EPjS7_N6thrust23THRUST_200600_302600_NS4plusIjEEEE10hipError_tPvRmT2_T3_mT4_P12ihipStream_tbEUlT_E_NS1_11comp_targetILNS1_3genE5ELNS1_11target_archE942ELNS1_3gpuE9ELNS1_3repE0EEENS1_30default_config_static_selectorELNS0_4arch9wavefront6targetE1EEEvT1_ ; -- Begin function _ZN7rocprim17ROCPRIM_400000_NS6detail17trampoline_kernelINS0_14default_configENS1_35adjacent_difference_config_selectorILb1EjEEZNS1_24adjacent_difference_implIS3_Lb1ELb0EPjS7_N6thrust23THRUST_200600_302600_NS4plusIjEEEE10hipError_tPvRmT2_T3_mT4_P12ihipStream_tbEUlT_E_NS1_11comp_targetILNS1_3genE5ELNS1_11target_archE942ELNS1_3gpuE9ELNS1_3repE0EEENS1_30default_config_static_selectorELNS0_4arch9wavefront6targetE1EEEvT1_
	.globl	_ZN7rocprim17ROCPRIM_400000_NS6detail17trampoline_kernelINS0_14default_configENS1_35adjacent_difference_config_selectorILb1EjEEZNS1_24adjacent_difference_implIS3_Lb1ELb0EPjS7_N6thrust23THRUST_200600_302600_NS4plusIjEEEE10hipError_tPvRmT2_T3_mT4_P12ihipStream_tbEUlT_E_NS1_11comp_targetILNS1_3genE5ELNS1_11target_archE942ELNS1_3gpuE9ELNS1_3repE0EEENS1_30default_config_static_selectorELNS0_4arch9wavefront6targetE1EEEvT1_
	.p2align	8
	.type	_ZN7rocprim17ROCPRIM_400000_NS6detail17trampoline_kernelINS0_14default_configENS1_35adjacent_difference_config_selectorILb1EjEEZNS1_24adjacent_difference_implIS3_Lb1ELb0EPjS7_N6thrust23THRUST_200600_302600_NS4plusIjEEEE10hipError_tPvRmT2_T3_mT4_P12ihipStream_tbEUlT_E_NS1_11comp_targetILNS1_3genE5ELNS1_11target_archE942ELNS1_3gpuE9ELNS1_3repE0EEENS1_30default_config_static_selectorELNS0_4arch9wavefront6targetE1EEEvT1_,@function
_ZN7rocprim17ROCPRIM_400000_NS6detail17trampoline_kernelINS0_14default_configENS1_35adjacent_difference_config_selectorILb1EjEEZNS1_24adjacent_difference_implIS3_Lb1ELb0EPjS7_N6thrust23THRUST_200600_302600_NS4plusIjEEEE10hipError_tPvRmT2_T3_mT4_P12ihipStream_tbEUlT_E_NS1_11comp_targetILNS1_3genE5ELNS1_11target_archE942ELNS1_3gpuE9ELNS1_3repE0EEENS1_30default_config_static_selectorELNS0_4arch9wavefront6targetE1EEEvT1_: ; @_ZN7rocprim17ROCPRIM_400000_NS6detail17trampoline_kernelINS0_14default_configENS1_35adjacent_difference_config_selectorILb1EjEEZNS1_24adjacent_difference_implIS3_Lb1ELb0EPjS7_N6thrust23THRUST_200600_302600_NS4plusIjEEEE10hipError_tPvRmT2_T3_mT4_P12ihipStream_tbEUlT_E_NS1_11comp_targetILNS1_3genE5ELNS1_11target_archE942ELNS1_3gpuE9ELNS1_3repE0EEENS1_30default_config_static_selectorELNS0_4arch9wavefront6targetE1EEEvT1_
; %bb.0:
	.section	.rodata,"a",@progbits
	.p2align	6, 0x0
	.amdhsa_kernel _ZN7rocprim17ROCPRIM_400000_NS6detail17trampoline_kernelINS0_14default_configENS1_35adjacent_difference_config_selectorILb1EjEEZNS1_24adjacent_difference_implIS3_Lb1ELb0EPjS7_N6thrust23THRUST_200600_302600_NS4plusIjEEEE10hipError_tPvRmT2_T3_mT4_P12ihipStream_tbEUlT_E_NS1_11comp_targetILNS1_3genE5ELNS1_11target_archE942ELNS1_3gpuE9ELNS1_3repE0EEENS1_30default_config_static_selectorELNS0_4arch9wavefront6targetE1EEEvT1_
		.amdhsa_group_segment_fixed_size 0
		.amdhsa_private_segment_fixed_size 0
		.amdhsa_kernarg_size 56
		.amdhsa_user_sgpr_count 6
		.amdhsa_user_sgpr_private_segment_buffer 1
		.amdhsa_user_sgpr_dispatch_ptr 0
		.amdhsa_user_sgpr_queue_ptr 0
		.amdhsa_user_sgpr_kernarg_segment_ptr 1
		.amdhsa_user_sgpr_dispatch_id 0
		.amdhsa_user_sgpr_flat_scratch_init 0
		.amdhsa_user_sgpr_private_segment_size 0
		.amdhsa_uses_dynamic_stack 0
		.amdhsa_system_sgpr_private_segment_wavefront_offset 0
		.amdhsa_system_sgpr_workgroup_id_x 1
		.amdhsa_system_sgpr_workgroup_id_y 0
		.amdhsa_system_sgpr_workgroup_id_z 0
		.amdhsa_system_sgpr_workgroup_info 0
		.amdhsa_system_vgpr_workitem_id 0
		.amdhsa_next_free_vgpr 1
		.amdhsa_next_free_sgpr 0
		.amdhsa_reserve_vcc 0
		.amdhsa_reserve_flat_scratch 0
		.amdhsa_float_round_mode_32 0
		.amdhsa_float_round_mode_16_64 0
		.amdhsa_float_denorm_mode_32 3
		.amdhsa_float_denorm_mode_16_64 3
		.amdhsa_dx10_clamp 1
		.amdhsa_ieee_mode 1
		.amdhsa_fp16_overflow 0
		.amdhsa_exception_fp_ieee_invalid_op 0
		.amdhsa_exception_fp_denorm_src 0
		.amdhsa_exception_fp_ieee_div_zero 0
		.amdhsa_exception_fp_ieee_overflow 0
		.amdhsa_exception_fp_ieee_underflow 0
		.amdhsa_exception_fp_ieee_inexact 0
		.amdhsa_exception_int_div_zero 0
	.end_amdhsa_kernel
	.section	.text._ZN7rocprim17ROCPRIM_400000_NS6detail17trampoline_kernelINS0_14default_configENS1_35adjacent_difference_config_selectorILb1EjEEZNS1_24adjacent_difference_implIS3_Lb1ELb0EPjS7_N6thrust23THRUST_200600_302600_NS4plusIjEEEE10hipError_tPvRmT2_T3_mT4_P12ihipStream_tbEUlT_E_NS1_11comp_targetILNS1_3genE5ELNS1_11target_archE942ELNS1_3gpuE9ELNS1_3repE0EEENS1_30default_config_static_selectorELNS0_4arch9wavefront6targetE1EEEvT1_,"axG",@progbits,_ZN7rocprim17ROCPRIM_400000_NS6detail17trampoline_kernelINS0_14default_configENS1_35adjacent_difference_config_selectorILb1EjEEZNS1_24adjacent_difference_implIS3_Lb1ELb0EPjS7_N6thrust23THRUST_200600_302600_NS4plusIjEEEE10hipError_tPvRmT2_T3_mT4_P12ihipStream_tbEUlT_E_NS1_11comp_targetILNS1_3genE5ELNS1_11target_archE942ELNS1_3gpuE9ELNS1_3repE0EEENS1_30default_config_static_selectorELNS0_4arch9wavefront6targetE1EEEvT1_,comdat
.Lfunc_end199:
	.size	_ZN7rocprim17ROCPRIM_400000_NS6detail17trampoline_kernelINS0_14default_configENS1_35adjacent_difference_config_selectorILb1EjEEZNS1_24adjacent_difference_implIS3_Lb1ELb0EPjS7_N6thrust23THRUST_200600_302600_NS4plusIjEEEE10hipError_tPvRmT2_T3_mT4_P12ihipStream_tbEUlT_E_NS1_11comp_targetILNS1_3genE5ELNS1_11target_archE942ELNS1_3gpuE9ELNS1_3repE0EEENS1_30default_config_static_selectorELNS0_4arch9wavefront6targetE1EEEvT1_, .Lfunc_end199-_ZN7rocprim17ROCPRIM_400000_NS6detail17trampoline_kernelINS0_14default_configENS1_35adjacent_difference_config_selectorILb1EjEEZNS1_24adjacent_difference_implIS3_Lb1ELb0EPjS7_N6thrust23THRUST_200600_302600_NS4plusIjEEEE10hipError_tPvRmT2_T3_mT4_P12ihipStream_tbEUlT_E_NS1_11comp_targetILNS1_3genE5ELNS1_11target_archE942ELNS1_3gpuE9ELNS1_3repE0EEENS1_30default_config_static_selectorELNS0_4arch9wavefront6targetE1EEEvT1_
                                        ; -- End function
	.set _ZN7rocprim17ROCPRIM_400000_NS6detail17trampoline_kernelINS0_14default_configENS1_35adjacent_difference_config_selectorILb1EjEEZNS1_24adjacent_difference_implIS3_Lb1ELb0EPjS7_N6thrust23THRUST_200600_302600_NS4plusIjEEEE10hipError_tPvRmT2_T3_mT4_P12ihipStream_tbEUlT_E_NS1_11comp_targetILNS1_3genE5ELNS1_11target_archE942ELNS1_3gpuE9ELNS1_3repE0EEENS1_30default_config_static_selectorELNS0_4arch9wavefront6targetE1EEEvT1_.num_vgpr, 0
	.set _ZN7rocprim17ROCPRIM_400000_NS6detail17trampoline_kernelINS0_14default_configENS1_35adjacent_difference_config_selectorILb1EjEEZNS1_24adjacent_difference_implIS3_Lb1ELb0EPjS7_N6thrust23THRUST_200600_302600_NS4plusIjEEEE10hipError_tPvRmT2_T3_mT4_P12ihipStream_tbEUlT_E_NS1_11comp_targetILNS1_3genE5ELNS1_11target_archE942ELNS1_3gpuE9ELNS1_3repE0EEENS1_30default_config_static_selectorELNS0_4arch9wavefront6targetE1EEEvT1_.num_agpr, 0
	.set _ZN7rocprim17ROCPRIM_400000_NS6detail17trampoline_kernelINS0_14default_configENS1_35adjacent_difference_config_selectorILb1EjEEZNS1_24adjacent_difference_implIS3_Lb1ELb0EPjS7_N6thrust23THRUST_200600_302600_NS4plusIjEEEE10hipError_tPvRmT2_T3_mT4_P12ihipStream_tbEUlT_E_NS1_11comp_targetILNS1_3genE5ELNS1_11target_archE942ELNS1_3gpuE9ELNS1_3repE0EEENS1_30default_config_static_selectorELNS0_4arch9wavefront6targetE1EEEvT1_.numbered_sgpr, 0
	.set _ZN7rocprim17ROCPRIM_400000_NS6detail17trampoline_kernelINS0_14default_configENS1_35adjacent_difference_config_selectorILb1EjEEZNS1_24adjacent_difference_implIS3_Lb1ELb0EPjS7_N6thrust23THRUST_200600_302600_NS4plusIjEEEE10hipError_tPvRmT2_T3_mT4_P12ihipStream_tbEUlT_E_NS1_11comp_targetILNS1_3genE5ELNS1_11target_archE942ELNS1_3gpuE9ELNS1_3repE0EEENS1_30default_config_static_selectorELNS0_4arch9wavefront6targetE1EEEvT1_.num_named_barrier, 0
	.set _ZN7rocprim17ROCPRIM_400000_NS6detail17trampoline_kernelINS0_14default_configENS1_35adjacent_difference_config_selectorILb1EjEEZNS1_24adjacent_difference_implIS3_Lb1ELb0EPjS7_N6thrust23THRUST_200600_302600_NS4plusIjEEEE10hipError_tPvRmT2_T3_mT4_P12ihipStream_tbEUlT_E_NS1_11comp_targetILNS1_3genE5ELNS1_11target_archE942ELNS1_3gpuE9ELNS1_3repE0EEENS1_30default_config_static_selectorELNS0_4arch9wavefront6targetE1EEEvT1_.private_seg_size, 0
	.set _ZN7rocprim17ROCPRIM_400000_NS6detail17trampoline_kernelINS0_14default_configENS1_35adjacent_difference_config_selectorILb1EjEEZNS1_24adjacent_difference_implIS3_Lb1ELb0EPjS7_N6thrust23THRUST_200600_302600_NS4plusIjEEEE10hipError_tPvRmT2_T3_mT4_P12ihipStream_tbEUlT_E_NS1_11comp_targetILNS1_3genE5ELNS1_11target_archE942ELNS1_3gpuE9ELNS1_3repE0EEENS1_30default_config_static_selectorELNS0_4arch9wavefront6targetE1EEEvT1_.uses_vcc, 0
	.set _ZN7rocprim17ROCPRIM_400000_NS6detail17trampoline_kernelINS0_14default_configENS1_35adjacent_difference_config_selectorILb1EjEEZNS1_24adjacent_difference_implIS3_Lb1ELb0EPjS7_N6thrust23THRUST_200600_302600_NS4plusIjEEEE10hipError_tPvRmT2_T3_mT4_P12ihipStream_tbEUlT_E_NS1_11comp_targetILNS1_3genE5ELNS1_11target_archE942ELNS1_3gpuE9ELNS1_3repE0EEENS1_30default_config_static_selectorELNS0_4arch9wavefront6targetE1EEEvT1_.uses_flat_scratch, 0
	.set _ZN7rocprim17ROCPRIM_400000_NS6detail17trampoline_kernelINS0_14default_configENS1_35adjacent_difference_config_selectorILb1EjEEZNS1_24adjacent_difference_implIS3_Lb1ELb0EPjS7_N6thrust23THRUST_200600_302600_NS4plusIjEEEE10hipError_tPvRmT2_T3_mT4_P12ihipStream_tbEUlT_E_NS1_11comp_targetILNS1_3genE5ELNS1_11target_archE942ELNS1_3gpuE9ELNS1_3repE0EEENS1_30default_config_static_selectorELNS0_4arch9wavefront6targetE1EEEvT1_.has_dyn_sized_stack, 0
	.set _ZN7rocprim17ROCPRIM_400000_NS6detail17trampoline_kernelINS0_14default_configENS1_35adjacent_difference_config_selectorILb1EjEEZNS1_24adjacent_difference_implIS3_Lb1ELb0EPjS7_N6thrust23THRUST_200600_302600_NS4plusIjEEEE10hipError_tPvRmT2_T3_mT4_P12ihipStream_tbEUlT_E_NS1_11comp_targetILNS1_3genE5ELNS1_11target_archE942ELNS1_3gpuE9ELNS1_3repE0EEENS1_30default_config_static_selectorELNS0_4arch9wavefront6targetE1EEEvT1_.has_recursion, 0
	.set _ZN7rocprim17ROCPRIM_400000_NS6detail17trampoline_kernelINS0_14default_configENS1_35adjacent_difference_config_selectorILb1EjEEZNS1_24adjacent_difference_implIS3_Lb1ELb0EPjS7_N6thrust23THRUST_200600_302600_NS4plusIjEEEE10hipError_tPvRmT2_T3_mT4_P12ihipStream_tbEUlT_E_NS1_11comp_targetILNS1_3genE5ELNS1_11target_archE942ELNS1_3gpuE9ELNS1_3repE0EEENS1_30default_config_static_selectorELNS0_4arch9wavefront6targetE1EEEvT1_.has_indirect_call, 0
	.section	.AMDGPU.csdata,"",@progbits
; Kernel info:
; codeLenInByte = 0
; TotalNumSgprs: 4
; NumVgprs: 0
; ScratchSize: 0
; MemoryBound: 0
; FloatMode: 240
; IeeeMode: 1
; LDSByteSize: 0 bytes/workgroup (compile time only)
; SGPRBlocks: 0
; VGPRBlocks: 0
; NumSGPRsForWavesPerEU: 4
; NumVGPRsForWavesPerEU: 1
; Occupancy: 10
; WaveLimiterHint : 0
; COMPUTE_PGM_RSRC2:SCRATCH_EN: 0
; COMPUTE_PGM_RSRC2:USER_SGPR: 6
; COMPUTE_PGM_RSRC2:TRAP_HANDLER: 0
; COMPUTE_PGM_RSRC2:TGID_X_EN: 1
; COMPUTE_PGM_RSRC2:TGID_Y_EN: 0
; COMPUTE_PGM_RSRC2:TGID_Z_EN: 0
; COMPUTE_PGM_RSRC2:TIDIG_COMP_CNT: 0
	.section	.text._ZN7rocprim17ROCPRIM_400000_NS6detail17trampoline_kernelINS0_14default_configENS1_35adjacent_difference_config_selectorILb1EjEEZNS1_24adjacent_difference_implIS3_Lb1ELb0EPjS7_N6thrust23THRUST_200600_302600_NS4plusIjEEEE10hipError_tPvRmT2_T3_mT4_P12ihipStream_tbEUlT_E_NS1_11comp_targetILNS1_3genE4ELNS1_11target_archE910ELNS1_3gpuE8ELNS1_3repE0EEENS1_30default_config_static_selectorELNS0_4arch9wavefront6targetE1EEEvT1_,"axG",@progbits,_ZN7rocprim17ROCPRIM_400000_NS6detail17trampoline_kernelINS0_14default_configENS1_35adjacent_difference_config_selectorILb1EjEEZNS1_24adjacent_difference_implIS3_Lb1ELb0EPjS7_N6thrust23THRUST_200600_302600_NS4plusIjEEEE10hipError_tPvRmT2_T3_mT4_P12ihipStream_tbEUlT_E_NS1_11comp_targetILNS1_3genE4ELNS1_11target_archE910ELNS1_3gpuE8ELNS1_3repE0EEENS1_30default_config_static_selectorELNS0_4arch9wavefront6targetE1EEEvT1_,comdat
	.protected	_ZN7rocprim17ROCPRIM_400000_NS6detail17trampoline_kernelINS0_14default_configENS1_35adjacent_difference_config_selectorILb1EjEEZNS1_24adjacent_difference_implIS3_Lb1ELb0EPjS7_N6thrust23THRUST_200600_302600_NS4plusIjEEEE10hipError_tPvRmT2_T3_mT4_P12ihipStream_tbEUlT_E_NS1_11comp_targetILNS1_3genE4ELNS1_11target_archE910ELNS1_3gpuE8ELNS1_3repE0EEENS1_30default_config_static_selectorELNS0_4arch9wavefront6targetE1EEEvT1_ ; -- Begin function _ZN7rocprim17ROCPRIM_400000_NS6detail17trampoline_kernelINS0_14default_configENS1_35adjacent_difference_config_selectorILb1EjEEZNS1_24adjacent_difference_implIS3_Lb1ELb0EPjS7_N6thrust23THRUST_200600_302600_NS4plusIjEEEE10hipError_tPvRmT2_T3_mT4_P12ihipStream_tbEUlT_E_NS1_11comp_targetILNS1_3genE4ELNS1_11target_archE910ELNS1_3gpuE8ELNS1_3repE0EEENS1_30default_config_static_selectorELNS0_4arch9wavefront6targetE1EEEvT1_
	.globl	_ZN7rocprim17ROCPRIM_400000_NS6detail17trampoline_kernelINS0_14default_configENS1_35adjacent_difference_config_selectorILb1EjEEZNS1_24adjacent_difference_implIS3_Lb1ELb0EPjS7_N6thrust23THRUST_200600_302600_NS4plusIjEEEE10hipError_tPvRmT2_T3_mT4_P12ihipStream_tbEUlT_E_NS1_11comp_targetILNS1_3genE4ELNS1_11target_archE910ELNS1_3gpuE8ELNS1_3repE0EEENS1_30default_config_static_selectorELNS0_4arch9wavefront6targetE1EEEvT1_
	.p2align	8
	.type	_ZN7rocprim17ROCPRIM_400000_NS6detail17trampoline_kernelINS0_14default_configENS1_35adjacent_difference_config_selectorILb1EjEEZNS1_24adjacent_difference_implIS3_Lb1ELb0EPjS7_N6thrust23THRUST_200600_302600_NS4plusIjEEEE10hipError_tPvRmT2_T3_mT4_P12ihipStream_tbEUlT_E_NS1_11comp_targetILNS1_3genE4ELNS1_11target_archE910ELNS1_3gpuE8ELNS1_3repE0EEENS1_30default_config_static_selectorELNS0_4arch9wavefront6targetE1EEEvT1_,@function
_ZN7rocprim17ROCPRIM_400000_NS6detail17trampoline_kernelINS0_14default_configENS1_35adjacent_difference_config_selectorILb1EjEEZNS1_24adjacent_difference_implIS3_Lb1ELb0EPjS7_N6thrust23THRUST_200600_302600_NS4plusIjEEEE10hipError_tPvRmT2_T3_mT4_P12ihipStream_tbEUlT_E_NS1_11comp_targetILNS1_3genE4ELNS1_11target_archE910ELNS1_3gpuE8ELNS1_3repE0EEENS1_30default_config_static_selectorELNS0_4arch9wavefront6targetE1EEEvT1_: ; @_ZN7rocprim17ROCPRIM_400000_NS6detail17trampoline_kernelINS0_14default_configENS1_35adjacent_difference_config_selectorILb1EjEEZNS1_24adjacent_difference_implIS3_Lb1ELb0EPjS7_N6thrust23THRUST_200600_302600_NS4plusIjEEEE10hipError_tPvRmT2_T3_mT4_P12ihipStream_tbEUlT_E_NS1_11comp_targetILNS1_3genE4ELNS1_11target_archE910ELNS1_3gpuE8ELNS1_3repE0EEENS1_30default_config_static_selectorELNS0_4arch9wavefront6targetE1EEEvT1_
; %bb.0:
	.section	.rodata,"a",@progbits
	.p2align	6, 0x0
	.amdhsa_kernel _ZN7rocprim17ROCPRIM_400000_NS6detail17trampoline_kernelINS0_14default_configENS1_35adjacent_difference_config_selectorILb1EjEEZNS1_24adjacent_difference_implIS3_Lb1ELb0EPjS7_N6thrust23THRUST_200600_302600_NS4plusIjEEEE10hipError_tPvRmT2_T3_mT4_P12ihipStream_tbEUlT_E_NS1_11comp_targetILNS1_3genE4ELNS1_11target_archE910ELNS1_3gpuE8ELNS1_3repE0EEENS1_30default_config_static_selectorELNS0_4arch9wavefront6targetE1EEEvT1_
		.amdhsa_group_segment_fixed_size 0
		.amdhsa_private_segment_fixed_size 0
		.amdhsa_kernarg_size 56
		.amdhsa_user_sgpr_count 6
		.amdhsa_user_sgpr_private_segment_buffer 1
		.amdhsa_user_sgpr_dispatch_ptr 0
		.amdhsa_user_sgpr_queue_ptr 0
		.amdhsa_user_sgpr_kernarg_segment_ptr 1
		.amdhsa_user_sgpr_dispatch_id 0
		.amdhsa_user_sgpr_flat_scratch_init 0
		.amdhsa_user_sgpr_private_segment_size 0
		.amdhsa_uses_dynamic_stack 0
		.amdhsa_system_sgpr_private_segment_wavefront_offset 0
		.amdhsa_system_sgpr_workgroup_id_x 1
		.amdhsa_system_sgpr_workgroup_id_y 0
		.amdhsa_system_sgpr_workgroup_id_z 0
		.amdhsa_system_sgpr_workgroup_info 0
		.amdhsa_system_vgpr_workitem_id 0
		.amdhsa_next_free_vgpr 1
		.amdhsa_next_free_sgpr 0
		.amdhsa_reserve_vcc 0
		.amdhsa_reserve_flat_scratch 0
		.amdhsa_float_round_mode_32 0
		.amdhsa_float_round_mode_16_64 0
		.amdhsa_float_denorm_mode_32 3
		.amdhsa_float_denorm_mode_16_64 3
		.amdhsa_dx10_clamp 1
		.amdhsa_ieee_mode 1
		.amdhsa_fp16_overflow 0
		.amdhsa_exception_fp_ieee_invalid_op 0
		.amdhsa_exception_fp_denorm_src 0
		.amdhsa_exception_fp_ieee_div_zero 0
		.amdhsa_exception_fp_ieee_overflow 0
		.amdhsa_exception_fp_ieee_underflow 0
		.amdhsa_exception_fp_ieee_inexact 0
		.amdhsa_exception_int_div_zero 0
	.end_amdhsa_kernel
	.section	.text._ZN7rocprim17ROCPRIM_400000_NS6detail17trampoline_kernelINS0_14default_configENS1_35adjacent_difference_config_selectorILb1EjEEZNS1_24adjacent_difference_implIS3_Lb1ELb0EPjS7_N6thrust23THRUST_200600_302600_NS4plusIjEEEE10hipError_tPvRmT2_T3_mT4_P12ihipStream_tbEUlT_E_NS1_11comp_targetILNS1_3genE4ELNS1_11target_archE910ELNS1_3gpuE8ELNS1_3repE0EEENS1_30default_config_static_selectorELNS0_4arch9wavefront6targetE1EEEvT1_,"axG",@progbits,_ZN7rocprim17ROCPRIM_400000_NS6detail17trampoline_kernelINS0_14default_configENS1_35adjacent_difference_config_selectorILb1EjEEZNS1_24adjacent_difference_implIS3_Lb1ELb0EPjS7_N6thrust23THRUST_200600_302600_NS4plusIjEEEE10hipError_tPvRmT2_T3_mT4_P12ihipStream_tbEUlT_E_NS1_11comp_targetILNS1_3genE4ELNS1_11target_archE910ELNS1_3gpuE8ELNS1_3repE0EEENS1_30default_config_static_selectorELNS0_4arch9wavefront6targetE1EEEvT1_,comdat
.Lfunc_end200:
	.size	_ZN7rocprim17ROCPRIM_400000_NS6detail17trampoline_kernelINS0_14default_configENS1_35adjacent_difference_config_selectorILb1EjEEZNS1_24adjacent_difference_implIS3_Lb1ELb0EPjS7_N6thrust23THRUST_200600_302600_NS4plusIjEEEE10hipError_tPvRmT2_T3_mT4_P12ihipStream_tbEUlT_E_NS1_11comp_targetILNS1_3genE4ELNS1_11target_archE910ELNS1_3gpuE8ELNS1_3repE0EEENS1_30default_config_static_selectorELNS0_4arch9wavefront6targetE1EEEvT1_, .Lfunc_end200-_ZN7rocprim17ROCPRIM_400000_NS6detail17trampoline_kernelINS0_14default_configENS1_35adjacent_difference_config_selectorILb1EjEEZNS1_24adjacent_difference_implIS3_Lb1ELb0EPjS7_N6thrust23THRUST_200600_302600_NS4plusIjEEEE10hipError_tPvRmT2_T3_mT4_P12ihipStream_tbEUlT_E_NS1_11comp_targetILNS1_3genE4ELNS1_11target_archE910ELNS1_3gpuE8ELNS1_3repE0EEENS1_30default_config_static_selectorELNS0_4arch9wavefront6targetE1EEEvT1_
                                        ; -- End function
	.set _ZN7rocprim17ROCPRIM_400000_NS6detail17trampoline_kernelINS0_14default_configENS1_35adjacent_difference_config_selectorILb1EjEEZNS1_24adjacent_difference_implIS3_Lb1ELb0EPjS7_N6thrust23THRUST_200600_302600_NS4plusIjEEEE10hipError_tPvRmT2_T3_mT4_P12ihipStream_tbEUlT_E_NS1_11comp_targetILNS1_3genE4ELNS1_11target_archE910ELNS1_3gpuE8ELNS1_3repE0EEENS1_30default_config_static_selectorELNS0_4arch9wavefront6targetE1EEEvT1_.num_vgpr, 0
	.set _ZN7rocprim17ROCPRIM_400000_NS6detail17trampoline_kernelINS0_14default_configENS1_35adjacent_difference_config_selectorILb1EjEEZNS1_24adjacent_difference_implIS3_Lb1ELb0EPjS7_N6thrust23THRUST_200600_302600_NS4plusIjEEEE10hipError_tPvRmT2_T3_mT4_P12ihipStream_tbEUlT_E_NS1_11comp_targetILNS1_3genE4ELNS1_11target_archE910ELNS1_3gpuE8ELNS1_3repE0EEENS1_30default_config_static_selectorELNS0_4arch9wavefront6targetE1EEEvT1_.num_agpr, 0
	.set _ZN7rocprim17ROCPRIM_400000_NS6detail17trampoline_kernelINS0_14default_configENS1_35adjacent_difference_config_selectorILb1EjEEZNS1_24adjacent_difference_implIS3_Lb1ELb0EPjS7_N6thrust23THRUST_200600_302600_NS4plusIjEEEE10hipError_tPvRmT2_T3_mT4_P12ihipStream_tbEUlT_E_NS1_11comp_targetILNS1_3genE4ELNS1_11target_archE910ELNS1_3gpuE8ELNS1_3repE0EEENS1_30default_config_static_selectorELNS0_4arch9wavefront6targetE1EEEvT1_.numbered_sgpr, 0
	.set _ZN7rocprim17ROCPRIM_400000_NS6detail17trampoline_kernelINS0_14default_configENS1_35adjacent_difference_config_selectorILb1EjEEZNS1_24adjacent_difference_implIS3_Lb1ELb0EPjS7_N6thrust23THRUST_200600_302600_NS4plusIjEEEE10hipError_tPvRmT2_T3_mT4_P12ihipStream_tbEUlT_E_NS1_11comp_targetILNS1_3genE4ELNS1_11target_archE910ELNS1_3gpuE8ELNS1_3repE0EEENS1_30default_config_static_selectorELNS0_4arch9wavefront6targetE1EEEvT1_.num_named_barrier, 0
	.set _ZN7rocprim17ROCPRIM_400000_NS6detail17trampoline_kernelINS0_14default_configENS1_35adjacent_difference_config_selectorILb1EjEEZNS1_24adjacent_difference_implIS3_Lb1ELb0EPjS7_N6thrust23THRUST_200600_302600_NS4plusIjEEEE10hipError_tPvRmT2_T3_mT4_P12ihipStream_tbEUlT_E_NS1_11comp_targetILNS1_3genE4ELNS1_11target_archE910ELNS1_3gpuE8ELNS1_3repE0EEENS1_30default_config_static_selectorELNS0_4arch9wavefront6targetE1EEEvT1_.private_seg_size, 0
	.set _ZN7rocprim17ROCPRIM_400000_NS6detail17trampoline_kernelINS0_14default_configENS1_35adjacent_difference_config_selectorILb1EjEEZNS1_24adjacent_difference_implIS3_Lb1ELb0EPjS7_N6thrust23THRUST_200600_302600_NS4plusIjEEEE10hipError_tPvRmT2_T3_mT4_P12ihipStream_tbEUlT_E_NS1_11comp_targetILNS1_3genE4ELNS1_11target_archE910ELNS1_3gpuE8ELNS1_3repE0EEENS1_30default_config_static_selectorELNS0_4arch9wavefront6targetE1EEEvT1_.uses_vcc, 0
	.set _ZN7rocprim17ROCPRIM_400000_NS6detail17trampoline_kernelINS0_14default_configENS1_35adjacent_difference_config_selectorILb1EjEEZNS1_24adjacent_difference_implIS3_Lb1ELb0EPjS7_N6thrust23THRUST_200600_302600_NS4plusIjEEEE10hipError_tPvRmT2_T3_mT4_P12ihipStream_tbEUlT_E_NS1_11comp_targetILNS1_3genE4ELNS1_11target_archE910ELNS1_3gpuE8ELNS1_3repE0EEENS1_30default_config_static_selectorELNS0_4arch9wavefront6targetE1EEEvT1_.uses_flat_scratch, 0
	.set _ZN7rocprim17ROCPRIM_400000_NS6detail17trampoline_kernelINS0_14default_configENS1_35adjacent_difference_config_selectorILb1EjEEZNS1_24adjacent_difference_implIS3_Lb1ELb0EPjS7_N6thrust23THRUST_200600_302600_NS4plusIjEEEE10hipError_tPvRmT2_T3_mT4_P12ihipStream_tbEUlT_E_NS1_11comp_targetILNS1_3genE4ELNS1_11target_archE910ELNS1_3gpuE8ELNS1_3repE0EEENS1_30default_config_static_selectorELNS0_4arch9wavefront6targetE1EEEvT1_.has_dyn_sized_stack, 0
	.set _ZN7rocprim17ROCPRIM_400000_NS6detail17trampoline_kernelINS0_14default_configENS1_35adjacent_difference_config_selectorILb1EjEEZNS1_24adjacent_difference_implIS3_Lb1ELb0EPjS7_N6thrust23THRUST_200600_302600_NS4plusIjEEEE10hipError_tPvRmT2_T3_mT4_P12ihipStream_tbEUlT_E_NS1_11comp_targetILNS1_3genE4ELNS1_11target_archE910ELNS1_3gpuE8ELNS1_3repE0EEENS1_30default_config_static_selectorELNS0_4arch9wavefront6targetE1EEEvT1_.has_recursion, 0
	.set _ZN7rocprim17ROCPRIM_400000_NS6detail17trampoline_kernelINS0_14default_configENS1_35adjacent_difference_config_selectorILb1EjEEZNS1_24adjacent_difference_implIS3_Lb1ELb0EPjS7_N6thrust23THRUST_200600_302600_NS4plusIjEEEE10hipError_tPvRmT2_T3_mT4_P12ihipStream_tbEUlT_E_NS1_11comp_targetILNS1_3genE4ELNS1_11target_archE910ELNS1_3gpuE8ELNS1_3repE0EEENS1_30default_config_static_selectorELNS0_4arch9wavefront6targetE1EEEvT1_.has_indirect_call, 0
	.section	.AMDGPU.csdata,"",@progbits
; Kernel info:
; codeLenInByte = 0
; TotalNumSgprs: 4
; NumVgprs: 0
; ScratchSize: 0
; MemoryBound: 0
; FloatMode: 240
; IeeeMode: 1
; LDSByteSize: 0 bytes/workgroup (compile time only)
; SGPRBlocks: 0
; VGPRBlocks: 0
; NumSGPRsForWavesPerEU: 4
; NumVGPRsForWavesPerEU: 1
; Occupancy: 10
; WaveLimiterHint : 0
; COMPUTE_PGM_RSRC2:SCRATCH_EN: 0
; COMPUTE_PGM_RSRC2:USER_SGPR: 6
; COMPUTE_PGM_RSRC2:TRAP_HANDLER: 0
; COMPUTE_PGM_RSRC2:TGID_X_EN: 1
; COMPUTE_PGM_RSRC2:TGID_Y_EN: 0
; COMPUTE_PGM_RSRC2:TGID_Z_EN: 0
; COMPUTE_PGM_RSRC2:TIDIG_COMP_CNT: 0
	.section	.text._ZN7rocprim17ROCPRIM_400000_NS6detail17trampoline_kernelINS0_14default_configENS1_35adjacent_difference_config_selectorILb1EjEEZNS1_24adjacent_difference_implIS3_Lb1ELb0EPjS7_N6thrust23THRUST_200600_302600_NS4plusIjEEEE10hipError_tPvRmT2_T3_mT4_P12ihipStream_tbEUlT_E_NS1_11comp_targetILNS1_3genE3ELNS1_11target_archE908ELNS1_3gpuE7ELNS1_3repE0EEENS1_30default_config_static_selectorELNS0_4arch9wavefront6targetE1EEEvT1_,"axG",@progbits,_ZN7rocprim17ROCPRIM_400000_NS6detail17trampoline_kernelINS0_14default_configENS1_35adjacent_difference_config_selectorILb1EjEEZNS1_24adjacent_difference_implIS3_Lb1ELb0EPjS7_N6thrust23THRUST_200600_302600_NS4plusIjEEEE10hipError_tPvRmT2_T3_mT4_P12ihipStream_tbEUlT_E_NS1_11comp_targetILNS1_3genE3ELNS1_11target_archE908ELNS1_3gpuE7ELNS1_3repE0EEENS1_30default_config_static_selectorELNS0_4arch9wavefront6targetE1EEEvT1_,comdat
	.protected	_ZN7rocprim17ROCPRIM_400000_NS6detail17trampoline_kernelINS0_14default_configENS1_35adjacent_difference_config_selectorILb1EjEEZNS1_24adjacent_difference_implIS3_Lb1ELb0EPjS7_N6thrust23THRUST_200600_302600_NS4plusIjEEEE10hipError_tPvRmT2_T3_mT4_P12ihipStream_tbEUlT_E_NS1_11comp_targetILNS1_3genE3ELNS1_11target_archE908ELNS1_3gpuE7ELNS1_3repE0EEENS1_30default_config_static_selectorELNS0_4arch9wavefront6targetE1EEEvT1_ ; -- Begin function _ZN7rocprim17ROCPRIM_400000_NS6detail17trampoline_kernelINS0_14default_configENS1_35adjacent_difference_config_selectorILb1EjEEZNS1_24adjacent_difference_implIS3_Lb1ELb0EPjS7_N6thrust23THRUST_200600_302600_NS4plusIjEEEE10hipError_tPvRmT2_T3_mT4_P12ihipStream_tbEUlT_E_NS1_11comp_targetILNS1_3genE3ELNS1_11target_archE908ELNS1_3gpuE7ELNS1_3repE0EEENS1_30default_config_static_selectorELNS0_4arch9wavefront6targetE1EEEvT1_
	.globl	_ZN7rocprim17ROCPRIM_400000_NS6detail17trampoline_kernelINS0_14default_configENS1_35adjacent_difference_config_selectorILb1EjEEZNS1_24adjacent_difference_implIS3_Lb1ELb0EPjS7_N6thrust23THRUST_200600_302600_NS4plusIjEEEE10hipError_tPvRmT2_T3_mT4_P12ihipStream_tbEUlT_E_NS1_11comp_targetILNS1_3genE3ELNS1_11target_archE908ELNS1_3gpuE7ELNS1_3repE0EEENS1_30default_config_static_selectorELNS0_4arch9wavefront6targetE1EEEvT1_
	.p2align	8
	.type	_ZN7rocprim17ROCPRIM_400000_NS6detail17trampoline_kernelINS0_14default_configENS1_35adjacent_difference_config_selectorILb1EjEEZNS1_24adjacent_difference_implIS3_Lb1ELb0EPjS7_N6thrust23THRUST_200600_302600_NS4plusIjEEEE10hipError_tPvRmT2_T3_mT4_P12ihipStream_tbEUlT_E_NS1_11comp_targetILNS1_3genE3ELNS1_11target_archE908ELNS1_3gpuE7ELNS1_3repE0EEENS1_30default_config_static_selectorELNS0_4arch9wavefront6targetE1EEEvT1_,@function
_ZN7rocprim17ROCPRIM_400000_NS6detail17trampoline_kernelINS0_14default_configENS1_35adjacent_difference_config_selectorILb1EjEEZNS1_24adjacent_difference_implIS3_Lb1ELb0EPjS7_N6thrust23THRUST_200600_302600_NS4plusIjEEEE10hipError_tPvRmT2_T3_mT4_P12ihipStream_tbEUlT_E_NS1_11comp_targetILNS1_3genE3ELNS1_11target_archE908ELNS1_3gpuE7ELNS1_3repE0EEENS1_30default_config_static_selectorELNS0_4arch9wavefront6targetE1EEEvT1_: ; @_ZN7rocprim17ROCPRIM_400000_NS6detail17trampoline_kernelINS0_14default_configENS1_35adjacent_difference_config_selectorILb1EjEEZNS1_24adjacent_difference_implIS3_Lb1ELb0EPjS7_N6thrust23THRUST_200600_302600_NS4plusIjEEEE10hipError_tPvRmT2_T3_mT4_P12ihipStream_tbEUlT_E_NS1_11comp_targetILNS1_3genE3ELNS1_11target_archE908ELNS1_3gpuE7ELNS1_3repE0EEENS1_30default_config_static_selectorELNS0_4arch9wavefront6targetE1EEEvT1_
; %bb.0:
	.section	.rodata,"a",@progbits
	.p2align	6, 0x0
	.amdhsa_kernel _ZN7rocprim17ROCPRIM_400000_NS6detail17trampoline_kernelINS0_14default_configENS1_35adjacent_difference_config_selectorILb1EjEEZNS1_24adjacent_difference_implIS3_Lb1ELb0EPjS7_N6thrust23THRUST_200600_302600_NS4plusIjEEEE10hipError_tPvRmT2_T3_mT4_P12ihipStream_tbEUlT_E_NS1_11comp_targetILNS1_3genE3ELNS1_11target_archE908ELNS1_3gpuE7ELNS1_3repE0EEENS1_30default_config_static_selectorELNS0_4arch9wavefront6targetE1EEEvT1_
		.amdhsa_group_segment_fixed_size 0
		.amdhsa_private_segment_fixed_size 0
		.amdhsa_kernarg_size 56
		.amdhsa_user_sgpr_count 6
		.amdhsa_user_sgpr_private_segment_buffer 1
		.amdhsa_user_sgpr_dispatch_ptr 0
		.amdhsa_user_sgpr_queue_ptr 0
		.amdhsa_user_sgpr_kernarg_segment_ptr 1
		.amdhsa_user_sgpr_dispatch_id 0
		.amdhsa_user_sgpr_flat_scratch_init 0
		.amdhsa_user_sgpr_private_segment_size 0
		.amdhsa_uses_dynamic_stack 0
		.amdhsa_system_sgpr_private_segment_wavefront_offset 0
		.amdhsa_system_sgpr_workgroup_id_x 1
		.amdhsa_system_sgpr_workgroup_id_y 0
		.amdhsa_system_sgpr_workgroup_id_z 0
		.amdhsa_system_sgpr_workgroup_info 0
		.amdhsa_system_vgpr_workitem_id 0
		.amdhsa_next_free_vgpr 1
		.amdhsa_next_free_sgpr 0
		.amdhsa_reserve_vcc 0
		.amdhsa_reserve_flat_scratch 0
		.amdhsa_float_round_mode_32 0
		.amdhsa_float_round_mode_16_64 0
		.amdhsa_float_denorm_mode_32 3
		.amdhsa_float_denorm_mode_16_64 3
		.amdhsa_dx10_clamp 1
		.amdhsa_ieee_mode 1
		.amdhsa_fp16_overflow 0
		.amdhsa_exception_fp_ieee_invalid_op 0
		.amdhsa_exception_fp_denorm_src 0
		.amdhsa_exception_fp_ieee_div_zero 0
		.amdhsa_exception_fp_ieee_overflow 0
		.amdhsa_exception_fp_ieee_underflow 0
		.amdhsa_exception_fp_ieee_inexact 0
		.amdhsa_exception_int_div_zero 0
	.end_amdhsa_kernel
	.section	.text._ZN7rocprim17ROCPRIM_400000_NS6detail17trampoline_kernelINS0_14default_configENS1_35adjacent_difference_config_selectorILb1EjEEZNS1_24adjacent_difference_implIS3_Lb1ELb0EPjS7_N6thrust23THRUST_200600_302600_NS4plusIjEEEE10hipError_tPvRmT2_T3_mT4_P12ihipStream_tbEUlT_E_NS1_11comp_targetILNS1_3genE3ELNS1_11target_archE908ELNS1_3gpuE7ELNS1_3repE0EEENS1_30default_config_static_selectorELNS0_4arch9wavefront6targetE1EEEvT1_,"axG",@progbits,_ZN7rocprim17ROCPRIM_400000_NS6detail17trampoline_kernelINS0_14default_configENS1_35adjacent_difference_config_selectorILb1EjEEZNS1_24adjacent_difference_implIS3_Lb1ELb0EPjS7_N6thrust23THRUST_200600_302600_NS4plusIjEEEE10hipError_tPvRmT2_T3_mT4_P12ihipStream_tbEUlT_E_NS1_11comp_targetILNS1_3genE3ELNS1_11target_archE908ELNS1_3gpuE7ELNS1_3repE0EEENS1_30default_config_static_selectorELNS0_4arch9wavefront6targetE1EEEvT1_,comdat
.Lfunc_end201:
	.size	_ZN7rocprim17ROCPRIM_400000_NS6detail17trampoline_kernelINS0_14default_configENS1_35adjacent_difference_config_selectorILb1EjEEZNS1_24adjacent_difference_implIS3_Lb1ELb0EPjS7_N6thrust23THRUST_200600_302600_NS4plusIjEEEE10hipError_tPvRmT2_T3_mT4_P12ihipStream_tbEUlT_E_NS1_11comp_targetILNS1_3genE3ELNS1_11target_archE908ELNS1_3gpuE7ELNS1_3repE0EEENS1_30default_config_static_selectorELNS0_4arch9wavefront6targetE1EEEvT1_, .Lfunc_end201-_ZN7rocprim17ROCPRIM_400000_NS6detail17trampoline_kernelINS0_14default_configENS1_35adjacent_difference_config_selectorILb1EjEEZNS1_24adjacent_difference_implIS3_Lb1ELb0EPjS7_N6thrust23THRUST_200600_302600_NS4plusIjEEEE10hipError_tPvRmT2_T3_mT4_P12ihipStream_tbEUlT_E_NS1_11comp_targetILNS1_3genE3ELNS1_11target_archE908ELNS1_3gpuE7ELNS1_3repE0EEENS1_30default_config_static_selectorELNS0_4arch9wavefront6targetE1EEEvT1_
                                        ; -- End function
	.set _ZN7rocprim17ROCPRIM_400000_NS6detail17trampoline_kernelINS0_14default_configENS1_35adjacent_difference_config_selectorILb1EjEEZNS1_24adjacent_difference_implIS3_Lb1ELb0EPjS7_N6thrust23THRUST_200600_302600_NS4plusIjEEEE10hipError_tPvRmT2_T3_mT4_P12ihipStream_tbEUlT_E_NS1_11comp_targetILNS1_3genE3ELNS1_11target_archE908ELNS1_3gpuE7ELNS1_3repE0EEENS1_30default_config_static_selectorELNS0_4arch9wavefront6targetE1EEEvT1_.num_vgpr, 0
	.set _ZN7rocprim17ROCPRIM_400000_NS6detail17trampoline_kernelINS0_14default_configENS1_35adjacent_difference_config_selectorILb1EjEEZNS1_24adjacent_difference_implIS3_Lb1ELb0EPjS7_N6thrust23THRUST_200600_302600_NS4plusIjEEEE10hipError_tPvRmT2_T3_mT4_P12ihipStream_tbEUlT_E_NS1_11comp_targetILNS1_3genE3ELNS1_11target_archE908ELNS1_3gpuE7ELNS1_3repE0EEENS1_30default_config_static_selectorELNS0_4arch9wavefront6targetE1EEEvT1_.num_agpr, 0
	.set _ZN7rocprim17ROCPRIM_400000_NS6detail17trampoline_kernelINS0_14default_configENS1_35adjacent_difference_config_selectorILb1EjEEZNS1_24adjacent_difference_implIS3_Lb1ELb0EPjS7_N6thrust23THRUST_200600_302600_NS4plusIjEEEE10hipError_tPvRmT2_T3_mT4_P12ihipStream_tbEUlT_E_NS1_11comp_targetILNS1_3genE3ELNS1_11target_archE908ELNS1_3gpuE7ELNS1_3repE0EEENS1_30default_config_static_selectorELNS0_4arch9wavefront6targetE1EEEvT1_.numbered_sgpr, 0
	.set _ZN7rocprim17ROCPRIM_400000_NS6detail17trampoline_kernelINS0_14default_configENS1_35adjacent_difference_config_selectorILb1EjEEZNS1_24adjacent_difference_implIS3_Lb1ELb0EPjS7_N6thrust23THRUST_200600_302600_NS4plusIjEEEE10hipError_tPvRmT2_T3_mT4_P12ihipStream_tbEUlT_E_NS1_11comp_targetILNS1_3genE3ELNS1_11target_archE908ELNS1_3gpuE7ELNS1_3repE0EEENS1_30default_config_static_selectorELNS0_4arch9wavefront6targetE1EEEvT1_.num_named_barrier, 0
	.set _ZN7rocprim17ROCPRIM_400000_NS6detail17trampoline_kernelINS0_14default_configENS1_35adjacent_difference_config_selectorILb1EjEEZNS1_24adjacent_difference_implIS3_Lb1ELb0EPjS7_N6thrust23THRUST_200600_302600_NS4plusIjEEEE10hipError_tPvRmT2_T3_mT4_P12ihipStream_tbEUlT_E_NS1_11comp_targetILNS1_3genE3ELNS1_11target_archE908ELNS1_3gpuE7ELNS1_3repE0EEENS1_30default_config_static_selectorELNS0_4arch9wavefront6targetE1EEEvT1_.private_seg_size, 0
	.set _ZN7rocprim17ROCPRIM_400000_NS6detail17trampoline_kernelINS0_14default_configENS1_35adjacent_difference_config_selectorILb1EjEEZNS1_24adjacent_difference_implIS3_Lb1ELb0EPjS7_N6thrust23THRUST_200600_302600_NS4plusIjEEEE10hipError_tPvRmT2_T3_mT4_P12ihipStream_tbEUlT_E_NS1_11comp_targetILNS1_3genE3ELNS1_11target_archE908ELNS1_3gpuE7ELNS1_3repE0EEENS1_30default_config_static_selectorELNS0_4arch9wavefront6targetE1EEEvT1_.uses_vcc, 0
	.set _ZN7rocprim17ROCPRIM_400000_NS6detail17trampoline_kernelINS0_14default_configENS1_35adjacent_difference_config_selectorILb1EjEEZNS1_24adjacent_difference_implIS3_Lb1ELb0EPjS7_N6thrust23THRUST_200600_302600_NS4plusIjEEEE10hipError_tPvRmT2_T3_mT4_P12ihipStream_tbEUlT_E_NS1_11comp_targetILNS1_3genE3ELNS1_11target_archE908ELNS1_3gpuE7ELNS1_3repE0EEENS1_30default_config_static_selectorELNS0_4arch9wavefront6targetE1EEEvT1_.uses_flat_scratch, 0
	.set _ZN7rocprim17ROCPRIM_400000_NS6detail17trampoline_kernelINS0_14default_configENS1_35adjacent_difference_config_selectorILb1EjEEZNS1_24adjacent_difference_implIS3_Lb1ELb0EPjS7_N6thrust23THRUST_200600_302600_NS4plusIjEEEE10hipError_tPvRmT2_T3_mT4_P12ihipStream_tbEUlT_E_NS1_11comp_targetILNS1_3genE3ELNS1_11target_archE908ELNS1_3gpuE7ELNS1_3repE0EEENS1_30default_config_static_selectorELNS0_4arch9wavefront6targetE1EEEvT1_.has_dyn_sized_stack, 0
	.set _ZN7rocprim17ROCPRIM_400000_NS6detail17trampoline_kernelINS0_14default_configENS1_35adjacent_difference_config_selectorILb1EjEEZNS1_24adjacent_difference_implIS3_Lb1ELb0EPjS7_N6thrust23THRUST_200600_302600_NS4plusIjEEEE10hipError_tPvRmT2_T3_mT4_P12ihipStream_tbEUlT_E_NS1_11comp_targetILNS1_3genE3ELNS1_11target_archE908ELNS1_3gpuE7ELNS1_3repE0EEENS1_30default_config_static_selectorELNS0_4arch9wavefront6targetE1EEEvT1_.has_recursion, 0
	.set _ZN7rocprim17ROCPRIM_400000_NS6detail17trampoline_kernelINS0_14default_configENS1_35adjacent_difference_config_selectorILb1EjEEZNS1_24adjacent_difference_implIS3_Lb1ELb0EPjS7_N6thrust23THRUST_200600_302600_NS4plusIjEEEE10hipError_tPvRmT2_T3_mT4_P12ihipStream_tbEUlT_E_NS1_11comp_targetILNS1_3genE3ELNS1_11target_archE908ELNS1_3gpuE7ELNS1_3repE0EEENS1_30default_config_static_selectorELNS0_4arch9wavefront6targetE1EEEvT1_.has_indirect_call, 0
	.section	.AMDGPU.csdata,"",@progbits
; Kernel info:
; codeLenInByte = 0
; TotalNumSgprs: 4
; NumVgprs: 0
; ScratchSize: 0
; MemoryBound: 0
; FloatMode: 240
; IeeeMode: 1
; LDSByteSize: 0 bytes/workgroup (compile time only)
; SGPRBlocks: 0
; VGPRBlocks: 0
; NumSGPRsForWavesPerEU: 4
; NumVGPRsForWavesPerEU: 1
; Occupancy: 10
; WaveLimiterHint : 0
; COMPUTE_PGM_RSRC2:SCRATCH_EN: 0
; COMPUTE_PGM_RSRC2:USER_SGPR: 6
; COMPUTE_PGM_RSRC2:TRAP_HANDLER: 0
; COMPUTE_PGM_RSRC2:TGID_X_EN: 1
; COMPUTE_PGM_RSRC2:TGID_Y_EN: 0
; COMPUTE_PGM_RSRC2:TGID_Z_EN: 0
; COMPUTE_PGM_RSRC2:TIDIG_COMP_CNT: 0
	.section	.text._ZN7rocprim17ROCPRIM_400000_NS6detail17trampoline_kernelINS0_14default_configENS1_35adjacent_difference_config_selectorILb1EjEEZNS1_24adjacent_difference_implIS3_Lb1ELb0EPjS7_N6thrust23THRUST_200600_302600_NS4plusIjEEEE10hipError_tPvRmT2_T3_mT4_P12ihipStream_tbEUlT_E_NS1_11comp_targetILNS1_3genE2ELNS1_11target_archE906ELNS1_3gpuE6ELNS1_3repE0EEENS1_30default_config_static_selectorELNS0_4arch9wavefront6targetE1EEEvT1_,"axG",@progbits,_ZN7rocprim17ROCPRIM_400000_NS6detail17trampoline_kernelINS0_14default_configENS1_35adjacent_difference_config_selectorILb1EjEEZNS1_24adjacent_difference_implIS3_Lb1ELb0EPjS7_N6thrust23THRUST_200600_302600_NS4plusIjEEEE10hipError_tPvRmT2_T3_mT4_P12ihipStream_tbEUlT_E_NS1_11comp_targetILNS1_3genE2ELNS1_11target_archE906ELNS1_3gpuE6ELNS1_3repE0EEENS1_30default_config_static_selectorELNS0_4arch9wavefront6targetE1EEEvT1_,comdat
	.protected	_ZN7rocprim17ROCPRIM_400000_NS6detail17trampoline_kernelINS0_14default_configENS1_35adjacent_difference_config_selectorILb1EjEEZNS1_24adjacent_difference_implIS3_Lb1ELb0EPjS7_N6thrust23THRUST_200600_302600_NS4plusIjEEEE10hipError_tPvRmT2_T3_mT4_P12ihipStream_tbEUlT_E_NS1_11comp_targetILNS1_3genE2ELNS1_11target_archE906ELNS1_3gpuE6ELNS1_3repE0EEENS1_30default_config_static_selectorELNS0_4arch9wavefront6targetE1EEEvT1_ ; -- Begin function _ZN7rocprim17ROCPRIM_400000_NS6detail17trampoline_kernelINS0_14default_configENS1_35adjacent_difference_config_selectorILb1EjEEZNS1_24adjacent_difference_implIS3_Lb1ELb0EPjS7_N6thrust23THRUST_200600_302600_NS4plusIjEEEE10hipError_tPvRmT2_T3_mT4_P12ihipStream_tbEUlT_E_NS1_11comp_targetILNS1_3genE2ELNS1_11target_archE906ELNS1_3gpuE6ELNS1_3repE0EEENS1_30default_config_static_selectorELNS0_4arch9wavefront6targetE1EEEvT1_
	.globl	_ZN7rocprim17ROCPRIM_400000_NS6detail17trampoline_kernelINS0_14default_configENS1_35adjacent_difference_config_selectorILb1EjEEZNS1_24adjacent_difference_implIS3_Lb1ELb0EPjS7_N6thrust23THRUST_200600_302600_NS4plusIjEEEE10hipError_tPvRmT2_T3_mT4_P12ihipStream_tbEUlT_E_NS1_11comp_targetILNS1_3genE2ELNS1_11target_archE906ELNS1_3gpuE6ELNS1_3repE0EEENS1_30default_config_static_selectorELNS0_4arch9wavefront6targetE1EEEvT1_
	.p2align	8
	.type	_ZN7rocprim17ROCPRIM_400000_NS6detail17trampoline_kernelINS0_14default_configENS1_35adjacent_difference_config_selectorILb1EjEEZNS1_24adjacent_difference_implIS3_Lb1ELb0EPjS7_N6thrust23THRUST_200600_302600_NS4plusIjEEEE10hipError_tPvRmT2_T3_mT4_P12ihipStream_tbEUlT_E_NS1_11comp_targetILNS1_3genE2ELNS1_11target_archE906ELNS1_3gpuE6ELNS1_3repE0EEENS1_30default_config_static_selectorELNS0_4arch9wavefront6targetE1EEEvT1_,@function
_ZN7rocprim17ROCPRIM_400000_NS6detail17trampoline_kernelINS0_14default_configENS1_35adjacent_difference_config_selectorILb1EjEEZNS1_24adjacent_difference_implIS3_Lb1ELb0EPjS7_N6thrust23THRUST_200600_302600_NS4plusIjEEEE10hipError_tPvRmT2_T3_mT4_P12ihipStream_tbEUlT_E_NS1_11comp_targetILNS1_3genE2ELNS1_11target_archE906ELNS1_3gpuE6ELNS1_3repE0EEENS1_30default_config_static_selectorELNS0_4arch9wavefront6targetE1EEEvT1_: ; @_ZN7rocprim17ROCPRIM_400000_NS6detail17trampoline_kernelINS0_14default_configENS1_35adjacent_difference_config_selectorILb1EjEEZNS1_24adjacent_difference_implIS3_Lb1ELb0EPjS7_N6thrust23THRUST_200600_302600_NS4plusIjEEEE10hipError_tPvRmT2_T3_mT4_P12ihipStream_tbEUlT_E_NS1_11comp_targetILNS1_3genE2ELNS1_11target_archE906ELNS1_3gpuE6ELNS1_3repE0EEENS1_30default_config_static_selectorELNS0_4arch9wavefront6targetE1EEEvT1_
; %bb.0:
	s_load_dwordx8 s[8:15], s[4:5], 0x0
	s_load_dwordx4 s[16:19], s[4:5], 0x28
	s_mul_i32 s20, s6, 0xb00
	s_mov_b32 s7, 0
	s_mov_b64 s[22:23], -1
	s_waitcnt lgkmcnt(0)
	s_lshl_b64 s[10:11], s[10:11], 2
	s_add_u32 s26, s8, s10
	s_addc_u32 s27, s9, s11
	s_mul_i32 s3, s15, 0xba2e8ba3
	s_mul_hi_u32 s4, s14, 0xba2e8ba3
	s_mul_hi_u32 s2, s15, 0xba2e8ba3
	s_add_u32 s3, s3, s4
	s_mul_i32 s1, s14, 0x2e8ba2e8
	s_addc_u32 s2, s2, 0
	s_mul_hi_u32 s0, s14, 0x2e8ba2e8
	s_add_u32 s1, s1, s3
	s_addc_u32 s0, s0, 0
	s_add_u32 s0, s2, s0
	s_addc_u32 s1, 0, 0
	s_mul_i32 s3, s15, 0x2e8ba2e8
	s_mul_hi_u32 s2, s15, 0x2e8ba2e8
	s_add_u32 s0, s3, s0
	s_addc_u32 s1, s2, s1
	s_lshr_b64 s[2:3], s[0:1], 9
	s_lshr_b32 s0, s1, 9
	s_mulk_i32 s0, 0xb00
	s_mul_hi_u32 s1, s2, 0xb00
	s_add_i32 s1, s1, s0
	s_mul_i32 s0, s2, 0xb00
	s_sub_u32 s0, s14, s0
	s_subb_u32 s1, s15, s1
	s_cmp_lg_u64 s[0:1], 0
	s_cselect_b64 s[0:1], -1, 0
	v_cndmask_b32_e64 v1, 0, 1, s[0:1]
	v_readfirstlane_b32 s0, v1
	s_add_u32 s2, s2, s0
	s_addc_u32 s3, s3, 0
	s_add_u32 s4, s18, s6
	s_addc_u32 s5, s19, 0
	s_add_u32 s8, s2, -1
	s_addc_u32 s9, s3, -1
	v_mov_b32_e32 v1, s8
	v_mov_b32_e32 v2, s9
	v_cmp_ge_u64_e64 s[0:1], s[4:5], v[1:2]
	s_mul_i32 s15, s8, 0xfffff500
	s_and_b64 vcc, exec, s[0:1]
	s_cbranch_vccz .LBB202_24
; %bb.1:
	s_mov_b32 s21, s7
	s_add_i32 s28, s15, s14
	s_lshl_b64 s[22:23], s[20:21], 2
	s_add_u32 s22, s26, s22
	v_mov_b32_e32 v1, 0
	s_addc_u32 s23, s27, s23
	v_cmp_gt_u32_e32 vcc, s28, v0
	v_mov_b32_e32 v2, v1
	v_mov_b32_e32 v3, v1
	;; [unrolled: 1-line block ×10, first 2 shown]
	s_and_saveexec_b64 s[24:25], vcc
	s_cbranch_execz .LBB202_3
; %bb.2:
	v_lshlrev_b32_e32 v2, 2, v0
	global_load_dword v2, v2, s[22:23]
	v_mov_b32_e32 v3, v1
	v_mov_b32_e32 v4, v1
	;; [unrolled: 1-line block ×10, first 2 shown]
	s_waitcnt vmcnt(0)
	v_mov_b32_e32 v1, v2
	v_mov_b32_e32 v2, v3
	;; [unrolled: 1-line block ×11, first 2 shown]
.LBB202_3:
	s_or_b64 exec, exec, s[24:25]
	v_or_b32_e32 v12, 0x100, v0
	v_cmp_gt_u32_e32 vcc, s28, v12
	s_and_saveexec_b64 s[24:25], vcc
	s_cbranch_execz .LBB202_5
; %bb.4:
	v_lshlrev_b32_e32 v2, 2, v0
	global_load_dword v2, v2, s[22:23] offset:1024
.LBB202_5:
	s_or_b64 exec, exec, s[24:25]
	v_or_b32_e32 v12, 0x200, v0
	v_cmp_gt_u32_e32 vcc, s28, v12
	s_and_saveexec_b64 s[24:25], vcc
	s_cbranch_execz .LBB202_7
; %bb.6:
	v_lshlrev_b32_e32 v3, 2, v0
	global_load_dword v3, v3, s[22:23] offset:2048
.LBB202_7:
	;; [unrolled: 9-line block ×3, first 2 shown]
	s_or_b64 exec, exec, s[24:25]
	v_or_b32_e32 v12, 0x400, v0
	v_cmp_gt_u32_e32 vcc, s28, v12
	s_and_saveexec_b64 s[24:25], vcc
	s_cbranch_execz .LBB202_11
; %bb.10:
	v_lshlrev_b32_e32 v5, 2, v12
	global_load_dword v5, v5, s[22:23]
.LBB202_11:
	s_or_b64 exec, exec, s[24:25]
	v_or_b32_e32 v12, 0x500, v0
	v_cmp_gt_u32_e32 vcc, s28, v12
	s_and_saveexec_b64 s[24:25], vcc
	s_cbranch_execz .LBB202_13
; %bb.12:
	v_lshlrev_b32_e32 v6, 2, v12
	global_load_dword v6, v6, s[22:23]
.LBB202_13:
	;; [unrolled: 9-line block ×7, first 2 shown]
	s_or_b64 exec, exec, s[24:25]
	v_lshlrev_b32_e32 v12, 2, v0
	s_mov_b64 s[22:23], 0
	s_waitcnt vmcnt(0)
	ds_write2st64_b32 v12, v1, v2 offset1:4
	ds_write2st64_b32 v12, v3, v4 offset0:8 offset1:12
	ds_write2st64_b32 v12, v5, v6 offset0:16 offset1:20
	;; [unrolled: 1-line block ×4, first 2 shown]
	ds_write_b32 v12, v11 offset:10240
	s_waitcnt lgkmcnt(0)
	s_barrier
.LBB202_24:
	s_and_b64 vcc, exec, s[22:23]
	v_lshlrev_b32_e32 v13, 2, v0
	s_cbranch_vccz .LBB202_26
; %bb.25:
	s_mov_b32 s21, 0
	s_lshl_b64 s[22:23], s[20:21], 2
	s_add_u32 s22, s26, s22
	s_addc_u32 s23, s27, s23
	v_mov_b32_e32 v1, s23
	v_add_co_u32_e32 v3, vcc, s22, v13
	v_addc_co_u32_e32 v4, vcc, 0, v1, vcc
	v_add_co_u32_e32 v1, vcc, 0x1000, v3
	v_addc_co_u32_e32 v2, vcc, 0, v4, vcc
	v_add_co_u32_e32 v3, vcc, 0x2000, v3
	global_load_dword v5, v13, s[22:23] offset:1024
	global_load_dword v6, v13, s[22:23] offset:2048
	;; [unrolled: 1-line block ×3, first 2 shown]
	v_addc_co_u32_e32 v4, vcc, 0, v4, vcc
	global_load_dword v8, v13, s[22:23]
	global_load_dword v9, v[1:2], off
	global_load_dword v10, v[1:2], off offset:1024
	global_load_dword v11, v[1:2], off offset:2048
	;; [unrolled: 1-line block ×3, first 2 shown]
	global_load_dword v14, v[3:4], off
	global_load_dword v15, v[3:4], off offset:1024
	global_load_dword v16, v[3:4], off offset:2048
	s_waitcnt vmcnt(7)
	ds_write2st64_b32 v13, v8, v5 offset1:4
	ds_write2st64_b32 v13, v6, v7 offset0:8 offset1:12
	s_waitcnt vmcnt(5)
	ds_write2st64_b32 v13, v9, v10 offset0:16 offset1:20
	s_waitcnt vmcnt(3)
	;; [unrolled: 2-line block ×4, first 2 shown]
	ds_write_b32 v13, v16 offset:10240
	s_waitcnt lgkmcnt(0)
	s_barrier
.LBB202_26:
	v_mul_u32_u24_e32 v14, 44, v0
	ds_read2_b32 v[3:4], v14 offset1:1
	ds_read2_b32 v[5:6], v14 offset0:2 offset1:3
	ds_read2_b32 v[7:8], v14 offset0:4 offset1:5
	;; [unrolled: 1-line block ×4, first 2 shown]
	ds_read_b32 v11, v14 offset:40
	s_cmp_eq_u64 s[4:5], 0
	s_waitcnt lgkmcnt(0)
	s_barrier
	s_cbranch_scc1 .LBB202_31
; %bb.27:
	s_lshl_b64 s[18:19], s[18:19], 2
	s_add_u32 s16, s16, s18
	s_addc_u32 s17, s17, s19
	s_lshl_b64 s[6:7], s[6:7], 2
	s_add_u32 s6, s16, s6
	s_addc_u32 s7, s17, s7
	s_add_u32 s6, s6, -4
	s_addc_u32 s7, s7, -1
	s_load_dword s16, s[6:7], 0x0
	s_cmp_eq_u64 s[4:5], s[8:9]
	s_cbranch_scc1 .LBB202_32
; %bb.28:
	v_cmp_ne_u32_e32 vcc, 0, v0
	s_waitcnt lgkmcnt(0)
	v_mov_b32_e32 v12, s16
	ds_write_b32 v13, v11
	s_waitcnt lgkmcnt(0)
	s_barrier
	s_and_saveexec_b64 s[6:7], vcc
; %bb.29:
	v_add_u32_e32 v12, -4, v13
	ds_read_b32 v12, v12
; %bb.30:
	s_or_b64 exec, exec, s[6:7]
	v_add_u32_e32 v15, v2, v1
	v_add_u32_e32 v16, v1, v10
	;; [unrolled: 1-line block ×9, first 2 shown]
	s_waitcnt lgkmcnt(0)
	v_add_u32_e32 v20, v12, v3
	v_mov_b32_e32 v12, v2
	s_branch .LBB202_36
.LBB202_31:
                                        ; implicit-def: $vgpr12
                                        ; implicit-def: $vgpr15
                                        ; implicit-def: $vgpr16
                                        ; implicit-def: $vgpr20
                                        ; implicit-def: $vgpr24
                                        ; implicit-def: $vgpr23
                                        ; implicit-def: $vgpr22
                                        ; implicit-def: $vgpr21
                                        ; implicit-def: $vgpr19
                                        ; implicit-def: $vgpr18
                                        ; implicit-def: $vgpr17
	s_branch .LBB202_37
.LBB202_32:
                                        ; implicit-def: $vgpr15
                                        ; implicit-def: $vgpr16
                                        ; implicit-def: $vgpr20
                                        ; implicit-def: $vgpr24
                                        ; implicit-def: $vgpr23
                                        ; implicit-def: $vgpr22
                                        ; implicit-def: $vgpr21
                                        ; implicit-def: $vgpr19
                                        ; implicit-def: $vgpr18
                                        ; implicit-def: $vgpr17
	v_mov_b32_e32 v12, v2
	s_cbranch_execz .LBB202_36
; %bb.33:
	v_mul_u32_u24_e32 v20, 11, v0
	v_cmp_ne_u32_e32 vcc, 0, v0
	s_waitcnt lgkmcnt(0)
	v_mov_b32_e32 v25, s16
	ds_write_b32 v13, v11
	s_waitcnt lgkmcnt(0)
	s_barrier
	s_and_saveexec_b64 s[6:7], vcc
; %bb.34:
	v_add_u32_e32 v12, -4, v13
	ds_read_b32 v25, v12
; %bb.35:
	s_or_b64 exec, exec, s[6:7]
	s_mulk_i32 s4, 0xf500
	s_add_i32 s4, s4, s14
	v_add_u32_e32 v12, 10, v20
	v_cmp_gt_u32_e32 vcc, s4, v12
	v_add_u32_e32 v15, 9, v20
	v_cndmask_b32_e32 v12, 0, v2, vcc
	v_cmp_gt_u32_e32 vcc, s4, v15
	v_add_u32_e32 v16, 8, v20
	v_cndmask_b32_e32 v15, 0, v1, vcc
	;; [unrolled: 3-line block ×9, first 2 shown]
	v_cmp_gt_u32_e32 vcc, s4, v24
	v_cndmask_b32_e32 v24, 0, v3, vcc
	v_cmp_gt_u32_e32 vcc, s4, v20
	s_waitcnt lgkmcnt(0)
	v_cndmask_b32_e32 v20, 0, v25, vcc
	v_add_u32_e32 v15, v15, v2
	v_add_u32_e32 v16, v16, v1
	;; [unrolled: 1-line block ×10, first 2 shown]
.LBB202_36:
	s_cbranch_execnz .LBB202_46
.LBB202_37:
	s_cmp_eq_u64 s[2:3], 1
	v_cmp_ne_u32_e32 vcc, 0, v0
	s_cbranch_scc1 .LBB202_41
; %bb.38:
	v_mov_b32_e32 v20, v3
	ds_write_b32 v13, v11
	s_waitcnt lgkmcnt(0)
	s_barrier
	s_and_saveexec_b64 s[2:3], vcc
	s_cbranch_execz .LBB202_40
; %bb.39:
	v_add_u32_e32 v12, -4, v13
	ds_read_b32 v12, v12
	s_waitcnt lgkmcnt(0)
	v_add_u32_e32 v20, v12, v3
.LBB202_40:
	s_or_b64 exec, exec, s[2:3]
	v_add_u32_e32 v15, v2, v1
	v_add_u32_e32 v16, v1, v10
	;; [unrolled: 1-line block ×9, first 2 shown]
	s_cbranch_execz .LBB202_42
	s_branch .LBB202_45
.LBB202_41:
                                        ; implicit-def: $vgpr15
                                        ; implicit-def: $vgpr16
                                        ; implicit-def: $vgpr20
                                        ; implicit-def: $vgpr24
                                        ; implicit-def: $vgpr23
                                        ; implicit-def: $vgpr22
                                        ; implicit-def: $vgpr21
                                        ; implicit-def: $vgpr19
                                        ; implicit-def: $vgpr18
                                        ; implicit-def: $vgpr17
.LBB202_42:
	v_mad_u32_u24 v12, v0, 11, 10
	v_cmp_gt_u32_e32 vcc, s14, v12
	v_mad_u32_u24 v12, v0, 11, 9
	v_cmp_gt_u32_e64 s[2:3], s14, v12
	v_mad_u32_u24 v16, v0, 11, 8
	v_cndmask_b32_e64 v12, 0, v1, s[2:3]
	v_cmp_gt_u32_e64 s[2:3], s14, v16
	v_mad_u32_u24 v17, v0, 11, 7
	v_cndmask_b32_e64 v16, 0, v10, s[2:3]
	v_cmp_gt_u32_e64 s[2:3], s14, v17
	v_mad_u32_u24 v18, v0, 11, 6
	v_cndmask_b32_e64 v17, 0, v9, s[2:3]
	v_cmp_gt_u32_e64 s[2:3], s14, v18
	v_mad_u32_u24 v19, v0, 11, 5
	v_cndmask_b32_e64 v18, 0, v8, s[2:3]
	v_cmp_gt_u32_e64 s[2:3], s14, v19
	v_mad_u32_u24 v20, v0, 11, 4
	v_cndmask_b32_e64 v19, 0, v7, s[2:3]
	v_cmp_gt_u32_e64 s[2:3], s14, v20
	v_mad_u32_u24 v21, v0, 11, 3
	v_cndmask_b32_e64 v20, 0, v6, s[2:3]
	v_cmp_gt_u32_e64 s[2:3], s14, v21
	v_mad_u32_u24 v21, v0, 11, 2
	v_cndmask_b32_e64 v22, 0, v5, s[2:3]
	v_cmp_gt_u32_e64 s[2:3], s14, v21
	v_mad_u32_u24 v21, v0, 11, 1
	v_mul_u32_u24_e32 v15, 11, v0
	v_cndmask_b32_e64 v23, 0, v4, s[2:3]
	v_cmp_gt_u32_e64 s[2:3], s14, v21
	v_cndmask_b32_e64 v24, 0, v3, s[2:3]
	v_cmp_ne_u32_e64 s[2:3], 0, v0
	v_cmp_gt_u32_e64 s[4:5], s14, v15
	s_and_b64 s[4:5], s[2:3], s[4:5]
	ds_write_b32 v13, v11
	s_waitcnt lgkmcnt(0)
	s_barrier
	s_and_saveexec_b64 s[2:3], s[4:5]
	s_cbranch_execz .LBB202_44
; %bb.43:
	v_add_u32_e32 v15, -4, v13
	ds_read_b32 v15, v15
	s_waitcnt lgkmcnt(0)
	v_add_u32_e32 v3, v15, v3
.LBB202_44:
	s_or_b64 exec, exec, s[2:3]
	v_cndmask_b32_e32 v25, 0, v2, vcc
	v_add_u32_e32 v15, v12, v2
	v_add_u32_e32 v16, v16, v1
	;; [unrolled: 1-line block ×9, first 2 shown]
	v_mov_b32_e32 v2, v25
	v_mov_b32_e32 v20, v3
.LBB202_45:
	v_mov_b32_e32 v12, v2
.LBB202_46:
	s_add_u32 s4, s12, s10
	s_addc_u32 s5, s13, s11
	v_add_u32_e32 v25, v12, v11
	s_and_b64 vcc, exec, s[0:1]
	s_waitcnt lgkmcnt(0)
	s_barrier
	s_cbranch_vccz .LBB202_68
; %bb.47:
	v_mul_i32_i24_e32 v26, 0xffffffd8, v0
	v_mad_u32_u24 v1, v0, 44, v26
	ds_write2_b32 v14, v20, v24 offset1:1
	ds_write2_b32 v14, v23, v22 offset0:2 offset1:3
	ds_write2_b32 v14, v21, v19 offset0:4 offset1:5
	;; [unrolled: 1-line block ×4, first 2 shown]
	ds_write_b32 v14, v25 offset:40
	s_waitcnt lgkmcnt(0)
	s_barrier
	ds_read2st64_b32 v[11:12], v1 offset0:4 offset1:8
	ds_read2st64_b32 v[9:10], v1 offset0:12 offset1:16
	;; [unrolled: 1-line block ×5, first 2 shown]
	s_mov_b32 s21, 0
	s_add_i32 s15, s15, s14
	s_lshl_b64 s[0:1], s[20:21], 2
	s_add_u32 s0, s4, s0
	s_addc_u32 s1, s5, s1
	v_mov_b32_e32 v4, s1
	v_add_co_u32_e32 v3, vcc, s0, v13
	v_addc_co_u32_e32 v4, vcc, 0, v4, vcc
	v_cmp_gt_u32_e32 vcc, s15, v0
	s_and_saveexec_b64 s[0:1], vcc
	s_cbranch_execz .LBB202_49
; %bb.48:
	v_add_u32_e32 v26, v14, v26
	ds_read_b32 v26, v26
	s_waitcnt lgkmcnt(0)
	global_store_dword v[3:4], v26, off
.LBB202_49:
	s_or_b64 exec, exec, s[0:1]
	v_or_b32_e32 v26, 0x100, v0
	v_cmp_gt_u32_e32 vcc, s15, v26
	s_and_saveexec_b64 s[0:1], vcc
	s_cbranch_execz .LBB202_51
; %bb.50:
	s_waitcnt lgkmcnt(4)
	global_store_dword v[3:4], v11, off offset:1024
.LBB202_51:
	s_or_b64 exec, exec, s[0:1]
	s_waitcnt lgkmcnt(4)
	v_or_b32_e32 v11, 0x200, v0
	v_cmp_gt_u32_e32 vcc, s15, v11
	s_and_saveexec_b64 s[0:1], vcc
	s_cbranch_execz .LBB202_53
; %bb.52:
	global_store_dword v[3:4], v12, off offset:2048
.LBB202_53:
	s_or_b64 exec, exec, s[0:1]
	v_or_b32_e32 v11, 0x300, v0
	v_cmp_gt_u32_e32 vcc, s15, v11
	s_and_saveexec_b64 s[0:1], vcc
	s_cbranch_execz .LBB202_55
; %bb.54:
	s_waitcnt lgkmcnt(3)
	global_store_dword v[3:4], v9, off offset:3072
.LBB202_55:
	s_or_b64 exec, exec, s[0:1]
	s_waitcnt lgkmcnt(3)
	v_or_b32_e32 v9, 0x400, v0
	v_cmp_gt_u32_e32 vcc, s15, v9
	s_and_saveexec_b64 s[0:1], vcc
	s_cbranch_execz .LBB202_57
; %bb.56:
	v_add_co_u32_e32 v11, vcc, 0x1000, v3
	v_addc_co_u32_e32 v12, vcc, 0, v4, vcc
	global_store_dword v[11:12], v10, off
.LBB202_57:
	s_or_b64 exec, exec, s[0:1]
	v_or_b32_e32 v9, 0x500, v0
	v_cmp_gt_u32_e32 vcc, s15, v9
	s_and_saveexec_b64 s[0:1], vcc
	s_cbranch_execz .LBB202_59
; %bb.58:
	v_add_co_u32_e32 v9, vcc, 0x1000, v3
	v_addc_co_u32_e32 v10, vcc, 0, v4, vcc
	s_waitcnt lgkmcnt(2)
	global_store_dword v[9:10], v7, off offset:1024
.LBB202_59:
	s_or_b64 exec, exec, s[0:1]
	s_waitcnt lgkmcnt(2)
	v_or_b32_e32 v7, 0x600, v0
	v_cmp_gt_u32_e32 vcc, s15, v7
	s_and_saveexec_b64 s[0:1], vcc
	s_cbranch_execz .LBB202_61
; %bb.60:
	v_add_co_u32_e32 v9, vcc, 0x1000, v3
	v_addc_co_u32_e32 v10, vcc, 0, v4, vcc
	global_store_dword v[9:10], v8, off offset:2048
.LBB202_61:
	s_or_b64 exec, exec, s[0:1]
	v_or_b32_e32 v7, 0x700, v0
	v_cmp_gt_u32_e32 vcc, s15, v7
	s_and_saveexec_b64 s[0:1], vcc
	s_cbranch_execz .LBB202_63
; %bb.62:
	v_add_co_u32_e32 v7, vcc, 0x1000, v3
	v_addc_co_u32_e32 v8, vcc, 0, v4, vcc
	s_waitcnt lgkmcnt(1)
	global_store_dword v[7:8], v5, off offset:3072
.LBB202_63:
	s_or_b64 exec, exec, s[0:1]
	s_waitcnt lgkmcnt(1)
	v_or_b32_e32 v5, 0x800, v0
	v_cmp_gt_u32_e32 vcc, s15, v5
	s_and_saveexec_b64 s[0:1], vcc
	s_cbranch_execz .LBB202_65
; %bb.64:
	v_add_co_u32_e32 v7, vcc, 0x2000, v3
	v_addc_co_u32_e32 v8, vcc, 0, v4, vcc
	global_store_dword v[7:8], v6, off
.LBB202_65:
	s_or_b64 exec, exec, s[0:1]
	v_or_b32_e32 v5, 0x900, v0
	v_cmp_gt_u32_e32 vcc, s15, v5
	s_and_saveexec_b64 s[0:1], vcc
	s_cbranch_execz .LBB202_67
; %bb.66:
	v_add_co_u32_e32 v5, vcc, 0x2000, v3
	v_addc_co_u32_e32 v6, vcc, 0, v4, vcc
	s_waitcnt lgkmcnt(0)
	global_store_dword v[5:6], v1, off offset:1024
.LBB202_67:
	s_or_b64 exec, exec, s[0:1]
	s_waitcnt lgkmcnt(0)
	v_or_b32_e32 v1, 0xa00, v0
	v_cmp_gt_u32_e64 s[0:1], s15, v1
	s_branch .LBB202_70
.LBB202_68:
	s_mov_b64 s[0:1], 0
                                        ; implicit-def: $vgpr2
                                        ; implicit-def: $vgpr3_vgpr4
	s_cbranch_execz .LBB202_70
; %bb.69:
	s_mov_b32 s21, 0
	s_lshl_b64 s[2:3], s[20:21], 2
	s_add_u32 s2, s4, s2
	v_mul_i32_i24_e32 v1, 0xffffffd8, v0
	s_addc_u32 s3, s5, s3
	v_mad_u32_u24 v2, v0, 44, v1
	ds_write2_b32 v14, v20, v24 offset1:1
	ds_write2_b32 v14, v23, v22 offset0:2 offset1:3
	ds_write2_b32 v14, v21, v19 offset0:4 offset1:5
	ds_write2_b32 v14, v18, v17 offset0:6 offset1:7
	ds_write2_b32 v14, v16, v15 offset0:8 offset1:9
	ds_write_b32 v14, v25 offset:40
	s_waitcnt vmcnt(0) lgkmcnt(0)
	s_barrier
	ds_read2st64_b32 v[0:1], v2 offset1:4
	ds_read2st64_b32 v[5:6], v2 offset0:8 offset1:12
	ds_read2st64_b32 v[7:8], v2 offset0:16 offset1:20
	;; [unrolled: 1-line block ×4, first 2 shown]
	ds_read_b32 v2, v2 offset:10240
	v_mov_b32_e32 v4, s3
	v_add_co_u32_e32 v3, vcc, s2, v13
	v_addc_co_u32_e32 v4, vcc, 0, v4, vcc
	s_waitcnt lgkmcnt(5)
	global_store_dword v13, v0, s[2:3]
	global_store_dword v13, v1, s[2:3] offset:1024
	s_waitcnt lgkmcnt(4)
	global_store_dword v13, v5, s[2:3] offset:2048
	global_store_dword v13, v6, s[2:3] offset:3072
	s_movk_i32 s2, 0x1000
	v_add_co_u32_e32 v0, vcc, s2, v3
	v_addc_co_u32_e32 v1, vcc, 0, v4, vcc
	s_waitcnt lgkmcnt(3)
	global_store_dword v[0:1], v7, off
	global_store_dword v[0:1], v8, off offset:1024
	s_waitcnt lgkmcnt(2)
	global_store_dword v[0:1], v9, off offset:2048
	global_store_dword v[0:1], v10, off offset:3072
	v_add_co_u32_e32 v0, vcc, 0x2000, v3
	v_addc_co_u32_e32 v1, vcc, 0, v4, vcc
	s_or_b64 s[0:1], s[0:1], exec
	s_waitcnt lgkmcnt(1)
	global_store_dword v[0:1], v11, off
	global_store_dword v[0:1], v12, off offset:1024
.LBB202_70:
	s_and_saveexec_b64 s[2:3], s[0:1]
	s_cbranch_execnz .LBB202_72
; %bb.71:
	s_endpgm
.LBB202_72:
	v_add_co_u32_e32 v0, vcc, 0x2000, v3
	v_addc_co_u32_e32 v1, vcc, 0, v4, vcc
	s_waitcnt lgkmcnt(0)
	global_store_dword v[0:1], v2, off offset:2048
	s_endpgm
	.section	.rodata,"a",@progbits
	.p2align	6, 0x0
	.amdhsa_kernel _ZN7rocprim17ROCPRIM_400000_NS6detail17trampoline_kernelINS0_14default_configENS1_35adjacent_difference_config_selectorILb1EjEEZNS1_24adjacent_difference_implIS3_Lb1ELb0EPjS7_N6thrust23THRUST_200600_302600_NS4plusIjEEEE10hipError_tPvRmT2_T3_mT4_P12ihipStream_tbEUlT_E_NS1_11comp_targetILNS1_3genE2ELNS1_11target_archE906ELNS1_3gpuE6ELNS1_3repE0EEENS1_30default_config_static_selectorELNS0_4arch9wavefront6targetE1EEEvT1_
		.amdhsa_group_segment_fixed_size 11264
		.amdhsa_private_segment_fixed_size 0
		.amdhsa_kernarg_size 56
		.amdhsa_user_sgpr_count 6
		.amdhsa_user_sgpr_private_segment_buffer 1
		.amdhsa_user_sgpr_dispatch_ptr 0
		.amdhsa_user_sgpr_queue_ptr 0
		.amdhsa_user_sgpr_kernarg_segment_ptr 1
		.amdhsa_user_sgpr_dispatch_id 0
		.amdhsa_user_sgpr_flat_scratch_init 0
		.amdhsa_user_sgpr_private_segment_size 0
		.amdhsa_uses_dynamic_stack 0
		.amdhsa_system_sgpr_private_segment_wavefront_offset 0
		.amdhsa_system_sgpr_workgroup_id_x 1
		.amdhsa_system_sgpr_workgroup_id_y 0
		.amdhsa_system_sgpr_workgroup_id_z 0
		.amdhsa_system_sgpr_workgroup_info 0
		.amdhsa_system_vgpr_workitem_id 0
		.amdhsa_next_free_vgpr 41
		.amdhsa_next_free_sgpr 98
		.amdhsa_reserve_vcc 1
		.amdhsa_reserve_flat_scratch 0
		.amdhsa_float_round_mode_32 0
		.amdhsa_float_round_mode_16_64 0
		.amdhsa_float_denorm_mode_32 3
		.amdhsa_float_denorm_mode_16_64 3
		.amdhsa_dx10_clamp 1
		.amdhsa_ieee_mode 1
		.amdhsa_fp16_overflow 0
		.amdhsa_exception_fp_ieee_invalid_op 0
		.amdhsa_exception_fp_denorm_src 0
		.amdhsa_exception_fp_ieee_div_zero 0
		.amdhsa_exception_fp_ieee_overflow 0
		.amdhsa_exception_fp_ieee_underflow 0
		.amdhsa_exception_fp_ieee_inexact 0
		.amdhsa_exception_int_div_zero 0
	.end_amdhsa_kernel
	.section	.text._ZN7rocprim17ROCPRIM_400000_NS6detail17trampoline_kernelINS0_14default_configENS1_35adjacent_difference_config_selectorILb1EjEEZNS1_24adjacent_difference_implIS3_Lb1ELb0EPjS7_N6thrust23THRUST_200600_302600_NS4plusIjEEEE10hipError_tPvRmT2_T3_mT4_P12ihipStream_tbEUlT_E_NS1_11comp_targetILNS1_3genE2ELNS1_11target_archE906ELNS1_3gpuE6ELNS1_3repE0EEENS1_30default_config_static_selectorELNS0_4arch9wavefront6targetE1EEEvT1_,"axG",@progbits,_ZN7rocprim17ROCPRIM_400000_NS6detail17trampoline_kernelINS0_14default_configENS1_35adjacent_difference_config_selectorILb1EjEEZNS1_24adjacent_difference_implIS3_Lb1ELb0EPjS7_N6thrust23THRUST_200600_302600_NS4plusIjEEEE10hipError_tPvRmT2_T3_mT4_P12ihipStream_tbEUlT_E_NS1_11comp_targetILNS1_3genE2ELNS1_11target_archE906ELNS1_3gpuE6ELNS1_3repE0EEENS1_30default_config_static_selectorELNS0_4arch9wavefront6targetE1EEEvT1_,comdat
.Lfunc_end202:
	.size	_ZN7rocprim17ROCPRIM_400000_NS6detail17trampoline_kernelINS0_14default_configENS1_35adjacent_difference_config_selectorILb1EjEEZNS1_24adjacent_difference_implIS3_Lb1ELb0EPjS7_N6thrust23THRUST_200600_302600_NS4plusIjEEEE10hipError_tPvRmT2_T3_mT4_P12ihipStream_tbEUlT_E_NS1_11comp_targetILNS1_3genE2ELNS1_11target_archE906ELNS1_3gpuE6ELNS1_3repE0EEENS1_30default_config_static_selectorELNS0_4arch9wavefront6targetE1EEEvT1_, .Lfunc_end202-_ZN7rocprim17ROCPRIM_400000_NS6detail17trampoline_kernelINS0_14default_configENS1_35adjacent_difference_config_selectorILb1EjEEZNS1_24adjacent_difference_implIS3_Lb1ELb0EPjS7_N6thrust23THRUST_200600_302600_NS4plusIjEEEE10hipError_tPvRmT2_T3_mT4_P12ihipStream_tbEUlT_E_NS1_11comp_targetILNS1_3genE2ELNS1_11target_archE906ELNS1_3gpuE6ELNS1_3repE0EEENS1_30default_config_static_selectorELNS0_4arch9wavefront6targetE1EEEvT1_
                                        ; -- End function
	.set _ZN7rocprim17ROCPRIM_400000_NS6detail17trampoline_kernelINS0_14default_configENS1_35adjacent_difference_config_selectorILb1EjEEZNS1_24adjacent_difference_implIS3_Lb1ELb0EPjS7_N6thrust23THRUST_200600_302600_NS4plusIjEEEE10hipError_tPvRmT2_T3_mT4_P12ihipStream_tbEUlT_E_NS1_11comp_targetILNS1_3genE2ELNS1_11target_archE906ELNS1_3gpuE6ELNS1_3repE0EEENS1_30default_config_static_selectorELNS0_4arch9wavefront6targetE1EEEvT1_.num_vgpr, 27
	.set _ZN7rocprim17ROCPRIM_400000_NS6detail17trampoline_kernelINS0_14default_configENS1_35adjacent_difference_config_selectorILb1EjEEZNS1_24adjacent_difference_implIS3_Lb1ELb0EPjS7_N6thrust23THRUST_200600_302600_NS4plusIjEEEE10hipError_tPvRmT2_T3_mT4_P12ihipStream_tbEUlT_E_NS1_11comp_targetILNS1_3genE2ELNS1_11target_archE906ELNS1_3gpuE6ELNS1_3repE0EEENS1_30default_config_static_selectorELNS0_4arch9wavefront6targetE1EEEvT1_.num_agpr, 0
	.set _ZN7rocprim17ROCPRIM_400000_NS6detail17trampoline_kernelINS0_14default_configENS1_35adjacent_difference_config_selectorILb1EjEEZNS1_24adjacent_difference_implIS3_Lb1ELb0EPjS7_N6thrust23THRUST_200600_302600_NS4plusIjEEEE10hipError_tPvRmT2_T3_mT4_P12ihipStream_tbEUlT_E_NS1_11comp_targetILNS1_3genE2ELNS1_11target_archE906ELNS1_3gpuE6ELNS1_3repE0EEENS1_30default_config_static_selectorELNS0_4arch9wavefront6targetE1EEEvT1_.numbered_sgpr, 29
	.set _ZN7rocprim17ROCPRIM_400000_NS6detail17trampoline_kernelINS0_14default_configENS1_35adjacent_difference_config_selectorILb1EjEEZNS1_24adjacent_difference_implIS3_Lb1ELb0EPjS7_N6thrust23THRUST_200600_302600_NS4plusIjEEEE10hipError_tPvRmT2_T3_mT4_P12ihipStream_tbEUlT_E_NS1_11comp_targetILNS1_3genE2ELNS1_11target_archE906ELNS1_3gpuE6ELNS1_3repE0EEENS1_30default_config_static_selectorELNS0_4arch9wavefront6targetE1EEEvT1_.num_named_barrier, 0
	.set _ZN7rocprim17ROCPRIM_400000_NS6detail17trampoline_kernelINS0_14default_configENS1_35adjacent_difference_config_selectorILb1EjEEZNS1_24adjacent_difference_implIS3_Lb1ELb0EPjS7_N6thrust23THRUST_200600_302600_NS4plusIjEEEE10hipError_tPvRmT2_T3_mT4_P12ihipStream_tbEUlT_E_NS1_11comp_targetILNS1_3genE2ELNS1_11target_archE906ELNS1_3gpuE6ELNS1_3repE0EEENS1_30default_config_static_selectorELNS0_4arch9wavefront6targetE1EEEvT1_.private_seg_size, 0
	.set _ZN7rocprim17ROCPRIM_400000_NS6detail17trampoline_kernelINS0_14default_configENS1_35adjacent_difference_config_selectorILb1EjEEZNS1_24adjacent_difference_implIS3_Lb1ELb0EPjS7_N6thrust23THRUST_200600_302600_NS4plusIjEEEE10hipError_tPvRmT2_T3_mT4_P12ihipStream_tbEUlT_E_NS1_11comp_targetILNS1_3genE2ELNS1_11target_archE906ELNS1_3gpuE6ELNS1_3repE0EEENS1_30default_config_static_selectorELNS0_4arch9wavefront6targetE1EEEvT1_.uses_vcc, 1
	.set _ZN7rocprim17ROCPRIM_400000_NS6detail17trampoline_kernelINS0_14default_configENS1_35adjacent_difference_config_selectorILb1EjEEZNS1_24adjacent_difference_implIS3_Lb1ELb0EPjS7_N6thrust23THRUST_200600_302600_NS4plusIjEEEE10hipError_tPvRmT2_T3_mT4_P12ihipStream_tbEUlT_E_NS1_11comp_targetILNS1_3genE2ELNS1_11target_archE906ELNS1_3gpuE6ELNS1_3repE0EEENS1_30default_config_static_selectorELNS0_4arch9wavefront6targetE1EEEvT1_.uses_flat_scratch, 0
	.set _ZN7rocprim17ROCPRIM_400000_NS6detail17trampoline_kernelINS0_14default_configENS1_35adjacent_difference_config_selectorILb1EjEEZNS1_24adjacent_difference_implIS3_Lb1ELb0EPjS7_N6thrust23THRUST_200600_302600_NS4plusIjEEEE10hipError_tPvRmT2_T3_mT4_P12ihipStream_tbEUlT_E_NS1_11comp_targetILNS1_3genE2ELNS1_11target_archE906ELNS1_3gpuE6ELNS1_3repE0EEENS1_30default_config_static_selectorELNS0_4arch9wavefront6targetE1EEEvT1_.has_dyn_sized_stack, 0
	.set _ZN7rocprim17ROCPRIM_400000_NS6detail17trampoline_kernelINS0_14default_configENS1_35adjacent_difference_config_selectorILb1EjEEZNS1_24adjacent_difference_implIS3_Lb1ELb0EPjS7_N6thrust23THRUST_200600_302600_NS4plusIjEEEE10hipError_tPvRmT2_T3_mT4_P12ihipStream_tbEUlT_E_NS1_11comp_targetILNS1_3genE2ELNS1_11target_archE906ELNS1_3gpuE6ELNS1_3repE0EEENS1_30default_config_static_selectorELNS0_4arch9wavefront6targetE1EEEvT1_.has_recursion, 0
	.set _ZN7rocprim17ROCPRIM_400000_NS6detail17trampoline_kernelINS0_14default_configENS1_35adjacent_difference_config_selectorILb1EjEEZNS1_24adjacent_difference_implIS3_Lb1ELb0EPjS7_N6thrust23THRUST_200600_302600_NS4plusIjEEEE10hipError_tPvRmT2_T3_mT4_P12ihipStream_tbEUlT_E_NS1_11comp_targetILNS1_3genE2ELNS1_11target_archE906ELNS1_3gpuE6ELNS1_3repE0EEENS1_30default_config_static_selectorELNS0_4arch9wavefront6targetE1EEEvT1_.has_indirect_call, 0
	.section	.AMDGPU.csdata,"",@progbits
; Kernel info:
; codeLenInByte = 2968
; TotalNumSgprs: 33
; NumVgprs: 27
; ScratchSize: 0
; MemoryBound: 0
; FloatMode: 240
; IeeeMode: 1
; LDSByteSize: 11264 bytes/workgroup (compile time only)
; SGPRBlocks: 12
; VGPRBlocks: 10
; NumSGPRsForWavesPerEU: 102
; NumVGPRsForWavesPerEU: 41
; Occupancy: 5
; WaveLimiterHint : 1
; COMPUTE_PGM_RSRC2:SCRATCH_EN: 0
; COMPUTE_PGM_RSRC2:USER_SGPR: 6
; COMPUTE_PGM_RSRC2:TRAP_HANDLER: 0
; COMPUTE_PGM_RSRC2:TGID_X_EN: 1
; COMPUTE_PGM_RSRC2:TGID_Y_EN: 0
; COMPUTE_PGM_RSRC2:TGID_Z_EN: 0
; COMPUTE_PGM_RSRC2:TIDIG_COMP_CNT: 0
	.section	.text._ZN7rocprim17ROCPRIM_400000_NS6detail17trampoline_kernelINS0_14default_configENS1_35adjacent_difference_config_selectorILb1EjEEZNS1_24adjacent_difference_implIS3_Lb1ELb0EPjS7_N6thrust23THRUST_200600_302600_NS4plusIjEEEE10hipError_tPvRmT2_T3_mT4_P12ihipStream_tbEUlT_E_NS1_11comp_targetILNS1_3genE9ELNS1_11target_archE1100ELNS1_3gpuE3ELNS1_3repE0EEENS1_30default_config_static_selectorELNS0_4arch9wavefront6targetE1EEEvT1_,"axG",@progbits,_ZN7rocprim17ROCPRIM_400000_NS6detail17trampoline_kernelINS0_14default_configENS1_35adjacent_difference_config_selectorILb1EjEEZNS1_24adjacent_difference_implIS3_Lb1ELb0EPjS7_N6thrust23THRUST_200600_302600_NS4plusIjEEEE10hipError_tPvRmT2_T3_mT4_P12ihipStream_tbEUlT_E_NS1_11comp_targetILNS1_3genE9ELNS1_11target_archE1100ELNS1_3gpuE3ELNS1_3repE0EEENS1_30default_config_static_selectorELNS0_4arch9wavefront6targetE1EEEvT1_,comdat
	.protected	_ZN7rocprim17ROCPRIM_400000_NS6detail17trampoline_kernelINS0_14default_configENS1_35adjacent_difference_config_selectorILb1EjEEZNS1_24adjacent_difference_implIS3_Lb1ELb0EPjS7_N6thrust23THRUST_200600_302600_NS4plusIjEEEE10hipError_tPvRmT2_T3_mT4_P12ihipStream_tbEUlT_E_NS1_11comp_targetILNS1_3genE9ELNS1_11target_archE1100ELNS1_3gpuE3ELNS1_3repE0EEENS1_30default_config_static_selectorELNS0_4arch9wavefront6targetE1EEEvT1_ ; -- Begin function _ZN7rocprim17ROCPRIM_400000_NS6detail17trampoline_kernelINS0_14default_configENS1_35adjacent_difference_config_selectorILb1EjEEZNS1_24adjacent_difference_implIS3_Lb1ELb0EPjS7_N6thrust23THRUST_200600_302600_NS4plusIjEEEE10hipError_tPvRmT2_T3_mT4_P12ihipStream_tbEUlT_E_NS1_11comp_targetILNS1_3genE9ELNS1_11target_archE1100ELNS1_3gpuE3ELNS1_3repE0EEENS1_30default_config_static_selectorELNS0_4arch9wavefront6targetE1EEEvT1_
	.globl	_ZN7rocprim17ROCPRIM_400000_NS6detail17trampoline_kernelINS0_14default_configENS1_35adjacent_difference_config_selectorILb1EjEEZNS1_24adjacent_difference_implIS3_Lb1ELb0EPjS7_N6thrust23THRUST_200600_302600_NS4plusIjEEEE10hipError_tPvRmT2_T3_mT4_P12ihipStream_tbEUlT_E_NS1_11comp_targetILNS1_3genE9ELNS1_11target_archE1100ELNS1_3gpuE3ELNS1_3repE0EEENS1_30default_config_static_selectorELNS0_4arch9wavefront6targetE1EEEvT1_
	.p2align	8
	.type	_ZN7rocprim17ROCPRIM_400000_NS6detail17trampoline_kernelINS0_14default_configENS1_35adjacent_difference_config_selectorILb1EjEEZNS1_24adjacent_difference_implIS3_Lb1ELb0EPjS7_N6thrust23THRUST_200600_302600_NS4plusIjEEEE10hipError_tPvRmT2_T3_mT4_P12ihipStream_tbEUlT_E_NS1_11comp_targetILNS1_3genE9ELNS1_11target_archE1100ELNS1_3gpuE3ELNS1_3repE0EEENS1_30default_config_static_selectorELNS0_4arch9wavefront6targetE1EEEvT1_,@function
_ZN7rocprim17ROCPRIM_400000_NS6detail17trampoline_kernelINS0_14default_configENS1_35adjacent_difference_config_selectorILb1EjEEZNS1_24adjacent_difference_implIS3_Lb1ELb0EPjS7_N6thrust23THRUST_200600_302600_NS4plusIjEEEE10hipError_tPvRmT2_T3_mT4_P12ihipStream_tbEUlT_E_NS1_11comp_targetILNS1_3genE9ELNS1_11target_archE1100ELNS1_3gpuE3ELNS1_3repE0EEENS1_30default_config_static_selectorELNS0_4arch9wavefront6targetE1EEEvT1_: ; @_ZN7rocprim17ROCPRIM_400000_NS6detail17trampoline_kernelINS0_14default_configENS1_35adjacent_difference_config_selectorILb1EjEEZNS1_24adjacent_difference_implIS3_Lb1ELb0EPjS7_N6thrust23THRUST_200600_302600_NS4plusIjEEEE10hipError_tPvRmT2_T3_mT4_P12ihipStream_tbEUlT_E_NS1_11comp_targetILNS1_3genE9ELNS1_11target_archE1100ELNS1_3gpuE3ELNS1_3repE0EEENS1_30default_config_static_selectorELNS0_4arch9wavefront6targetE1EEEvT1_
; %bb.0:
	.section	.rodata,"a",@progbits
	.p2align	6, 0x0
	.amdhsa_kernel _ZN7rocprim17ROCPRIM_400000_NS6detail17trampoline_kernelINS0_14default_configENS1_35adjacent_difference_config_selectorILb1EjEEZNS1_24adjacent_difference_implIS3_Lb1ELb0EPjS7_N6thrust23THRUST_200600_302600_NS4plusIjEEEE10hipError_tPvRmT2_T3_mT4_P12ihipStream_tbEUlT_E_NS1_11comp_targetILNS1_3genE9ELNS1_11target_archE1100ELNS1_3gpuE3ELNS1_3repE0EEENS1_30default_config_static_selectorELNS0_4arch9wavefront6targetE1EEEvT1_
		.amdhsa_group_segment_fixed_size 0
		.amdhsa_private_segment_fixed_size 0
		.amdhsa_kernarg_size 56
		.amdhsa_user_sgpr_count 6
		.amdhsa_user_sgpr_private_segment_buffer 1
		.amdhsa_user_sgpr_dispatch_ptr 0
		.amdhsa_user_sgpr_queue_ptr 0
		.amdhsa_user_sgpr_kernarg_segment_ptr 1
		.amdhsa_user_sgpr_dispatch_id 0
		.amdhsa_user_sgpr_flat_scratch_init 0
		.amdhsa_user_sgpr_private_segment_size 0
		.amdhsa_uses_dynamic_stack 0
		.amdhsa_system_sgpr_private_segment_wavefront_offset 0
		.amdhsa_system_sgpr_workgroup_id_x 1
		.amdhsa_system_sgpr_workgroup_id_y 0
		.amdhsa_system_sgpr_workgroup_id_z 0
		.amdhsa_system_sgpr_workgroup_info 0
		.amdhsa_system_vgpr_workitem_id 0
		.amdhsa_next_free_vgpr 1
		.amdhsa_next_free_sgpr 0
		.amdhsa_reserve_vcc 0
		.amdhsa_reserve_flat_scratch 0
		.amdhsa_float_round_mode_32 0
		.amdhsa_float_round_mode_16_64 0
		.amdhsa_float_denorm_mode_32 3
		.amdhsa_float_denorm_mode_16_64 3
		.amdhsa_dx10_clamp 1
		.amdhsa_ieee_mode 1
		.amdhsa_fp16_overflow 0
		.amdhsa_exception_fp_ieee_invalid_op 0
		.amdhsa_exception_fp_denorm_src 0
		.amdhsa_exception_fp_ieee_div_zero 0
		.amdhsa_exception_fp_ieee_overflow 0
		.amdhsa_exception_fp_ieee_underflow 0
		.amdhsa_exception_fp_ieee_inexact 0
		.amdhsa_exception_int_div_zero 0
	.end_amdhsa_kernel
	.section	.text._ZN7rocprim17ROCPRIM_400000_NS6detail17trampoline_kernelINS0_14default_configENS1_35adjacent_difference_config_selectorILb1EjEEZNS1_24adjacent_difference_implIS3_Lb1ELb0EPjS7_N6thrust23THRUST_200600_302600_NS4plusIjEEEE10hipError_tPvRmT2_T3_mT4_P12ihipStream_tbEUlT_E_NS1_11comp_targetILNS1_3genE9ELNS1_11target_archE1100ELNS1_3gpuE3ELNS1_3repE0EEENS1_30default_config_static_selectorELNS0_4arch9wavefront6targetE1EEEvT1_,"axG",@progbits,_ZN7rocprim17ROCPRIM_400000_NS6detail17trampoline_kernelINS0_14default_configENS1_35adjacent_difference_config_selectorILb1EjEEZNS1_24adjacent_difference_implIS3_Lb1ELb0EPjS7_N6thrust23THRUST_200600_302600_NS4plusIjEEEE10hipError_tPvRmT2_T3_mT4_P12ihipStream_tbEUlT_E_NS1_11comp_targetILNS1_3genE9ELNS1_11target_archE1100ELNS1_3gpuE3ELNS1_3repE0EEENS1_30default_config_static_selectorELNS0_4arch9wavefront6targetE1EEEvT1_,comdat
.Lfunc_end203:
	.size	_ZN7rocprim17ROCPRIM_400000_NS6detail17trampoline_kernelINS0_14default_configENS1_35adjacent_difference_config_selectorILb1EjEEZNS1_24adjacent_difference_implIS3_Lb1ELb0EPjS7_N6thrust23THRUST_200600_302600_NS4plusIjEEEE10hipError_tPvRmT2_T3_mT4_P12ihipStream_tbEUlT_E_NS1_11comp_targetILNS1_3genE9ELNS1_11target_archE1100ELNS1_3gpuE3ELNS1_3repE0EEENS1_30default_config_static_selectorELNS0_4arch9wavefront6targetE1EEEvT1_, .Lfunc_end203-_ZN7rocprim17ROCPRIM_400000_NS6detail17trampoline_kernelINS0_14default_configENS1_35adjacent_difference_config_selectorILb1EjEEZNS1_24adjacent_difference_implIS3_Lb1ELb0EPjS7_N6thrust23THRUST_200600_302600_NS4plusIjEEEE10hipError_tPvRmT2_T3_mT4_P12ihipStream_tbEUlT_E_NS1_11comp_targetILNS1_3genE9ELNS1_11target_archE1100ELNS1_3gpuE3ELNS1_3repE0EEENS1_30default_config_static_selectorELNS0_4arch9wavefront6targetE1EEEvT1_
                                        ; -- End function
	.set _ZN7rocprim17ROCPRIM_400000_NS6detail17trampoline_kernelINS0_14default_configENS1_35adjacent_difference_config_selectorILb1EjEEZNS1_24adjacent_difference_implIS3_Lb1ELb0EPjS7_N6thrust23THRUST_200600_302600_NS4plusIjEEEE10hipError_tPvRmT2_T3_mT4_P12ihipStream_tbEUlT_E_NS1_11comp_targetILNS1_3genE9ELNS1_11target_archE1100ELNS1_3gpuE3ELNS1_3repE0EEENS1_30default_config_static_selectorELNS0_4arch9wavefront6targetE1EEEvT1_.num_vgpr, 0
	.set _ZN7rocprim17ROCPRIM_400000_NS6detail17trampoline_kernelINS0_14default_configENS1_35adjacent_difference_config_selectorILb1EjEEZNS1_24adjacent_difference_implIS3_Lb1ELb0EPjS7_N6thrust23THRUST_200600_302600_NS4plusIjEEEE10hipError_tPvRmT2_T3_mT4_P12ihipStream_tbEUlT_E_NS1_11comp_targetILNS1_3genE9ELNS1_11target_archE1100ELNS1_3gpuE3ELNS1_3repE0EEENS1_30default_config_static_selectorELNS0_4arch9wavefront6targetE1EEEvT1_.num_agpr, 0
	.set _ZN7rocprim17ROCPRIM_400000_NS6detail17trampoline_kernelINS0_14default_configENS1_35adjacent_difference_config_selectorILb1EjEEZNS1_24adjacent_difference_implIS3_Lb1ELb0EPjS7_N6thrust23THRUST_200600_302600_NS4plusIjEEEE10hipError_tPvRmT2_T3_mT4_P12ihipStream_tbEUlT_E_NS1_11comp_targetILNS1_3genE9ELNS1_11target_archE1100ELNS1_3gpuE3ELNS1_3repE0EEENS1_30default_config_static_selectorELNS0_4arch9wavefront6targetE1EEEvT1_.numbered_sgpr, 0
	.set _ZN7rocprim17ROCPRIM_400000_NS6detail17trampoline_kernelINS0_14default_configENS1_35adjacent_difference_config_selectorILb1EjEEZNS1_24adjacent_difference_implIS3_Lb1ELb0EPjS7_N6thrust23THRUST_200600_302600_NS4plusIjEEEE10hipError_tPvRmT2_T3_mT4_P12ihipStream_tbEUlT_E_NS1_11comp_targetILNS1_3genE9ELNS1_11target_archE1100ELNS1_3gpuE3ELNS1_3repE0EEENS1_30default_config_static_selectorELNS0_4arch9wavefront6targetE1EEEvT1_.num_named_barrier, 0
	.set _ZN7rocprim17ROCPRIM_400000_NS6detail17trampoline_kernelINS0_14default_configENS1_35adjacent_difference_config_selectorILb1EjEEZNS1_24adjacent_difference_implIS3_Lb1ELb0EPjS7_N6thrust23THRUST_200600_302600_NS4plusIjEEEE10hipError_tPvRmT2_T3_mT4_P12ihipStream_tbEUlT_E_NS1_11comp_targetILNS1_3genE9ELNS1_11target_archE1100ELNS1_3gpuE3ELNS1_3repE0EEENS1_30default_config_static_selectorELNS0_4arch9wavefront6targetE1EEEvT1_.private_seg_size, 0
	.set _ZN7rocprim17ROCPRIM_400000_NS6detail17trampoline_kernelINS0_14default_configENS1_35adjacent_difference_config_selectorILb1EjEEZNS1_24adjacent_difference_implIS3_Lb1ELb0EPjS7_N6thrust23THRUST_200600_302600_NS4plusIjEEEE10hipError_tPvRmT2_T3_mT4_P12ihipStream_tbEUlT_E_NS1_11comp_targetILNS1_3genE9ELNS1_11target_archE1100ELNS1_3gpuE3ELNS1_3repE0EEENS1_30default_config_static_selectorELNS0_4arch9wavefront6targetE1EEEvT1_.uses_vcc, 0
	.set _ZN7rocprim17ROCPRIM_400000_NS6detail17trampoline_kernelINS0_14default_configENS1_35adjacent_difference_config_selectorILb1EjEEZNS1_24adjacent_difference_implIS3_Lb1ELb0EPjS7_N6thrust23THRUST_200600_302600_NS4plusIjEEEE10hipError_tPvRmT2_T3_mT4_P12ihipStream_tbEUlT_E_NS1_11comp_targetILNS1_3genE9ELNS1_11target_archE1100ELNS1_3gpuE3ELNS1_3repE0EEENS1_30default_config_static_selectorELNS0_4arch9wavefront6targetE1EEEvT1_.uses_flat_scratch, 0
	.set _ZN7rocprim17ROCPRIM_400000_NS6detail17trampoline_kernelINS0_14default_configENS1_35adjacent_difference_config_selectorILb1EjEEZNS1_24adjacent_difference_implIS3_Lb1ELb0EPjS7_N6thrust23THRUST_200600_302600_NS4plusIjEEEE10hipError_tPvRmT2_T3_mT4_P12ihipStream_tbEUlT_E_NS1_11comp_targetILNS1_3genE9ELNS1_11target_archE1100ELNS1_3gpuE3ELNS1_3repE0EEENS1_30default_config_static_selectorELNS0_4arch9wavefront6targetE1EEEvT1_.has_dyn_sized_stack, 0
	.set _ZN7rocprim17ROCPRIM_400000_NS6detail17trampoline_kernelINS0_14default_configENS1_35adjacent_difference_config_selectorILb1EjEEZNS1_24adjacent_difference_implIS3_Lb1ELb0EPjS7_N6thrust23THRUST_200600_302600_NS4plusIjEEEE10hipError_tPvRmT2_T3_mT4_P12ihipStream_tbEUlT_E_NS1_11comp_targetILNS1_3genE9ELNS1_11target_archE1100ELNS1_3gpuE3ELNS1_3repE0EEENS1_30default_config_static_selectorELNS0_4arch9wavefront6targetE1EEEvT1_.has_recursion, 0
	.set _ZN7rocprim17ROCPRIM_400000_NS6detail17trampoline_kernelINS0_14default_configENS1_35adjacent_difference_config_selectorILb1EjEEZNS1_24adjacent_difference_implIS3_Lb1ELb0EPjS7_N6thrust23THRUST_200600_302600_NS4plusIjEEEE10hipError_tPvRmT2_T3_mT4_P12ihipStream_tbEUlT_E_NS1_11comp_targetILNS1_3genE9ELNS1_11target_archE1100ELNS1_3gpuE3ELNS1_3repE0EEENS1_30default_config_static_selectorELNS0_4arch9wavefront6targetE1EEEvT1_.has_indirect_call, 0
	.section	.AMDGPU.csdata,"",@progbits
; Kernel info:
; codeLenInByte = 0
; TotalNumSgprs: 4
; NumVgprs: 0
; ScratchSize: 0
; MemoryBound: 0
; FloatMode: 240
; IeeeMode: 1
; LDSByteSize: 0 bytes/workgroup (compile time only)
; SGPRBlocks: 0
; VGPRBlocks: 0
; NumSGPRsForWavesPerEU: 4
; NumVGPRsForWavesPerEU: 1
; Occupancy: 10
; WaveLimiterHint : 0
; COMPUTE_PGM_RSRC2:SCRATCH_EN: 0
; COMPUTE_PGM_RSRC2:USER_SGPR: 6
; COMPUTE_PGM_RSRC2:TRAP_HANDLER: 0
; COMPUTE_PGM_RSRC2:TGID_X_EN: 1
; COMPUTE_PGM_RSRC2:TGID_Y_EN: 0
; COMPUTE_PGM_RSRC2:TGID_Z_EN: 0
; COMPUTE_PGM_RSRC2:TIDIG_COMP_CNT: 0
	.section	.text._ZN7rocprim17ROCPRIM_400000_NS6detail17trampoline_kernelINS0_14default_configENS1_35adjacent_difference_config_selectorILb1EjEEZNS1_24adjacent_difference_implIS3_Lb1ELb0EPjS7_N6thrust23THRUST_200600_302600_NS4plusIjEEEE10hipError_tPvRmT2_T3_mT4_P12ihipStream_tbEUlT_E_NS1_11comp_targetILNS1_3genE8ELNS1_11target_archE1030ELNS1_3gpuE2ELNS1_3repE0EEENS1_30default_config_static_selectorELNS0_4arch9wavefront6targetE1EEEvT1_,"axG",@progbits,_ZN7rocprim17ROCPRIM_400000_NS6detail17trampoline_kernelINS0_14default_configENS1_35adjacent_difference_config_selectorILb1EjEEZNS1_24adjacent_difference_implIS3_Lb1ELb0EPjS7_N6thrust23THRUST_200600_302600_NS4plusIjEEEE10hipError_tPvRmT2_T3_mT4_P12ihipStream_tbEUlT_E_NS1_11comp_targetILNS1_3genE8ELNS1_11target_archE1030ELNS1_3gpuE2ELNS1_3repE0EEENS1_30default_config_static_selectorELNS0_4arch9wavefront6targetE1EEEvT1_,comdat
	.protected	_ZN7rocprim17ROCPRIM_400000_NS6detail17trampoline_kernelINS0_14default_configENS1_35adjacent_difference_config_selectorILb1EjEEZNS1_24adjacent_difference_implIS3_Lb1ELb0EPjS7_N6thrust23THRUST_200600_302600_NS4plusIjEEEE10hipError_tPvRmT2_T3_mT4_P12ihipStream_tbEUlT_E_NS1_11comp_targetILNS1_3genE8ELNS1_11target_archE1030ELNS1_3gpuE2ELNS1_3repE0EEENS1_30default_config_static_selectorELNS0_4arch9wavefront6targetE1EEEvT1_ ; -- Begin function _ZN7rocprim17ROCPRIM_400000_NS6detail17trampoline_kernelINS0_14default_configENS1_35adjacent_difference_config_selectorILb1EjEEZNS1_24adjacent_difference_implIS3_Lb1ELb0EPjS7_N6thrust23THRUST_200600_302600_NS4plusIjEEEE10hipError_tPvRmT2_T3_mT4_P12ihipStream_tbEUlT_E_NS1_11comp_targetILNS1_3genE8ELNS1_11target_archE1030ELNS1_3gpuE2ELNS1_3repE0EEENS1_30default_config_static_selectorELNS0_4arch9wavefront6targetE1EEEvT1_
	.globl	_ZN7rocprim17ROCPRIM_400000_NS6detail17trampoline_kernelINS0_14default_configENS1_35adjacent_difference_config_selectorILb1EjEEZNS1_24adjacent_difference_implIS3_Lb1ELb0EPjS7_N6thrust23THRUST_200600_302600_NS4plusIjEEEE10hipError_tPvRmT2_T3_mT4_P12ihipStream_tbEUlT_E_NS1_11comp_targetILNS1_3genE8ELNS1_11target_archE1030ELNS1_3gpuE2ELNS1_3repE0EEENS1_30default_config_static_selectorELNS0_4arch9wavefront6targetE1EEEvT1_
	.p2align	8
	.type	_ZN7rocprim17ROCPRIM_400000_NS6detail17trampoline_kernelINS0_14default_configENS1_35adjacent_difference_config_selectorILb1EjEEZNS1_24adjacent_difference_implIS3_Lb1ELb0EPjS7_N6thrust23THRUST_200600_302600_NS4plusIjEEEE10hipError_tPvRmT2_T3_mT4_P12ihipStream_tbEUlT_E_NS1_11comp_targetILNS1_3genE8ELNS1_11target_archE1030ELNS1_3gpuE2ELNS1_3repE0EEENS1_30default_config_static_selectorELNS0_4arch9wavefront6targetE1EEEvT1_,@function
_ZN7rocprim17ROCPRIM_400000_NS6detail17trampoline_kernelINS0_14default_configENS1_35adjacent_difference_config_selectorILb1EjEEZNS1_24adjacent_difference_implIS3_Lb1ELb0EPjS7_N6thrust23THRUST_200600_302600_NS4plusIjEEEE10hipError_tPvRmT2_T3_mT4_P12ihipStream_tbEUlT_E_NS1_11comp_targetILNS1_3genE8ELNS1_11target_archE1030ELNS1_3gpuE2ELNS1_3repE0EEENS1_30default_config_static_selectorELNS0_4arch9wavefront6targetE1EEEvT1_: ; @_ZN7rocprim17ROCPRIM_400000_NS6detail17trampoline_kernelINS0_14default_configENS1_35adjacent_difference_config_selectorILb1EjEEZNS1_24adjacent_difference_implIS3_Lb1ELb0EPjS7_N6thrust23THRUST_200600_302600_NS4plusIjEEEE10hipError_tPvRmT2_T3_mT4_P12ihipStream_tbEUlT_E_NS1_11comp_targetILNS1_3genE8ELNS1_11target_archE1030ELNS1_3gpuE2ELNS1_3repE0EEENS1_30default_config_static_selectorELNS0_4arch9wavefront6targetE1EEEvT1_
; %bb.0:
	.section	.rodata,"a",@progbits
	.p2align	6, 0x0
	.amdhsa_kernel _ZN7rocprim17ROCPRIM_400000_NS6detail17trampoline_kernelINS0_14default_configENS1_35adjacent_difference_config_selectorILb1EjEEZNS1_24adjacent_difference_implIS3_Lb1ELb0EPjS7_N6thrust23THRUST_200600_302600_NS4plusIjEEEE10hipError_tPvRmT2_T3_mT4_P12ihipStream_tbEUlT_E_NS1_11comp_targetILNS1_3genE8ELNS1_11target_archE1030ELNS1_3gpuE2ELNS1_3repE0EEENS1_30default_config_static_selectorELNS0_4arch9wavefront6targetE1EEEvT1_
		.amdhsa_group_segment_fixed_size 0
		.amdhsa_private_segment_fixed_size 0
		.amdhsa_kernarg_size 56
		.amdhsa_user_sgpr_count 6
		.amdhsa_user_sgpr_private_segment_buffer 1
		.amdhsa_user_sgpr_dispatch_ptr 0
		.amdhsa_user_sgpr_queue_ptr 0
		.amdhsa_user_sgpr_kernarg_segment_ptr 1
		.amdhsa_user_sgpr_dispatch_id 0
		.amdhsa_user_sgpr_flat_scratch_init 0
		.amdhsa_user_sgpr_private_segment_size 0
		.amdhsa_uses_dynamic_stack 0
		.amdhsa_system_sgpr_private_segment_wavefront_offset 0
		.amdhsa_system_sgpr_workgroup_id_x 1
		.amdhsa_system_sgpr_workgroup_id_y 0
		.amdhsa_system_sgpr_workgroup_id_z 0
		.amdhsa_system_sgpr_workgroup_info 0
		.amdhsa_system_vgpr_workitem_id 0
		.amdhsa_next_free_vgpr 1
		.amdhsa_next_free_sgpr 0
		.amdhsa_reserve_vcc 0
		.amdhsa_reserve_flat_scratch 0
		.amdhsa_float_round_mode_32 0
		.amdhsa_float_round_mode_16_64 0
		.amdhsa_float_denorm_mode_32 3
		.amdhsa_float_denorm_mode_16_64 3
		.amdhsa_dx10_clamp 1
		.amdhsa_ieee_mode 1
		.amdhsa_fp16_overflow 0
		.amdhsa_exception_fp_ieee_invalid_op 0
		.amdhsa_exception_fp_denorm_src 0
		.amdhsa_exception_fp_ieee_div_zero 0
		.amdhsa_exception_fp_ieee_overflow 0
		.amdhsa_exception_fp_ieee_underflow 0
		.amdhsa_exception_fp_ieee_inexact 0
		.amdhsa_exception_int_div_zero 0
	.end_amdhsa_kernel
	.section	.text._ZN7rocprim17ROCPRIM_400000_NS6detail17trampoline_kernelINS0_14default_configENS1_35adjacent_difference_config_selectorILb1EjEEZNS1_24adjacent_difference_implIS3_Lb1ELb0EPjS7_N6thrust23THRUST_200600_302600_NS4plusIjEEEE10hipError_tPvRmT2_T3_mT4_P12ihipStream_tbEUlT_E_NS1_11comp_targetILNS1_3genE8ELNS1_11target_archE1030ELNS1_3gpuE2ELNS1_3repE0EEENS1_30default_config_static_selectorELNS0_4arch9wavefront6targetE1EEEvT1_,"axG",@progbits,_ZN7rocprim17ROCPRIM_400000_NS6detail17trampoline_kernelINS0_14default_configENS1_35adjacent_difference_config_selectorILb1EjEEZNS1_24adjacent_difference_implIS3_Lb1ELb0EPjS7_N6thrust23THRUST_200600_302600_NS4plusIjEEEE10hipError_tPvRmT2_T3_mT4_P12ihipStream_tbEUlT_E_NS1_11comp_targetILNS1_3genE8ELNS1_11target_archE1030ELNS1_3gpuE2ELNS1_3repE0EEENS1_30default_config_static_selectorELNS0_4arch9wavefront6targetE1EEEvT1_,comdat
.Lfunc_end204:
	.size	_ZN7rocprim17ROCPRIM_400000_NS6detail17trampoline_kernelINS0_14default_configENS1_35adjacent_difference_config_selectorILb1EjEEZNS1_24adjacent_difference_implIS3_Lb1ELb0EPjS7_N6thrust23THRUST_200600_302600_NS4plusIjEEEE10hipError_tPvRmT2_T3_mT4_P12ihipStream_tbEUlT_E_NS1_11comp_targetILNS1_3genE8ELNS1_11target_archE1030ELNS1_3gpuE2ELNS1_3repE0EEENS1_30default_config_static_selectorELNS0_4arch9wavefront6targetE1EEEvT1_, .Lfunc_end204-_ZN7rocprim17ROCPRIM_400000_NS6detail17trampoline_kernelINS0_14default_configENS1_35adjacent_difference_config_selectorILb1EjEEZNS1_24adjacent_difference_implIS3_Lb1ELb0EPjS7_N6thrust23THRUST_200600_302600_NS4plusIjEEEE10hipError_tPvRmT2_T3_mT4_P12ihipStream_tbEUlT_E_NS1_11comp_targetILNS1_3genE8ELNS1_11target_archE1030ELNS1_3gpuE2ELNS1_3repE0EEENS1_30default_config_static_selectorELNS0_4arch9wavefront6targetE1EEEvT1_
                                        ; -- End function
	.set _ZN7rocprim17ROCPRIM_400000_NS6detail17trampoline_kernelINS0_14default_configENS1_35adjacent_difference_config_selectorILb1EjEEZNS1_24adjacent_difference_implIS3_Lb1ELb0EPjS7_N6thrust23THRUST_200600_302600_NS4plusIjEEEE10hipError_tPvRmT2_T3_mT4_P12ihipStream_tbEUlT_E_NS1_11comp_targetILNS1_3genE8ELNS1_11target_archE1030ELNS1_3gpuE2ELNS1_3repE0EEENS1_30default_config_static_selectorELNS0_4arch9wavefront6targetE1EEEvT1_.num_vgpr, 0
	.set _ZN7rocprim17ROCPRIM_400000_NS6detail17trampoline_kernelINS0_14default_configENS1_35adjacent_difference_config_selectorILb1EjEEZNS1_24adjacent_difference_implIS3_Lb1ELb0EPjS7_N6thrust23THRUST_200600_302600_NS4plusIjEEEE10hipError_tPvRmT2_T3_mT4_P12ihipStream_tbEUlT_E_NS1_11comp_targetILNS1_3genE8ELNS1_11target_archE1030ELNS1_3gpuE2ELNS1_3repE0EEENS1_30default_config_static_selectorELNS0_4arch9wavefront6targetE1EEEvT1_.num_agpr, 0
	.set _ZN7rocprim17ROCPRIM_400000_NS6detail17trampoline_kernelINS0_14default_configENS1_35adjacent_difference_config_selectorILb1EjEEZNS1_24adjacent_difference_implIS3_Lb1ELb0EPjS7_N6thrust23THRUST_200600_302600_NS4plusIjEEEE10hipError_tPvRmT2_T3_mT4_P12ihipStream_tbEUlT_E_NS1_11comp_targetILNS1_3genE8ELNS1_11target_archE1030ELNS1_3gpuE2ELNS1_3repE0EEENS1_30default_config_static_selectorELNS0_4arch9wavefront6targetE1EEEvT1_.numbered_sgpr, 0
	.set _ZN7rocprim17ROCPRIM_400000_NS6detail17trampoline_kernelINS0_14default_configENS1_35adjacent_difference_config_selectorILb1EjEEZNS1_24adjacent_difference_implIS3_Lb1ELb0EPjS7_N6thrust23THRUST_200600_302600_NS4plusIjEEEE10hipError_tPvRmT2_T3_mT4_P12ihipStream_tbEUlT_E_NS1_11comp_targetILNS1_3genE8ELNS1_11target_archE1030ELNS1_3gpuE2ELNS1_3repE0EEENS1_30default_config_static_selectorELNS0_4arch9wavefront6targetE1EEEvT1_.num_named_barrier, 0
	.set _ZN7rocprim17ROCPRIM_400000_NS6detail17trampoline_kernelINS0_14default_configENS1_35adjacent_difference_config_selectorILb1EjEEZNS1_24adjacent_difference_implIS3_Lb1ELb0EPjS7_N6thrust23THRUST_200600_302600_NS4plusIjEEEE10hipError_tPvRmT2_T3_mT4_P12ihipStream_tbEUlT_E_NS1_11comp_targetILNS1_3genE8ELNS1_11target_archE1030ELNS1_3gpuE2ELNS1_3repE0EEENS1_30default_config_static_selectorELNS0_4arch9wavefront6targetE1EEEvT1_.private_seg_size, 0
	.set _ZN7rocprim17ROCPRIM_400000_NS6detail17trampoline_kernelINS0_14default_configENS1_35adjacent_difference_config_selectorILb1EjEEZNS1_24adjacent_difference_implIS3_Lb1ELb0EPjS7_N6thrust23THRUST_200600_302600_NS4plusIjEEEE10hipError_tPvRmT2_T3_mT4_P12ihipStream_tbEUlT_E_NS1_11comp_targetILNS1_3genE8ELNS1_11target_archE1030ELNS1_3gpuE2ELNS1_3repE0EEENS1_30default_config_static_selectorELNS0_4arch9wavefront6targetE1EEEvT1_.uses_vcc, 0
	.set _ZN7rocprim17ROCPRIM_400000_NS6detail17trampoline_kernelINS0_14default_configENS1_35adjacent_difference_config_selectorILb1EjEEZNS1_24adjacent_difference_implIS3_Lb1ELb0EPjS7_N6thrust23THRUST_200600_302600_NS4plusIjEEEE10hipError_tPvRmT2_T3_mT4_P12ihipStream_tbEUlT_E_NS1_11comp_targetILNS1_3genE8ELNS1_11target_archE1030ELNS1_3gpuE2ELNS1_3repE0EEENS1_30default_config_static_selectorELNS0_4arch9wavefront6targetE1EEEvT1_.uses_flat_scratch, 0
	.set _ZN7rocprim17ROCPRIM_400000_NS6detail17trampoline_kernelINS0_14default_configENS1_35adjacent_difference_config_selectorILb1EjEEZNS1_24adjacent_difference_implIS3_Lb1ELb0EPjS7_N6thrust23THRUST_200600_302600_NS4plusIjEEEE10hipError_tPvRmT2_T3_mT4_P12ihipStream_tbEUlT_E_NS1_11comp_targetILNS1_3genE8ELNS1_11target_archE1030ELNS1_3gpuE2ELNS1_3repE0EEENS1_30default_config_static_selectorELNS0_4arch9wavefront6targetE1EEEvT1_.has_dyn_sized_stack, 0
	.set _ZN7rocprim17ROCPRIM_400000_NS6detail17trampoline_kernelINS0_14default_configENS1_35adjacent_difference_config_selectorILb1EjEEZNS1_24adjacent_difference_implIS3_Lb1ELb0EPjS7_N6thrust23THRUST_200600_302600_NS4plusIjEEEE10hipError_tPvRmT2_T3_mT4_P12ihipStream_tbEUlT_E_NS1_11comp_targetILNS1_3genE8ELNS1_11target_archE1030ELNS1_3gpuE2ELNS1_3repE0EEENS1_30default_config_static_selectorELNS0_4arch9wavefront6targetE1EEEvT1_.has_recursion, 0
	.set _ZN7rocprim17ROCPRIM_400000_NS6detail17trampoline_kernelINS0_14default_configENS1_35adjacent_difference_config_selectorILb1EjEEZNS1_24adjacent_difference_implIS3_Lb1ELb0EPjS7_N6thrust23THRUST_200600_302600_NS4plusIjEEEE10hipError_tPvRmT2_T3_mT4_P12ihipStream_tbEUlT_E_NS1_11comp_targetILNS1_3genE8ELNS1_11target_archE1030ELNS1_3gpuE2ELNS1_3repE0EEENS1_30default_config_static_selectorELNS0_4arch9wavefront6targetE1EEEvT1_.has_indirect_call, 0
	.section	.AMDGPU.csdata,"",@progbits
; Kernel info:
; codeLenInByte = 0
; TotalNumSgprs: 4
; NumVgprs: 0
; ScratchSize: 0
; MemoryBound: 0
; FloatMode: 240
; IeeeMode: 1
; LDSByteSize: 0 bytes/workgroup (compile time only)
; SGPRBlocks: 0
; VGPRBlocks: 0
; NumSGPRsForWavesPerEU: 4
; NumVGPRsForWavesPerEU: 1
; Occupancy: 10
; WaveLimiterHint : 0
; COMPUTE_PGM_RSRC2:SCRATCH_EN: 0
; COMPUTE_PGM_RSRC2:USER_SGPR: 6
; COMPUTE_PGM_RSRC2:TRAP_HANDLER: 0
; COMPUTE_PGM_RSRC2:TGID_X_EN: 1
; COMPUTE_PGM_RSRC2:TGID_Y_EN: 0
; COMPUTE_PGM_RSRC2:TGID_Z_EN: 0
; COMPUTE_PGM_RSRC2:TIDIG_COMP_CNT: 0
	.section	.text._ZN6thrust23THRUST_200600_302600_NS11hip_rocprim14__parallel_for6kernelILj256ENS1_20__uninitialized_fill7functorINS0_10device_ptrItEEtEEmLj1EEEvT0_T1_SA_,"axG",@progbits,_ZN6thrust23THRUST_200600_302600_NS11hip_rocprim14__parallel_for6kernelILj256ENS1_20__uninitialized_fill7functorINS0_10device_ptrItEEtEEmLj1EEEvT0_T1_SA_,comdat
	.protected	_ZN6thrust23THRUST_200600_302600_NS11hip_rocprim14__parallel_for6kernelILj256ENS1_20__uninitialized_fill7functorINS0_10device_ptrItEEtEEmLj1EEEvT0_T1_SA_ ; -- Begin function _ZN6thrust23THRUST_200600_302600_NS11hip_rocprim14__parallel_for6kernelILj256ENS1_20__uninitialized_fill7functorINS0_10device_ptrItEEtEEmLj1EEEvT0_T1_SA_
	.globl	_ZN6thrust23THRUST_200600_302600_NS11hip_rocprim14__parallel_for6kernelILj256ENS1_20__uninitialized_fill7functorINS0_10device_ptrItEEtEEmLj1EEEvT0_T1_SA_
	.p2align	8
	.type	_ZN6thrust23THRUST_200600_302600_NS11hip_rocprim14__parallel_for6kernelILj256ENS1_20__uninitialized_fill7functorINS0_10device_ptrItEEtEEmLj1EEEvT0_T1_SA_,@function
_ZN6thrust23THRUST_200600_302600_NS11hip_rocprim14__parallel_for6kernelILj256ENS1_20__uninitialized_fill7functorINS0_10device_ptrItEEtEEmLj1EEEvT0_T1_SA_: ; @_ZN6thrust23THRUST_200600_302600_NS11hip_rocprim14__parallel_for6kernelILj256ENS1_20__uninitialized_fill7functorINS0_10device_ptrItEEtEEmLj1EEEvT0_T1_SA_
; %bb.0:
	s_load_dwordx4 s[12:15], s[4:5], 0x10
	s_load_dwordx2 s[0:1], s[4:5], 0x0
	s_load_dword s8, s[4:5], 0x8
	s_lshl_b32 s2, s6, 8
	v_mov_b32_e32 v1, 0xff
	s_waitcnt lgkmcnt(0)
	s_add_u32 s2, s14, s2
	s_addc_u32 s3, s15, 0
	s_sub_u32 s4, s12, s2
	v_mov_b32_e32 v2, 0
	s_subb_u32 s5, s13, s3
	v_cmp_gt_u64_e32 vcc, s[4:5], v[1:2]
	s_mov_b64 s[6:7], -1
	s_cbranch_vccz .LBB205_3
; %bb.1:
	s_andn2_b64 vcc, exec, s[6:7]
	s_cbranch_vccz .LBB205_6
.LBB205_2:
	s_endpgm
.LBB205_3:
	v_cmp_gt_u32_e32 vcc, s4, v0
	s_and_saveexec_b64 s[4:5], vcc
	s_cbranch_execz .LBB205_5
; %bb.4:
	s_lshl_b64 s[6:7], s[2:3], 1
	s_add_u32 s6, s0, s6
	s_addc_u32 s7, s1, s7
	v_lshlrev_b32_e32 v1, 1, v0
	v_mov_b32_e32 v2, s7
	v_add_co_u32_e32 v1, vcc, s6, v1
	v_addc_co_u32_e32 v2, vcc, 0, v2, vcc
	v_mov_b32_e32 v3, s8
	flat_store_short v[1:2], v3
.LBB205_5:
	s_or_b64 exec, exec, s[4:5]
	s_cbranch_execnz .LBB205_2
.LBB205_6:
	s_lshl_b64 s[2:3], s[2:3], 1
	s_add_u32 s0, s0, s2
	s_addc_u32 s1, s1, s3
	v_lshlrev_b32_e32 v0, 1, v0
	v_mov_b32_e32 v1, s1
	v_add_co_u32_e32 v0, vcc, s0, v0
	v_addc_co_u32_e32 v1, vcc, 0, v1, vcc
	v_mov_b32_e32 v2, s8
	flat_store_short v[0:1], v2
	s_endpgm
	.section	.rodata,"a",@progbits
	.p2align	6, 0x0
	.amdhsa_kernel _ZN6thrust23THRUST_200600_302600_NS11hip_rocprim14__parallel_for6kernelILj256ENS1_20__uninitialized_fill7functorINS0_10device_ptrItEEtEEmLj1EEEvT0_T1_SA_
		.amdhsa_group_segment_fixed_size 0
		.amdhsa_private_segment_fixed_size 0
		.amdhsa_kernarg_size 32
		.amdhsa_user_sgpr_count 6
		.amdhsa_user_sgpr_private_segment_buffer 1
		.amdhsa_user_sgpr_dispatch_ptr 0
		.amdhsa_user_sgpr_queue_ptr 0
		.amdhsa_user_sgpr_kernarg_segment_ptr 1
		.amdhsa_user_sgpr_dispatch_id 0
		.amdhsa_user_sgpr_flat_scratch_init 0
		.amdhsa_user_sgpr_private_segment_size 0
		.amdhsa_uses_dynamic_stack 0
		.amdhsa_system_sgpr_private_segment_wavefront_offset 0
		.amdhsa_system_sgpr_workgroup_id_x 1
		.amdhsa_system_sgpr_workgroup_id_y 0
		.amdhsa_system_sgpr_workgroup_id_z 0
		.amdhsa_system_sgpr_workgroup_info 0
		.amdhsa_system_vgpr_workitem_id 0
		.amdhsa_next_free_vgpr 4
		.amdhsa_next_free_sgpr 16
		.amdhsa_reserve_vcc 1
		.amdhsa_reserve_flat_scratch 0
		.amdhsa_float_round_mode_32 0
		.amdhsa_float_round_mode_16_64 0
		.amdhsa_float_denorm_mode_32 3
		.amdhsa_float_denorm_mode_16_64 3
		.amdhsa_dx10_clamp 1
		.amdhsa_ieee_mode 1
		.amdhsa_fp16_overflow 0
		.amdhsa_exception_fp_ieee_invalid_op 0
		.amdhsa_exception_fp_denorm_src 0
		.amdhsa_exception_fp_ieee_div_zero 0
		.amdhsa_exception_fp_ieee_overflow 0
		.amdhsa_exception_fp_ieee_underflow 0
		.amdhsa_exception_fp_ieee_inexact 0
		.amdhsa_exception_int_div_zero 0
	.end_amdhsa_kernel
	.section	.text._ZN6thrust23THRUST_200600_302600_NS11hip_rocprim14__parallel_for6kernelILj256ENS1_20__uninitialized_fill7functorINS0_10device_ptrItEEtEEmLj1EEEvT0_T1_SA_,"axG",@progbits,_ZN6thrust23THRUST_200600_302600_NS11hip_rocprim14__parallel_for6kernelILj256ENS1_20__uninitialized_fill7functorINS0_10device_ptrItEEtEEmLj1EEEvT0_T1_SA_,comdat
.Lfunc_end205:
	.size	_ZN6thrust23THRUST_200600_302600_NS11hip_rocprim14__parallel_for6kernelILj256ENS1_20__uninitialized_fill7functorINS0_10device_ptrItEEtEEmLj1EEEvT0_T1_SA_, .Lfunc_end205-_ZN6thrust23THRUST_200600_302600_NS11hip_rocprim14__parallel_for6kernelILj256ENS1_20__uninitialized_fill7functorINS0_10device_ptrItEEtEEmLj1EEEvT0_T1_SA_
                                        ; -- End function
	.set _ZN6thrust23THRUST_200600_302600_NS11hip_rocprim14__parallel_for6kernelILj256ENS1_20__uninitialized_fill7functorINS0_10device_ptrItEEtEEmLj1EEEvT0_T1_SA_.num_vgpr, 4
	.set _ZN6thrust23THRUST_200600_302600_NS11hip_rocprim14__parallel_for6kernelILj256ENS1_20__uninitialized_fill7functorINS0_10device_ptrItEEtEEmLj1EEEvT0_T1_SA_.num_agpr, 0
	.set _ZN6thrust23THRUST_200600_302600_NS11hip_rocprim14__parallel_for6kernelILj256ENS1_20__uninitialized_fill7functorINS0_10device_ptrItEEtEEmLj1EEEvT0_T1_SA_.numbered_sgpr, 16
	.set _ZN6thrust23THRUST_200600_302600_NS11hip_rocprim14__parallel_for6kernelILj256ENS1_20__uninitialized_fill7functorINS0_10device_ptrItEEtEEmLj1EEEvT0_T1_SA_.num_named_barrier, 0
	.set _ZN6thrust23THRUST_200600_302600_NS11hip_rocprim14__parallel_for6kernelILj256ENS1_20__uninitialized_fill7functorINS0_10device_ptrItEEtEEmLj1EEEvT0_T1_SA_.private_seg_size, 0
	.set _ZN6thrust23THRUST_200600_302600_NS11hip_rocprim14__parallel_for6kernelILj256ENS1_20__uninitialized_fill7functorINS0_10device_ptrItEEtEEmLj1EEEvT0_T1_SA_.uses_vcc, 1
	.set _ZN6thrust23THRUST_200600_302600_NS11hip_rocprim14__parallel_for6kernelILj256ENS1_20__uninitialized_fill7functorINS0_10device_ptrItEEtEEmLj1EEEvT0_T1_SA_.uses_flat_scratch, 0
	.set _ZN6thrust23THRUST_200600_302600_NS11hip_rocprim14__parallel_for6kernelILj256ENS1_20__uninitialized_fill7functorINS0_10device_ptrItEEtEEmLj1EEEvT0_T1_SA_.has_dyn_sized_stack, 0
	.set _ZN6thrust23THRUST_200600_302600_NS11hip_rocprim14__parallel_for6kernelILj256ENS1_20__uninitialized_fill7functorINS0_10device_ptrItEEtEEmLj1EEEvT0_T1_SA_.has_recursion, 0
	.set _ZN6thrust23THRUST_200600_302600_NS11hip_rocprim14__parallel_for6kernelILj256ENS1_20__uninitialized_fill7functorINS0_10device_ptrItEEtEEmLj1EEEvT0_T1_SA_.has_indirect_call, 0
	.section	.AMDGPU.csdata,"",@progbits
; Kernel info:
; codeLenInByte = 188
; TotalNumSgprs: 20
; NumVgprs: 4
; ScratchSize: 0
; MemoryBound: 0
; FloatMode: 240
; IeeeMode: 1
; LDSByteSize: 0 bytes/workgroup (compile time only)
; SGPRBlocks: 2
; VGPRBlocks: 0
; NumSGPRsForWavesPerEU: 20
; NumVGPRsForWavesPerEU: 4
; Occupancy: 10
; WaveLimiterHint : 0
; COMPUTE_PGM_RSRC2:SCRATCH_EN: 0
; COMPUTE_PGM_RSRC2:USER_SGPR: 6
; COMPUTE_PGM_RSRC2:TRAP_HANDLER: 0
; COMPUTE_PGM_RSRC2:TGID_X_EN: 1
; COMPUTE_PGM_RSRC2:TGID_Y_EN: 0
; COMPUTE_PGM_RSRC2:TGID_Z_EN: 0
; COMPUTE_PGM_RSRC2:TIDIG_COMP_CNT: 0
	.section	.text._ZN7rocprim17ROCPRIM_400000_NS6detail17trampoline_kernelINS0_14default_configENS1_35adjacent_difference_config_selectorILb0EtEEZNS1_24adjacent_difference_implIS3_Lb0ELb0EPtS7_N6thrust23THRUST_200600_302600_NS5minusItEEEE10hipError_tPvRmT2_T3_mT4_P12ihipStream_tbEUlT_E_NS1_11comp_targetILNS1_3genE0ELNS1_11target_archE4294967295ELNS1_3gpuE0ELNS1_3repE0EEENS1_30default_config_static_selectorELNS0_4arch9wavefront6targetE1EEEvT1_,"axG",@progbits,_ZN7rocprim17ROCPRIM_400000_NS6detail17trampoline_kernelINS0_14default_configENS1_35adjacent_difference_config_selectorILb0EtEEZNS1_24adjacent_difference_implIS3_Lb0ELb0EPtS7_N6thrust23THRUST_200600_302600_NS5minusItEEEE10hipError_tPvRmT2_T3_mT4_P12ihipStream_tbEUlT_E_NS1_11comp_targetILNS1_3genE0ELNS1_11target_archE4294967295ELNS1_3gpuE0ELNS1_3repE0EEENS1_30default_config_static_selectorELNS0_4arch9wavefront6targetE1EEEvT1_,comdat
	.protected	_ZN7rocprim17ROCPRIM_400000_NS6detail17trampoline_kernelINS0_14default_configENS1_35adjacent_difference_config_selectorILb0EtEEZNS1_24adjacent_difference_implIS3_Lb0ELb0EPtS7_N6thrust23THRUST_200600_302600_NS5minusItEEEE10hipError_tPvRmT2_T3_mT4_P12ihipStream_tbEUlT_E_NS1_11comp_targetILNS1_3genE0ELNS1_11target_archE4294967295ELNS1_3gpuE0ELNS1_3repE0EEENS1_30default_config_static_selectorELNS0_4arch9wavefront6targetE1EEEvT1_ ; -- Begin function _ZN7rocprim17ROCPRIM_400000_NS6detail17trampoline_kernelINS0_14default_configENS1_35adjacent_difference_config_selectorILb0EtEEZNS1_24adjacent_difference_implIS3_Lb0ELb0EPtS7_N6thrust23THRUST_200600_302600_NS5minusItEEEE10hipError_tPvRmT2_T3_mT4_P12ihipStream_tbEUlT_E_NS1_11comp_targetILNS1_3genE0ELNS1_11target_archE4294967295ELNS1_3gpuE0ELNS1_3repE0EEENS1_30default_config_static_selectorELNS0_4arch9wavefront6targetE1EEEvT1_
	.globl	_ZN7rocprim17ROCPRIM_400000_NS6detail17trampoline_kernelINS0_14default_configENS1_35adjacent_difference_config_selectorILb0EtEEZNS1_24adjacent_difference_implIS3_Lb0ELb0EPtS7_N6thrust23THRUST_200600_302600_NS5minusItEEEE10hipError_tPvRmT2_T3_mT4_P12ihipStream_tbEUlT_E_NS1_11comp_targetILNS1_3genE0ELNS1_11target_archE4294967295ELNS1_3gpuE0ELNS1_3repE0EEENS1_30default_config_static_selectorELNS0_4arch9wavefront6targetE1EEEvT1_
	.p2align	8
	.type	_ZN7rocprim17ROCPRIM_400000_NS6detail17trampoline_kernelINS0_14default_configENS1_35adjacent_difference_config_selectorILb0EtEEZNS1_24adjacent_difference_implIS3_Lb0ELb0EPtS7_N6thrust23THRUST_200600_302600_NS5minusItEEEE10hipError_tPvRmT2_T3_mT4_P12ihipStream_tbEUlT_E_NS1_11comp_targetILNS1_3genE0ELNS1_11target_archE4294967295ELNS1_3gpuE0ELNS1_3repE0EEENS1_30default_config_static_selectorELNS0_4arch9wavefront6targetE1EEEvT1_,@function
_ZN7rocprim17ROCPRIM_400000_NS6detail17trampoline_kernelINS0_14default_configENS1_35adjacent_difference_config_selectorILb0EtEEZNS1_24adjacent_difference_implIS3_Lb0ELb0EPtS7_N6thrust23THRUST_200600_302600_NS5minusItEEEE10hipError_tPvRmT2_T3_mT4_P12ihipStream_tbEUlT_E_NS1_11comp_targetILNS1_3genE0ELNS1_11target_archE4294967295ELNS1_3gpuE0ELNS1_3repE0EEENS1_30default_config_static_selectorELNS0_4arch9wavefront6targetE1EEEvT1_: ; @_ZN7rocprim17ROCPRIM_400000_NS6detail17trampoline_kernelINS0_14default_configENS1_35adjacent_difference_config_selectorILb0EtEEZNS1_24adjacent_difference_implIS3_Lb0ELb0EPtS7_N6thrust23THRUST_200600_302600_NS5minusItEEEE10hipError_tPvRmT2_T3_mT4_P12ihipStream_tbEUlT_E_NS1_11comp_targetILNS1_3genE0ELNS1_11target_archE4294967295ELNS1_3gpuE0ELNS1_3repE0EEENS1_30default_config_static_selectorELNS0_4arch9wavefront6targetE1EEEvT1_
; %bb.0:
	.section	.rodata,"a",@progbits
	.p2align	6, 0x0
	.amdhsa_kernel _ZN7rocprim17ROCPRIM_400000_NS6detail17trampoline_kernelINS0_14default_configENS1_35adjacent_difference_config_selectorILb0EtEEZNS1_24adjacent_difference_implIS3_Lb0ELb0EPtS7_N6thrust23THRUST_200600_302600_NS5minusItEEEE10hipError_tPvRmT2_T3_mT4_P12ihipStream_tbEUlT_E_NS1_11comp_targetILNS1_3genE0ELNS1_11target_archE4294967295ELNS1_3gpuE0ELNS1_3repE0EEENS1_30default_config_static_selectorELNS0_4arch9wavefront6targetE1EEEvT1_
		.amdhsa_group_segment_fixed_size 0
		.amdhsa_private_segment_fixed_size 0
		.amdhsa_kernarg_size 56
		.amdhsa_user_sgpr_count 6
		.amdhsa_user_sgpr_private_segment_buffer 1
		.amdhsa_user_sgpr_dispatch_ptr 0
		.amdhsa_user_sgpr_queue_ptr 0
		.amdhsa_user_sgpr_kernarg_segment_ptr 1
		.amdhsa_user_sgpr_dispatch_id 0
		.amdhsa_user_sgpr_flat_scratch_init 0
		.amdhsa_user_sgpr_private_segment_size 0
		.amdhsa_uses_dynamic_stack 0
		.amdhsa_system_sgpr_private_segment_wavefront_offset 0
		.amdhsa_system_sgpr_workgroup_id_x 1
		.amdhsa_system_sgpr_workgroup_id_y 0
		.amdhsa_system_sgpr_workgroup_id_z 0
		.amdhsa_system_sgpr_workgroup_info 0
		.amdhsa_system_vgpr_workitem_id 0
		.amdhsa_next_free_vgpr 1
		.amdhsa_next_free_sgpr 0
		.amdhsa_reserve_vcc 0
		.amdhsa_reserve_flat_scratch 0
		.amdhsa_float_round_mode_32 0
		.amdhsa_float_round_mode_16_64 0
		.amdhsa_float_denorm_mode_32 3
		.amdhsa_float_denorm_mode_16_64 3
		.amdhsa_dx10_clamp 1
		.amdhsa_ieee_mode 1
		.amdhsa_fp16_overflow 0
		.amdhsa_exception_fp_ieee_invalid_op 0
		.amdhsa_exception_fp_denorm_src 0
		.amdhsa_exception_fp_ieee_div_zero 0
		.amdhsa_exception_fp_ieee_overflow 0
		.amdhsa_exception_fp_ieee_underflow 0
		.amdhsa_exception_fp_ieee_inexact 0
		.amdhsa_exception_int_div_zero 0
	.end_amdhsa_kernel
	.section	.text._ZN7rocprim17ROCPRIM_400000_NS6detail17trampoline_kernelINS0_14default_configENS1_35adjacent_difference_config_selectorILb0EtEEZNS1_24adjacent_difference_implIS3_Lb0ELb0EPtS7_N6thrust23THRUST_200600_302600_NS5minusItEEEE10hipError_tPvRmT2_T3_mT4_P12ihipStream_tbEUlT_E_NS1_11comp_targetILNS1_3genE0ELNS1_11target_archE4294967295ELNS1_3gpuE0ELNS1_3repE0EEENS1_30default_config_static_selectorELNS0_4arch9wavefront6targetE1EEEvT1_,"axG",@progbits,_ZN7rocprim17ROCPRIM_400000_NS6detail17trampoline_kernelINS0_14default_configENS1_35adjacent_difference_config_selectorILb0EtEEZNS1_24adjacent_difference_implIS3_Lb0ELb0EPtS7_N6thrust23THRUST_200600_302600_NS5minusItEEEE10hipError_tPvRmT2_T3_mT4_P12ihipStream_tbEUlT_E_NS1_11comp_targetILNS1_3genE0ELNS1_11target_archE4294967295ELNS1_3gpuE0ELNS1_3repE0EEENS1_30default_config_static_selectorELNS0_4arch9wavefront6targetE1EEEvT1_,comdat
.Lfunc_end206:
	.size	_ZN7rocprim17ROCPRIM_400000_NS6detail17trampoline_kernelINS0_14default_configENS1_35adjacent_difference_config_selectorILb0EtEEZNS1_24adjacent_difference_implIS3_Lb0ELb0EPtS7_N6thrust23THRUST_200600_302600_NS5minusItEEEE10hipError_tPvRmT2_T3_mT4_P12ihipStream_tbEUlT_E_NS1_11comp_targetILNS1_3genE0ELNS1_11target_archE4294967295ELNS1_3gpuE0ELNS1_3repE0EEENS1_30default_config_static_selectorELNS0_4arch9wavefront6targetE1EEEvT1_, .Lfunc_end206-_ZN7rocprim17ROCPRIM_400000_NS6detail17trampoline_kernelINS0_14default_configENS1_35adjacent_difference_config_selectorILb0EtEEZNS1_24adjacent_difference_implIS3_Lb0ELb0EPtS7_N6thrust23THRUST_200600_302600_NS5minusItEEEE10hipError_tPvRmT2_T3_mT4_P12ihipStream_tbEUlT_E_NS1_11comp_targetILNS1_3genE0ELNS1_11target_archE4294967295ELNS1_3gpuE0ELNS1_3repE0EEENS1_30default_config_static_selectorELNS0_4arch9wavefront6targetE1EEEvT1_
                                        ; -- End function
	.set _ZN7rocprim17ROCPRIM_400000_NS6detail17trampoline_kernelINS0_14default_configENS1_35adjacent_difference_config_selectorILb0EtEEZNS1_24adjacent_difference_implIS3_Lb0ELb0EPtS7_N6thrust23THRUST_200600_302600_NS5minusItEEEE10hipError_tPvRmT2_T3_mT4_P12ihipStream_tbEUlT_E_NS1_11comp_targetILNS1_3genE0ELNS1_11target_archE4294967295ELNS1_3gpuE0ELNS1_3repE0EEENS1_30default_config_static_selectorELNS0_4arch9wavefront6targetE1EEEvT1_.num_vgpr, 0
	.set _ZN7rocprim17ROCPRIM_400000_NS6detail17trampoline_kernelINS0_14default_configENS1_35adjacent_difference_config_selectorILb0EtEEZNS1_24adjacent_difference_implIS3_Lb0ELb0EPtS7_N6thrust23THRUST_200600_302600_NS5minusItEEEE10hipError_tPvRmT2_T3_mT4_P12ihipStream_tbEUlT_E_NS1_11comp_targetILNS1_3genE0ELNS1_11target_archE4294967295ELNS1_3gpuE0ELNS1_3repE0EEENS1_30default_config_static_selectorELNS0_4arch9wavefront6targetE1EEEvT1_.num_agpr, 0
	.set _ZN7rocprim17ROCPRIM_400000_NS6detail17trampoline_kernelINS0_14default_configENS1_35adjacent_difference_config_selectorILb0EtEEZNS1_24adjacent_difference_implIS3_Lb0ELb0EPtS7_N6thrust23THRUST_200600_302600_NS5minusItEEEE10hipError_tPvRmT2_T3_mT4_P12ihipStream_tbEUlT_E_NS1_11comp_targetILNS1_3genE0ELNS1_11target_archE4294967295ELNS1_3gpuE0ELNS1_3repE0EEENS1_30default_config_static_selectorELNS0_4arch9wavefront6targetE1EEEvT1_.numbered_sgpr, 0
	.set _ZN7rocprim17ROCPRIM_400000_NS6detail17trampoline_kernelINS0_14default_configENS1_35adjacent_difference_config_selectorILb0EtEEZNS1_24adjacent_difference_implIS3_Lb0ELb0EPtS7_N6thrust23THRUST_200600_302600_NS5minusItEEEE10hipError_tPvRmT2_T3_mT4_P12ihipStream_tbEUlT_E_NS1_11comp_targetILNS1_3genE0ELNS1_11target_archE4294967295ELNS1_3gpuE0ELNS1_3repE0EEENS1_30default_config_static_selectorELNS0_4arch9wavefront6targetE1EEEvT1_.num_named_barrier, 0
	.set _ZN7rocprim17ROCPRIM_400000_NS6detail17trampoline_kernelINS0_14default_configENS1_35adjacent_difference_config_selectorILb0EtEEZNS1_24adjacent_difference_implIS3_Lb0ELb0EPtS7_N6thrust23THRUST_200600_302600_NS5minusItEEEE10hipError_tPvRmT2_T3_mT4_P12ihipStream_tbEUlT_E_NS1_11comp_targetILNS1_3genE0ELNS1_11target_archE4294967295ELNS1_3gpuE0ELNS1_3repE0EEENS1_30default_config_static_selectorELNS0_4arch9wavefront6targetE1EEEvT1_.private_seg_size, 0
	.set _ZN7rocprim17ROCPRIM_400000_NS6detail17trampoline_kernelINS0_14default_configENS1_35adjacent_difference_config_selectorILb0EtEEZNS1_24adjacent_difference_implIS3_Lb0ELb0EPtS7_N6thrust23THRUST_200600_302600_NS5minusItEEEE10hipError_tPvRmT2_T3_mT4_P12ihipStream_tbEUlT_E_NS1_11comp_targetILNS1_3genE0ELNS1_11target_archE4294967295ELNS1_3gpuE0ELNS1_3repE0EEENS1_30default_config_static_selectorELNS0_4arch9wavefront6targetE1EEEvT1_.uses_vcc, 0
	.set _ZN7rocprim17ROCPRIM_400000_NS6detail17trampoline_kernelINS0_14default_configENS1_35adjacent_difference_config_selectorILb0EtEEZNS1_24adjacent_difference_implIS3_Lb0ELb0EPtS7_N6thrust23THRUST_200600_302600_NS5minusItEEEE10hipError_tPvRmT2_T3_mT4_P12ihipStream_tbEUlT_E_NS1_11comp_targetILNS1_3genE0ELNS1_11target_archE4294967295ELNS1_3gpuE0ELNS1_3repE0EEENS1_30default_config_static_selectorELNS0_4arch9wavefront6targetE1EEEvT1_.uses_flat_scratch, 0
	.set _ZN7rocprim17ROCPRIM_400000_NS6detail17trampoline_kernelINS0_14default_configENS1_35adjacent_difference_config_selectorILb0EtEEZNS1_24adjacent_difference_implIS3_Lb0ELb0EPtS7_N6thrust23THRUST_200600_302600_NS5minusItEEEE10hipError_tPvRmT2_T3_mT4_P12ihipStream_tbEUlT_E_NS1_11comp_targetILNS1_3genE0ELNS1_11target_archE4294967295ELNS1_3gpuE0ELNS1_3repE0EEENS1_30default_config_static_selectorELNS0_4arch9wavefront6targetE1EEEvT1_.has_dyn_sized_stack, 0
	.set _ZN7rocprim17ROCPRIM_400000_NS6detail17trampoline_kernelINS0_14default_configENS1_35adjacent_difference_config_selectorILb0EtEEZNS1_24adjacent_difference_implIS3_Lb0ELb0EPtS7_N6thrust23THRUST_200600_302600_NS5minusItEEEE10hipError_tPvRmT2_T3_mT4_P12ihipStream_tbEUlT_E_NS1_11comp_targetILNS1_3genE0ELNS1_11target_archE4294967295ELNS1_3gpuE0ELNS1_3repE0EEENS1_30default_config_static_selectorELNS0_4arch9wavefront6targetE1EEEvT1_.has_recursion, 0
	.set _ZN7rocprim17ROCPRIM_400000_NS6detail17trampoline_kernelINS0_14default_configENS1_35adjacent_difference_config_selectorILb0EtEEZNS1_24adjacent_difference_implIS3_Lb0ELb0EPtS7_N6thrust23THRUST_200600_302600_NS5minusItEEEE10hipError_tPvRmT2_T3_mT4_P12ihipStream_tbEUlT_E_NS1_11comp_targetILNS1_3genE0ELNS1_11target_archE4294967295ELNS1_3gpuE0ELNS1_3repE0EEENS1_30default_config_static_selectorELNS0_4arch9wavefront6targetE1EEEvT1_.has_indirect_call, 0
	.section	.AMDGPU.csdata,"",@progbits
; Kernel info:
; codeLenInByte = 0
; TotalNumSgprs: 4
; NumVgprs: 0
; ScratchSize: 0
; MemoryBound: 0
; FloatMode: 240
; IeeeMode: 1
; LDSByteSize: 0 bytes/workgroup (compile time only)
; SGPRBlocks: 0
; VGPRBlocks: 0
; NumSGPRsForWavesPerEU: 4
; NumVGPRsForWavesPerEU: 1
; Occupancy: 10
; WaveLimiterHint : 0
; COMPUTE_PGM_RSRC2:SCRATCH_EN: 0
; COMPUTE_PGM_RSRC2:USER_SGPR: 6
; COMPUTE_PGM_RSRC2:TRAP_HANDLER: 0
; COMPUTE_PGM_RSRC2:TGID_X_EN: 1
; COMPUTE_PGM_RSRC2:TGID_Y_EN: 0
; COMPUTE_PGM_RSRC2:TGID_Z_EN: 0
; COMPUTE_PGM_RSRC2:TIDIG_COMP_CNT: 0
	.section	.text._ZN7rocprim17ROCPRIM_400000_NS6detail17trampoline_kernelINS0_14default_configENS1_35adjacent_difference_config_selectorILb0EtEEZNS1_24adjacent_difference_implIS3_Lb0ELb0EPtS7_N6thrust23THRUST_200600_302600_NS5minusItEEEE10hipError_tPvRmT2_T3_mT4_P12ihipStream_tbEUlT_E_NS1_11comp_targetILNS1_3genE10ELNS1_11target_archE1201ELNS1_3gpuE5ELNS1_3repE0EEENS1_30default_config_static_selectorELNS0_4arch9wavefront6targetE1EEEvT1_,"axG",@progbits,_ZN7rocprim17ROCPRIM_400000_NS6detail17trampoline_kernelINS0_14default_configENS1_35adjacent_difference_config_selectorILb0EtEEZNS1_24adjacent_difference_implIS3_Lb0ELb0EPtS7_N6thrust23THRUST_200600_302600_NS5minusItEEEE10hipError_tPvRmT2_T3_mT4_P12ihipStream_tbEUlT_E_NS1_11comp_targetILNS1_3genE10ELNS1_11target_archE1201ELNS1_3gpuE5ELNS1_3repE0EEENS1_30default_config_static_selectorELNS0_4arch9wavefront6targetE1EEEvT1_,comdat
	.protected	_ZN7rocprim17ROCPRIM_400000_NS6detail17trampoline_kernelINS0_14default_configENS1_35adjacent_difference_config_selectorILb0EtEEZNS1_24adjacent_difference_implIS3_Lb0ELb0EPtS7_N6thrust23THRUST_200600_302600_NS5minusItEEEE10hipError_tPvRmT2_T3_mT4_P12ihipStream_tbEUlT_E_NS1_11comp_targetILNS1_3genE10ELNS1_11target_archE1201ELNS1_3gpuE5ELNS1_3repE0EEENS1_30default_config_static_selectorELNS0_4arch9wavefront6targetE1EEEvT1_ ; -- Begin function _ZN7rocprim17ROCPRIM_400000_NS6detail17trampoline_kernelINS0_14default_configENS1_35adjacent_difference_config_selectorILb0EtEEZNS1_24adjacent_difference_implIS3_Lb0ELb0EPtS7_N6thrust23THRUST_200600_302600_NS5minusItEEEE10hipError_tPvRmT2_T3_mT4_P12ihipStream_tbEUlT_E_NS1_11comp_targetILNS1_3genE10ELNS1_11target_archE1201ELNS1_3gpuE5ELNS1_3repE0EEENS1_30default_config_static_selectorELNS0_4arch9wavefront6targetE1EEEvT1_
	.globl	_ZN7rocprim17ROCPRIM_400000_NS6detail17trampoline_kernelINS0_14default_configENS1_35adjacent_difference_config_selectorILb0EtEEZNS1_24adjacent_difference_implIS3_Lb0ELb0EPtS7_N6thrust23THRUST_200600_302600_NS5minusItEEEE10hipError_tPvRmT2_T3_mT4_P12ihipStream_tbEUlT_E_NS1_11comp_targetILNS1_3genE10ELNS1_11target_archE1201ELNS1_3gpuE5ELNS1_3repE0EEENS1_30default_config_static_selectorELNS0_4arch9wavefront6targetE1EEEvT1_
	.p2align	8
	.type	_ZN7rocprim17ROCPRIM_400000_NS6detail17trampoline_kernelINS0_14default_configENS1_35adjacent_difference_config_selectorILb0EtEEZNS1_24adjacent_difference_implIS3_Lb0ELb0EPtS7_N6thrust23THRUST_200600_302600_NS5minusItEEEE10hipError_tPvRmT2_T3_mT4_P12ihipStream_tbEUlT_E_NS1_11comp_targetILNS1_3genE10ELNS1_11target_archE1201ELNS1_3gpuE5ELNS1_3repE0EEENS1_30default_config_static_selectorELNS0_4arch9wavefront6targetE1EEEvT1_,@function
_ZN7rocprim17ROCPRIM_400000_NS6detail17trampoline_kernelINS0_14default_configENS1_35adjacent_difference_config_selectorILb0EtEEZNS1_24adjacent_difference_implIS3_Lb0ELb0EPtS7_N6thrust23THRUST_200600_302600_NS5minusItEEEE10hipError_tPvRmT2_T3_mT4_P12ihipStream_tbEUlT_E_NS1_11comp_targetILNS1_3genE10ELNS1_11target_archE1201ELNS1_3gpuE5ELNS1_3repE0EEENS1_30default_config_static_selectorELNS0_4arch9wavefront6targetE1EEEvT1_: ; @_ZN7rocprim17ROCPRIM_400000_NS6detail17trampoline_kernelINS0_14default_configENS1_35adjacent_difference_config_selectorILb0EtEEZNS1_24adjacent_difference_implIS3_Lb0ELb0EPtS7_N6thrust23THRUST_200600_302600_NS5minusItEEEE10hipError_tPvRmT2_T3_mT4_P12ihipStream_tbEUlT_E_NS1_11comp_targetILNS1_3genE10ELNS1_11target_archE1201ELNS1_3gpuE5ELNS1_3repE0EEENS1_30default_config_static_selectorELNS0_4arch9wavefront6targetE1EEEvT1_
; %bb.0:
	.section	.rodata,"a",@progbits
	.p2align	6, 0x0
	.amdhsa_kernel _ZN7rocprim17ROCPRIM_400000_NS6detail17trampoline_kernelINS0_14default_configENS1_35adjacent_difference_config_selectorILb0EtEEZNS1_24adjacent_difference_implIS3_Lb0ELb0EPtS7_N6thrust23THRUST_200600_302600_NS5minusItEEEE10hipError_tPvRmT2_T3_mT4_P12ihipStream_tbEUlT_E_NS1_11comp_targetILNS1_3genE10ELNS1_11target_archE1201ELNS1_3gpuE5ELNS1_3repE0EEENS1_30default_config_static_selectorELNS0_4arch9wavefront6targetE1EEEvT1_
		.amdhsa_group_segment_fixed_size 0
		.amdhsa_private_segment_fixed_size 0
		.amdhsa_kernarg_size 56
		.amdhsa_user_sgpr_count 6
		.amdhsa_user_sgpr_private_segment_buffer 1
		.amdhsa_user_sgpr_dispatch_ptr 0
		.amdhsa_user_sgpr_queue_ptr 0
		.amdhsa_user_sgpr_kernarg_segment_ptr 1
		.amdhsa_user_sgpr_dispatch_id 0
		.amdhsa_user_sgpr_flat_scratch_init 0
		.amdhsa_user_sgpr_private_segment_size 0
		.amdhsa_uses_dynamic_stack 0
		.amdhsa_system_sgpr_private_segment_wavefront_offset 0
		.amdhsa_system_sgpr_workgroup_id_x 1
		.amdhsa_system_sgpr_workgroup_id_y 0
		.amdhsa_system_sgpr_workgroup_id_z 0
		.amdhsa_system_sgpr_workgroup_info 0
		.amdhsa_system_vgpr_workitem_id 0
		.amdhsa_next_free_vgpr 1
		.amdhsa_next_free_sgpr 0
		.amdhsa_reserve_vcc 0
		.amdhsa_reserve_flat_scratch 0
		.amdhsa_float_round_mode_32 0
		.amdhsa_float_round_mode_16_64 0
		.amdhsa_float_denorm_mode_32 3
		.amdhsa_float_denorm_mode_16_64 3
		.amdhsa_dx10_clamp 1
		.amdhsa_ieee_mode 1
		.amdhsa_fp16_overflow 0
		.amdhsa_exception_fp_ieee_invalid_op 0
		.amdhsa_exception_fp_denorm_src 0
		.amdhsa_exception_fp_ieee_div_zero 0
		.amdhsa_exception_fp_ieee_overflow 0
		.amdhsa_exception_fp_ieee_underflow 0
		.amdhsa_exception_fp_ieee_inexact 0
		.amdhsa_exception_int_div_zero 0
	.end_amdhsa_kernel
	.section	.text._ZN7rocprim17ROCPRIM_400000_NS6detail17trampoline_kernelINS0_14default_configENS1_35adjacent_difference_config_selectorILb0EtEEZNS1_24adjacent_difference_implIS3_Lb0ELb0EPtS7_N6thrust23THRUST_200600_302600_NS5minusItEEEE10hipError_tPvRmT2_T3_mT4_P12ihipStream_tbEUlT_E_NS1_11comp_targetILNS1_3genE10ELNS1_11target_archE1201ELNS1_3gpuE5ELNS1_3repE0EEENS1_30default_config_static_selectorELNS0_4arch9wavefront6targetE1EEEvT1_,"axG",@progbits,_ZN7rocprim17ROCPRIM_400000_NS6detail17trampoline_kernelINS0_14default_configENS1_35adjacent_difference_config_selectorILb0EtEEZNS1_24adjacent_difference_implIS3_Lb0ELb0EPtS7_N6thrust23THRUST_200600_302600_NS5minusItEEEE10hipError_tPvRmT2_T3_mT4_P12ihipStream_tbEUlT_E_NS1_11comp_targetILNS1_3genE10ELNS1_11target_archE1201ELNS1_3gpuE5ELNS1_3repE0EEENS1_30default_config_static_selectorELNS0_4arch9wavefront6targetE1EEEvT1_,comdat
.Lfunc_end207:
	.size	_ZN7rocprim17ROCPRIM_400000_NS6detail17trampoline_kernelINS0_14default_configENS1_35adjacent_difference_config_selectorILb0EtEEZNS1_24adjacent_difference_implIS3_Lb0ELb0EPtS7_N6thrust23THRUST_200600_302600_NS5minusItEEEE10hipError_tPvRmT2_T3_mT4_P12ihipStream_tbEUlT_E_NS1_11comp_targetILNS1_3genE10ELNS1_11target_archE1201ELNS1_3gpuE5ELNS1_3repE0EEENS1_30default_config_static_selectorELNS0_4arch9wavefront6targetE1EEEvT1_, .Lfunc_end207-_ZN7rocprim17ROCPRIM_400000_NS6detail17trampoline_kernelINS0_14default_configENS1_35adjacent_difference_config_selectorILb0EtEEZNS1_24adjacent_difference_implIS3_Lb0ELb0EPtS7_N6thrust23THRUST_200600_302600_NS5minusItEEEE10hipError_tPvRmT2_T3_mT4_P12ihipStream_tbEUlT_E_NS1_11comp_targetILNS1_3genE10ELNS1_11target_archE1201ELNS1_3gpuE5ELNS1_3repE0EEENS1_30default_config_static_selectorELNS0_4arch9wavefront6targetE1EEEvT1_
                                        ; -- End function
	.set _ZN7rocprim17ROCPRIM_400000_NS6detail17trampoline_kernelINS0_14default_configENS1_35adjacent_difference_config_selectorILb0EtEEZNS1_24adjacent_difference_implIS3_Lb0ELb0EPtS7_N6thrust23THRUST_200600_302600_NS5minusItEEEE10hipError_tPvRmT2_T3_mT4_P12ihipStream_tbEUlT_E_NS1_11comp_targetILNS1_3genE10ELNS1_11target_archE1201ELNS1_3gpuE5ELNS1_3repE0EEENS1_30default_config_static_selectorELNS0_4arch9wavefront6targetE1EEEvT1_.num_vgpr, 0
	.set _ZN7rocprim17ROCPRIM_400000_NS6detail17trampoline_kernelINS0_14default_configENS1_35adjacent_difference_config_selectorILb0EtEEZNS1_24adjacent_difference_implIS3_Lb0ELb0EPtS7_N6thrust23THRUST_200600_302600_NS5minusItEEEE10hipError_tPvRmT2_T3_mT4_P12ihipStream_tbEUlT_E_NS1_11comp_targetILNS1_3genE10ELNS1_11target_archE1201ELNS1_3gpuE5ELNS1_3repE0EEENS1_30default_config_static_selectorELNS0_4arch9wavefront6targetE1EEEvT1_.num_agpr, 0
	.set _ZN7rocprim17ROCPRIM_400000_NS6detail17trampoline_kernelINS0_14default_configENS1_35adjacent_difference_config_selectorILb0EtEEZNS1_24adjacent_difference_implIS3_Lb0ELb0EPtS7_N6thrust23THRUST_200600_302600_NS5minusItEEEE10hipError_tPvRmT2_T3_mT4_P12ihipStream_tbEUlT_E_NS1_11comp_targetILNS1_3genE10ELNS1_11target_archE1201ELNS1_3gpuE5ELNS1_3repE0EEENS1_30default_config_static_selectorELNS0_4arch9wavefront6targetE1EEEvT1_.numbered_sgpr, 0
	.set _ZN7rocprim17ROCPRIM_400000_NS6detail17trampoline_kernelINS0_14default_configENS1_35adjacent_difference_config_selectorILb0EtEEZNS1_24adjacent_difference_implIS3_Lb0ELb0EPtS7_N6thrust23THRUST_200600_302600_NS5minusItEEEE10hipError_tPvRmT2_T3_mT4_P12ihipStream_tbEUlT_E_NS1_11comp_targetILNS1_3genE10ELNS1_11target_archE1201ELNS1_3gpuE5ELNS1_3repE0EEENS1_30default_config_static_selectorELNS0_4arch9wavefront6targetE1EEEvT1_.num_named_barrier, 0
	.set _ZN7rocprim17ROCPRIM_400000_NS6detail17trampoline_kernelINS0_14default_configENS1_35adjacent_difference_config_selectorILb0EtEEZNS1_24adjacent_difference_implIS3_Lb0ELb0EPtS7_N6thrust23THRUST_200600_302600_NS5minusItEEEE10hipError_tPvRmT2_T3_mT4_P12ihipStream_tbEUlT_E_NS1_11comp_targetILNS1_3genE10ELNS1_11target_archE1201ELNS1_3gpuE5ELNS1_3repE0EEENS1_30default_config_static_selectorELNS0_4arch9wavefront6targetE1EEEvT1_.private_seg_size, 0
	.set _ZN7rocprim17ROCPRIM_400000_NS6detail17trampoline_kernelINS0_14default_configENS1_35adjacent_difference_config_selectorILb0EtEEZNS1_24adjacent_difference_implIS3_Lb0ELb0EPtS7_N6thrust23THRUST_200600_302600_NS5minusItEEEE10hipError_tPvRmT2_T3_mT4_P12ihipStream_tbEUlT_E_NS1_11comp_targetILNS1_3genE10ELNS1_11target_archE1201ELNS1_3gpuE5ELNS1_3repE0EEENS1_30default_config_static_selectorELNS0_4arch9wavefront6targetE1EEEvT1_.uses_vcc, 0
	.set _ZN7rocprim17ROCPRIM_400000_NS6detail17trampoline_kernelINS0_14default_configENS1_35adjacent_difference_config_selectorILb0EtEEZNS1_24adjacent_difference_implIS3_Lb0ELb0EPtS7_N6thrust23THRUST_200600_302600_NS5minusItEEEE10hipError_tPvRmT2_T3_mT4_P12ihipStream_tbEUlT_E_NS1_11comp_targetILNS1_3genE10ELNS1_11target_archE1201ELNS1_3gpuE5ELNS1_3repE0EEENS1_30default_config_static_selectorELNS0_4arch9wavefront6targetE1EEEvT1_.uses_flat_scratch, 0
	.set _ZN7rocprim17ROCPRIM_400000_NS6detail17trampoline_kernelINS0_14default_configENS1_35adjacent_difference_config_selectorILb0EtEEZNS1_24adjacent_difference_implIS3_Lb0ELb0EPtS7_N6thrust23THRUST_200600_302600_NS5minusItEEEE10hipError_tPvRmT2_T3_mT4_P12ihipStream_tbEUlT_E_NS1_11comp_targetILNS1_3genE10ELNS1_11target_archE1201ELNS1_3gpuE5ELNS1_3repE0EEENS1_30default_config_static_selectorELNS0_4arch9wavefront6targetE1EEEvT1_.has_dyn_sized_stack, 0
	.set _ZN7rocprim17ROCPRIM_400000_NS6detail17trampoline_kernelINS0_14default_configENS1_35adjacent_difference_config_selectorILb0EtEEZNS1_24adjacent_difference_implIS3_Lb0ELb0EPtS7_N6thrust23THRUST_200600_302600_NS5minusItEEEE10hipError_tPvRmT2_T3_mT4_P12ihipStream_tbEUlT_E_NS1_11comp_targetILNS1_3genE10ELNS1_11target_archE1201ELNS1_3gpuE5ELNS1_3repE0EEENS1_30default_config_static_selectorELNS0_4arch9wavefront6targetE1EEEvT1_.has_recursion, 0
	.set _ZN7rocprim17ROCPRIM_400000_NS6detail17trampoline_kernelINS0_14default_configENS1_35adjacent_difference_config_selectorILb0EtEEZNS1_24adjacent_difference_implIS3_Lb0ELb0EPtS7_N6thrust23THRUST_200600_302600_NS5minusItEEEE10hipError_tPvRmT2_T3_mT4_P12ihipStream_tbEUlT_E_NS1_11comp_targetILNS1_3genE10ELNS1_11target_archE1201ELNS1_3gpuE5ELNS1_3repE0EEENS1_30default_config_static_selectorELNS0_4arch9wavefront6targetE1EEEvT1_.has_indirect_call, 0
	.section	.AMDGPU.csdata,"",@progbits
; Kernel info:
; codeLenInByte = 0
; TotalNumSgprs: 4
; NumVgprs: 0
; ScratchSize: 0
; MemoryBound: 0
; FloatMode: 240
; IeeeMode: 1
; LDSByteSize: 0 bytes/workgroup (compile time only)
; SGPRBlocks: 0
; VGPRBlocks: 0
; NumSGPRsForWavesPerEU: 4
; NumVGPRsForWavesPerEU: 1
; Occupancy: 10
; WaveLimiterHint : 0
; COMPUTE_PGM_RSRC2:SCRATCH_EN: 0
; COMPUTE_PGM_RSRC2:USER_SGPR: 6
; COMPUTE_PGM_RSRC2:TRAP_HANDLER: 0
; COMPUTE_PGM_RSRC2:TGID_X_EN: 1
; COMPUTE_PGM_RSRC2:TGID_Y_EN: 0
; COMPUTE_PGM_RSRC2:TGID_Z_EN: 0
; COMPUTE_PGM_RSRC2:TIDIG_COMP_CNT: 0
	.section	.text._ZN7rocprim17ROCPRIM_400000_NS6detail17trampoline_kernelINS0_14default_configENS1_35adjacent_difference_config_selectorILb0EtEEZNS1_24adjacent_difference_implIS3_Lb0ELb0EPtS7_N6thrust23THRUST_200600_302600_NS5minusItEEEE10hipError_tPvRmT2_T3_mT4_P12ihipStream_tbEUlT_E_NS1_11comp_targetILNS1_3genE5ELNS1_11target_archE942ELNS1_3gpuE9ELNS1_3repE0EEENS1_30default_config_static_selectorELNS0_4arch9wavefront6targetE1EEEvT1_,"axG",@progbits,_ZN7rocprim17ROCPRIM_400000_NS6detail17trampoline_kernelINS0_14default_configENS1_35adjacent_difference_config_selectorILb0EtEEZNS1_24adjacent_difference_implIS3_Lb0ELb0EPtS7_N6thrust23THRUST_200600_302600_NS5minusItEEEE10hipError_tPvRmT2_T3_mT4_P12ihipStream_tbEUlT_E_NS1_11comp_targetILNS1_3genE5ELNS1_11target_archE942ELNS1_3gpuE9ELNS1_3repE0EEENS1_30default_config_static_selectorELNS0_4arch9wavefront6targetE1EEEvT1_,comdat
	.protected	_ZN7rocprim17ROCPRIM_400000_NS6detail17trampoline_kernelINS0_14default_configENS1_35adjacent_difference_config_selectorILb0EtEEZNS1_24adjacent_difference_implIS3_Lb0ELb0EPtS7_N6thrust23THRUST_200600_302600_NS5minusItEEEE10hipError_tPvRmT2_T3_mT4_P12ihipStream_tbEUlT_E_NS1_11comp_targetILNS1_3genE5ELNS1_11target_archE942ELNS1_3gpuE9ELNS1_3repE0EEENS1_30default_config_static_selectorELNS0_4arch9wavefront6targetE1EEEvT1_ ; -- Begin function _ZN7rocprim17ROCPRIM_400000_NS6detail17trampoline_kernelINS0_14default_configENS1_35adjacent_difference_config_selectorILb0EtEEZNS1_24adjacent_difference_implIS3_Lb0ELb0EPtS7_N6thrust23THRUST_200600_302600_NS5minusItEEEE10hipError_tPvRmT2_T3_mT4_P12ihipStream_tbEUlT_E_NS1_11comp_targetILNS1_3genE5ELNS1_11target_archE942ELNS1_3gpuE9ELNS1_3repE0EEENS1_30default_config_static_selectorELNS0_4arch9wavefront6targetE1EEEvT1_
	.globl	_ZN7rocprim17ROCPRIM_400000_NS6detail17trampoline_kernelINS0_14default_configENS1_35adjacent_difference_config_selectorILb0EtEEZNS1_24adjacent_difference_implIS3_Lb0ELb0EPtS7_N6thrust23THRUST_200600_302600_NS5minusItEEEE10hipError_tPvRmT2_T3_mT4_P12ihipStream_tbEUlT_E_NS1_11comp_targetILNS1_3genE5ELNS1_11target_archE942ELNS1_3gpuE9ELNS1_3repE0EEENS1_30default_config_static_selectorELNS0_4arch9wavefront6targetE1EEEvT1_
	.p2align	8
	.type	_ZN7rocprim17ROCPRIM_400000_NS6detail17trampoline_kernelINS0_14default_configENS1_35adjacent_difference_config_selectorILb0EtEEZNS1_24adjacent_difference_implIS3_Lb0ELb0EPtS7_N6thrust23THRUST_200600_302600_NS5minusItEEEE10hipError_tPvRmT2_T3_mT4_P12ihipStream_tbEUlT_E_NS1_11comp_targetILNS1_3genE5ELNS1_11target_archE942ELNS1_3gpuE9ELNS1_3repE0EEENS1_30default_config_static_selectorELNS0_4arch9wavefront6targetE1EEEvT1_,@function
_ZN7rocprim17ROCPRIM_400000_NS6detail17trampoline_kernelINS0_14default_configENS1_35adjacent_difference_config_selectorILb0EtEEZNS1_24adjacent_difference_implIS3_Lb0ELb0EPtS7_N6thrust23THRUST_200600_302600_NS5minusItEEEE10hipError_tPvRmT2_T3_mT4_P12ihipStream_tbEUlT_E_NS1_11comp_targetILNS1_3genE5ELNS1_11target_archE942ELNS1_3gpuE9ELNS1_3repE0EEENS1_30default_config_static_selectorELNS0_4arch9wavefront6targetE1EEEvT1_: ; @_ZN7rocprim17ROCPRIM_400000_NS6detail17trampoline_kernelINS0_14default_configENS1_35adjacent_difference_config_selectorILb0EtEEZNS1_24adjacent_difference_implIS3_Lb0ELb0EPtS7_N6thrust23THRUST_200600_302600_NS5minusItEEEE10hipError_tPvRmT2_T3_mT4_P12ihipStream_tbEUlT_E_NS1_11comp_targetILNS1_3genE5ELNS1_11target_archE942ELNS1_3gpuE9ELNS1_3repE0EEENS1_30default_config_static_selectorELNS0_4arch9wavefront6targetE1EEEvT1_
; %bb.0:
	.section	.rodata,"a",@progbits
	.p2align	6, 0x0
	.amdhsa_kernel _ZN7rocprim17ROCPRIM_400000_NS6detail17trampoline_kernelINS0_14default_configENS1_35adjacent_difference_config_selectorILb0EtEEZNS1_24adjacent_difference_implIS3_Lb0ELb0EPtS7_N6thrust23THRUST_200600_302600_NS5minusItEEEE10hipError_tPvRmT2_T3_mT4_P12ihipStream_tbEUlT_E_NS1_11comp_targetILNS1_3genE5ELNS1_11target_archE942ELNS1_3gpuE9ELNS1_3repE0EEENS1_30default_config_static_selectorELNS0_4arch9wavefront6targetE1EEEvT1_
		.amdhsa_group_segment_fixed_size 0
		.amdhsa_private_segment_fixed_size 0
		.amdhsa_kernarg_size 56
		.amdhsa_user_sgpr_count 6
		.amdhsa_user_sgpr_private_segment_buffer 1
		.amdhsa_user_sgpr_dispatch_ptr 0
		.amdhsa_user_sgpr_queue_ptr 0
		.amdhsa_user_sgpr_kernarg_segment_ptr 1
		.amdhsa_user_sgpr_dispatch_id 0
		.amdhsa_user_sgpr_flat_scratch_init 0
		.amdhsa_user_sgpr_private_segment_size 0
		.amdhsa_uses_dynamic_stack 0
		.amdhsa_system_sgpr_private_segment_wavefront_offset 0
		.amdhsa_system_sgpr_workgroup_id_x 1
		.amdhsa_system_sgpr_workgroup_id_y 0
		.amdhsa_system_sgpr_workgroup_id_z 0
		.amdhsa_system_sgpr_workgroup_info 0
		.amdhsa_system_vgpr_workitem_id 0
		.amdhsa_next_free_vgpr 1
		.amdhsa_next_free_sgpr 0
		.amdhsa_reserve_vcc 0
		.amdhsa_reserve_flat_scratch 0
		.amdhsa_float_round_mode_32 0
		.amdhsa_float_round_mode_16_64 0
		.amdhsa_float_denorm_mode_32 3
		.amdhsa_float_denorm_mode_16_64 3
		.amdhsa_dx10_clamp 1
		.amdhsa_ieee_mode 1
		.amdhsa_fp16_overflow 0
		.amdhsa_exception_fp_ieee_invalid_op 0
		.amdhsa_exception_fp_denorm_src 0
		.amdhsa_exception_fp_ieee_div_zero 0
		.amdhsa_exception_fp_ieee_overflow 0
		.amdhsa_exception_fp_ieee_underflow 0
		.amdhsa_exception_fp_ieee_inexact 0
		.amdhsa_exception_int_div_zero 0
	.end_amdhsa_kernel
	.section	.text._ZN7rocprim17ROCPRIM_400000_NS6detail17trampoline_kernelINS0_14default_configENS1_35adjacent_difference_config_selectorILb0EtEEZNS1_24adjacent_difference_implIS3_Lb0ELb0EPtS7_N6thrust23THRUST_200600_302600_NS5minusItEEEE10hipError_tPvRmT2_T3_mT4_P12ihipStream_tbEUlT_E_NS1_11comp_targetILNS1_3genE5ELNS1_11target_archE942ELNS1_3gpuE9ELNS1_3repE0EEENS1_30default_config_static_selectorELNS0_4arch9wavefront6targetE1EEEvT1_,"axG",@progbits,_ZN7rocprim17ROCPRIM_400000_NS6detail17trampoline_kernelINS0_14default_configENS1_35adjacent_difference_config_selectorILb0EtEEZNS1_24adjacent_difference_implIS3_Lb0ELb0EPtS7_N6thrust23THRUST_200600_302600_NS5minusItEEEE10hipError_tPvRmT2_T3_mT4_P12ihipStream_tbEUlT_E_NS1_11comp_targetILNS1_3genE5ELNS1_11target_archE942ELNS1_3gpuE9ELNS1_3repE0EEENS1_30default_config_static_selectorELNS0_4arch9wavefront6targetE1EEEvT1_,comdat
.Lfunc_end208:
	.size	_ZN7rocprim17ROCPRIM_400000_NS6detail17trampoline_kernelINS0_14default_configENS1_35adjacent_difference_config_selectorILb0EtEEZNS1_24adjacent_difference_implIS3_Lb0ELb0EPtS7_N6thrust23THRUST_200600_302600_NS5minusItEEEE10hipError_tPvRmT2_T3_mT4_P12ihipStream_tbEUlT_E_NS1_11comp_targetILNS1_3genE5ELNS1_11target_archE942ELNS1_3gpuE9ELNS1_3repE0EEENS1_30default_config_static_selectorELNS0_4arch9wavefront6targetE1EEEvT1_, .Lfunc_end208-_ZN7rocprim17ROCPRIM_400000_NS6detail17trampoline_kernelINS0_14default_configENS1_35adjacent_difference_config_selectorILb0EtEEZNS1_24adjacent_difference_implIS3_Lb0ELb0EPtS7_N6thrust23THRUST_200600_302600_NS5minusItEEEE10hipError_tPvRmT2_T3_mT4_P12ihipStream_tbEUlT_E_NS1_11comp_targetILNS1_3genE5ELNS1_11target_archE942ELNS1_3gpuE9ELNS1_3repE0EEENS1_30default_config_static_selectorELNS0_4arch9wavefront6targetE1EEEvT1_
                                        ; -- End function
	.set _ZN7rocprim17ROCPRIM_400000_NS6detail17trampoline_kernelINS0_14default_configENS1_35adjacent_difference_config_selectorILb0EtEEZNS1_24adjacent_difference_implIS3_Lb0ELb0EPtS7_N6thrust23THRUST_200600_302600_NS5minusItEEEE10hipError_tPvRmT2_T3_mT4_P12ihipStream_tbEUlT_E_NS1_11comp_targetILNS1_3genE5ELNS1_11target_archE942ELNS1_3gpuE9ELNS1_3repE0EEENS1_30default_config_static_selectorELNS0_4arch9wavefront6targetE1EEEvT1_.num_vgpr, 0
	.set _ZN7rocprim17ROCPRIM_400000_NS6detail17trampoline_kernelINS0_14default_configENS1_35adjacent_difference_config_selectorILb0EtEEZNS1_24adjacent_difference_implIS3_Lb0ELb0EPtS7_N6thrust23THRUST_200600_302600_NS5minusItEEEE10hipError_tPvRmT2_T3_mT4_P12ihipStream_tbEUlT_E_NS1_11comp_targetILNS1_3genE5ELNS1_11target_archE942ELNS1_3gpuE9ELNS1_3repE0EEENS1_30default_config_static_selectorELNS0_4arch9wavefront6targetE1EEEvT1_.num_agpr, 0
	.set _ZN7rocprim17ROCPRIM_400000_NS6detail17trampoline_kernelINS0_14default_configENS1_35adjacent_difference_config_selectorILb0EtEEZNS1_24adjacent_difference_implIS3_Lb0ELb0EPtS7_N6thrust23THRUST_200600_302600_NS5minusItEEEE10hipError_tPvRmT2_T3_mT4_P12ihipStream_tbEUlT_E_NS1_11comp_targetILNS1_3genE5ELNS1_11target_archE942ELNS1_3gpuE9ELNS1_3repE0EEENS1_30default_config_static_selectorELNS0_4arch9wavefront6targetE1EEEvT1_.numbered_sgpr, 0
	.set _ZN7rocprim17ROCPRIM_400000_NS6detail17trampoline_kernelINS0_14default_configENS1_35adjacent_difference_config_selectorILb0EtEEZNS1_24adjacent_difference_implIS3_Lb0ELb0EPtS7_N6thrust23THRUST_200600_302600_NS5minusItEEEE10hipError_tPvRmT2_T3_mT4_P12ihipStream_tbEUlT_E_NS1_11comp_targetILNS1_3genE5ELNS1_11target_archE942ELNS1_3gpuE9ELNS1_3repE0EEENS1_30default_config_static_selectorELNS0_4arch9wavefront6targetE1EEEvT1_.num_named_barrier, 0
	.set _ZN7rocprim17ROCPRIM_400000_NS6detail17trampoline_kernelINS0_14default_configENS1_35adjacent_difference_config_selectorILb0EtEEZNS1_24adjacent_difference_implIS3_Lb0ELb0EPtS7_N6thrust23THRUST_200600_302600_NS5minusItEEEE10hipError_tPvRmT2_T3_mT4_P12ihipStream_tbEUlT_E_NS1_11comp_targetILNS1_3genE5ELNS1_11target_archE942ELNS1_3gpuE9ELNS1_3repE0EEENS1_30default_config_static_selectorELNS0_4arch9wavefront6targetE1EEEvT1_.private_seg_size, 0
	.set _ZN7rocprim17ROCPRIM_400000_NS6detail17trampoline_kernelINS0_14default_configENS1_35adjacent_difference_config_selectorILb0EtEEZNS1_24adjacent_difference_implIS3_Lb0ELb0EPtS7_N6thrust23THRUST_200600_302600_NS5minusItEEEE10hipError_tPvRmT2_T3_mT4_P12ihipStream_tbEUlT_E_NS1_11comp_targetILNS1_3genE5ELNS1_11target_archE942ELNS1_3gpuE9ELNS1_3repE0EEENS1_30default_config_static_selectorELNS0_4arch9wavefront6targetE1EEEvT1_.uses_vcc, 0
	.set _ZN7rocprim17ROCPRIM_400000_NS6detail17trampoline_kernelINS0_14default_configENS1_35adjacent_difference_config_selectorILb0EtEEZNS1_24adjacent_difference_implIS3_Lb0ELb0EPtS7_N6thrust23THRUST_200600_302600_NS5minusItEEEE10hipError_tPvRmT2_T3_mT4_P12ihipStream_tbEUlT_E_NS1_11comp_targetILNS1_3genE5ELNS1_11target_archE942ELNS1_3gpuE9ELNS1_3repE0EEENS1_30default_config_static_selectorELNS0_4arch9wavefront6targetE1EEEvT1_.uses_flat_scratch, 0
	.set _ZN7rocprim17ROCPRIM_400000_NS6detail17trampoline_kernelINS0_14default_configENS1_35adjacent_difference_config_selectorILb0EtEEZNS1_24adjacent_difference_implIS3_Lb0ELb0EPtS7_N6thrust23THRUST_200600_302600_NS5minusItEEEE10hipError_tPvRmT2_T3_mT4_P12ihipStream_tbEUlT_E_NS1_11comp_targetILNS1_3genE5ELNS1_11target_archE942ELNS1_3gpuE9ELNS1_3repE0EEENS1_30default_config_static_selectorELNS0_4arch9wavefront6targetE1EEEvT1_.has_dyn_sized_stack, 0
	.set _ZN7rocprim17ROCPRIM_400000_NS6detail17trampoline_kernelINS0_14default_configENS1_35adjacent_difference_config_selectorILb0EtEEZNS1_24adjacent_difference_implIS3_Lb0ELb0EPtS7_N6thrust23THRUST_200600_302600_NS5minusItEEEE10hipError_tPvRmT2_T3_mT4_P12ihipStream_tbEUlT_E_NS1_11comp_targetILNS1_3genE5ELNS1_11target_archE942ELNS1_3gpuE9ELNS1_3repE0EEENS1_30default_config_static_selectorELNS0_4arch9wavefront6targetE1EEEvT1_.has_recursion, 0
	.set _ZN7rocprim17ROCPRIM_400000_NS6detail17trampoline_kernelINS0_14default_configENS1_35adjacent_difference_config_selectorILb0EtEEZNS1_24adjacent_difference_implIS3_Lb0ELb0EPtS7_N6thrust23THRUST_200600_302600_NS5minusItEEEE10hipError_tPvRmT2_T3_mT4_P12ihipStream_tbEUlT_E_NS1_11comp_targetILNS1_3genE5ELNS1_11target_archE942ELNS1_3gpuE9ELNS1_3repE0EEENS1_30default_config_static_selectorELNS0_4arch9wavefront6targetE1EEEvT1_.has_indirect_call, 0
	.section	.AMDGPU.csdata,"",@progbits
; Kernel info:
; codeLenInByte = 0
; TotalNumSgprs: 4
; NumVgprs: 0
; ScratchSize: 0
; MemoryBound: 0
; FloatMode: 240
; IeeeMode: 1
; LDSByteSize: 0 bytes/workgroup (compile time only)
; SGPRBlocks: 0
; VGPRBlocks: 0
; NumSGPRsForWavesPerEU: 4
; NumVGPRsForWavesPerEU: 1
; Occupancy: 10
; WaveLimiterHint : 0
; COMPUTE_PGM_RSRC2:SCRATCH_EN: 0
; COMPUTE_PGM_RSRC2:USER_SGPR: 6
; COMPUTE_PGM_RSRC2:TRAP_HANDLER: 0
; COMPUTE_PGM_RSRC2:TGID_X_EN: 1
; COMPUTE_PGM_RSRC2:TGID_Y_EN: 0
; COMPUTE_PGM_RSRC2:TGID_Z_EN: 0
; COMPUTE_PGM_RSRC2:TIDIG_COMP_CNT: 0
	.section	.text._ZN7rocprim17ROCPRIM_400000_NS6detail17trampoline_kernelINS0_14default_configENS1_35adjacent_difference_config_selectorILb0EtEEZNS1_24adjacent_difference_implIS3_Lb0ELb0EPtS7_N6thrust23THRUST_200600_302600_NS5minusItEEEE10hipError_tPvRmT2_T3_mT4_P12ihipStream_tbEUlT_E_NS1_11comp_targetILNS1_3genE4ELNS1_11target_archE910ELNS1_3gpuE8ELNS1_3repE0EEENS1_30default_config_static_selectorELNS0_4arch9wavefront6targetE1EEEvT1_,"axG",@progbits,_ZN7rocprim17ROCPRIM_400000_NS6detail17trampoline_kernelINS0_14default_configENS1_35adjacent_difference_config_selectorILb0EtEEZNS1_24adjacent_difference_implIS3_Lb0ELb0EPtS7_N6thrust23THRUST_200600_302600_NS5minusItEEEE10hipError_tPvRmT2_T3_mT4_P12ihipStream_tbEUlT_E_NS1_11comp_targetILNS1_3genE4ELNS1_11target_archE910ELNS1_3gpuE8ELNS1_3repE0EEENS1_30default_config_static_selectorELNS0_4arch9wavefront6targetE1EEEvT1_,comdat
	.protected	_ZN7rocprim17ROCPRIM_400000_NS6detail17trampoline_kernelINS0_14default_configENS1_35adjacent_difference_config_selectorILb0EtEEZNS1_24adjacent_difference_implIS3_Lb0ELb0EPtS7_N6thrust23THRUST_200600_302600_NS5minusItEEEE10hipError_tPvRmT2_T3_mT4_P12ihipStream_tbEUlT_E_NS1_11comp_targetILNS1_3genE4ELNS1_11target_archE910ELNS1_3gpuE8ELNS1_3repE0EEENS1_30default_config_static_selectorELNS0_4arch9wavefront6targetE1EEEvT1_ ; -- Begin function _ZN7rocprim17ROCPRIM_400000_NS6detail17trampoline_kernelINS0_14default_configENS1_35adjacent_difference_config_selectorILb0EtEEZNS1_24adjacent_difference_implIS3_Lb0ELb0EPtS7_N6thrust23THRUST_200600_302600_NS5minusItEEEE10hipError_tPvRmT2_T3_mT4_P12ihipStream_tbEUlT_E_NS1_11comp_targetILNS1_3genE4ELNS1_11target_archE910ELNS1_3gpuE8ELNS1_3repE0EEENS1_30default_config_static_selectorELNS0_4arch9wavefront6targetE1EEEvT1_
	.globl	_ZN7rocprim17ROCPRIM_400000_NS6detail17trampoline_kernelINS0_14default_configENS1_35adjacent_difference_config_selectorILb0EtEEZNS1_24adjacent_difference_implIS3_Lb0ELb0EPtS7_N6thrust23THRUST_200600_302600_NS5minusItEEEE10hipError_tPvRmT2_T3_mT4_P12ihipStream_tbEUlT_E_NS1_11comp_targetILNS1_3genE4ELNS1_11target_archE910ELNS1_3gpuE8ELNS1_3repE0EEENS1_30default_config_static_selectorELNS0_4arch9wavefront6targetE1EEEvT1_
	.p2align	8
	.type	_ZN7rocprim17ROCPRIM_400000_NS6detail17trampoline_kernelINS0_14default_configENS1_35adjacent_difference_config_selectorILb0EtEEZNS1_24adjacent_difference_implIS3_Lb0ELb0EPtS7_N6thrust23THRUST_200600_302600_NS5minusItEEEE10hipError_tPvRmT2_T3_mT4_P12ihipStream_tbEUlT_E_NS1_11comp_targetILNS1_3genE4ELNS1_11target_archE910ELNS1_3gpuE8ELNS1_3repE0EEENS1_30default_config_static_selectorELNS0_4arch9wavefront6targetE1EEEvT1_,@function
_ZN7rocprim17ROCPRIM_400000_NS6detail17trampoline_kernelINS0_14default_configENS1_35adjacent_difference_config_selectorILb0EtEEZNS1_24adjacent_difference_implIS3_Lb0ELb0EPtS7_N6thrust23THRUST_200600_302600_NS5minusItEEEE10hipError_tPvRmT2_T3_mT4_P12ihipStream_tbEUlT_E_NS1_11comp_targetILNS1_3genE4ELNS1_11target_archE910ELNS1_3gpuE8ELNS1_3repE0EEENS1_30default_config_static_selectorELNS0_4arch9wavefront6targetE1EEEvT1_: ; @_ZN7rocprim17ROCPRIM_400000_NS6detail17trampoline_kernelINS0_14default_configENS1_35adjacent_difference_config_selectorILb0EtEEZNS1_24adjacent_difference_implIS3_Lb0ELb0EPtS7_N6thrust23THRUST_200600_302600_NS5minusItEEEE10hipError_tPvRmT2_T3_mT4_P12ihipStream_tbEUlT_E_NS1_11comp_targetILNS1_3genE4ELNS1_11target_archE910ELNS1_3gpuE8ELNS1_3repE0EEENS1_30default_config_static_selectorELNS0_4arch9wavefront6targetE1EEEvT1_
; %bb.0:
	.section	.rodata,"a",@progbits
	.p2align	6, 0x0
	.amdhsa_kernel _ZN7rocprim17ROCPRIM_400000_NS6detail17trampoline_kernelINS0_14default_configENS1_35adjacent_difference_config_selectorILb0EtEEZNS1_24adjacent_difference_implIS3_Lb0ELb0EPtS7_N6thrust23THRUST_200600_302600_NS5minusItEEEE10hipError_tPvRmT2_T3_mT4_P12ihipStream_tbEUlT_E_NS1_11comp_targetILNS1_3genE4ELNS1_11target_archE910ELNS1_3gpuE8ELNS1_3repE0EEENS1_30default_config_static_selectorELNS0_4arch9wavefront6targetE1EEEvT1_
		.amdhsa_group_segment_fixed_size 0
		.amdhsa_private_segment_fixed_size 0
		.amdhsa_kernarg_size 56
		.amdhsa_user_sgpr_count 6
		.amdhsa_user_sgpr_private_segment_buffer 1
		.amdhsa_user_sgpr_dispatch_ptr 0
		.amdhsa_user_sgpr_queue_ptr 0
		.amdhsa_user_sgpr_kernarg_segment_ptr 1
		.amdhsa_user_sgpr_dispatch_id 0
		.amdhsa_user_sgpr_flat_scratch_init 0
		.amdhsa_user_sgpr_private_segment_size 0
		.amdhsa_uses_dynamic_stack 0
		.amdhsa_system_sgpr_private_segment_wavefront_offset 0
		.amdhsa_system_sgpr_workgroup_id_x 1
		.amdhsa_system_sgpr_workgroup_id_y 0
		.amdhsa_system_sgpr_workgroup_id_z 0
		.amdhsa_system_sgpr_workgroup_info 0
		.amdhsa_system_vgpr_workitem_id 0
		.amdhsa_next_free_vgpr 1
		.amdhsa_next_free_sgpr 0
		.amdhsa_reserve_vcc 0
		.amdhsa_reserve_flat_scratch 0
		.amdhsa_float_round_mode_32 0
		.amdhsa_float_round_mode_16_64 0
		.amdhsa_float_denorm_mode_32 3
		.amdhsa_float_denorm_mode_16_64 3
		.amdhsa_dx10_clamp 1
		.amdhsa_ieee_mode 1
		.amdhsa_fp16_overflow 0
		.amdhsa_exception_fp_ieee_invalid_op 0
		.amdhsa_exception_fp_denorm_src 0
		.amdhsa_exception_fp_ieee_div_zero 0
		.amdhsa_exception_fp_ieee_overflow 0
		.amdhsa_exception_fp_ieee_underflow 0
		.amdhsa_exception_fp_ieee_inexact 0
		.amdhsa_exception_int_div_zero 0
	.end_amdhsa_kernel
	.section	.text._ZN7rocprim17ROCPRIM_400000_NS6detail17trampoline_kernelINS0_14default_configENS1_35adjacent_difference_config_selectorILb0EtEEZNS1_24adjacent_difference_implIS3_Lb0ELb0EPtS7_N6thrust23THRUST_200600_302600_NS5minusItEEEE10hipError_tPvRmT2_T3_mT4_P12ihipStream_tbEUlT_E_NS1_11comp_targetILNS1_3genE4ELNS1_11target_archE910ELNS1_3gpuE8ELNS1_3repE0EEENS1_30default_config_static_selectorELNS0_4arch9wavefront6targetE1EEEvT1_,"axG",@progbits,_ZN7rocprim17ROCPRIM_400000_NS6detail17trampoline_kernelINS0_14default_configENS1_35adjacent_difference_config_selectorILb0EtEEZNS1_24adjacent_difference_implIS3_Lb0ELb0EPtS7_N6thrust23THRUST_200600_302600_NS5minusItEEEE10hipError_tPvRmT2_T3_mT4_P12ihipStream_tbEUlT_E_NS1_11comp_targetILNS1_3genE4ELNS1_11target_archE910ELNS1_3gpuE8ELNS1_3repE0EEENS1_30default_config_static_selectorELNS0_4arch9wavefront6targetE1EEEvT1_,comdat
.Lfunc_end209:
	.size	_ZN7rocprim17ROCPRIM_400000_NS6detail17trampoline_kernelINS0_14default_configENS1_35adjacent_difference_config_selectorILb0EtEEZNS1_24adjacent_difference_implIS3_Lb0ELb0EPtS7_N6thrust23THRUST_200600_302600_NS5minusItEEEE10hipError_tPvRmT2_T3_mT4_P12ihipStream_tbEUlT_E_NS1_11comp_targetILNS1_3genE4ELNS1_11target_archE910ELNS1_3gpuE8ELNS1_3repE0EEENS1_30default_config_static_selectorELNS0_4arch9wavefront6targetE1EEEvT1_, .Lfunc_end209-_ZN7rocprim17ROCPRIM_400000_NS6detail17trampoline_kernelINS0_14default_configENS1_35adjacent_difference_config_selectorILb0EtEEZNS1_24adjacent_difference_implIS3_Lb0ELb0EPtS7_N6thrust23THRUST_200600_302600_NS5minusItEEEE10hipError_tPvRmT2_T3_mT4_P12ihipStream_tbEUlT_E_NS1_11comp_targetILNS1_3genE4ELNS1_11target_archE910ELNS1_3gpuE8ELNS1_3repE0EEENS1_30default_config_static_selectorELNS0_4arch9wavefront6targetE1EEEvT1_
                                        ; -- End function
	.set _ZN7rocprim17ROCPRIM_400000_NS6detail17trampoline_kernelINS0_14default_configENS1_35adjacent_difference_config_selectorILb0EtEEZNS1_24adjacent_difference_implIS3_Lb0ELb0EPtS7_N6thrust23THRUST_200600_302600_NS5minusItEEEE10hipError_tPvRmT2_T3_mT4_P12ihipStream_tbEUlT_E_NS1_11comp_targetILNS1_3genE4ELNS1_11target_archE910ELNS1_3gpuE8ELNS1_3repE0EEENS1_30default_config_static_selectorELNS0_4arch9wavefront6targetE1EEEvT1_.num_vgpr, 0
	.set _ZN7rocprim17ROCPRIM_400000_NS6detail17trampoline_kernelINS0_14default_configENS1_35adjacent_difference_config_selectorILb0EtEEZNS1_24adjacent_difference_implIS3_Lb0ELb0EPtS7_N6thrust23THRUST_200600_302600_NS5minusItEEEE10hipError_tPvRmT2_T3_mT4_P12ihipStream_tbEUlT_E_NS1_11comp_targetILNS1_3genE4ELNS1_11target_archE910ELNS1_3gpuE8ELNS1_3repE0EEENS1_30default_config_static_selectorELNS0_4arch9wavefront6targetE1EEEvT1_.num_agpr, 0
	.set _ZN7rocprim17ROCPRIM_400000_NS6detail17trampoline_kernelINS0_14default_configENS1_35adjacent_difference_config_selectorILb0EtEEZNS1_24adjacent_difference_implIS3_Lb0ELb0EPtS7_N6thrust23THRUST_200600_302600_NS5minusItEEEE10hipError_tPvRmT2_T3_mT4_P12ihipStream_tbEUlT_E_NS1_11comp_targetILNS1_3genE4ELNS1_11target_archE910ELNS1_3gpuE8ELNS1_3repE0EEENS1_30default_config_static_selectorELNS0_4arch9wavefront6targetE1EEEvT1_.numbered_sgpr, 0
	.set _ZN7rocprim17ROCPRIM_400000_NS6detail17trampoline_kernelINS0_14default_configENS1_35adjacent_difference_config_selectorILb0EtEEZNS1_24adjacent_difference_implIS3_Lb0ELb0EPtS7_N6thrust23THRUST_200600_302600_NS5minusItEEEE10hipError_tPvRmT2_T3_mT4_P12ihipStream_tbEUlT_E_NS1_11comp_targetILNS1_3genE4ELNS1_11target_archE910ELNS1_3gpuE8ELNS1_3repE0EEENS1_30default_config_static_selectorELNS0_4arch9wavefront6targetE1EEEvT1_.num_named_barrier, 0
	.set _ZN7rocprim17ROCPRIM_400000_NS6detail17trampoline_kernelINS0_14default_configENS1_35adjacent_difference_config_selectorILb0EtEEZNS1_24adjacent_difference_implIS3_Lb0ELb0EPtS7_N6thrust23THRUST_200600_302600_NS5minusItEEEE10hipError_tPvRmT2_T3_mT4_P12ihipStream_tbEUlT_E_NS1_11comp_targetILNS1_3genE4ELNS1_11target_archE910ELNS1_3gpuE8ELNS1_3repE0EEENS1_30default_config_static_selectorELNS0_4arch9wavefront6targetE1EEEvT1_.private_seg_size, 0
	.set _ZN7rocprim17ROCPRIM_400000_NS6detail17trampoline_kernelINS0_14default_configENS1_35adjacent_difference_config_selectorILb0EtEEZNS1_24adjacent_difference_implIS3_Lb0ELb0EPtS7_N6thrust23THRUST_200600_302600_NS5minusItEEEE10hipError_tPvRmT2_T3_mT4_P12ihipStream_tbEUlT_E_NS1_11comp_targetILNS1_3genE4ELNS1_11target_archE910ELNS1_3gpuE8ELNS1_3repE0EEENS1_30default_config_static_selectorELNS0_4arch9wavefront6targetE1EEEvT1_.uses_vcc, 0
	.set _ZN7rocprim17ROCPRIM_400000_NS6detail17trampoline_kernelINS0_14default_configENS1_35adjacent_difference_config_selectorILb0EtEEZNS1_24adjacent_difference_implIS3_Lb0ELb0EPtS7_N6thrust23THRUST_200600_302600_NS5minusItEEEE10hipError_tPvRmT2_T3_mT4_P12ihipStream_tbEUlT_E_NS1_11comp_targetILNS1_3genE4ELNS1_11target_archE910ELNS1_3gpuE8ELNS1_3repE0EEENS1_30default_config_static_selectorELNS0_4arch9wavefront6targetE1EEEvT1_.uses_flat_scratch, 0
	.set _ZN7rocprim17ROCPRIM_400000_NS6detail17trampoline_kernelINS0_14default_configENS1_35adjacent_difference_config_selectorILb0EtEEZNS1_24adjacent_difference_implIS3_Lb0ELb0EPtS7_N6thrust23THRUST_200600_302600_NS5minusItEEEE10hipError_tPvRmT2_T3_mT4_P12ihipStream_tbEUlT_E_NS1_11comp_targetILNS1_3genE4ELNS1_11target_archE910ELNS1_3gpuE8ELNS1_3repE0EEENS1_30default_config_static_selectorELNS0_4arch9wavefront6targetE1EEEvT1_.has_dyn_sized_stack, 0
	.set _ZN7rocprim17ROCPRIM_400000_NS6detail17trampoline_kernelINS0_14default_configENS1_35adjacent_difference_config_selectorILb0EtEEZNS1_24adjacent_difference_implIS3_Lb0ELb0EPtS7_N6thrust23THRUST_200600_302600_NS5minusItEEEE10hipError_tPvRmT2_T3_mT4_P12ihipStream_tbEUlT_E_NS1_11comp_targetILNS1_3genE4ELNS1_11target_archE910ELNS1_3gpuE8ELNS1_3repE0EEENS1_30default_config_static_selectorELNS0_4arch9wavefront6targetE1EEEvT1_.has_recursion, 0
	.set _ZN7rocprim17ROCPRIM_400000_NS6detail17trampoline_kernelINS0_14default_configENS1_35adjacent_difference_config_selectorILb0EtEEZNS1_24adjacent_difference_implIS3_Lb0ELb0EPtS7_N6thrust23THRUST_200600_302600_NS5minusItEEEE10hipError_tPvRmT2_T3_mT4_P12ihipStream_tbEUlT_E_NS1_11comp_targetILNS1_3genE4ELNS1_11target_archE910ELNS1_3gpuE8ELNS1_3repE0EEENS1_30default_config_static_selectorELNS0_4arch9wavefront6targetE1EEEvT1_.has_indirect_call, 0
	.section	.AMDGPU.csdata,"",@progbits
; Kernel info:
; codeLenInByte = 0
; TotalNumSgprs: 4
; NumVgprs: 0
; ScratchSize: 0
; MemoryBound: 0
; FloatMode: 240
; IeeeMode: 1
; LDSByteSize: 0 bytes/workgroup (compile time only)
; SGPRBlocks: 0
; VGPRBlocks: 0
; NumSGPRsForWavesPerEU: 4
; NumVGPRsForWavesPerEU: 1
; Occupancy: 10
; WaveLimiterHint : 0
; COMPUTE_PGM_RSRC2:SCRATCH_EN: 0
; COMPUTE_PGM_RSRC2:USER_SGPR: 6
; COMPUTE_PGM_RSRC2:TRAP_HANDLER: 0
; COMPUTE_PGM_RSRC2:TGID_X_EN: 1
; COMPUTE_PGM_RSRC2:TGID_Y_EN: 0
; COMPUTE_PGM_RSRC2:TGID_Z_EN: 0
; COMPUTE_PGM_RSRC2:TIDIG_COMP_CNT: 0
	.section	.text._ZN7rocprim17ROCPRIM_400000_NS6detail17trampoline_kernelINS0_14default_configENS1_35adjacent_difference_config_selectorILb0EtEEZNS1_24adjacent_difference_implIS3_Lb0ELb0EPtS7_N6thrust23THRUST_200600_302600_NS5minusItEEEE10hipError_tPvRmT2_T3_mT4_P12ihipStream_tbEUlT_E_NS1_11comp_targetILNS1_3genE3ELNS1_11target_archE908ELNS1_3gpuE7ELNS1_3repE0EEENS1_30default_config_static_selectorELNS0_4arch9wavefront6targetE1EEEvT1_,"axG",@progbits,_ZN7rocprim17ROCPRIM_400000_NS6detail17trampoline_kernelINS0_14default_configENS1_35adjacent_difference_config_selectorILb0EtEEZNS1_24adjacent_difference_implIS3_Lb0ELb0EPtS7_N6thrust23THRUST_200600_302600_NS5minusItEEEE10hipError_tPvRmT2_T3_mT4_P12ihipStream_tbEUlT_E_NS1_11comp_targetILNS1_3genE3ELNS1_11target_archE908ELNS1_3gpuE7ELNS1_3repE0EEENS1_30default_config_static_selectorELNS0_4arch9wavefront6targetE1EEEvT1_,comdat
	.protected	_ZN7rocprim17ROCPRIM_400000_NS6detail17trampoline_kernelINS0_14default_configENS1_35adjacent_difference_config_selectorILb0EtEEZNS1_24adjacent_difference_implIS3_Lb0ELb0EPtS7_N6thrust23THRUST_200600_302600_NS5minusItEEEE10hipError_tPvRmT2_T3_mT4_P12ihipStream_tbEUlT_E_NS1_11comp_targetILNS1_3genE3ELNS1_11target_archE908ELNS1_3gpuE7ELNS1_3repE0EEENS1_30default_config_static_selectorELNS0_4arch9wavefront6targetE1EEEvT1_ ; -- Begin function _ZN7rocprim17ROCPRIM_400000_NS6detail17trampoline_kernelINS0_14default_configENS1_35adjacent_difference_config_selectorILb0EtEEZNS1_24adjacent_difference_implIS3_Lb0ELb0EPtS7_N6thrust23THRUST_200600_302600_NS5minusItEEEE10hipError_tPvRmT2_T3_mT4_P12ihipStream_tbEUlT_E_NS1_11comp_targetILNS1_3genE3ELNS1_11target_archE908ELNS1_3gpuE7ELNS1_3repE0EEENS1_30default_config_static_selectorELNS0_4arch9wavefront6targetE1EEEvT1_
	.globl	_ZN7rocprim17ROCPRIM_400000_NS6detail17trampoline_kernelINS0_14default_configENS1_35adjacent_difference_config_selectorILb0EtEEZNS1_24adjacent_difference_implIS3_Lb0ELb0EPtS7_N6thrust23THRUST_200600_302600_NS5minusItEEEE10hipError_tPvRmT2_T3_mT4_P12ihipStream_tbEUlT_E_NS1_11comp_targetILNS1_3genE3ELNS1_11target_archE908ELNS1_3gpuE7ELNS1_3repE0EEENS1_30default_config_static_selectorELNS0_4arch9wavefront6targetE1EEEvT1_
	.p2align	8
	.type	_ZN7rocprim17ROCPRIM_400000_NS6detail17trampoline_kernelINS0_14default_configENS1_35adjacent_difference_config_selectorILb0EtEEZNS1_24adjacent_difference_implIS3_Lb0ELb0EPtS7_N6thrust23THRUST_200600_302600_NS5minusItEEEE10hipError_tPvRmT2_T3_mT4_P12ihipStream_tbEUlT_E_NS1_11comp_targetILNS1_3genE3ELNS1_11target_archE908ELNS1_3gpuE7ELNS1_3repE0EEENS1_30default_config_static_selectorELNS0_4arch9wavefront6targetE1EEEvT1_,@function
_ZN7rocprim17ROCPRIM_400000_NS6detail17trampoline_kernelINS0_14default_configENS1_35adjacent_difference_config_selectorILb0EtEEZNS1_24adjacent_difference_implIS3_Lb0ELb0EPtS7_N6thrust23THRUST_200600_302600_NS5minusItEEEE10hipError_tPvRmT2_T3_mT4_P12ihipStream_tbEUlT_E_NS1_11comp_targetILNS1_3genE3ELNS1_11target_archE908ELNS1_3gpuE7ELNS1_3repE0EEENS1_30default_config_static_selectorELNS0_4arch9wavefront6targetE1EEEvT1_: ; @_ZN7rocprim17ROCPRIM_400000_NS6detail17trampoline_kernelINS0_14default_configENS1_35adjacent_difference_config_selectorILb0EtEEZNS1_24adjacent_difference_implIS3_Lb0ELb0EPtS7_N6thrust23THRUST_200600_302600_NS5minusItEEEE10hipError_tPvRmT2_T3_mT4_P12ihipStream_tbEUlT_E_NS1_11comp_targetILNS1_3genE3ELNS1_11target_archE908ELNS1_3gpuE7ELNS1_3repE0EEENS1_30default_config_static_selectorELNS0_4arch9wavefront6targetE1EEEvT1_
; %bb.0:
	.section	.rodata,"a",@progbits
	.p2align	6, 0x0
	.amdhsa_kernel _ZN7rocprim17ROCPRIM_400000_NS6detail17trampoline_kernelINS0_14default_configENS1_35adjacent_difference_config_selectorILb0EtEEZNS1_24adjacent_difference_implIS3_Lb0ELb0EPtS7_N6thrust23THRUST_200600_302600_NS5minusItEEEE10hipError_tPvRmT2_T3_mT4_P12ihipStream_tbEUlT_E_NS1_11comp_targetILNS1_3genE3ELNS1_11target_archE908ELNS1_3gpuE7ELNS1_3repE0EEENS1_30default_config_static_selectorELNS0_4arch9wavefront6targetE1EEEvT1_
		.amdhsa_group_segment_fixed_size 0
		.amdhsa_private_segment_fixed_size 0
		.amdhsa_kernarg_size 56
		.amdhsa_user_sgpr_count 6
		.amdhsa_user_sgpr_private_segment_buffer 1
		.amdhsa_user_sgpr_dispatch_ptr 0
		.amdhsa_user_sgpr_queue_ptr 0
		.amdhsa_user_sgpr_kernarg_segment_ptr 1
		.amdhsa_user_sgpr_dispatch_id 0
		.amdhsa_user_sgpr_flat_scratch_init 0
		.amdhsa_user_sgpr_private_segment_size 0
		.amdhsa_uses_dynamic_stack 0
		.amdhsa_system_sgpr_private_segment_wavefront_offset 0
		.amdhsa_system_sgpr_workgroup_id_x 1
		.amdhsa_system_sgpr_workgroup_id_y 0
		.amdhsa_system_sgpr_workgroup_id_z 0
		.amdhsa_system_sgpr_workgroup_info 0
		.amdhsa_system_vgpr_workitem_id 0
		.amdhsa_next_free_vgpr 1
		.amdhsa_next_free_sgpr 0
		.amdhsa_reserve_vcc 0
		.amdhsa_reserve_flat_scratch 0
		.amdhsa_float_round_mode_32 0
		.amdhsa_float_round_mode_16_64 0
		.amdhsa_float_denorm_mode_32 3
		.amdhsa_float_denorm_mode_16_64 3
		.amdhsa_dx10_clamp 1
		.amdhsa_ieee_mode 1
		.amdhsa_fp16_overflow 0
		.amdhsa_exception_fp_ieee_invalid_op 0
		.amdhsa_exception_fp_denorm_src 0
		.amdhsa_exception_fp_ieee_div_zero 0
		.amdhsa_exception_fp_ieee_overflow 0
		.amdhsa_exception_fp_ieee_underflow 0
		.amdhsa_exception_fp_ieee_inexact 0
		.amdhsa_exception_int_div_zero 0
	.end_amdhsa_kernel
	.section	.text._ZN7rocprim17ROCPRIM_400000_NS6detail17trampoline_kernelINS0_14default_configENS1_35adjacent_difference_config_selectorILb0EtEEZNS1_24adjacent_difference_implIS3_Lb0ELb0EPtS7_N6thrust23THRUST_200600_302600_NS5minusItEEEE10hipError_tPvRmT2_T3_mT4_P12ihipStream_tbEUlT_E_NS1_11comp_targetILNS1_3genE3ELNS1_11target_archE908ELNS1_3gpuE7ELNS1_3repE0EEENS1_30default_config_static_selectorELNS0_4arch9wavefront6targetE1EEEvT1_,"axG",@progbits,_ZN7rocprim17ROCPRIM_400000_NS6detail17trampoline_kernelINS0_14default_configENS1_35adjacent_difference_config_selectorILb0EtEEZNS1_24adjacent_difference_implIS3_Lb0ELb0EPtS7_N6thrust23THRUST_200600_302600_NS5minusItEEEE10hipError_tPvRmT2_T3_mT4_P12ihipStream_tbEUlT_E_NS1_11comp_targetILNS1_3genE3ELNS1_11target_archE908ELNS1_3gpuE7ELNS1_3repE0EEENS1_30default_config_static_selectorELNS0_4arch9wavefront6targetE1EEEvT1_,comdat
.Lfunc_end210:
	.size	_ZN7rocprim17ROCPRIM_400000_NS6detail17trampoline_kernelINS0_14default_configENS1_35adjacent_difference_config_selectorILb0EtEEZNS1_24adjacent_difference_implIS3_Lb0ELb0EPtS7_N6thrust23THRUST_200600_302600_NS5minusItEEEE10hipError_tPvRmT2_T3_mT4_P12ihipStream_tbEUlT_E_NS1_11comp_targetILNS1_3genE3ELNS1_11target_archE908ELNS1_3gpuE7ELNS1_3repE0EEENS1_30default_config_static_selectorELNS0_4arch9wavefront6targetE1EEEvT1_, .Lfunc_end210-_ZN7rocprim17ROCPRIM_400000_NS6detail17trampoline_kernelINS0_14default_configENS1_35adjacent_difference_config_selectorILb0EtEEZNS1_24adjacent_difference_implIS3_Lb0ELb0EPtS7_N6thrust23THRUST_200600_302600_NS5minusItEEEE10hipError_tPvRmT2_T3_mT4_P12ihipStream_tbEUlT_E_NS1_11comp_targetILNS1_3genE3ELNS1_11target_archE908ELNS1_3gpuE7ELNS1_3repE0EEENS1_30default_config_static_selectorELNS0_4arch9wavefront6targetE1EEEvT1_
                                        ; -- End function
	.set _ZN7rocprim17ROCPRIM_400000_NS6detail17trampoline_kernelINS0_14default_configENS1_35adjacent_difference_config_selectorILb0EtEEZNS1_24adjacent_difference_implIS3_Lb0ELb0EPtS7_N6thrust23THRUST_200600_302600_NS5minusItEEEE10hipError_tPvRmT2_T3_mT4_P12ihipStream_tbEUlT_E_NS1_11comp_targetILNS1_3genE3ELNS1_11target_archE908ELNS1_3gpuE7ELNS1_3repE0EEENS1_30default_config_static_selectorELNS0_4arch9wavefront6targetE1EEEvT1_.num_vgpr, 0
	.set _ZN7rocprim17ROCPRIM_400000_NS6detail17trampoline_kernelINS0_14default_configENS1_35adjacent_difference_config_selectorILb0EtEEZNS1_24adjacent_difference_implIS3_Lb0ELb0EPtS7_N6thrust23THRUST_200600_302600_NS5minusItEEEE10hipError_tPvRmT2_T3_mT4_P12ihipStream_tbEUlT_E_NS1_11comp_targetILNS1_3genE3ELNS1_11target_archE908ELNS1_3gpuE7ELNS1_3repE0EEENS1_30default_config_static_selectorELNS0_4arch9wavefront6targetE1EEEvT1_.num_agpr, 0
	.set _ZN7rocprim17ROCPRIM_400000_NS6detail17trampoline_kernelINS0_14default_configENS1_35adjacent_difference_config_selectorILb0EtEEZNS1_24adjacent_difference_implIS3_Lb0ELb0EPtS7_N6thrust23THRUST_200600_302600_NS5minusItEEEE10hipError_tPvRmT2_T3_mT4_P12ihipStream_tbEUlT_E_NS1_11comp_targetILNS1_3genE3ELNS1_11target_archE908ELNS1_3gpuE7ELNS1_3repE0EEENS1_30default_config_static_selectorELNS0_4arch9wavefront6targetE1EEEvT1_.numbered_sgpr, 0
	.set _ZN7rocprim17ROCPRIM_400000_NS6detail17trampoline_kernelINS0_14default_configENS1_35adjacent_difference_config_selectorILb0EtEEZNS1_24adjacent_difference_implIS3_Lb0ELb0EPtS7_N6thrust23THRUST_200600_302600_NS5minusItEEEE10hipError_tPvRmT2_T3_mT4_P12ihipStream_tbEUlT_E_NS1_11comp_targetILNS1_3genE3ELNS1_11target_archE908ELNS1_3gpuE7ELNS1_3repE0EEENS1_30default_config_static_selectorELNS0_4arch9wavefront6targetE1EEEvT1_.num_named_barrier, 0
	.set _ZN7rocprim17ROCPRIM_400000_NS6detail17trampoline_kernelINS0_14default_configENS1_35adjacent_difference_config_selectorILb0EtEEZNS1_24adjacent_difference_implIS3_Lb0ELb0EPtS7_N6thrust23THRUST_200600_302600_NS5minusItEEEE10hipError_tPvRmT2_T3_mT4_P12ihipStream_tbEUlT_E_NS1_11comp_targetILNS1_3genE3ELNS1_11target_archE908ELNS1_3gpuE7ELNS1_3repE0EEENS1_30default_config_static_selectorELNS0_4arch9wavefront6targetE1EEEvT1_.private_seg_size, 0
	.set _ZN7rocprim17ROCPRIM_400000_NS6detail17trampoline_kernelINS0_14default_configENS1_35adjacent_difference_config_selectorILb0EtEEZNS1_24adjacent_difference_implIS3_Lb0ELb0EPtS7_N6thrust23THRUST_200600_302600_NS5minusItEEEE10hipError_tPvRmT2_T3_mT4_P12ihipStream_tbEUlT_E_NS1_11comp_targetILNS1_3genE3ELNS1_11target_archE908ELNS1_3gpuE7ELNS1_3repE0EEENS1_30default_config_static_selectorELNS0_4arch9wavefront6targetE1EEEvT1_.uses_vcc, 0
	.set _ZN7rocprim17ROCPRIM_400000_NS6detail17trampoline_kernelINS0_14default_configENS1_35adjacent_difference_config_selectorILb0EtEEZNS1_24adjacent_difference_implIS3_Lb0ELb0EPtS7_N6thrust23THRUST_200600_302600_NS5minusItEEEE10hipError_tPvRmT2_T3_mT4_P12ihipStream_tbEUlT_E_NS1_11comp_targetILNS1_3genE3ELNS1_11target_archE908ELNS1_3gpuE7ELNS1_3repE0EEENS1_30default_config_static_selectorELNS0_4arch9wavefront6targetE1EEEvT1_.uses_flat_scratch, 0
	.set _ZN7rocprim17ROCPRIM_400000_NS6detail17trampoline_kernelINS0_14default_configENS1_35adjacent_difference_config_selectorILb0EtEEZNS1_24adjacent_difference_implIS3_Lb0ELb0EPtS7_N6thrust23THRUST_200600_302600_NS5minusItEEEE10hipError_tPvRmT2_T3_mT4_P12ihipStream_tbEUlT_E_NS1_11comp_targetILNS1_3genE3ELNS1_11target_archE908ELNS1_3gpuE7ELNS1_3repE0EEENS1_30default_config_static_selectorELNS0_4arch9wavefront6targetE1EEEvT1_.has_dyn_sized_stack, 0
	.set _ZN7rocprim17ROCPRIM_400000_NS6detail17trampoline_kernelINS0_14default_configENS1_35adjacent_difference_config_selectorILb0EtEEZNS1_24adjacent_difference_implIS3_Lb0ELb0EPtS7_N6thrust23THRUST_200600_302600_NS5minusItEEEE10hipError_tPvRmT2_T3_mT4_P12ihipStream_tbEUlT_E_NS1_11comp_targetILNS1_3genE3ELNS1_11target_archE908ELNS1_3gpuE7ELNS1_3repE0EEENS1_30default_config_static_selectorELNS0_4arch9wavefront6targetE1EEEvT1_.has_recursion, 0
	.set _ZN7rocprim17ROCPRIM_400000_NS6detail17trampoline_kernelINS0_14default_configENS1_35adjacent_difference_config_selectorILb0EtEEZNS1_24adjacent_difference_implIS3_Lb0ELb0EPtS7_N6thrust23THRUST_200600_302600_NS5minusItEEEE10hipError_tPvRmT2_T3_mT4_P12ihipStream_tbEUlT_E_NS1_11comp_targetILNS1_3genE3ELNS1_11target_archE908ELNS1_3gpuE7ELNS1_3repE0EEENS1_30default_config_static_selectorELNS0_4arch9wavefront6targetE1EEEvT1_.has_indirect_call, 0
	.section	.AMDGPU.csdata,"",@progbits
; Kernel info:
; codeLenInByte = 0
; TotalNumSgprs: 4
; NumVgprs: 0
; ScratchSize: 0
; MemoryBound: 0
; FloatMode: 240
; IeeeMode: 1
; LDSByteSize: 0 bytes/workgroup (compile time only)
; SGPRBlocks: 0
; VGPRBlocks: 0
; NumSGPRsForWavesPerEU: 4
; NumVGPRsForWavesPerEU: 1
; Occupancy: 10
; WaveLimiterHint : 0
; COMPUTE_PGM_RSRC2:SCRATCH_EN: 0
; COMPUTE_PGM_RSRC2:USER_SGPR: 6
; COMPUTE_PGM_RSRC2:TRAP_HANDLER: 0
; COMPUTE_PGM_RSRC2:TGID_X_EN: 1
; COMPUTE_PGM_RSRC2:TGID_Y_EN: 0
; COMPUTE_PGM_RSRC2:TGID_Z_EN: 0
; COMPUTE_PGM_RSRC2:TIDIG_COMP_CNT: 0
	.section	.text._ZN7rocprim17ROCPRIM_400000_NS6detail17trampoline_kernelINS0_14default_configENS1_35adjacent_difference_config_selectorILb0EtEEZNS1_24adjacent_difference_implIS3_Lb0ELb0EPtS7_N6thrust23THRUST_200600_302600_NS5minusItEEEE10hipError_tPvRmT2_T3_mT4_P12ihipStream_tbEUlT_E_NS1_11comp_targetILNS1_3genE2ELNS1_11target_archE906ELNS1_3gpuE6ELNS1_3repE0EEENS1_30default_config_static_selectorELNS0_4arch9wavefront6targetE1EEEvT1_,"axG",@progbits,_ZN7rocprim17ROCPRIM_400000_NS6detail17trampoline_kernelINS0_14default_configENS1_35adjacent_difference_config_selectorILb0EtEEZNS1_24adjacent_difference_implIS3_Lb0ELb0EPtS7_N6thrust23THRUST_200600_302600_NS5minusItEEEE10hipError_tPvRmT2_T3_mT4_P12ihipStream_tbEUlT_E_NS1_11comp_targetILNS1_3genE2ELNS1_11target_archE906ELNS1_3gpuE6ELNS1_3repE0EEENS1_30default_config_static_selectorELNS0_4arch9wavefront6targetE1EEEvT1_,comdat
	.protected	_ZN7rocprim17ROCPRIM_400000_NS6detail17trampoline_kernelINS0_14default_configENS1_35adjacent_difference_config_selectorILb0EtEEZNS1_24adjacent_difference_implIS3_Lb0ELb0EPtS7_N6thrust23THRUST_200600_302600_NS5minusItEEEE10hipError_tPvRmT2_T3_mT4_P12ihipStream_tbEUlT_E_NS1_11comp_targetILNS1_3genE2ELNS1_11target_archE906ELNS1_3gpuE6ELNS1_3repE0EEENS1_30default_config_static_selectorELNS0_4arch9wavefront6targetE1EEEvT1_ ; -- Begin function _ZN7rocprim17ROCPRIM_400000_NS6detail17trampoline_kernelINS0_14default_configENS1_35adjacent_difference_config_selectorILb0EtEEZNS1_24adjacent_difference_implIS3_Lb0ELb0EPtS7_N6thrust23THRUST_200600_302600_NS5minusItEEEE10hipError_tPvRmT2_T3_mT4_P12ihipStream_tbEUlT_E_NS1_11comp_targetILNS1_3genE2ELNS1_11target_archE906ELNS1_3gpuE6ELNS1_3repE0EEENS1_30default_config_static_selectorELNS0_4arch9wavefront6targetE1EEEvT1_
	.globl	_ZN7rocprim17ROCPRIM_400000_NS6detail17trampoline_kernelINS0_14default_configENS1_35adjacent_difference_config_selectorILb0EtEEZNS1_24adjacent_difference_implIS3_Lb0ELb0EPtS7_N6thrust23THRUST_200600_302600_NS5minusItEEEE10hipError_tPvRmT2_T3_mT4_P12ihipStream_tbEUlT_E_NS1_11comp_targetILNS1_3genE2ELNS1_11target_archE906ELNS1_3gpuE6ELNS1_3repE0EEENS1_30default_config_static_selectorELNS0_4arch9wavefront6targetE1EEEvT1_
	.p2align	8
	.type	_ZN7rocprim17ROCPRIM_400000_NS6detail17trampoline_kernelINS0_14default_configENS1_35adjacent_difference_config_selectorILb0EtEEZNS1_24adjacent_difference_implIS3_Lb0ELb0EPtS7_N6thrust23THRUST_200600_302600_NS5minusItEEEE10hipError_tPvRmT2_T3_mT4_P12ihipStream_tbEUlT_E_NS1_11comp_targetILNS1_3genE2ELNS1_11target_archE906ELNS1_3gpuE6ELNS1_3repE0EEENS1_30default_config_static_selectorELNS0_4arch9wavefront6targetE1EEEvT1_,@function
_ZN7rocprim17ROCPRIM_400000_NS6detail17trampoline_kernelINS0_14default_configENS1_35adjacent_difference_config_selectorILb0EtEEZNS1_24adjacent_difference_implIS3_Lb0ELb0EPtS7_N6thrust23THRUST_200600_302600_NS5minusItEEEE10hipError_tPvRmT2_T3_mT4_P12ihipStream_tbEUlT_E_NS1_11comp_targetILNS1_3genE2ELNS1_11target_archE906ELNS1_3gpuE6ELNS1_3repE0EEENS1_30default_config_static_selectorELNS0_4arch9wavefront6targetE1EEEvT1_: ; @_ZN7rocprim17ROCPRIM_400000_NS6detail17trampoline_kernelINS0_14default_configENS1_35adjacent_difference_config_selectorILb0EtEEZNS1_24adjacent_difference_implIS3_Lb0ELb0EPtS7_N6thrust23THRUST_200600_302600_NS5minusItEEEE10hipError_tPvRmT2_T3_mT4_P12ihipStream_tbEUlT_E_NS1_11comp_targetILNS1_3genE2ELNS1_11target_archE906ELNS1_3gpuE6ELNS1_3repE0EEENS1_30default_config_static_selectorELNS0_4arch9wavefront6targetE1EEEvT1_
; %bb.0:
	s_load_dwordx8 s[8:15], s[4:5], 0x0
	s_load_dwordx2 s[0:1], s[4:5], 0x30
	s_mul_i32 s16, s6, 0x1c0
	s_mov_b32 s17, 0
	s_waitcnt lgkmcnt(0)
	s_lshl_b64 s[10:11], s[10:11], 1
	s_add_u32 s20, s8, s10
	s_addc_u32 s21, s9, s11
	s_lshr_b64 s[2:3], s[14:15], 6
	s_lshr_b32 s5, s15, 6
	s_mul_hi_u32 s3, s2, 0x24924924
	s_mul_i32 s4, s2, 0x24924924
	s_mul_i32 s8, s5, 0x92492493
	s_mul_hi_u32 s2, s2, 0x92492493
	s_mul_hi_u32 s7, s5, 0x92492493
	s_add_u32 s2, s8, s2
	s_addc_u32 s7, s7, 0
	s_add_u32 s2, s4, s2
	s_addc_u32 s2, s3, 0
	;; [unrolled: 2-line block ×3, first 2 shown]
	s_mul_hi_u32 s4, s5, 0x24924924
	s_mul_i32 s5, s5, 0x24924924
	s_add_u32 s5, s5, s2
	s_addc_u32 s4, s4, s3
	s_mul_i32 s2, s4, 0x1c0
	s_mul_hi_u32 s3, s5, 0x1c0
	s_add_i32 s3, s3, s2
	s_mul_i32 s2, s5, 0x1c0
	s_sub_u32 s2, s14, s2
	s_subb_u32 s3, s15, s3
	s_cmp_lg_u64 s[2:3], 0
	s_cselect_b64 s[2:3], -1, 0
	v_cndmask_b32_e64 v1, 0, 1, s[2:3]
	v_readfirstlane_b32 s2, v1
	s_add_u32 s2, s5, s2
	s_addc_u32 s3, s4, 0
	s_add_u32 s4, s0, s6
	s_addc_u32 s5, s1, 0
	s_add_u32 s6, s2, -1
	s_addc_u32 s7, s3, -1
	v_mov_b32_e32 v1, s6
	v_mov_b32_e32 v2, s7
	v_cmp_ge_u64_e64 s[0:1], s[4:5], v[1:2]
	s_mov_b64 s[8:9], -1
	s_and_b64 vcc, exec, s[0:1]
	s_mul_i32 s15, s6, 0xfffffe40
	s_cbranch_vccz .LBB211_16
; %bb.1:
	s_add_i32 s22, s15, s14
	s_lshl_b64 s[8:9], s[16:17], 1
	s_add_u32 s8, s20, s8
	v_mov_b32_e32 v1, 0
	s_addc_u32 s9, s21, s9
	v_cmp_gt_u32_e32 vcc, s22, v0
	v_mov_b32_e32 v2, v1
	v_mov_b32_e32 v3, v1
	;; [unrolled: 1-line block ×3, first 2 shown]
	s_and_saveexec_b64 s[18:19], vcc
	s_cbranch_execz .LBB211_3
; %bb.2:
	v_lshlrev_b32_e32 v2, 1, v0
	global_load_ushort v2, v2, s[8:9]
	v_mov_b32_e32 v3, v1
	v_mov_b32_e32 v4, v1
	;; [unrolled: 1-line block ×3, first 2 shown]
	s_waitcnt vmcnt(0)
	v_and_b32_e32 v2, 0xffff, v2
	v_mov_b32_e32 v1, v2
	v_mov_b32_e32 v2, v3
	;; [unrolled: 1-line block ×4, first 2 shown]
.LBB211_3:
	s_or_b64 exec, exec, s[18:19]
	v_or_b32_e32 v5, 64, v0
	v_cmp_gt_u32_e32 vcc, s22, v5
	s_and_saveexec_b64 s[18:19], vcc
	s_cbranch_execz .LBB211_5
; %bb.4:
	v_lshlrev_b32_e32 v5, 1, v0
	global_load_ushort v5, v5, s[8:9] offset:128
	s_mov_b32 s17, 0x5040100
	s_waitcnt vmcnt(0)
	v_perm_b32 v1, v5, v1, s17
.LBB211_5:
	s_or_b64 exec, exec, s[18:19]
	v_or_b32_e32 v5, 0x80, v0
	v_cmp_gt_u32_e32 vcc, s22, v5
	s_and_saveexec_b64 s[18:19], vcc
	s_cbranch_execz .LBB211_7
; %bb.6:
	v_lshlrev_b32_e32 v5, 1, v0
	global_load_ushort v5, v5, s[8:9] offset:256
	s_mov_b32 s17, 0xffff
	s_waitcnt vmcnt(0)
	v_bfi_b32 v2, s17, v5, v2
.LBB211_7:
	s_or_b64 exec, exec, s[18:19]
	v_or_b32_e32 v5, 0xc0, v0
	v_cmp_gt_u32_e32 vcc, s22, v5
	s_and_saveexec_b64 s[18:19], vcc
	s_cbranch_execz .LBB211_9
; %bb.8:
	v_lshlrev_b32_e32 v5, 1, v0
	global_load_ushort v5, v5, s[8:9] offset:384
	s_mov_b32 s17, 0x5040100
	s_waitcnt vmcnt(0)
	v_perm_b32 v2, v5, v2, s17
.LBB211_9:
	s_or_b64 exec, exec, s[18:19]
	v_or_b32_e32 v5, 0x100, v0
	v_cmp_gt_u32_e32 vcc, s22, v5
	s_and_saveexec_b64 s[18:19], vcc
	s_cbranch_execz .LBB211_11
; %bb.10:
	v_lshlrev_b32_e32 v5, 1, v0
	global_load_ushort v5, v5, s[8:9] offset:512
	s_mov_b32 s17, 0xffff
	s_waitcnt vmcnt(0)
	v_bfi_b32 v3, s17, v5, v3
.LBB211_11:
	s_or_b64 exec, exec, s[18:19]
	v_or_b32_e32 v5, 0x140, v0
	v_cmp_gt_u32_e32 vcc, s22, v5
	s_and_saveexec_b64 s[18:19], vcc
	s_cbranch_execz .LBB211_13
; %bb.12:
	v_lshlrev_b32_e32 v5, 1, v0
	global_load_ushort v5, v5, s[8:9] offset:640
	s_mov_b32 s17, 0x5040100
	s_waitcnt vmcnt(0)
	v_perm_b32 v3, v5, v3, s17
.LBB211_13:
	s_or_b64 exec, exec, s[18:19]
	v_or_b32_e32 v5, 0x180, v0
	v_cmp_gt_u32_e32 vcc, s22, v5
	s_and_saveexec_b64 s[18:19], vcc
	s_cbranch_execz .LBB211_15
; %bb.14:
	v_lshlrev_b32_e32 v4, 1, v0
	global_load_ushort v4, v4, s[8:9] offset:768
.LBB211_15:
	s_or_b64 exec, exec, s[18:19]
	v_lshlrev_b32_e32 v5, 1, v0
	s_mov_b64 s[8:9], 0
	ds_write_b16 v5, v1
	ds_write_b16_d16_hi v5, v1 offset:128
	ds_write_b16 v5, v2 offset:256
	ds_write_b16_d16_hi v5, v2 offset:384
	ds_write_b16 v5, v3 offset:512
	ds_write_b16_d16_hi v5, v3 offset:640
	s_waitcnt vmcnt(0)
	ds_write_b16 v5, v4 offset:768
	s_waitcnt lgkmcnt(0)
	; wave barrier
.LBB211_16:
	s_and_b64 vcc, exec, s[8:9]
	v_lshlrev_b32_e32 v7, 1, v0
	s_cbranch_vccz .LBB211_18
; %bb.17:
	s_mov_b32 s17, 0
	s_lshl_b64 s[8:9], s[16:17], 1
	s_add_u32 s8, s20, s8
	s_addc_u32 s9, s21, s9
	global_load_ushort v1, v7, s[8:9]
	global_load_ushort v2, v7, s[8:9] offset:128
	global_load_ushort v3, v7, s[8:9] offset:256
	;; [unrolled: 1-line block ×6, first 2 shown]
	s_waitcnt vmcnt(6)
	ds_write_b16 v7, v1
	s_waitcnt vmcnt(5)
	ds_write_b16 v7, v2 offset:128
	s_waitcnt vmcnt(4)
	ds_write_b16 v7, v3 offset:256
	;; [unrolled: 2-line block ×6, first 2 shown]
	s_waitcnt lgkmcnt(0)
	; wave barrier
.LBB211_18:
	v_mul_u32_u24_e32 v8, 14, v0
	ds_read_b96 v[4:6], v8 offset:2
	ds_read_b32 v9, v8
	s_cmp_eq_u64 s[4:5], 0
	s_waitcnt lgkmcnt(0)
	; wave barrier
	v_lshrrev_b32_e32 v11, 16, v4
	v_lshrrev_b32_e32 v12, 16, v5
	;; [unrolled: 1-line block ×3, first 2 shown]
	s_cbranch_scc1 .LBB211_23
; %bb.19:
	s_mov_b32 s17, 0
	s_lshl_b64 s[8:9], s[16:17], 1
	s_add_u32 s8, s20, s8
	s_addc_u32 s9, s21, s9
	v_mov_b32_e32 v1, 0
	global_load_ushort v15, v1, s[8:9] offset:-2
	s_cmp_eq_u64 s[4:5], s[6:7]
	s_cbranch_scc1 .LBB211_24
; %bb.20:
	v_alignbit_b32 v1, v6, v5, 16
	v_pk_sub_i16 v10, v6, v1
	v_alignbit_b32 v1, v5, v4, 16
	s_mov_b32 s5, 0x5040100
	v_pk_sub_i16 v3, v5, v1
	v_perm_b32 v1, v4, v9, s5
	v_pk_sub_i16 v2, v4, v1
	v_cmp_ne_u32_e32 vcc, 0, v0
	s_waitcnt vmcnt(0)
	v_mov_b32_e32 v14, v15
	ds_write_b16 v7, v13
	s_waitcnt lgkmcnt(0)
	; wave barrier
	s_and_saveexec_b64 s[6:7], vcc
; %bb.21:
	v_add_u32_e32 v1, -2, v7
	ds_read_u16 v14, v1
; %bb.22:
	s_or_b64 exec, exec, s[6:7]
	v_lshlrev_b32_e32 v1, 16, v2
	v_alignbit_b32 v2, v3, v2, 16
	v_alignbit_b32 v3, v10, v3, 16
	v_lshrrev_b32_e32 v10, 16, v10
	s_cbranch_execz .LBB211_25
	s_branch .LBB211_28
.LBB211_23:
	s_mov_b64 s[18:19], 0
                                        ; implicit-def: $vgpr3
                                        ; implicit-def: $vgpr14
                                        ; implicit-def: $vgpr10
	s_branch .LBB211_29
.LBB211_24:
                                        ; implicit-def: $vgpr10
                                        ; implicit-def: $vgpr3
                                        ; implicit-def: $vgpr14
.LBB211_25:
	s_waitcnt lgkmcnt(0)
	v_mul_u32_u24_e32 v14, 7, v0
	v_cmp_ne_u32_e32 vcc, 0, v0
	ds_write_b16 v7, v13
	s_waitcnt lgkmcnt(0)
	; wave barrier
	s_and_saveexec_b64 s[6:7], vcc
	s_cbranch_execz .LBB211_27
; %bb.26:
	v_add_u32_e32 v1, -2, v7
	s_waitcnt vmcnt(0)
	ds_read_u16 v15, v1
.LBB211_27:
	s_or_b64 exec, exec, s[6:7]
	s_mulk_i32 s4, 0xfe40
	s_add_i32 s4, s4, s14
	v_add_u32_e32 v1, 6, v14
	v_alignbit_b32 v3, s0, v6, 16
	v_alignbit_b32 v2, s0, v6, 16
	v_pk_sub_i16 v3, v3, v6
	v_cmp_gt_u32_e32 vcc, s4, v1
	v_cndmask_b32_e32 v10, v2, v3, vcc
	v_alignbit_b32 v3, s0, v5, 16
	v_add_u32_e32 v1, 5, v14
	v_pk_sub_i16 v16, v6, v3
	v_lshlrev_b32_e32 v2, 16, v6
	v_lshlrev_b32_e32 v16, 16, v16
	v_cmp_gt_u32_e32 vcc, s4, v1
	v_cndmask_b32_e32 v1, v2, v16, vcc
	v_add_u32_e32 v2, 4, v14
	s_mov_b32 s5, 0xffff
	v_pk_sub_i16 v3, v3, v5
	v_bfi_b32 v16, s5, v12, v1
	v_bfi_b32 v1, s5, v3, v1
	v_cmp_gt_u32_e32 vcc, s4, v2
	v_cndmask_b32_e32 v3, v16, v1, vcc
	v_alignbit_b32 v16, s0, v4, 16
	v_add_u32_e32 v1, 3, v14
	v_pk_sub_i16 v17, v5, v16
	v_lshlrev_b32_e32 v2, 16, v5
	v_lshlrev_b32_e32 v17, 16, v17
	v_cmp_gt_u32_e32 vcc, s4, v1
	v_cndmask_b32_e32 v1, v2, v17, vcc
	v_add_u32_e32 v2, 2, v14
	v_pk_sub_i16 v16, v16, v4
	v_bfi_b32 v17, s5, v11, v1
	v_bfi_b32 v1, s5, v16, v1
	v_cmp_gt_u32_e32 vcc, s4, v2
	v_cndmask_b32_e32 v2, v17, v1, vcc
	v_add_u32_e32 v1, 1, v14
	s_mov_b32 s5, 0x5040100
	v_pk_sub_i16 v17, v4, v9
	v_perm_b32 v16, v4, 0, s5
	v_perm_b32 v17, v17, 0, s5
	v_cmp_gt_u32_e32 vcc, s4, v1
	v_cndmask_b32_e32 v1, v16, v17, vcc
	v_cmp_gt_u32_e32 vcc, s4, v14
	s_waitcnt vmcnt(0) lgkmcnt(0)
	v_cndmask_b32_e32 v14, 0, v15, vcc
.LBB211_28:
	s_mov_b64 s[18:19], -1
	s_cbranch_execnz .LBB211_37
.LBB211_29:
	s_cmp_lg_u64 s[2:3], 1
	s_waitcnt vmcnt(0)
	v_pk_sub_i16 v15, v4, v9
	v_cmp_ne_u32_e32 vcc, 0, v0
	s_cbranch_scc0 .LBB211_33
; %bb.30:
	v_alignbit_b32 v1, v6, v5, 16
	v_pk_sub_i16 v10, v6, v1
	v_alignbit_b32 v1, v5, v4, 16
	v_pk_sub_i16 v3, v5, v1
	s_mov_b32 s4, 0x5040100
	ds_write_b16 v7, v13
	s_waitcnt lgkmcnt(0)
	; wave barrier
                                        ; implicit-def: $vgpr14
	s_and_saveexec_b64 s[2:3], vcc
; %bb.31:
	v_add_u32_e32 v1, -2, v7
	ds_read_u16 v14, v1
	s_or_b64 s[18:19], s[18:19], exec
; %bb.32:
	s_or_b64 exec, exec, s[2:3]
	v_perm_b32 v1, v15, v9, s4
	v_alignbit_b32 v2, v3, v15, 16
	v_alignbit_b32 v3, v10, v3, 16
	v_lshrrev_b32_e32 v10, 16, v10
	s_branch .LBB211_37
.LBB211_33:
                                        ; implicit-def: $vgpr10
                                        ; implicit-def: $vgpr3
                                        ; implicit-def: $vgpr14
	s_cbranch_execz .LBB211_37
; %bb.34:
	v_mul_u32_u24_e32 v10, 7, v0
	v_add_u32_e32 v2, 6, v10
	v_cmp_gt_u32_e32 vcc, s14, v2
	v_alignbit_b32 v2, s0, v6, 16
	s_waitcnt lgkmcnt(0)
	v_alignbit_b32 v14, s0, v5, 16
	ds_write_b16 v7, v13
	v_alignbit_b32 v1, s0, v6, 16
	v_pk_sub_i16 v2, v2, v6
	v_add_u32_e32 v3, 5, v10
	v_lshlrev_b32_e32 v13, 16, v6
	v_pk_sub_i16 v6, v6, v14
	v_lshlrev_b32_e32 v6, 16, v6
	v_cmp_gt_u32_e64 s[2:3], s14, v3
	v_cndmask_b32_e64 v6, v13, v6, s[2:3]
	s_mov_b32 s17, 0xffff
	v_add_u32_e32 v13, 4, v10
	v_bfi_b32 v3, s17, v12, v6
	v_pk_sub_i16 v12, v14, v5
	v_alignbit_b32 v14, s0, v4, 16
	v_cmp_gt_u32_e64 s[2:3], s14, v13
	v_bfi_b32 v6, s17, v12, v6
	v_add_u32_e32 v12, 3, v10
	v_lshlrev_b32_e32 v13, 16, v5
	v_pk_sub_i16 v5, v5, v14
	v_lshlrev_b32_e32 v5, 16, v5
	v_cmp_gt_u32_e64 s[4:5], s14, v12
	v_cndmask_b32_e64 v12, v13, v5, s[4:5]
	v_bfi_b32 v5, s17, v11, v12
	v_pk_sub_i16 v11, v14, v4
	v_add_u32_e32 v13, 2, v10
	v_bfi_b32 v11, s17, v11, v12
	v_add_u32_e32 v12, 1, v10
	s_mov_b32 s6, 0x5040100
	v_cmp_gt_u32_e64 s[4:5], s14, v13
	v_perm_b32 v4, v4, 0, s6
	v_lshlrev_b32_e32 v13, 16, v15
	v_cmp_gt_u32_e64 s[6:7], s14, v12
	v_cndmask_b32_e64 v4, v4, v13, s[6:7]
	v_cmp_ne_u32_e64 s[6:7], 0, v0
	v_cmp_gt_u32_e64 s[8:9], s14, v10
	s_and_b64 s[8:9], s[6:7], s[8:9]
	s_waitcnt lgkmcnt(0)
	; wave barrier
                                        ; implicit-def: $vgpr14
	s_and_saveexec_b64 s[6:7], s[8:9]
; %bb.35:
	v_add_u32_e32 v10, -2, v7
	ds_read_u16 v14, v10
	s_or_b64 s[18:19], s[18:19], exec
; %bb.36:
	s_or_b64 exec, exec, s[6:7]
	v_cndmask_b32_e32 v10, v1, v2, vcc
	v_cndmask_b32_e64 v3, v3, v6, s[2:3]
	v_cndmask_b32_e64 v2, v5, v11, s[4:5]
	v_bfi_b32 v1, s17, v9, v4
.LBB211_37:
	s_and_saveexec_b64 s[2:3], s[18:19]
	s_cbranch_execz .LBB211_39
; %bb.38:
	s_waitcnt lgkmcnt(0)
	v_sub_u16_e32 v4, v9, v14
	s_mov_b32 s4, 0xffff
	v_bfi_b32 v1, s4, v4, v1
.LBB211_39:
	s_or_b64 exec, exec, s[2:3]
	s_add_u32 s4, s12, s10
	s_addc_u32 s5, s13, s11
	s_and_b64 vcc, exec, s[0:1]
	v_mul_i32_i24_e32 v6, -12, v0
	s_waitcnt lgkmcnt(0)
	; wave barrier
	s_cbranch_vccz .LBB211_53
; %bb.40:
	v_mad_u32_u24 v4, v0, 14, v6
	ds_write_b96 v8, v[1:3]
	ds_write_b16 v8, v10 offset:12
	s_waitcnt vmcnt(0) lgkmcnt(0)
	; wave barrier
	ds_read_u16 v15, v4 offset:128
	ds_read_u16 v14, v4 offset:256
	;; [unrolled: 1-line block ×6, first 2 shown]
	s_mov_b32 s17, 0
	s_add_i32 s15, s15, s14
	s_lshl_b64 s[0:1], s[16:17], 1
	s_add_u32 s0, s4, s0
	s_addc_u32 s1, s5, s1
	v_mov_b32_e32 v5, s1
	v_add_co_u32_e32 v4, vcc, s0, v7
	v_addc_co_u32_e32 v5, vcc, 0, v5, vcc
	v_cmp_gt_u32_e32 vcc, s15, v0
	s_and_saveexec_b64 s[0:1], vcc
	s_cbranch_execz .LBB211_42
; %bb.41:
	v_add_u32_e32 v16, v8, v6
	ds_read_u16 v16, v16
	s_waitcnt lgkmcnt(0)
	global_store_short v[4:5], v16, off
.LBB211_42:
	s_or_b64 exec, exec, s[0:1]
	v_or_b32_e32 v16, 64, v0
	v_cmp_gt_u32_e32 vcc, s15, v16
	s_and_saveexec_b64 s[0:1], vcc
	s_cbranch_execz .LBB211_44
; %bb.43:
	s_waitcnt lgkmcnt(5)
	global_store_short v[4:5], v15, off offset:128
.LBB211_44:
	s_or_b64 exec, exec, s[0:1]
	s_waitcnt lgkmcnt(5)
	v_or_b32_e32 v15, 0x80, v0
	v_cmp_gt_u32_e32 vcc, s15, v15
	s_and_saveexec_b64 s[0:1], vcc
	s_cbranch_execz .LBB211_46
; %bb.45:
	s_waitcnt lgkmcnt(4)
	global_store_short v[4:5], v14, off offset:256
.LBB211_46:
	s_or_b64 exec, exec, s[0:1]
	s_waitcnt lgkmcnt(4)
	;; [unrolled: 10-line block ×5, first 2 shown]
	v_or_b32_e32 v11, 0x180, v0
	v_cmp_gt_u32_e64 s[0:1], s15, v11
	s_branch .LBB211_55
.LBB211_53:
	s_mov_b64 s[0:1], 0
                                        ; implicit-def: $vgpr9
                                        ; implicit-def: $vgpr4_vgpr5
	s_cbranch_execz .LBB211_55
; %bb.54:
	s_mov_b32 s17, 0
	s_lshl_b64 s[2:3], s[16:17], 1
	v_mad_u32_u24 v0, v0, 14, v6
	s_add_u32 s2, s4, s2
	ds_write_b96 v8, v[1:3]
	ds_write_b16 v8, v10 offset:12
	s_waitcnt lgkmcnt(0)
	; wave barrier
	ds_read_u16 v1, v0
	ds_read_u16 v2, v0 offset:128
	ds_read_u16 v3, v0 offset:256
	;; [unrolled: 1-line block ×6, first 2 shown]
	s_addc_u32 s3, s5, s3
	v_mov_b32_e32 v0, s3
	v_add_co_u32_e32 v4, vcc, s2, v7
	v_addc_co_u32_e32 v5, vcc, 0, v0, vcc
	s_or_b64 s[0:1], s[0:1], exec
	s_waitcnt lgkmcnt(6)
	global_store_short v7, v1, s[2:3]
	s_waitcnt lgkmcnt(5)
	global_store_short v7, v2, s[2:3] offset:128
	s_waitcnt lgkmcnt(4)
	global_store_short v7, v3, s[2:3] offset:256
	;; [unrolled: 2-line block ×5, first 2 shown]
.LBB211_55:
	s_and_saveexec_b64 s[2:3], s[0:1]
	s_cbranch_execnz .LBB211_57
; %bb.56:
	s_endpgm
.LBB211_57:
	s_waitcnt lgkmcnt(0)
	global_store_short v[4:5], v9, off offset:768
	s_endpgm
	.section	.rodata,"a",@progbits
	.p2align	6, 0x0
	.amdhsa_kernel _ZN7rocprim17ROCPRIM_400000_NS6detail17trampoline_kernelINS0_14default_configENS1_35adjacent_difference_config_selectorILb0EtEEZNS1_24adjacent_difference_implIS3_Lb0ELb0EPtS7_N6thrust23THRUST_200600_302600_NS5minusItEEEE10hipError_tPvRmT2_T3_mT4_P12ihipStream_tbEUlT_E_NS1_11comp_targetILNS1_3genE2ELNS1_11target_archE906ELNS1_3gpuE6ELNS1_3repE0EEENS1_30default_config_static_selectorELNS0_4arch9wavefront6targetE1EEEvT1_
		.amdhsa_group_segment_fixed_size 896
		.amdhsa_private_segment_fixed_size 0
		.amdhsa_kernarg_size 56
		.amdhsa_user_sgpr_count 6
		.amdhsa_user_sgpr_private_segment_buffer 1
		.amdhsa_user_sgpr_dispatch_ptr 0
		.amdhsa_user_sgpr_queue_ptr 0
		.amdhsa_user_sgpr_kernarg_segment_ptr 1
		.amdhsa_user_sgpr_dispatch_id 0
		.amdhsa_user_sgpr_flat_scratch_init 0
		.amdhsa_user_sgpr_private_segment_size 0
		.amdhsa_uses_dynamic_stack 0
		.amdhsa_system_sgpr_private_segment_wavefront_offset 0
		.amdhsa_system_sgpr_workgroup_id_x 1
		.amdhsa_system_sgpr_workgroup_id_y 0
		.amdhsa_system_sgpr_workgroup_id_z 0
		.amdhsa_system_sgpr_workgroup_info 0
		.amdhsa_system_vgpr_workitem_id 0
		.amdhsa_next_free_vgpr 18
		.amdhsa_next_free_sgpr 23
		.amdhsa_reserve_vcc 1
		.amdhsa_reserve_flat_scratch 0
		.amdhsa_float_round_mode_32 0
		.amdhsa_float_round_mode_16_64 0
		.amdhsa_float_denorm_mode_32 3
		.amdhsa_float_denorm_mode_16_64 3
		.amdhsa_dx10_clamp 1
		.amdhsa_ieee_mode 1
		.amdhsa_fp16_overflow 0
		.amdhsa_exception_fp_ieee_invalid_op 0
		.amdhsa_exception_fp_denorm_src 0
		.amdhsa_exception_fp_ieee_div_zero 0
		.amdhsa_exception_fp_ieee_overflow 0
		.amdhsa_exception_fp_ieee_underflow 0
		.amdhsa_exception_fp_ieee_inexact 0
		.amdhsa_exception_int_div_zero 0
	.end_amdhsa_kernel
	.section	.text._ZN7rocprim17ROCPRIM_400000_NS6detail17trampoline_kernelINS0_14default_configENS1_35adjacent_difference_config_selectorILb0EtEEZNS1_24adjacent_difference_implIS3_Lb0ELb0EPtS7_N6thrust23THRUST_200600_302600_NS5minusItEEEE10hipError_tPvRmT2_T3_mT4_P12ihipStream_tbEUlT_E_NS1_11comp_targetILNS1_3genE2ELNS1_11target_archE906ELNS1_3gpuE6ELNS1_3repE0EEENS1_30default_config_static_selectorELNS0_4arch9wavefront6targetE1EEEvT1_,"axG",@progbits,_ZN7rocprim17ROCPRIM_400000_NS6detail17trampoline_kernelINS0_14default_configENS1_35adjacent_difference_config_selectorILb0EtEEZNS1_24adjacent_difference_implIS3_Lb0ELb0EPtS7_N6thrust23THRUST_200600_302600_NS5minusItEEEE10hipError_tPvRmT2_T3_mT4_P12ihipStream_tbEUlT_E_NS1_11comp_targetILNS1_3genE2ELNS1_11target_archE906ELNS1_3gpuE6ELNS1_3repE0EEENS1_30default_config_static_selectorELNS0_4arch9wavefront6targetE1EEEvT1_,comdat
.Lfunc_end211:
	.size	_ZN7rocprim17ROCPRIM_400000_NS6detail17trampoline_kernelINS0_14default_configENS1_35adjacent_difference_config_selectorILb0EtEEZNS1_24adjacent_difference_implIS3_Lb0ELb0EPtS7_N6thrust23THRUST_200600_302600_NS5minusItEEEE10hipError_tPvRmT2_T3_mT4_P12ihipStream_tbEUlT_E_NS1_11comp_targetILNS1_3genE2ELNS1_11target_archE906ELNS1_3gpuE6ELNS1_3repE0EEENS1_30default_config_static_selectorELNS0_4arch9wavefront6targetE1EEEvT1_, .Lfunc_end211-_ZN7rocprim17ROCPRIM_400000_NS6detail17trampoline_kernelINS0_14default_configENS1_35adjacent_difference_config_selectorILb0EtEEZNS1_24adjacent_difference_implIS3_Lb0ELb0EPtS7_N6thrust23THRUST_200600_302600_NS5minusItEEEE10hipError_tPvRmT2_T3_mT4_P12ihipStream_tbEUlT_E_NS1_11comp_targetILNS1_3genE2ELNS1_11target_archE906ELNS1_3gpuE6ELNS1_3repE0EEENS1_30default_config_static_selectorELNS0_4arch9wavefront6targetE1EEEvT1_
                                        ; -- End function
	.set _ZN7rocprim17ROCPRIM_400000_NS6detail17trampoline_kernelINS0_14default_configENS1_35adjacent_difference_config_selectorILb0EtEEZNS1_24adjacent_difference_implIS3_Lb0ELb0EPtS7_N6thrust23THRUST_200600_302600_NS5minusItEEEE10hipError_tPvRmT2_T3_mT4_P12ihipStream_tbEUlT_E_NS1_11comp_targetILNS1_3genE2ELNS1_11target_archE906ELNS1_3gpuE6ELNS1_3repE0EEENS1_30default_config_static_selectorELNS0_4arch9wavefront6targetE1EEEvT1_.num_vgpr, 18
	.set _ZN7rocprim17ROCPRIM_400000_NS6detail17trampoline_kernelINS0_14default_configENS1_35adjacent_difference_config_selectorILb0EtEEZNS1_24adjacent_difference_implIS3_Lb0ELb0EPtS7_N6thrust23THRUST_200600_302600_NS5minusItEEEE10hipError_tPvRmT2_T3_mT4_P12ihipStream_tbEUlT_E_NS1_11comp_targetILNS1_3genE2ELNS1_11target_archE906ELNS1_3gpuE6ELNS1_3repE0EEENS1_30default_config_static_selectorELNS0_4arch9wavefront6targetE1EEEvT1_.num_agpr, 0
	.set _ZN7rocprim17ROCPRIM_400000_NS6detail17trampoline_kernelINS0_14default_configENS1_35adjacent_difference_config_selectorILb0EtEEZNS1_24adjacent_difference_implIS3_Lb0ELb0EPtS7_N6thrust23THRUST_200600_302600_NS5minusItEEEE10hipError_tPvRmT2_T3_mT4_P12ihipStream_tbEUlT_E_NS1_11comp_targetILNS1_3genE2ELNS1_11target_archE906ELNS1_3gpuE6ELNS1_3repE0EEENS1_30default_config_static_selectorELNS0_4arch9wavefront6targetE1EEEvT1_.numbered_sgpr, 23
	.set _ZN7rocprim17ROCPRIM_400000_NS6detail17trampoline_kernelINS0_14default_configENS1_35adjacent_difference_config_selectorILb0EtEEZNS1_24adjacent_difference_implIS3_Lb0ELb0EPtS7_N6thrust23THRUST_200600_302600_NS5minusItEEEE10hipError_tPvRmT2_T3_mT4_P12ihipStream_tbEUlT_E_NS1_11comp_targetILNS1_3genE2ELNS1_11target_archE906ELNS1_3gpuE6ELNS1_3repE0EEENS1_30default_config_static_selectorELNS0_4arch9wavefront6targetE1EEEvT1_.num_named_barrier, 0
	.set _ZN7rocprim17ROCPRIM_400000_NS6detail17trampoline_kernelINS0_14default_configENS1_35adjacent_difference_config_selectorILb0EtEEZNS1_24adjacent_difference_implIS3_Lb0ELb0EPtS7_N6thrust23THRUST_200600_302600_NS5minusItEEEE10hipError_tPvRmT2_T3_mT4_P12ihipStream_tbEUlT_E_NS1_11comp_targetILNS1_3genE2ELNS1_11target_archE906ELNS1_3gpuE6ELNS1_3repE0EEENS1_30default_config_static_selectorELNS0_4arch9wavefront6targetE1EEEvT1_.private_seg_size, 0
	.set _ZN7rocprim17ROCPRIM_400000_NS6detail17trampoline_kernelINS0_14default_configENS1_35adjacent_difference_config_selectorILb0EtEEZNS1_24adjacent_difference_implIS3_Lb0ELb0EPtS7_N6thrust23THRUST_200600_302600_NS5minusItEEEE10hipError_tPvRmT2_T3_mT4_P12ihipStream_tbEUlT_E_NS1_11comp_targetILNS1_3genE2ELNS1_11target_archE906ELNS1_3gpuE6ELNS1_3repE0EEENS1_30default_config_static_selectorELNS0_4arch9wavefront6targetE1EEEvT1_.uses_vcc, 1
	.set _ZN7rocprim17ROCPRIM_400000_NS6detail17trampoline_kernelINS0_14default_configENS1_35adjacent_difference_config_selectorILb0EtEEZNS1_24adjacent_difference_implIS3_Lb0ELb0EPtS7_N6thrust23THRUST_200600_302600_NS5minusItEEEE10hipError_tPvRmT2_T3_mT4_P12ihipStream_tbEUlT_E_NS1_11comp_targetILNS1_3genE2ELNS1_11target_archE906ELNS1_3gpuE6ELNS1_3repE0EEENS1_30default_config_static_selectorELNS0_4arch9wavefront6targetE1EEEvT1_.uses_flat_scratch, 0
	.set _ZN7rocprim17ROCPRIM_400000_NS6detail17trampoline_kernelINS0_14default_configENS1_35adjacent_difference_config_selectorILb0EtEEZNS1_24adjacent_difference_implIS3_Lb0ELb0EPtS7_N6thrust23THRUST_200600_302600_NS5minusItEEEE10hipError_tPvRmT2_T3_mT4_P12ihipStream_tbEUlT_E_NS1_11comp_targetILNS1_3genE2ELNS1_11target_archE906ELNS1_3gpuE6ELNS1_3repE0EEENS1_30default_config_static_selectorELNS0_4arch9wavefront6targetE1EEEvT1_.has_dyn_sized_stack, 0
	.set _ZN7rocprim17ROCPRIM_400000_NS6detail17trampoline_kernelINS0_14default_configENS1_35adjacent_difference_config_selectorILb0EtEEZNS1_24adjacent_difference_implIS3_Lb0ELb0EPtS7_N6thrust23THRUST_200600_302600_NS5minusItEEEE10hipError_tPvRmT2_T3_mT4_P12ihipStream_tbEUlT_E_NS1_11comp_targetILNS1_3genE2ELNS1_11target_archE906ELNS1_3gpuE6ELNS1_3repE0EEENS1_30default_config_static_selectorELNS0_4arch9wavefront6targetE1EEEvT1_.has_recursion, 0
	.set _ZN7rocprim17ROCPRIM_400000_NS6detail17trampoline_kernelINS0_14default_configENS1_35adjacent_difference_config_selectorILb0EtEEZNS1_24adjacent_difference_implIS3_Lb0ELb0EPtS7_N6thrust23THRUST_200600_302600_NS5minusItEEEE10hipError_tPvRmT2_T3_mT4_P12ihipStream_tbEUlT_E_NS1_11comp_targetILNS1_3genE2ELNS1_11target_archE906ELNS1_3gpuE6ELNS1_3repE0EEENS1_30default_config_static_selectorELNS0_4arch9wavefront6targetE1EEEvT1_.has_indirect_call, 0
	.section	.AMDGPU.csdata,"",@progbits
; Kernel info:
; codeLenInByte = 2560
; TotalNumSgprs: 27
; NumVgprs: 18
; ScratchSize: 0
; MemoryBound: 0
; FloatMode: 240
; IeeeMode: 1
; LDSByteSize: 896 bytes/workgroup (compile time only)
; SGPRBlocks: 3
; VGPRBlocks: 4
; NumSGPRsForWavesPerEU: 27
; NumVGPRsForWavesPerEU: 18
; Occupancy: 10
; WaveLimiterHint : 1
; COMPUTE_PGM_RSRC2:SCRATCH_EN: 0
; COMPUTE_PGM_RSRC2:USER_SGPR: 6
; COMPUTE_PGM_RSRC2:TRAP_HANDLER: 0
; COMPUTE_PGM_RSRC2:TGID_X_EN: 1
; COMPUTE_PGM_RSRC2:TGID_Y_EN: 0
; COMPUTE_PGM_RSRC2:TGID_Z_EN: 0
; COMPUTE_PGM_RSRC2:TIDIG_COMP_CNT: 0
	.section	.text._ZN7rocprim17ROCPRIM_400000_NS6detail17trampoline_kernelINS0_14default_configENS1_35adjacent_difference_config_selectorILb0EtEEZNS1_24adjacent_difference_implIS3_Lb0ELb0EPtS7_N6thrust23THRUST_200600_302600_NS5minusItEEEE10hipError_tPvRmT2_T3_mT4_P12ihipStream_tbEUlT_E_NS1_11comp_targetILNS1_3genE9ELNS1_11target_archE1100ELNS1_3gpuE3ELNS1_3repE0EEENS1_30default_config_static_selectorELNS0_4arch9wavefront6targetE1EEEvT1_,"axG",@progbits,_ZN7rocprim17ROCPRIM_400000_NS6detail17trampoline_kernelINS0_14default_configENS1_35adjacent_difference_config_selectorILb0EtEEZNS1_24adjacent_difference_implIS3_Lb0ELb0EPtS7_N6thrust23THRUST_200600_302600_NS5minusItEEEE10hipError_tPvRmT2_T3_mT4_P12ihipStream_tbEUlT_E_NS1_11comp_targetILNS1_3genE9ELNS1_11target_archE1100ELNS1_3gpuE3ELNS1_3repE0EEENS1_30default_config_static_selectorELNS0_4arch9wavefront6targetE1EEEvT1_,comdat
	.protected	_ZN7rocprim17ROCPRIM_400000_NS6detail17trampoline_kernelINS0_14default_configENS1_35adjacent_difference_config_selectorILb0EtEEZNS1_24adjacent_difference_implIS3_Lb0ELb0EPtS7_N6thrust23THRUST_200600_302600_NS5minusItEEEE10hipError_tPvRmT2_T3_mT4_P12ihipStream_tbEUlT_E_NS1_11comp_targetILNS1_3genE9ELNS1_11target_archE1100ELNS1_3gpuE3ELNS1_3repE0EEENS1_30default_config_static_selectorELNS0_4arch9wavefront6targetE1EEEvT1_ ; -- Begin function _ZN7rocprim17ROCPRIM_400000_NS6detail17trampoline_kernelINS0_14default_configENS1_35adjacent_difference_config_selectorILb0EtEEZNS1_24adjacent_difference_implIS3_Lb0ELb0EPtS7_N6thrust23THRUST_200600_302600_NS5minusItEEEE10hipError_tPvRmT2_T3_mT4_P12ihipStream_tbEUlT_E_NS1_11comp_targetILNS1_3genE9ELNS1_11target_archE1100ELNS1_3gpuE3ELNS1_3repE0EEENS1_30default_config_static_selectorELNS0_4arch9wavefront6targetE1EEEvT1_
	.globl	_ZN7rocprim17ROCPRIM_400000_NS6detail17trampoline_kernelINS0_14default_configENS1_35adjacent_difference_config_selectorILb0EtEEZNS1_24adjacent_difference_implIS3_Lb0ELb0EPtS7_N6thrust23THRUST_200600_302600_NS5minusItEEEE10hipError_tPvRmT2_T3_mT4_P12ihipStream_tbEUlT_E_NS1_11comp_targetILNS1_3genE9ELNS1_11target_archE1100ELNS1_3gpuE3ELNS1_3repE0EEENS1_30default_config_static_selectorELNS0_4arch9wavefront6targetE1EEEvT1_
	.p2align	8
	.type	_ZN7rocprim17ROCPRIM_400000_NS6detail17trampoline_kernelINS0_14default_configENS1_35adjacent_difference_config_selectorILb0EtEEZNS1_24adjacent_difference_implIS3_Lb0ELb0EPtS7_N6thrust23THRUST_200600_302600_NS5minusItEEEE10hipError_tPvRmT2_T3_mT4_P12ihipStream_tbEUlT_E_NS1_11comp_targetILNS1_3genE9ELNS1_11target_archE1100ELNS1_3gpuE3ELNS1_3repE0EEENS1_30default_config_static_selectorELNS0_4arch9wavefront6targetE1EEEvT1_,@function
_ZN7rocprim17ROCPRIM_400000_NS6detail17trampoline_kernelINS0_14default_configENS1_35adjacent_difference_config_selectorILb0EtEEZNS1_24adjacent_difference_implIS3_Lb0ELb0EPtS7_N6thrust23THRUST_200600_302600_NS5minusItEEEE10hipError_tPvRmT2_T3_mT4_P12ihipStream_tbEUlT_E_NS1_11comp_targetILNS1_3genE9ELNS1_11target_archE1100ELNS1_3gpuE3ELNS1_3repE0EEENS1_30default_config_static_selectorELNS0_4arch9wavefront6targetE1EEEvT1_: ; @_ZN7rocprim17ROCPRIM_400000_NS6detail17trampoline_kernelINS0_14default_configENS1_35adjacent_difference_config_selectorILb0EtEEZNS1_24adjacent_difference_implIS3_Lb0ELb0EPtS7_N6thrust23THRUST_200600_302600_NS5minusItEEEE10hipError_tPvRmT2_T3_mT4_P12ihipStream_tbEUlT_E_NS1_11comp_targetILNS1_3genE9ELNS1_11target_archE1100ELNS1_3gpuE3ELNS1_3repE0EEENS1_30default_config_static_selectorELNS0_4arch9wavefront6targetE1EEEvT1_
; %bb.0:
	.section	.rodata,"a",@progbits
	.p2align	6, 0x0
	.amdhsa_kernel _ZN7rocprim17ROCPRIM_400000_NS6detail17trampoline_kernelINS0_14default_configENS1_35adjacent_difference_config_selectorILb0EtEEZNS1_24adjacent_difference_implIS3_Lb0ELb0EPtS7_N6thrust23THRUST_200600_302600_NS5minusItEEEE10hipError_tPvRmT2_T3_mT4_P12ihipStream_tbEUlT_E_NS1_11comp_targetILNS1_3genE9ELNS1_11target_archE1100ELNS1_3gpuE3ELNS1_3repE0EEENS1_30default_config_static_selectorELNS0_4arch9wavefront6targetE1EEEvT1_
		.amdhsa_group_segment_fixed_size 0
		.amdhsa_private_segment_fixed_size 0
		.amdhsa_kernarg_size 56
		.amdhsa_user_sgpr_count 6
		.amdhsa_user_sgpr_private_segment_buffer 1
		.amdhsa_user_sgpr_dispatch_ptr 0
		.amdhsa_user_sgpr_queue_ptr 0
		.amdhsa_user_sgpr_kernarg_segment_ptr 1
		.amdhsa_user_sgpr_dispatch_id 0
		.amdhsa_user_sgpr_flat_scratch_init 0
		.amdhsa_user_sgpr_private_segment_size 0
		.amdhsa_uses_dynamic_stack 0
		.amdhsa_system_sgpr_private_segment_wavefront_offset 0
		.amdhsa_system_sgpr_workgroup_id_x 1
		.amdhsa_system_sgpr_workgroup_id_y 0
		.amdhsa_system_sgpr_workgroup_id_z 0
		.amdhsa_system_sgpr_workgroup_info 0
		.amdhsa_system_vgpr_workitem_id 0
		.amdhsa_next_free_vgpr 1
		.amdhsa_next_free_sgpr 0
		.amdhsa_reserve_vcc 0
		.amdhsa_reserve_flat_scratch 0
		.amdhsa_float_round_mode_32 0
		.amdhsa_float_round_mode_16_64 0
		.amdhsa_float_denorm_mode_32 3
		.amdhsa_float_denorm_mode_16_64 3
		.amdhsa_dx10_clamp 1
		.amdhsa_ieee_mode 1
		.amdhsa_fp16_overflow 0
		.amdhsa_exception_fp_ieee_invalid_op 0
		.amdhsa_exception_fp_denorm_src 0
		.amdhsa_exception_fp_ieee_div_zero 0
		.amdhsa_exception_fp_ieee_overflow 0
		.amdhsa_exception_fp_ieee_underflow 0
		.amdhsa_exception_fp_ieee_inexact 0
		.amdhsa_exception_int_div_zero 0
	.end_amdhsa_kernel
	.section	.text._ZN7rocprim17ROCPRIM_400000_NS6detail17trampoline_kernelINS0_14default_configENS1_35adjacent_difference_config_selectorILb0EtEEZNS1_24adjacent_difference_implIS3_Lb0ELb0EPtS7_N6thrust23THRUST_200600_302600_NS5minusItEEEE10hipError_tPvRmT2_T3_mT4_P12ihipStream_tbEUlT_E_NS1_11comp_targetILNS1_3genE9ELNS1_11target_archE1100ELNS1_3gpuE3ELNS1_3repE0EEENS1_30default_config_static_selectorELNS0_4arch9wavefront6targetE1EEEvT1_,"axG",@progbits,_ZN7rocprim17ROCPRIM_400000_NS6detail17trampoline_kernelINS0_14default_configENS1_35adjacent_difference_config_selectorILb0EtEEZNS1_24adjacent_difference_implIS3_Lb0ELb0EPtS7_N6thrust23THRUST_200600_302600_NS5minusItEEEE10hipError_tPvRmT2_T3_mT4_P12ihipStream_tbEUlT_E_NS1_11comp_targetILNS1_3genE9ELNS1_11target_archE1100ELNS1_3gpuE3ELNS1_3repE0EEENS1_30default_config_static_selectorELNS0_4arch9wavefront6targetE1EEEvT1_,comdat
.Lfunc_end212:
	.size	_ZN7rocprim17ROCPRIM_400000_NS6detail17trampoline_kernelINS0_14default_configENS1_35adjacent_difference_config_selectorILb0EtEEZNS1_24adjacent_difference_implIS3_Lb0ELb0EPtS7_N6thrust23THRUST_200600_302600_NS5minusItEEEE10hipError_tPvRmT2_T3_mT4_P12ihipStream_tbEUlT_E_NS1_11comp_targetILNS1_3genE9ELNS1_11target_archE1100ELNS1_3gpuE3ELNS1_3repE0EEENS1_30default_config_static_selectorELNS0_4arch9wavefront6targetE1EEEvT1_, .Lfunc_end212-_ZN7rocprim17ROCPRIM_400000_NS6detail17trampoline_kernelINS0_14default_configENS1_35adjacent_difference_config_selectorILb0EtEEZNS1_24adjacent_difference_implIS3_Lb0ELb0EPtS7_N6thrust23THRUST_200600_302600_NS5minusItEEEE10hipError_tPvRmT2_T3_mT4_P12ihipStream_tbEUlT_E_NS1_11comp_targetILNS1_3genE9ELNS1_11target_archE1100ELNS1_3gpuE3ELNS1_3repE0EEENS1_30default_config_static_selectorELNS0_4arch9wavefront6targetE1EEEvT1_
                                        ; -- End function
	.set _ZN7rocprim17ROCPRIM_400000_NS6detail17trampoline_kernelINS0_14default_configENS1_35adjacent_difference_config_selectorILb0EtEEZNS1_24adjacent_difference_implIS3_Lb0ELb0EPtS7_N6thrust23THRUST_200600_302600_NS5minusItEEEE10hipError_tPvRmT2_T3_mT4_P12ihipStream_tbEUlT_E_NS1_11comp_targetILNS1_3genE9ELNS1_11target_archE1100ELNS1_3gpuE3ELNS1_3repE0EEENS1_30default_config_static_selectorELNS0_4arch9wavefront6targetE1EEEvT1_.num_vgpr, 0
	.set _ZN7rocprim17ROCPRIM_400000_NS6detail17trampoline_kernelINS0_14default_configENS1_35adjacent_difference_config_selectorILb0EtEEZNS1_24adjacent_difference_implIS3_Lb0ELb0EPtS7_N6thrust23THRUST_200600_302600_NS5minusItEEEE10hipError_tPvRmT2_T3_mT4_P12ihipStream_tbEUlT_E_NS1_11comp_targetILNS1_3genE9ELNS1_11target_archE1100ELNS1_3gpuE3ELNS1_3repE0EEENS1_30default_config_static_selectorELNS0_4arch9wavefront6targetE1EEEvT1_.num_agpr, 0
	.set _ZN7rocprim17ROCPRIM_400000_NS6detail17trampoline_kernelINS0_14default_configENS1_35adjacent_difference_config_selectorILb0EtEEZNS1_24adjacent_difference_implIS3_Lb0ELb0EPtS7_N6thrust23THRUST_200600_302600_NS5minusItEEEE10hipError_tPvRmT2_T3_mT4_P12ihipStream_tbEUlT_E_NS1_11comp_targetILNS1_3genE9ELNS1_11target_archE1100ELNS1_3gpuE3ELNS1_3repE0EEENS1_30default_config_static_selectorELNS0_4arch9wavefront6targetE1EEEvT1_.numbered_sgpr, 0
	.set _ZN7rocprim17ROCPRIM_400000_NS6detail17trampoline_kernelINS0_14default_configENS1_35adjacent_difference_config_selectorILb0EtEEZNS1_24adjacent_difference_implIS3_Lb0ELb0EPtS7_N6thrust23THRUST_200600_302600_NS5minusItEEEE10hipError_tPvRmT2_T3_mT4_P12ihipStream_tbEUlT_E_NS1_11comp_targetILNS1_3genE9ELNS1_11target_archE1100ELNS1_3gpuE3ELNS1_3repE0EEENS1_30default_config_static_selectorELNS0_4arch9wavefront6targetE1EEEvT1_.num_named_barrier, 0
	.set _ZN7rocprim17ROCPRIM_400000_NS6detail17trampoline_kernelINS0_14default_configENS1_35adjacent_difference_config_selectorILb0EtEEZNS1_24adjacent_difference_implIS3_Lb0ELb0EPtS7_N6thrust23THRUST_200600_302600_NS5minusItEEEE10hipError_tPvRmT2_T3_mT4_P12ihipStream_tbEUlT_E_NS1_11comp_targetILNS1_3genE9ELNS1_11target_archE1100ELNS1_3gpuE3ELNS1_3repE0EEENS1_30default_config_static_selectorELNS0_4arch9wavefront6targetE1EEEvT1_.private_seg_size, 0
	.set _ZN7rocprim17ROCPRIM_400000_NS6detail17trampoline_kernelINS0_14default_configENS1_35adjacent_difference_config_selectorILb0EtEEZNS1_24adjacent_difference_implIS3_Lb0ELb0EPtS7_N6thrust23THRUST_200600_302600_NS5minusItEEEE10hipError_tPvRmT2_T3_mT4_P12ihipStream_tbEUlT_E_NS1_11comp_targetILNS1_3genE9ELNS1_11target_archE1100ELNS1_3gpuE3ELNS1_3repE0EEENS1_30default_config_static_selectorELNS0_4arch9wavefront6targetE1EEEvT1_.uses_vcc, 0
	.set _ZN7rocprim17ROCPRIM_400000_NS6detail17trampoline_kernelINS0_14default_configENS1_35adjacent_difference_config_selectorILb0EtEEZNS1_24adjacent_difference_implIS3_Lb0ELb0EPtS7_N6thrust23THRUST_200600_302600_NS5minusItEEEE10hipError_tPvRmT2_T3_mT4_P12ihipStream_tbEUlT_E_NS1_11comp_targetILNS1_3genE9ELNS1_11target_archE1100ELNS1_3gpuE3ELNS1_3repE0EEENS1_30default_config_static_selectorELNS0_4arch9wavefront6targetE1EEEvT1_.uses_flat_scratch, 0
	.set _ZN7rocprim17ROCPRIM_400000_NS6detail17trampoline_kernelINS0_14default_configENS1_35adjacent_difference_config_selectorILb0EtEEZNS1_24adjacent_difference_implIS3_Lb0ELb0EPtS7_N6thrust23THRUST_200600_302600_NS5minusItEEEE10hipError_tPvRmT2_T3_mT4_P12ihipStream_tbEUlT_E_NS1_11comp_targetILNS1_3genE9ELNS1_11target_archE1100ELNS1_3gpuE3ELNS1_3repE0EEENS1_30default_config_static_selectorELNS0_4arch9wavefront6targetE1EEEvT1_.has_dyn_sized_stack, 0
	.set _ZN7rocprim17ROCPRIM_400000_NS6detail17trampoline_kernelINS0_14default_configENS1_35adjacent_difference_config_selectorILb0EtEEZNS1_24adjacent_difference_implIS3_Lb0ELb0EPtS7_N6thrust23THRUST_200600_302600_NS5minusItEEEE10hipError_tPvRmT2_T3_mT4_P12ihipStream_tbEUlT_E_NS1_11comp_targetILNS1_3genE9ELNS1_11target_archE1100ELNS1_3gpuE3ELNS1_3repE0EEENS1_30default_config_static_selectorELNS0_4arch9wavefront6targetE1EEEvT1_.has_recursion, 0
	.set _ZN7rocprim17ROCPRIM_400000_NS6detail17trampoline_kernelINS0_14default_configENS1_35adjacent_difference_config_selectorILb0EtEEZNS1_24adjacent_difference_implIS3_Lb0ELb0EPtS7_N6thrust23THRUST_200600_302600_NS5minusItEEEE10hipError_tPvRmT2_T3_mT4_P12ihipStream_tbEUlT_E_NS1_11comp_targetILNS1_3genE9ELNS1_11target_archE1100ELNS1_3gpuE3ELNS1_3repE0EEENS1_30default_config_static_selectorELNS0_4arch9wavefront6targetE1EEEvT1_.has_indirect_call, 0
	.section	.AMDGPU.csdata,"",@progbits
; Kernel info:
; codeLenInByte = 0
; TotalNumSgprs: 4
; NumVgprs: 0
; ScratchSize: 0
; MemoryBound: 0
; FloatMode: 240
; IeeeMode: 1
; LDSByteSize: 0 bytes/workgroup (compile time only)
; SGPRBlocks: 0
; VGPRBlocks: 0
; NumSGPRsForWavesPerEU: 4
; NumVGPRsForWavesPerEU: 1
; Occupancy: 10
; WaveLimiterHint : 0
; COMPUTE_PGM_RSRC2:SCRATCH_EN: 0
; COMPUTE_PGM_RSRC2:USER_SGPR: 6
; COMPUTE_PGM_RSRC2:TRAP_HANDLER: 0
; COMPUTE_PGM_RSRC2:TGID_X_EN: 1
; COMPUTE_PGM_RSRC2:TGID_Y_EN: 0
; COMPUTE_PGM_RSRC2:TGID_Z_EN: 0
; COMPUTE_PGM_RSRC2:TIDIG_COMP_CNT: 0
	.section	.text._ZN7rocprim17ROCPRIM_400000_NS6detail17trampoline_kernelINS0_14default_configENS1_35adjacent_difference_config_selectorILb0EtEEZNS1_24adjacent_difference_implIS3_Lb0ELb0EPtS7_N6thrust23THRUST_200600_302600_NS5minusItEEEE10hipError_tPvRmT2_T3_mT4_P12ihipStream_tbEUlT_E_NS1_11comp_targetILNS1_3genE8ELNS1_11target_archE1030ELNS1_3gpuE2ELNS1_3repE0EEENS1_30default_config_static_selectorELNS0_4arch9wavefront6targetE1EEEvT1_,"axG",@progbits,_ZN7rocprim17ROCPRIM_400000_NS6detail17trampoline_kernelINS0_14default_configENS1_35adjacent_difference_config_selectorILb0EtEEZNS1_24adjacent_difference_implIS3_Lb0ELb0EPtS7_N6thrust23THRUST_200600_302600_NS5minusItEEEE10hipError_tPvRmT2_T3_mT4_P12ihipStream_tbEUlT_E_NS1_11comp_targetILNS1_3genE8ELNS1_11target_archE1030ELNS1_3gpuE2ELNS1_3repE0EEENS1_30default_config_static_selectorELNS0_4arch9wavefront6targetE1EEEvT1_,comdat
	.protected	_ZN7rocprim17ROCPRIM_400000_NS6detail17trampoline_kernelINS0_14default_configENS1_35adjacent_difference_config_selectorILb0EtEEZNS1_24adjacent_difference_implIS3_Lb0ELb0EPtS7_N6thrust23THRUST_200600_302600_NS5minusItEEEE10hipError_tPvRmT2_T3_mT4_P12ihipStream_tbEUlT_E_NS1_11comp_targetILNS1_3genE8ELNS1_11target_archE1030ELNS1_3gpuE2ELNS1_3repE0EEENS1_30default_config_static_selectorELNS0_4arch9wavefront6targetE1EEEvT1_ ; -- Begin function _ZN7rocprim17ROCPRIM_400000_NS6detail17trampoline_kernelINS0_14default_configENS1_35adjacent_difference_config_selectorILb0EtEEZNS1_24adjacent_difference_implIS3_Lb0ELb0EPtS7_N6thrust23THRUST_200600_302600_NS5minusItEEEE10hipError_tPvRmT2_T3_mT4_P12ihipStream_tbEUlT_E_NS1_11comp_targetILNS1_3genE8ELNS1_11target_archE1030ELNS1_3gpuE2ELNS1_3repE0EEENS1_30default_config_static_selectorELNS0_4arch9wavefront6targetE1EEEvT1_
	.globl	_ZN7rocprim17ROCPRIM_400000_NS6detail17trampoline_kernelINS0_14default_configENS1_35adjacent_difference_config_selectorILb0EtEEZNS1_24adjacent_difference_implIS3_Lb0ELb0EPtS7_N6thrust23THRUST_200600_302600_NS5minusItEEEE10hipError_tPvRmT2_T3_mT4_P12ihipStream_tbEUlT_E_NS1_11comp_targetILNS1_3genE8ELNS1_11target_archE1030ELNS1_3gpuE2ELNS1_3repE0EEENS1_30default_config_static_selectorELNS0_4arch9wavefront6targetE1EEEvT1_
	.p2align	8
	.type	_ZN7rocprim17ROCPRIM_400000_NS6detail17trampoline_kernelINS0_14default_configENS1_35adjacent_difference_config_selectorILb0EtEEZNS1_24adjacent_difference_implIS3_Lb0ELb0EPtS7_N6thrust23THRUST_200600_302600_NS5minusItEEEE10hipError_tPvRmT2_T3_mT4_P12ihipStream_tbEUlT_E_NS1_11comp_targetILNS1_3genE8ELNS1_11target_archE1030ELNS1_3gpuE2ELNS1_3repE0EEENS1_30default_config_static_selectorELNS0_4arch9wavefront6targetE1EEEvT1_,@function
_ZN7rocprim17ROCPRIM_400000_NS6detail17trampoline_kernelINS0_14default_configENS1_35adjacent_difference_config_selectorILb0EtEEZNS1_24adjacent_difference_implIS3_Lb0ELb0EPtS7_N6thrust23THRUST_200600_302600_NS5minusItEEEE10hipError_tPvRmT2_T3_mT4_P12ihipStream_tbEUlT_E_NS1_11comp_targetILNS1_3genE8ELNS1_11target_archE1030ELNS1_3gpuE2ELNS1_3repE0EEENS1_30default_config_static_selectorELNS0_4arch9wavefront6targetE1EEEvT1_: ; @_ZN7rocprim17ROCPRIM_400000_NS6detail17trampoline_kernelINS0_14default_configENS1_35adjacent_difference_config_selectorILb0EtEEZNS1_24adjacent_difference_implIS3_Lb0ELb0EPtS7_N6thrust23THRUST_200600_302600_NS5minusItEEEE10hipError_tPvRmT2_T3_mT4_P12ihipStream_tbEUlT_E_NS1_11comp_targetILNS1_3genE8ELNS1_11target_archE1030ELNS1_3gpuE2ELNS1_3repE0EEENS1_30default_config_static_selectorELNS0_4arch9wavefront6targetE1EEEvT1_
; %bb.0:
	.section	.rodata,"a",@progbits
	.p2align	6, 0x0
	.amdhsa_kernel _ZN7rocprim17ROCPRIM_400000_NS6detail17trampoline_kernelINS0_14default_configENS1_35adjacent_difference_config_selectorILb0EtEEZNS1_24adjacent_difference_implIS3_Lb0ELb0EPtS7_N6thrust23THRUST_200600_302600_NS5minusItEEEE10hipError_tPvRmT2_T3_mT4_P12ihipStream_tbEUlT_E_NS1_11comp_targetILNS1_3genE8ELNS1_11target_archE1030ELNS1_3gpuE2ELNS1_3repE0EEENS1_30default_config_static_selectorELNS0_4arch9wavefront6targetE1EEEvT1_
		.amdhsa_group_segment_fixed_size 0
		.amdhsa_private_segment_fixed_size 0
		.amdhsa_kernarg_size 56
		.amdhsa_user_sgpr_count 6
		.amdhsa_user_sgpr_private_segment_buffer 1
		.amdhsa_user_sgpr_dispatch_ptr 0
		.amdhsa_user_sgpr_queue_ptr 0
		.amdhsa_user_sgpr_kernarg_segment_ptr 1
		.amdhsa_user_sgpr_dispatch_id 0
		.amdhsa_user_sgpr_flat_scratch_init 0
		.amdhsa_user_sgpr_private_segment_size 0
		.amdhsa_uses_dynamic_stack 0
		.amdhsa_system_sgpr_private_segment_wavefront_offset 0
		.amdhsa_system_sgpr_workgroup_id_x 1
		.amdhsa_system_sgpr_workgroup_id_y 0
		.amdhsa_system_sgpr_workgroup_id_z 0
		.amdhsa_system_sgpr_workgroup_info 0
		.amdhsa_system_vgpr_workitem_id 0
		.amdhsa_next_free_vgpr 1
		.amdhsa_next_free_sgpr 0
		.amdhsa_reserve_vcc 0
		.amdhsa_reserve_flat_scratch 0
		.amdhsa_float_round_mode_32 0
		.amdhsa_float_round_mode_16_64 0
		.amdhsa_float_denorm_mode_32 3
		.amdhsa_float_denorm_mode_16_64 3
		.amdhsa_dx10_clamp 1
		.amdhsa_ieee_mode 1
		.amdhsa_fp16_overflow 0
		.amdhsa_exception_fp_ieee_invalid_op 0
		.amdhsa_exception_fp_denorm_src 0
		.amdhsa_exception_fp_ieee_div_zero 0
		.amdhsa_exception_fp_ieee_overflow 0
		.amdhsa_exception_fp_ieee_underflow 0
		.amdhsa_exception_fp_ieee_inexact 0
		.amdhsa_exception_int_div_zero 0
	.end_amdhsa_kernel
	.section	.text._ZN7rocprim17ROCPRIM_400000_NS6detail17trampoline_kernelINS0_14default_configENS1_35adjacent_difference_config_selectorILb0EtEEZNS1_24adjacent_difference_implIS3_Lb0ELb0EPtS7_N6thrust23THRUST_200600_302600_NS5minusItEEEE10hipError_tPvRmT2_T3_mT4_P12ihipStream_tbEUlT_E_NS1_11comp_targetILNS1_3genE8ELNS1_11target_archE1030ELNS1_3gpuE2ELNS1_3repE0EEENS1_30default_config_static_selectorELNS0_4arch9wavefront6targetE1EEEvT1_,"axG",@progbits,_ZN7rocprim17ROCPRIM_400000_NS6detail17trampoline_kernelINS0_14default_configENS1_35adjacent_difference_config_selectorILb0EtEEZNS1_24adjacent_difference_implIS3_Lb0ELb0EPtS7_N6thrust23THRUST_200600_302600_NS5minusItEEEE10hipError_tPvRmT2_T3_mT4_P12ihipStream_tbEUlT_E_NS1_11comp_targetILNS1_3genE8ELNS1_11target_archE1030ELNS1_3gpuE2ELNS1_3repE0EEENS1_30default_config_static_selectorELNS0_4arch9wavefront6targetE1EEEvT1_,comdat
.Lfunc_end213:
	.size	_ZN7rocprim17ROCPRIM_400000_NS6detail17trampoline_kernelINS0_14default_configENS1_35adjacent_difference_config_selectorILb0EtEEZNS1_24adjacent_difference_implIS3_Lb0ELb0EPtS7_N6thrust23THRUST_200600_302600_NS5minusItEEEE10hipError_tPvRmT2_T3_mT4_P12ihipStream_tbEUlT_E_NS1_11comp_targetILNS1_3genE8ELNS1_11target_archE1030ELNS1_3gpuE2ELNS1_3repE0EEENS1_30default_config_static_selectorELNS0_4arch9wavefront6targetE1EEEvT1_, .Lfunc_end213-_ZN7rocprim17ROCPRIM_400000_NS6detail17trampoline_kernelINS0_14default_configENS1_35adjacent_difference_config_selectorILb0EtEEZNS1_24adjacent_difference_implIS3_Lb0ELb0EPtS7_N6thrust23THRUST_200600_302600_NS5minusItEEEE10hipError_tPvRmT2_T3_mT4_P12ihipStream_tbEUlT_E_NS1_11comp_targetILNS1_3genE8ELNS1_11target_archE1030ELNS1_3gpuE2ELNS1_3repE0EEENS1_30default_config_static_selectorELNS0_4arch9wavefront6targetE1EEEvT1_
                                        ; -- End function
	.set _ZN7rocprim17ROCPRIM_400000_NS6detail17trampoline_kernelINS0_14default_configENS1_35adjacent_difference_config_selectorILb0EtEEZNS1_24adjacent_difference_implIS3_Lb0ELb0EPtS7_N6thrust23THRUST_200600_302600_NS5minusItEEEE10hipError_tPvRmT2_T3_mT4_P12ihipStream_tbEUlT_E_NS1_11comp_targetILNS1_3genE8ELNS1_11target_archE1030ELNS1_3gpuE2ELNS1_3repE0EEENS1_30default_config_static_selectorELNS0_4arch9wavefront6targetE1EEEvT1_.num_vgpr, 0
	.set _ZN7rocprim17ROCPRIM_400000_NS6detail17trampoline_kernelINS0_14default_configENS1_35adjacent_difference_config_selectorILb0EtEEZNS1_24adjacent_difference_implIS3_Lb0ELb0EPtS7_N6thrust23THRUST_200600_302600_NS5minusItEEEE10hipError_tPvRmT2_T3_mT4_P12ihipStream_tbEUlT_E_NS1_11comp_targetILNS1_3genE8ELNS1_11target_archE1030ELNS1_3gpuE2ELNS1_3repE0EEENS1_30default_config_static_selectorELNS0_4arch9wavefront6targetE1EEEvT1_.num_agpr, 0
	.set _ZN7rocprim17ROCPRIM_400000_NS6detail17trampoline_kernelINS0_14default_configENS1_35adjacent_difference_config_selectorILb0EtEEZNS1_24adjacent_difference_implIS3_Lb0ELb0EPtS7_N6thrust23THRUST_200600_302600_NS5minusItEEEE10hipError_tPvRmT2_T3_mT4_P12ihipStream_tbEUlT_E_NS1_11comp_targetILNS1_3genE8ELNS1_11target_archE1030ELNS1_3gpuE2ELNS1_3repE0EEENS1_30default_config_static_selectorELNS0_4arch9wavefront6targetE1EEEvT1_.numbered_sgpr, 0
	.set _ZN7rocprim17ROCPRIM_400000_NS6detail17trampoline_kernelINS0_14default_configENS1_35adjacent_difference_config_selectorILb0EtEEZNS1_24adjacent_difference_implIS3_Lb0ELb0EPtS7_N6thrust23THRUST_200600_302600_NS5minusItEEEE10hipError_tPvRmT2_T3_mT4_P12ihipStream_tbEUlT_E_NS1_11comp_targetILNS1_3genE8ELNS1_11target_archE1030ELNS1_3gpuE2ELNS1_3repE0EEENS1_30default_config_static_selectorELNS0_4arch9wavefront6targetE1EEEvT1_.num_named_barrier, 0
	.set _ZN7rocprim17ROCPRIM_400000_NS6detail17trampoline_kernelINS0_14default_configENS1_35adjacent_difference_config_selectorILb0EtEEZNS1_24adjacent_difference_implIS3_Lb0ELb0EPtS7_N6thrust23THRUST_200600_302600_NS5minusItEEEE10hipError_tPvRmT2_T3_mT4_P12ihipStream_tbEUlT_E_NS1_11comp_targetILNS1_3genE8ELNS1_11target_archE1030ELNS1_3gpuE2ELNS1_3repE0EEENS1_30default_config_static_selectorELNS0_4arch9wavefront6targetE1EEEvT1_.private_seg_size, 0
	.set _ZN7rocprim17ROCPRIM_400000_NS6detail17trampoline_kernelINS0_14default_configENS1_35adjacent_difference_config_selectorILb0EtEEZNS1_24adjacent_difference_implIS3_Lb0ELb0EPtS7_N6thrust23THRUST_200600_302600_NS5minusItEEEE10hipError_tPvRmT2_T3_mT4_P12ihipStream_tbEUlT_E_NS1_11comp_targetILNS1_3genE8ELNS1_11target_archE1030ELNS1_3gpuE2ELNS1_3repE0EEENS1_30default_config_static_selectorELNS0_4arch9wavefront6targetE1EEEvT1_.uses_vcc, 0
	.set _ZN7rocprim17ROCPRIM_400000_NS6detail17trampoline_kernelINS0_14default_configENS1_35adjacent_difference_config_selectorILb0EtEEZNS1_24adjacent_difference_implIS3_Lb0ELb0EPtS7_N6thrust23THRUST_200600_302600_NS5minusItEEEE10hipError_tPvRmT2_T3_mT4_P12ihipStream_tbEUlT_E_NS1_11comp_targetILNS1_3genE8ELNS1_11target_archE1030ELNS1_3gpuE2ELNS1_3repE0EEENS1_30default_config_static_selectorELNS0_4arch9wavefront6targetE1EEEvT1_.uses_flat_scratch, 0
	.set _ZN7rocprim17ROCPRIM_400000_NS6detail17trampoline_kernelINS0_14default_configENS1_35adjacent_difference_config_selectorILb0EtEEZNS1_24adjacent_difference_implIS3_Lb0ELb0EPtS7_N6thrust23THRUST_200600_302600_NS5minusItEEEE10hipError_tPvRmT2_T3_mT4_P12ihipStream_tbEUlT_E_NS1_11comp_targetILNS1_3genE8ELNS1_11target_archE1030ELNS1_3gpuE2ELNS1_3repE0EEENS1_30default_config_static_selectorELNS0_4arch9wavefront6targetE1EEEvT1_.has_dyn_sized_stack, 0
	.set _ZN7rocprim17ROCPRIM_400000_NS6detail17trampoline_kernelINS0_14default_configENS1_35adjacent_difference_config_selectorILb0EtEEZNS1_24adjacent_difference_implIS3_Lb0ELb0EPtS7_N6thrust23THRUST_200600_302600_NS5minusItEEEE10hipError_tPvRmT2_T3_mT4_P12ihipStream_tbEUlT_E_NS1_11comp_targetILNS1_3genE8ELNS1_11target_archE1030ELNS1_3gpuE2ELNS1_3repE0EEENS1_30default_config_static_selectorELNS0_4arch9wavefront6targetE1EEEvT1_.has_recursion, 0
	.set _ZN7rocprim17ROCPRIM_400000_NS6detail17trampoline_kernelINS0_14default_configENS1_35adjacent_difference_config_selectorILb0EtEEZNS1_24adjacent_difference_implIS3_Lb0ELb0EPtS7_N6thrust23THRUST_200600_302600_NS5minusItEEEE10hipError_tPvRmT2_T3_mT4_P12ihipStream_tbEUlT_E_NS1_11comp_targetILNS1_3genE8ELNS1_11target_archE1030ELNS1_3gpuE2ELNS1_3repE0EEENS1_30default_config_static_selectorELNS0_4arch9wavefront6targetE1EEEvT1_.has_indirect_call, 0
	.section	.AMDGPU.csdata,"",@progbits
; Kernel info:
; codeLenInByte = 0
; TotalNumSgprs: 4
; NumVgprs: 0
; ScratchSize: 0
; MemoryBound: 0
; FloatMode: 240
; IeeeMode: 1
; LDSByteSize: 0 bytes/workgroup (compile time only)
; SGPRBlocks: 0
; VGPRBlocks: 0
; NumSGPRsForWavesPerEU: 4
; NumVGPRsForWavesPerEU: 1
; Occupancy: 10
; WaveLimiterHint : 0
; COMPUTE_PGM_RSRC2:SCRATCH_EN: 0
; COMPUTE_PGM_RSRC2:USER_SGPR: 6
; COMPUTE_PGM_RSRC2:TRAP_HANDLER: 0
; COMPUTE_PGM_RSRC2:TGID_X_EN: 1
; COMPUTE_PGM_RSRC2:TGID_Y_EN: 0
; COMPUTE_PGM_RSRC2:TGID_Z_EN: 0
; COMPUTE_PGM_RSRC2:TIDIG_COMP_CNT: 0
	.section	.text._ZN7rocprim17ROCPRIM_400000_NS6detail17trampoline_kernelINS0_14default_configENS1_25transform_config_selectorItLb0EEEZNS1_14transform_implILb0ES3_S5_NS0_18transform_iteratorINS0_17counting_iteratorImlEEZNS1_24adjacent_difference_implIS3_Lb1ELb0EPtSB_N6thrust23THRUST_200600_302600_NS5minusItEEEE10hipError_tPvRmT2_T3_mT4_P12ihipStream_tbEUlmE_tEESB_NS0_8identityIvEEEESG_SJ_SK_mSL_SN_bEUlT_E_NS1_11comp_targetILNS1_3genE0ELNS1_11target_archE4294967295ELNS1_3gpuE0ELNS1_3repE0EEENS1_30default_config_static_selectorELNS0_4arch9wavefront6targetE1EEEvT1_,"axG",@progbits,_ZN7rocprim17ROCPRIM_400000_NS6detail17trampoline_kernelINS0_14default_configENS1_25transform_config_selectorItLb0EEEZNS1_14transform_implILb0ES3_S5_NS0_18transform_iteratorINS0_17counting_iteratorImlEEZNS1_24adjacent_difference_implIS3_Lb1ELb0EPtSB_N6thrust23THRUST_200600_302600_NS5minusItEEEE10hipError_tPvRmT2_T3_mT4_P12ihipStream_tbEUlmE_tEESB_NS0_8identityIvEEEESG_SJ_SK_mSL_SN_bEUlT_E_NS1_11comp_targetILNS1_3genE0ELNS1_11target_archE4294967295ELNS1_3gpuE0ELNS1_3repE0EEENS1_30default_config_static_selectorELNS0_4arch9wavefront6targetE1EEEvT1_,comdat
	.protected	_ZN7rocprim17ROCPRIM_400000_NS6detail17trampoline_kernelINS0_14default_configENS1_25transform_config_selectorItLb0EEEZNS1_14transform_implILb0ES3_S5_NS0_18transform_iteratorINS0_17counting_iteratorImlEEZNS1_24adjacent_difference_implIS3_Lb1ELb0EPtSB_N6thrust23THRUST_200600_302600_NS5minusItEEEE10hipError_tPvRmT2_T3_mT4_P12ihipStream_tbEUlmE_tEESB_NS0_8identityIvEEEESG_SJ_SK_mSL_SN_bEUlT_E_NS1_11comp_targetILNS1_3genE0ELNS1_11target_archE4294967295ELNS1_3gpuE0ELNS1_3repE0EEENS1_30default_config_static_selectorELNS0_4arch9wavefront6targetE1EEEvT1_ ; -- Begin function _ZN7rocprim17ROCPRIM_400000_NS6detail17trampoline_kernelINS0_14default_configENS1_25transform_config_selectorItLb0EEEZNS1_14transform_implILb0ES3_S5_NS0_18transform_iteratorINS0_17counting_iteratorImlEEZNS1_24adjacent_difference_implIS3_Lb1ELb0EPtSB_N6thrust23THRUST_200600_302600_NS5minusItEEEE10hipError_tPvRmT2_T3_mT4_P12ihipStream_tbEUlmE_tEESB_NS0_8identityIvEEEESG_SJ_SK_mSL_SN_bEUlT_E_NS1_11comp_targetILNS1_3genE0ELNS1_11target_archE4294967295ELNS1_3gpuE0ELNS1_3repE0EEENS1_30default_config_static_selectorELNS0_4arch9wavefront6targetE1EEEvT1_
	.globl	_ZN7rocprim17ROCPRIM_400000_NS6detail17trampoline_kernelINS0_14default_configENS1_25transform_config_selectorItLb0EEEZNS1_14transform_implILb0ES3_S5_NS0_18transform_iteratorINS0_17counting_iteratorImlEEZNS1_24adjacent_difference_implIS3_Lb1ELb0EPtSB_N6thrust23THRUST_200600_302600_NS5minusItEEEE10hipError_tPvRmT2_T3_mT4_P12ihipStream_tbEUlmE_tEESB_NS0_8identityIvEEEESG_SJ_SK_mSL_SN_bEUlT_E_NS1_11comp_targetILNS1_3genE0ELNS1_11target_archE4294967295ELNS1_3gpuE0ELNS1_3repE0EEENS1_30default_config_static_selectorELNS0_4arch9wavefront6targetE1EEEvT1_
	.p2align	8
	.type	_ZN7rocprim17ROCPRIM_400000_NS6detail17trampoline_kernelINS0_14default_configENS1_25transform_config_selectorItLb0EEEZNS1_14transform_implILb0ES3_S5_NS0_18transform_iteratorINS0_17counting_iteratorImlEEZNS1_24adjacent_difference_implIS3_Lb1ELb0EPtSB_N6thrust23THRUST_200600_302600_NS5minusItEEEE10hipError_tPvRmT2_T3_mT4_P12ihipStream_tbEUlmE_tEESB_NS0_8identityIvEEEESG_SJ_SK_mSL_SN_bEUlT_E_NS1_11comp_targetILNS1_3genE0ELNS1_11target_archE4294967295ELNS1_3gpuE0ELNS1_3repE0EEENS1_30default_config_static_selectorELNS0_4arch9wavefront6targetE1EEEvT1_,@function
_ZN7rocprim17ROCPRIM_400000_NS6detail17trampoline_kernelINS0_14default_configENS1_25transform_config_selectorItLb0EEEZNS1_14transform_implILb0ES3_S5_NS0_18transform_iteratorINS0_17counting_iteratorImlEEZNS1_24adjacent_difference_implIS3_Lb1ELb0EPtSB_N6thrust23THRUST_200600_302600_NS5minusItEEEE10hipError_tPvRmT2_T3_mT4_P12ihipStream_tbEUlmE_tEESB_NS0_8identityIvEEEESG_SJ_SK_mSL_SN_bEUlT_E_NS1_11comp_targetILNS1_3genE0ELNS1_11target_archE4294967295ELNS1_3gpuE0ELNS1_3repE0EEENS1_30default_config_static_selectorELNS0_4arch9wavefront6targetE1EEEvT1_: ; @_ZN7rocprim17ROCPRIM_400000_NS6detail17trampoline_kernelINS0_14default_configENS1_25transform_config_selectorItLb0EEEZNS1_14transform_implILb0ES3_S5_NS0_18transform_iteratorINS0_17counting_iteratorImlEEZNS1_24adjacent_difference_implIS3_Lb1ELb0EPtSB_N6thrust23THRUST_200600_302600_NS5minusItEEEE10hipError_tPvRmT2_T3_mT4_P12ihipStream_tbEUlmE_tEESB_NS0_8identityIvEEEESG_SJ_SK_mSL_SN_bEUlT_E_NS1_11comp_targetILNS1_3genE0ELNS1_11target_archE4294967295ELNS1_3gpuE0ELNS1_3repE0EEENS1_30default_config_static_selectorELNS0_4arch9wavefront6targetE1EEEvT1_
; %bb.0:
	.section	.rodata,"a",@progbits
	.p2align	6, 0x0
	.amdhsa_kernel _ZN7rocprim17ROCPRIM_400000_NS6detail17trampoline_kernelINS0_14default_configENS1_25transform_config_selectorItLb0EEEZNS1_14transform_implILb0ES3_S5_NS0_18transform_iteratorINS0_17counting_iteratorImlEEZNS1_24adjacent_difference_implIS3_Lb1ELb0EPtSB_N6thrust23THRUST_200600_302600_NS5minusItEEEE10hipError_tPvRmT2_T3_mT4_P12ihipStream_tbEUlmE_tEESB_NS0_8identityIvEEEESG_SJ_SK_mSL_SN_bEUlT_E_NS1_11comp_targetILNS1_3genE0ELNS1_11target_archE4294967295ELNS1_3gpuE0ELNS1_3repE0EEENS1_30default_config_static_selectorELNS0_4arch9wavefront6targetE1EEEvT1_
		.amdhsa_group_segment_fixed_size 0
		.amdhsa_private_segment_fixed_size 0
		.amdhsa_kernarg_size 56
		.amdhsa_user_sgpr_count 6
		.amdhsa_user_sgpr_private_segment_buffer 1
		.amdhsa_user_sgpr_dispatch_ptr 0
		.amdhsa_user_sgpr_queue_ptr 0
		.amdhsa_user_sgpr_kernarg_segment_ptr 1
		.amdhsa_user_sgpr_dispatch_id 0
		.amdhsa_user_sgpr_flat_scratch_init 0
		.amdhsa_user_sgpr_private_segment_size 0
		.amdhsa_uses_dynamic_stack 0
		.amdhsa_system_sgpr_private_segment_wavefront_offset 0
		.amdhsa_system_sgpr_workgroup_id_x 1
		.amdhsa_system_sgpr_workgroup_id_y 0
		.amdhsa_system_sgpr_workgroup_id_z 0
		.amdhsa_system_sgpr_workgroup_info 0
		.amdhsa_system_vgpr_workitem_id 0
		.amdhsa_next_free_vgpr 1
		.amdhsa_next_free_sgpr 0
		.amdhsa_reserve_vcc 0
		.amdhsa_reserve_flat_scratch 0
		.amdhsa_float_round_mode_32 0
		.amdhsa_float_round_mode_16_64 0
		.amdhsa_float_denorm_mode_32 3
		.amdhsa_float_denorm_mode_16_64 3
		.amdhsa_dx10_clamp 1
		.amdhsa_ieee_mode 1
		.amdhsa_fp16_overflow 0
		.amdhsa_exception_fp_ieee_invalid_op 0
		.amdhsa_exception_fp_denorm_src 0
		.amdhsa_exception_fp_ieee_div_zero 0
		.amdhsa_exception_fp_ieee_overflow 0
		.amdhsa_exception_fp_ieee_underflow 0
		.amdhsa_exception_fp_ieee_inexact 0
		.amdhsa_exception_int_div_zero 0
	.end_amdhsa_kernel
	.section	.text._ZN7rocprim17ROCPRIM_400000_NS6detail17trampoline_kernelINS0_14default_configENS1_25transform_config_selectorItLb0EEEZNS1_14transform_implILb0ES3_S5_NS0_18transform_iteratorINS0_17counting_iteratorImlEEZNS1_24adjacent_difference_implIS3_Lb1ELb0EPtSB_N6thrust23THRUST_200600_302600_NS5minusItEEEE10hipError_tPvRmT2_T3_mT4_P12ihipStream_tbEUlmE_tEESB_NS0_8identityIvEEEESG_SJ_SK_mSL_SN_bEUlT_E_NS1_11comp_targetILNS1_3genE0ELNS1_11target_archE4294967295ELNS1_3gpuE0ELNS1_3repE0EEENS1_30default_config_static_selectorELNS0_4arch9wavefront6targetE1EEEvT1_,"axG",@progbits,_ZN7rocprim17ROCPRIM_400000_NS6detail17trampoline_kernelINS0_14default_configENS1_25transform_config_selectorItLb0EEEZNS1_14transform_implILb0ES3_S5_NS0_18transform_iteratorINS0_17counting_iteratorImlEEZNS1_24adjacent_difference_implIS3_Lb1ELb0EPtSB_N6thrust23THRUST_200600_302600_NS5minusItEEEE10hipError_tPvRmT2_T3_mT4_P12ihipStream_tbEUlmE_tEESB_NS0_8identityIvEEEESG_SJ_SK_mSL_SN_bEUlT_E_NS1_11comp_targetILNS1_3genE0ELNS1_11target_archE4294967295ELNS1_3gpuE0ELNS1_3repE0EEENS1_30default_config_static_selectorELNS0_4arch9wavefront6targetE1EEEvT1_,comdat
.Lfunc_end214:
	.size	_ZN7rocprim17ROCPRIM_400000_NS6detail17trampoline_kernelINS0_14default_configENS1_25transform_config_selectorItLb0EEEZNS1_14transform_implILb0ES3_S5_NS0_18transform_iteratorINS0_17counting_iteratorImlEEZNS1_24adjacent_difference_implIS3_Lb1ELb0EPtSB_N6thrust23THRUST_200600_302600_NS5minusItEEEE10hipError_tPvRmT2_T3_mT4_P12ihipStream_tbEUlmE_tEESB_NS0_8identityIvEEEESG_SJ_SK_mSL_SN_bEUlT_E_NS1_11comp_targetILNS1_3genE0ELNS1_11target_archE4294967295ELNS1_3gpuE0ELNS1_3repE0EEENS1_30default_config_static_selectorELNS0_4arch9wavefront6targetE1EEEvT1_, .Lfunc_end214-_ZN7rocprim17ROCPRIM_400000_NS6detail17trampoline_kernelINS0_14default_configENS1_25transform_config_selectorItLb0EEEZNS1_14transform_implILb0ES3_S5_NS0_18transform_iteratorINS0_17counting_iteratorImlEEZNS1_24adjacent_difference_implIS3_Lb1ELb0EPtSB_N6thrust23THRUST_200600_302600_NS5minusItEEEE10hipError_tPvRmT2_T3_mT4_P12ihipStream_tbEUlmE_tEESB_NS0_8identityIvEEEESG_SJ_SK_mSL_SN_bEUlT_E_NS1_11comp_targetILNS1_3genE0ELNS1_11target_archE4294967295ELNS1_3gpuE0ELNS1_3repE0EEENS1_30default_config_static_selectorELNS0_4arch9wavefront6targetE1EEEvT1_
                                        ; -- End function
	.set _ZN7rocprim17ROCPRIM_400000_NS6detail17trampoline_kernelINS0_14default_configENS1_25transform_config_selectorItLb0EEEZNS1_14transform_implILb0ES3_S5_NS0_18transform_iteratorINS0_17counting_iteratorImlEEZNS1_24adjacent_difference_implIS3_Lb1ELb0EPtSB_N6thrust23THRUST_200600_302600_NS5minusItEEEE10hipError_tPvRmT2_T3_mT4_P12ihipStream_tbEUlmE_tEESB_NS0_8identityIvEEEESG_SJ_SK_mSL_SN_bEUlT_E_NS1_11comp_targetILNS1_3genE0ELNS1_11target_archE4294967295ELNS1_3gpuE0ELNS1_3repE0EEENS1_30default_config_static_selectorELNS0_4arch9wavefront6targetE1EEEvT1_.num_vgpr, 0
	.set _ZN7rocprim17ROCPRIM_400000_NS6detail17trampoline_kernelINS0_14default_configENS1_25transform_config_selectorItLb0EEEZNS1_14transform_implILb0ES3_S5_NS0_18transform_iteratorINS0_17counting_iteratorImlEEZNS1_24adjacent_difference_implIS3_Lb1ELb0EPtSB_N6thrust23THRUST_200600_302600_NS5minusItEEEE10hipError_tPvRmT2_T3_mT4_P12ihipStream_tbEUlmE_tEESB_NS0_8identityIvEEEESG_SJ_SK_mSL_SN_bEUlT_E_NS1_11comp_targetILNS1_3genE0ELNS1_11target_archE4294967295ELNS1_3gpuE0ELNS1_3repE0EEENS1_30default_config_static_selectorELNS0_4arch9wavefront6targetE1EEEvT1_.num_agpr, 0
	.set _ZN7rocprim17ROCPRIM_400000_NS6detail17trampoline_kernelINS0_14default_configENS1_25transform_config_selectorItLb0EEEZNS1_14transform_implILb0ES3_S5_NS0_18transform_iteratorINS0_17counting_iteratorImlEEZNS1_24adjacent_difference_implIS3_Lb1ELb0EPtSB_N6thrust23THRUST_200600_302600_NS5minusItEEEE10hipError_tPvRmT2_T3_mT4_P12ihipStream_tbEUlmE_tEESB_NS0_8identityIvEEEESG_SJ_SK_mSL_SN_bEUlT_E_NS1_11comp_targetILNS1_3genE0ELNS1_11target_archE4294967295ELNS1_3gpuE0ELNS1_3repE0EEENS1_30default_config_static_selectorELNS0_4arch9wavefront6targetE1EEEvT1_.numbered_sgpr, 0
	.set _ZN7rocprim17ROCPRIM_400000_NS6detail17trampoline_kernelINS0_14default_configENS1_25transform_config_selectorItLb0EEEZNS1_14transform_implILb0ES3_S5_NS0_18transform_iteratorINS0_17counting_iteratorImlEEZNS1_24adjacent_difference_implIS3_Lb1ELb0EPtSB_N6thrust23THRUST_200600_302600_NS5minusItEEEE10hipError_tPvRmT2_T3_mT4_P12ihipStream_tbEUlmE_tEESB_NS0_8identityIvEEEESG_SJ_SK_mSL_SN_bEUlT_E_NS1_11comp_targetILNS1_3genE0ELNS1_11target_archE4294967295ELNS1_3gpuE0ELNS1_3repE0EEENS1_30default_config_static_selectorELNS0_4arch9wavefront6targetE1EEEvT1_.num_named_barrier, 0
	.set _ZN7rocprim17ROCPRIM_400000_NS6detail17trampoline_kernelINS0_14default_configENS1_25transform_config_selectorItLb0EEEZNS1_14transform_implILb0ES3_S5_NS0_18transform_iteratorINS0_17counting_iteratorImlEEZNS1_24adjacent_difference_implIS3_Lb1ELb0EPtSB_N6thrust23THRUST_200600_302600_NS5minusItEEEE10hipError_tPvRmT2_T3_mT4_P12ihipStream_tbEUlmE_tEESB_NS0_8identityIvEEEESG_SJ_SK_mSL_SN_bEUlT_E_NS1_11comp_targetILNS1_3genE0ELNS1_11target_archE4294967295ELNS1_3gpuE0ELNS1_3repE0EEENS1_30default_config_static_selectorELNS0_4arch9wavefront6targetE1EEEvT1_.private_seg_size, 0
	.set _ZN7rocprim17ROCPRIM_400000_NS6detail17trampoline_kernelINS0_14default_configENS1_25transform_config_selectorItLb0EEEZNS1_14transform_implILb0ES3_S5_NS0_18transform_iteratorINS0_17counting_iteratorImlEEZNS1_24adjacent_difference_implIS3_Lb1ELb0EPtSB_N6thrust23THRUST_200600_302600_NS5minusItEEEE10hipError_tPvRmT2_T3_mT4_P12ihipStream_tbEUlmE_tEESB_NS0_8identityIvEEEESG_SJ_SK_mSL_SN_bEUlT_E_NS1_11comp_targetILNS1_3genE0ELNS1_11target_archE4294967295ELNS1_3gpuE0ELNS1_3repE0EEENS1_30default_config_static_selectorELNS0_4arch9wavefront6targetE1EEEvT1_.uses_vcc, 0
	.set _ZN7rocprim17ROCPRIM_400000_NS6detail17trampoline_kernelINS0_14default_configENS1_25transform_config_selectorItLb0EEEZNS1_14transform_implILb0ES3_S5_NS0_18transform_iteratorINS0_17counting_iteratorImlEEZNS1_24adjacent_difference_implIS3_Lb1ELb0EPtSB_N6thrust23THRUST_200600_302600_NS5minusItEEEE10hipError_tPvRmT2_T3_mT4_P12ihipStream_tbEUlmE_tEESB_NS0_8identityIvEEEESG_SJ_SK_mSL_SN_bEUlT_E_NS1_11comp_targetILNS1_3genE0ELNS1_11target_archE4294967295ELNS1_3gpuE0ELNS1_3repE0EEENS1_30default_config_static_selectorELNS0_4arch9wavefront6targetE1EEEvT1_.uses_flat_scratch, 0
	.set _ZN7rocprim17ROCPRIM_400000_NS6detail17trampoline_kernelINS0_14default_configENS1_25transform_config_selectorItLb0EEEZNS1_14transform_implILb0ES3_S5_NS0_18transform_iteratorINS0_17counting_iteratorImlEEZNS1_24adjacent_difference_implIS3_Lb1ELb0EPtSB_N6thrust23THRUST_200600_302600_NS5minusItEEEE10hipError_tPvRmT2_T3_mT4_P12ihipStream_tbEUlmE_tEESB_NS0_8identityIvEEEESG_SJ_SK_mSL_SN_bEUlT_E_NS1_11comp_targetILNS1_3genE0ELNS1_11target_archE4294967295ELNS1_3gpuE0ELNS1_3repE0EEENS1_30default_config_static_selectorELNS0_4arch9wavefront6targetE1EEEvT1_.has_dyn_sized_stack, 0
	.set _ZN7rocprim17ROCPRIM_400000_NS6detail17trampoline_kernelINS0_14default_configENS1_25transform_config_selectorItLb0EEEZNS1_14transform_implILb0ES3_S5_NS0_18transform_iteratorINS0_17counting_iteratorImlEEZNS1_24adjacent_difference_implIS3_Lb1ELb0EPtSB_N6thrust23THRUST_200600_302600_NS5minusItEEEE10hipError_tPvRmT2_T3_mT4_P12ihipStream_tbEUlmE_tEESB_NS0_8identityIvEEEESG_SJ_SK_mSL_SN_bEUlT_E_NS1_11comp_targetILNS1_3genE0ELNS1_11target_archE4294967295ELNS1_3gpuE0ELNS1_3repE0EEENS1_30default_config_static_selectorELNS0_4arch9wavefront6targetE1EEEvT1_.has_recursion, 0
	.set _ZN7rocprim17ROCPRIM_400000_NS6detail17trampoline_kernelINS0_14default_configENS1_25transform_config_selectorItLb0EEEZNS1_14transform_implILb0ES3_S5_NS0_18transform_iteratorINS0_17counting_iteratorImlEEZNS1_24adjacent_difference_implIS3_Lb1ELb0EPtSB_N6thrust23THRUST_200600_302600_NS5minusItEEEE10hipError_tPvRmT2_T3_mT4_P12ihipStream_tbEUlmE_tEESB_NS0_8identityIvEEEESG_SJ_SK_mSL_SN_bEUlT_E_NS1_11comp_targetILNS1_3genE0ELNS1_11target_archE4294967295ELNS1_3gpuE0ELNS1_3repE0EEENS1_30default_config_static_selectorELNS0_4arch9wavefront6targetE1EEEvT1_.has_indirect_call, 0
	.section	.AMDGPU.csdata,"",@progbits
; Kernel info:
; codeLenInByte = 0
; TotalNumSgprs: 4
; NumVgprs: 0
; ScratchSize: 0
; MemoryBound: 0
; FloatMode: 240
; IeeeMode: 1
; LDSByteSize: 0 bytes/workgroup (compile time only)
; SGPRBlocks: 0
; VGPRBlocks: 0
; NumSGPRsForWavesPerEU: 4
; NumVGPRsForWavesPerEU: 1
; Occupancy: 10
; WaveLimiterHint : 0
; COMPUTE_PGM_RSRC2:SCRATCH_EN: 0
; COMPUTE_PGM_RSRC2:USER_SGPR: 6
; COMPUTE_PGM_RSRC2:TRAP_HANDLER: 0
; COMPUTE_PGM_RSRC2:TGID_X_EN: 1
; COMPUTE_PGM_RSRC2:TGID_Y_EN: 0
; COMPUTE_PGM_RSRC2:TGID_Z_EN: 0
; COMPUTE_PGM_RSRC2:TIDIG_COMP_CNT: 0
	.section	.text._ZN7rocprim17ROCPRIM_400000_NS6detail17trampoline_kernelINS0_14default_configENS1_25transform_config_selectorItLb0EEEZNS1_14transform_implILb0ES3_S5_NS0_18transform_iteratorINS0_17counting_iteratorImlEEZNS1_24adjacent_difference_implIS3_Lb1ELb0EPtSB_N6thrust23THRUST_200600_302600_NS5minusItEEEE10hipError_tPvRmT2_T3_mT4_P12ihipStream_tbEUlmE_tEESB_NS0_8identityIvEEEESG_SJ_SK_mSL_SN_bEUlT_E_NS1_11comp_targetILNS1_3genE5ELNS1_11target_archE942ELNS1_3gpuE9ELNS1_3repE0EEENS1_30default_config_static_selectorELNS0_4arch9wavefront6targetE1EEEvT1_,"axG",@progbits,_ZN7rocprim17ROCPRIM_400000_NS6detail17trampoline_kernelINS0_14default_configENS1_25transform_config_selectorItLb0EEEZNS1_14transform_implILb0ES3_S5_NS0_18transform_iteratorINS0_17counting_iteratorImlEEZNS1_24adjacent_difference_implIS3_Lb1ELb0EPtSB_N6thrust23THRUST_200600_302600_NS5minusItEEEE10hipError_tPvRmT2_T3_mT4_P12ihipStream_tbEUlmE_tEESB_NS0_8identityIvEEEESG_SJ_SK_mSL_SN_bEUlT_E_NS1_11comp_targetILNS1_3genE5ELNS1_11target_archE942ELNS1_3gpuE9ELNS1_3repE0EEENS1_30default_config_static_selectorELNS0_4arch9wavefront6targetE1EEEvT1_,comdat
	.protected	_ZN7rocprim17ROCPRIM_400000_NS6detail17trampoline_kernelINS0_14default_configENS1_25transform_config_selectorItLb0EEEZNS1_14transform_implILb0ES3_S5_NS0_18transform_iteratorINS0_17counting_iteratorImlEEZNS1_24adjacent_difference_implIS3_Lb1ELb0EPtSB_N6thrust23THRUST_200600_302600_NS5minusItEEEE10hipError_tPvRmT2_T3_mT4_P12ihipStream_tbEUlmE_tEESB_NS0_8identityIvEEEESG_SJ_SK_mSL_SN_bEUlT_E_NS1_11comp_targetILNS1_3genE5ELNS1_11target_archE942ELNS1_3gpuE9ELNS1_3repE0EEENS1_30default_config_static_selectorELNS0_4arch9wavefront6targetE1EEEvT1_ ; -- Begin function _ZN7rocprim17ROCPRIM_400000_NS6detail17trampoline_kernelINS0_14default_configENS1_25transform_config_selectorItLb0EEEZNS1_14transform_implILb0ES3_S5_NS0_18transform_iteratorINS0_17counting_iteratorImlEEZNS1_24adjacent_difference_implIS3_Lb1ELb0EPtSB_N6thrust23THRUST_200600_302600_NS5minusItEEEE10hipError_tPvRmT2_T3_mT4_P12ihipStream_tbEUlmE_tEESB_NS0_8identityIvEEEESG_SJ_SK_mSL_SN_bEUlT_E_NS1_11comp_targetILNS1_3genE5ELNS1_11target_archE942ELNS1_3gpuE9ELNS1_3repE0EEENS1_30default_config_static_selectorELNS0_4arch9wavefront6targetE1EEEvT1_
	.globl	_ZN7rocprim17ROCPRIM_400000_NS6detail17trampoline_kernelINS0_14default_configENS1_25transform_config_selectorItLb0EEEZNS1_14transform_implILb0ES3_S5_NS0_18transform_iteratorINS0_17counting_iteratorImlEEZNS1_24adjacent_difference_implIS3_Lb1ELb0EPtSB_N6thrust23THRUST_200600_302600_NS5minusItEEEE10hipError_tPvRmT2_T3_mT4_P12ihipStream_tbEUlmE_tEESB_NS0_8identityIvEEEESG_SJ_SK_mSL_SN_bEUlT_E_NS1_11comp_targetILNS1_3genE5ELNS1_11target_archE942ELNS1_3gpuE9ELNS1_3repE0EEENS1_30default_config_static_selectorELNS0_4arch9wavefront6targetE1EEEvT1_
	.p2align	8
	.type	_ZN7rocprim17ROCPRIM_400000_NS6detail17trampoline_kernelINS0_14default_configENS1_25transform_config_selectorItLb0EEEZNS1_14transform_implILb0ES3_S5_NS0_18transform_iteratorINS0_17counting_iteratorImlEEZNS1_24adjacent_difference_implIS3_Lb1ELb0EPtSB_N6thrust23THRUST_200600_302600_NS5minusItEEEE10hipError_tPvRmT2_T3_mT4_P12ihipStream_tbEUlmE_tEESB_NS0_8identityIvEEEESG_SJ_SK_mSL_SN_bEUlT_E_NS1_11comp_targetILNS1_3genE5ELNS1_11target_archE942ELNS1_3gpuE9ELNS1_3repE0EEENS1_30default_config_static_selectorELNS0_4arch9wavefront6targetE1EEEvT1_,@function
_ZN7rocprim17ROCPRIM_400000_NS6detail17trampoline_kernelINS0_14default_configENS1_25transform_config_selectorItLb0EEEZNS1_14transform_implILb0ES3_S5_NS0_18transform_iteratorINS0_17counting_iteratorImlEEZNS1_24adjacent_difference_implIS3_Lb1ELb0EPtSB_N6thrust23THRUST_200600_302600_NS5minusItEEEE10hipError_tPvRmT2_T3_mT4_P12ihipStream_tbEUlmE_tEESB_NS0_8identityIvEEEESG_SJ_SK_mSL_SN_bEUlT_E_NS1_11comp_targetILNS1_3genE5ELNS1_11target_archE942ELNS1_3gpuE9ELNS1_3repE0EEENS1_30default_config_static_selectorELNS0_4arch9wavefront6targetE1EEEvT1_: ; @_ZN7rocprim17ROCPRIM_400000_NS6detail17trampoline_kernelINS0_14default_configENS1_25transform_config_selectorItLb0EEEZNS1_14transform_implILb0ES3_S5_NS0_18transform_iteratorINS0_17counting_iteratorImlEEZNS1_24adjacent_difference_implIS3_Lb1ELb0EPtSB_N6thrust23THRUST_200600_302600_NS5minusItEEEE10hipError_tPvRmT2_T3_mT4_P12ihipStream_tbEUlmE_tEESB_NS0_8identityIvEEEESG_SJ_SK_mSL_SN_bEUlT_E_NS1_11comp_targetILNS1_3genE5ELNS1_11target_archE942ELNS1_3gpuE9ELNS1_3repE0EEENS1_30default_config_static_selectorELNS0_4arch9wavefront6targetE1EEEvT1_
; %bb.0:
	.section	.rodata,"a",@progbits
	.p2align	6, 0x0
	.amdhsa_kernel _ZN7rocprim17ROCPRIM_400000_NS6detail17trampoline_kernelINS0_14default_configENS1_25transform_config_selectorItLb0EEEZNS1_14transform_implILb0ES3_S5_NS0_18transform_iteratorINS0_17counting_iteratorImlEEZNS1_24adjacent_difference_implIS3_Lb1ELb0EPtSB_N6thrust23THRUST_200600_302600_NS5minusItEEEE10hipError_tPvRmT2_T3_mT4_P12ihipStream_tbEUlmE_tEESB_NS0_8identityIvEEEESG_SJ_SK_mSL_SN_bEUlT_E_NS1_11comp_targetILNS1_3genE5ELNS1_11target_archE942ELNS1_3gpuE9ELNS1_3repE0EEENS1_30default_config_static_selectorELNS0_4arch9wavefront6targetE1EEEvT1_
		.amdhsa_group_segment_fixed_size 0
		.amdhsa_private_segment_fixed_size 0
		.amdhsa_kernarg_size 56
		.amdhsa_user_sgpr_count 6
		.amdhsa_user_sgpr_private_segment_buffer 1
		.amdhsa_user_sgpr_dispatch_ptr 0
		.amdhsa_user_sgpr_queue_ptr 0
		.amdhsa_user_sgpr_kernarg_segment_ptr 1
		.amdhsa_user_sgpr_dispatch_id 0
		.amdhsa_user_sgpr_flat_scratch_init 0
		.amdhsa_user_sgpr_private_segment_size 0
		.amdhsa_uses_dynamic_stack 0
		.amdhsa_system_sgpr_private_segment_wavefront_offset 0
		.amdhsa_system_sgpr_workgroup_id_x 1
		.amdhsa_system_sgpr_workgroup_id_y 0
		.amdhsa_system_sgpr_workgroup_id_z 0
		.amdhsa_system_sgpr_workgroup_info 0
		.amdhsa_system_vgpr_workitem_id 0
		.amdhsa_next_free_vgpr 1
		.amdhsa_next_free_sgpr 0
		.amdhsa_reserve_vcc 0
		.amdhsa_reserve_flat_scratch 0
		.amdhsa_float_round_mode_32 0
		.amdhsa_float_round_mode_16_64 0
		.amdhsa_float_denorm_mode_32 3
		.amdhsa_float_denorm_mode_16_64 3
		.amdhsa_dx10_clamp 1
		.amdhsa_ieee_mode 1
		.amdhsa_fp16_overflow 0
		.amdhsa_exception_fp_ieee_invalid_op 0
		.amdhsa_exception_fp_denorm_src 0
		.amdhsa_exception_fp_ieee_div_zero 0
		.amdhsa_exception_fp_ieee_overflow 0
		.amdhsa_exception_fp_ieee_underflow 0
		.amdhsa_exception_fp_ieee_inexact 0
		.amdhsa_exception_int_div_zero 0
	.end_amdhsa_kernel
	.section	.text._ZN7rocprim17ROCPRIM_400000_NS6detail17trampoline_kernelINS0_14default_configENS1_25transform_config_selectorItLb0EEEZNS1_14transform_implILb0ES3_S5_NS0_18transform_iteratorINS0_17counting_iteratorImlEEZNS1_24adjacent_difference_implIS3_Lb1ELb0EPtSB_N6thrust23THRUST_200600_302600_NS5minusItEEEE10hipError_tPvRmT2_T3_mT4_P12ihipStream_tbEUlmE_tEESB_NS0_8identityIvEEEESG_SJ_SK_mSL_SN_bEUlT_E_NS1_11comp_targetILNS1_3genE5ELNS1_11target_archE942ELNS1_3gpuE9ELNS1_3repE0EEENS1_30default_config_static_selectorELNS0_4arch9wavefront6targetE1EEEvT1_,"axG",@progbits,_ZN7rocprim17ROCPRIM_400000_NS6detail17trampoline_kernelINS0_14default_configENS1_25transform_config_selectorItLb0EEEZNS1_14transform_implILb0ES3_S5_NS0_18transform_iteratorINS0_17counting_iteratorImlEEZNS1_24adjacent_difference_implIS3_Lb1ELb0EPtSB_N6thrust23THRUST_200600_302600_NS5minusItEEEE10hipError_tPvRmT2_T3_mT4_P12ihipStream_tbEUlmE_tEESB_NS0_8identityIvEEEESG_SJ_SK_mSL_SN_bEUlT_E_NS1_11comp_targetILNS1_3genE5ELNS1_11target_archE942ELNS1_3gpuE9ELNS1_3repE0EEENS1_30default_config_static_selectorELNS0_4arch9wavefront6targetE1EEEvT1_,comdat
.Lfunc_end215:
	.size	_ZN7rocprim17ROCPRIM_400000_NS6detail17trampoline_kernelINS0_14default_configENS1_25transform_config_selectorItLb0EEEZNS1_14transform_implILb0ES3_S5_NS0_18transform_iteratorINS0_17counting_iteratorImlEEZNS1_24adjacent_difference_implIS3_Lb1ELb0EPtSB_N6thrust23THRUST_200600_302600_NS5minusItEEEE10hipError_tPvRmT2_T3_mT4_P12ihipStream_tbEUlmE_tEESB_NS0_8identityIvEEEESG_SJ_SK_mSL_SN_bEUlT_E_NS1_11comp_targetILNS1_3genE5ELNS1_11target_archE942ELNS1_3gpuE9ELNS1_3repE0EEENS1_30default_config_static_selectorELNS0_4arch9wavefront6targetE1EEEvT1_, .Lfunc_end215-_ZN7rocprim17ROCPRIM_400000_NS6detail17trampoline_kernelINS0_14default_configENS1_25transform_config_selectorItLb0EEEZNS1_14transform_implILb0ES3_S5_NS0_18transform_iteratorINS0_17counting_iteratorImlEEZNS1_24adjacent_difference_implIS3_Lb1ELb0EPtSB_N6thrust23THRUST_200600_302600_NS5minusItEEEE10hipError_tPvRmT2_T3_mT4_P12ihipStream_tbEUlmE_tEESB_NS0_8identityIvEEEESG_SJ_SK_mSL_SN_bEUlT_E_NS1_11comp_targetILNS1_3genE5ELNS1_11target_archE942ELNS1_3gpuE9ELNS1_3repE0EEENS1_30default_config_static_selectorELNS0_4arch9wavefront6targetE1EEEvT1_
                                        ; -- End function
	.set _ZN7rocprim17ROCPRIM_400000_NS6detail17trampoline_kernelINS0_14default_configENS1_25transform_config_selectorItLb0EEEZNS1_14transform_implILb0ES3_S5_NS0_18transform_iteratorINS0_17counting_iteratorImlEEZNS1_24adjacent_difference_implIS3_Lb1ELb0EPtSB_N6thrust23THRUST_200600_302600_NS5minusItEEEE10hipError_tPvRmT2_T3_mT4_P12ihipStream_tbEUlmE_tEESB_NS0_8identityIvEEEESG_SJ_SK_mSL_SN_bEUlT_E_NS1_11comp_targetILNS1_3genE5ELNS1_11target_archE942ELNS1_3gpuE9ELNS1_3repE0EEENS1_30default_config_static_selectorELNS0_4arch9wavefront6targetE1EEEvT1_.num_vgpr, 0
	.set _ZN7rocprim17ROCPRIM_400000_NS6detail17trampoline_kernelINS0_14default_configENS1_25transform_config_selectorItLb0EEEZNS1_14transform_implILb0ES3_S5_NS0_18transform_iteratorINS0_17counting_iteratorImlEEZNS1_24adjacent_difference_implIS3_Lb1ELb0EPtSB_N6thrust23THRUST_200600_302600_NS5minusItEEEE10hipError_tPvRmT2_T3_mT4_P12ihipStream_tbEUlmE_tEESB_NS0_8identityIvEEEESG_SJ_SK_mSL_SN_bEUlT_E_NS1_11comp_targetILNS1_3genE5ELNS1_11target_archE942ELNS1_3gpuE9ELNS1_3repE0EEENS1_30default_config_static_selectorELNS0_4arch9wavefront6targetE1EEEvT1_.num_agpr, 0
	.set _ZN7rocprim17ROCPRIM_400000_NS6detail17trampoline_kernelINS0_14default_configENS1_25transform_config_selectorItLb0EEEZNS1_14transform_implILb0ES3_S5_NS0_18transform_iteratorINS0_17counting_iteratorImlEEZNS1_24adjacent_difference_implIS3_Lb1ELb0EPtSB_N6thrust23THRUST_200600_302600_NS5minusItEEEE10hipError_tPvRmT2_T3_mT4_P12ihipStream_tbEUlmE_tEESB_NS0_8identityIvEEEESG_SJ_SK_mSL_SN_bEUlT_E_NS1_11comp_targetILNS1_3genE5ELNS1_11target_archE942ELNS1_3gpuE9ELNS1_3repE0EEENS1_30default_config_static_selectorELNS0_4arch9wavefront6targetE1EEEvT1_.numbered_sgpr, 0
	.set _ZN7rocprim17ROCPRIM_400000_NS6detail17trampoline_kernelINS0_14default_configENS1_25transform_config_selectorItLb0EEEZNS1_14transform_implILb0ES3_S5_NS0_18transform_iteratorINS0_17counting_iteratorImlEEZNS1_24adjacent_difference_implIS3_Lb1ELb0EPtSB_N6thrust23THRUST_200600_302600_NS5minusItEEEE10hipError_tPvRmT2_T3_mT4_P12ihipStream_tbEUlmE_tEESB_NS0_8identityIvEEEESG_SJ_SK_mSL_SN_bEUlT_E_NS1_11comp_targetILNS1_3genE5ELNS1_11target_archE942ELNS1_3gpuE9ELNS1_3repE0EEENS1_30default_config_static_selectorELNS0_4arch9wavefront6targetE1EEEvT1_.num_named_barrier, 0
	.set _ZN7rocprim17ROCPRIM_400000_NS6detail17trampoline_kernelINS0_14default_configENS1_25transform_config_selectorItLb0EEEZNS1_14transform_implILb0ES3_S5_NS0_18transform_iteratorINS0_17counting_iteratorImlEEZNS1_24adjacent_difference_implIS3_Lb1ELb0EPtSB_N6thrust23THRUST_200600_302600_NS5minusItEEEE10hipError_tPvRmT2_T3_mT4_P12ihipStream_tbEUlmE_tEESB_NS0_8identityIvEEEESG_SJ_SK_mSL_SN_bEUlT_E_NS1_11comp_targetILNS1_3genE5ELNS1_11target_archE942ELNS1_3gpuE9ELNS1_3repE0EEENS1_30default_config_static_selectorELNS0_4arch9wavefront6targetE1EEEvT1_.private_seg_size, 0
	.set _ZN7rocprim17ROCPRIM_400000_NS6detail17trampoline_kernelINS0_14default_configENS1_25transform_config_selectorItLb0EEEZNS1_14transform_implILb0ES3_S5_NS0_18transform_iteratorINS0_17counting_iteratorImlEEZNS1_24adjacent_difference_implIS3_Lb1ELb0EPtSB_N6thrust23THRUST_200600_302600_NS5minusItEEEE10hipError_tPvRmT2_T3_mT4_P12ihipStream_tbEUlmE_tEESB_NS0_8identityIvEEEESG_SJ_SK_mSL_SN_bEUlT_E_NS1_11comp_targetILNS1_3genE5ELNS1_11target_archE942ELNS1_3gpuE9ELNS1_3repE0EEENS1_30default_config_static_selectorELNS0_4arch9wavefront6targetE1EEEvT1_.uses_vcc, 0
	.set _ZN7rocprim17ROCPRIM_400000_NS6detail17trampoline_kernelINS0_14default_configENS1_25transform_config_selectorItLb0EEEZNS1_14transform_implILb0ES3_S5_NS0_18transform_iteratorINS0_17counting_iteratorImlEEZNS1_24adjacent_difference_implIS3_Lb1ELb0EPtSB_N6thrust23THRUST_200600_302600_NS5minusItEEEE10hipError_tPvRmT2_T3_mT4_P12ihipStream_tbEUlmE_tEESB_NS0_8identityIvEEEESG_SJ_SK_mSL_SN_bEUlT_E_NS1_11comp_targetILNS1_3genE5ELNS1_11target_archE942ELNS1_3gpuE9ELNS1_3repE0EEENS1_30default_config_static_selectorELNS0_4arch9wavefront6targetE1EEEvT1_.uses_flat_scratch, 0
	.set _ZN7rocprim17ROCPRIM_400000_NS6detail17trampoline_kernelINS0_14default_configENS1_25transform_config_selectorItLb0EEEZNS1_14transform_implILb0ES3_S5_NS0_18transform_iteratorINS0_17counting_iteratorImlEEZNS1_24adjacent_difference_implIS3_Lb1ELb0EPtSB_N6thrust23THRUST_200600_302600_NS5minusItEEEE10hipError_tPvRmT2_T3_mT4_P12ihipStream_tbEUlmE_tEESB_NS0_8identityIvEEEESG_SJ_SK_mSL_SN_bEUlT_E_NS1_11comp_targetILNS1_3genE5ELNS1_11target_archE942ELNS1_3gpuE9ELNS1_3repE0EEENS1_30default_config_static_selectorELNS0_4arch9wavefront6targetE1EEEvT1_.has_dyn_sized_stack, 0
	.set _ZN7rocprim17ROCPRIM_400000_NS6detail17trampoline_kernelINS0_14default_configENS1_25transform_config_selectorItLb0EEEZNS1_14transform_implILb0ES3_S5_NS0_18transform_iteratorINS0_17counting_iteratorImlEEZNS1_24adjacent_difference_implIS3_Lb1ELb0EPtSB_N6thrust23THRUST_200600_302600_NS5minusItEEEE10hipError_tPvRmT2_T3_mT4_P12ihipStream_tbEUlmE_tEESB_NS0_8identityIvEEEESG_SJ_SK_mSL_SN_bEUlT_E_NS1_11comp_targetILNS1_3genE5ELNS1_11target_archE942ELNS1_3gpuE9ELNS1_3repE0EEENS1_30default_config_static_selectorELNS0_4arch9wavefront6targetE1EEEvT1_.has_recursion, 0
	.set _ZN7rocprim17ROCPRIM_400000_NS6detail17trampoline_kernelINS0_14default_configENS1_25transform_config_selectorItLb0EEEZNS1_14transform_implILb0ES3_S5_NS0_18transform_iteratorINS0_17counting_iteratorImlEEZNS1_24adjacent_difference_implIS3_Lb1ELb0EPtSB_N6thrust23THRUST_200600_302600_NS5minusItEEEE10hipError_tPvRmT2_T3_mT4_P12ihipStream_tbEUlmE_tEESB_NS0_8identityIvEEEESG_SJ_SK_mSL_SN_bEUlT_E_NS1_11comp_targetILNS1_3genE5ELNS1_11target_archE942ELNS1_3gpuE9ELNS1_3repE0EEENS1_30default_config_static_selectorELNS0_4arch9wavefront6targetE1EEEvT1_.has_indirect_call, 0
	.section	.AMDGPU.csdata,"",@progbits
; Kernel info:
; codeLenInByte = 0
; TotalNumSgprs: 4
; NumVgprs: 0
; ScratchSize: 0
; MemoryBound: 0
; FloatMode: 240
; IeeeMode: 1
; LDSByteSize: 0 bytes/workgroup (compile time only)
; SGPRBlocks: 0
; VGPRBlocks: 0
; NumSGPRsForWavesPerEU: 4
; NumVGPRsForWavesPerEU: 1
; Occupancy: 10
; WaveLimiterHint : 0
; COMPUTE_PGM_RSRC2:SCRATCH_EN: 0
; COMPUTE_PGM_RSRC2:USER_SGPR: 6
; COMPUTE_PGM_RSRC2:TRAP_HANDLER: 0
; COMPUTE_PGM_RSRC2:TGID_X_EN: 1
; COMPUTE_PGM_RSRC2:TGID_Y_EN: 0
; COMPUTE_PGM_RSRC2:TGID_Z_EN: 0
; COMPUTE_PGM_RSRC2:TIDIG_COMP_CNT: 0
	.section	.text._ZN7rocprim17ROCPRIM_400000_NS6detail17trampoline_kernelINS0_14default_configENS1_25transform_config_selectorItLb0EEEZNS1_14transform_implILb0ES3_S5_NS0_18transform_iteratorINS0_17counting_iteratorImlEEZNS1_24adjacent_difference_implIS3_Lb1ELb0EPtSB_N6thrust23THRUST_200600_302600_NS5minusItEEEE10hipError_tPvRmT2_T3_mT4_P12ihipStream_tbEUlmE_tEESB_NS0_8identityIvEEEESG_SJ_SK_mSL_SN_bEUlT_E_NS1_11comp_targetILNS1_3genE4ELNS1_11target_archE910ELNS1_3gpuE8ELNS1_3repE0EEENS1_30default_config_static_selectorELNS0_4arch9wavefront6targetE1EEEvT1_,"axG",@progbits,_ZN7rocprim17ROCPRIM_400000_NS6detail17trampoline_kernelINS0_14default_configENS1_25transform_config_selectorItLb0EEEZNS1_14transform_implILb0ES3_S5_NS0_18transform_iteratorINS0_17counting_iteratorImlEEZNS1_24adjacent_difference_implIS3_Lb1ELb0EPtSB_N6thrust23THRUST_200600_302600_NS5minusItEEEE10hipError_tPvRmT2_T3_mT4_P12ihipStream_tbEUlmE_tEESB_NS0_8identityIvEEEESG_SJ_SK_mSL_SN_bEUlT_E_NS1_11comp_targetILNS1_3genE4ELNS1_11target_archE910ELNS1_3gpuE8ELNS1_3repE0EEENS1_30default_config_static_selectorELNS0_4arch9wavefront6targetE1EEEvT1_,comdat
	.protected	_ZN7rocprim17ROCPRIM_400000_NS6detail17trampoline_kernelINS0_14default_configENS1_25transform_config_selectorItLb0EEEZNS1_14transform_implILb0ES3_S5_NS0_18transform_iteratorINS0_17counting_iteratorImlEEZNS1_24adjacent_difference_implIS3_Lb1ELb0EPtSB_N6thrust23THRUST_200600_302600_NS5minusItEEEE10hipError_tPvRmT2_T3_mT4_P12ihipStream_tbEUlmE_tEESB_NS0_8identityIvEEEESG_SJ_SK_mSL_SN_bEUlT_E_NS1_11comp_targetILNS1_3genE4ELNS1_11target_archE910ELNS1_3gpuE8ELNS1_3repE0EEENS1_30default_config_static_selectorELNS0_4arch9wavefront6targetE1EEEvT1_ ; -- Begin function _ZN7rocprim17ROCPRIM_400000_NS6detail17trampoline_kernelINS0_14default_configENS1_25transform_config_selectorItLb0EEEZNS1_14transform_implILb0ES3_S5_NS0_18transform_iteratorINS0_17counting_iteratorImlEEZNS1_24adjacent_difference_implIS3_Lb1ELb0EPtSB_N6thrust23THRUST_200600_302600_NS5minusItEEEE10hipError_tPvRmT2_T3_mT4_P12ihipStream_tbEUlmE_tEESB_NS0_8identityIvEEEESG_SJ_SK_mSL_SN_bEUlT_E_NS1_11comp_targetILNS1_3genE4ELNS1_11target_archE910ELNS1_3gpuE8ELNS1_3repE0EEENS1_30default_config_static_selectorELNS0_4arch9wavefront6targetE1EEEvT1_
	.globl	_ZN7rocprim17ROCPRIM_400000_NS6detail17trampoline_kernelINS0_14default_configENS1_25transform_config_selectorItLb0EEEZNS1_14transform_implILb0ES3_S5_NS0_18transform_iteratorINS0_17counting_iteratorImlEEZNS1_24adjacent_difference_implIS3_Lb1ELb0EPtSB_N6thrust23THRUST_200600_302600_NS5minusItEEEE10hipError_tPvRmT2_T3_mT4_P12ihipStream_tbEUlmE_tEESB_NS0_8identityIvEEEESG_SJ_SK_mSL_SN_bEUlT_E_NS1_11comp_targetILNS1_3genE4ELNS1_11target_archE910ELNS1_3gpuE8ELNS1_3repE0EEENS1_30default_config_static_selectorELNS0_4arch9wavefront6targetE1EEEvT1_
	.p2align	8
	.type	_ZN7rocprim17ROCPRIM_400000_NS6detail17trampoline_kernelINS0_14default_configENS1_25transform_config_selectorItLb0EEEZNS1_14transform_implILb0ES3_S5_NS0_18transform_iteratorINS0_17counting_iteratorImlEEZNS1_24adjacent_difference_implIS3_Lb1ELb0EPtSB_N6thrust23THRUST_200600_302600_NS5minusItEEEE10hipError_tPvRmT2_T3_mT4_P12ihipStream_tbEUlmE_tEESB_NS0_8identityIvEEEESG_SJ_SK_mSL_SN_bEUlT_E_NS1_11comp_targetILNS1_3genE4ELNS1_11target_archE910ELNS1_3gpuE8ELNS1_3repE0EEENS1_30default_config_static_selectorELNS0_4arch9wavefront6targetE1EEEvT1_,@function
_ZN7rocprim17ROCPRIM_400000_NS6detail17trampoline_kernelINS0_14default_configENS1_25transform_config_selectorItLb0EEEZNS1_14transform_implILb0ES3_S5_NS0_18transform_iteratorINS0_17counting_iteratorImlEEZNS1_24adjacent_difference_implIS3_Lb1ELb0EPtSB_N6thrust23THRUST_200600_302600_NS5minusItEEEE10hipError_tPvRmT2_T3_mT4_P12ihipStream_tbEUlmE_tEESB_NS0_8identityIvEEEESG_SJ_SK_mSL_SN_bEUlT_E_NS1_11comp_targetILNS1_3genE4ELNS1_11target_archE910ELNS1_3gpuE8ELNS1_3repE0EEENS1_30default_config_static_selectorELNS0_4arch9wavefront6targetE1EEEvT1_: ; @_ZN7rocprim17ROCPRIM_400000_NS6detail17trampoline_kernelINS0_14default_configENS1_25transform_config_selectorItLb0EEEZNS1_14transform_implILb0ES3_S5_NS0_18transform_iteratorINS0_17counting_iteratorImlEEZNS1_24adjacent_difference_implIS3_Lb1ELb0EPtSB_N6thrust23THRUST_200600_302600_NS5minusItEEEE10hipError_tPvRmT2_T3_mT4_P12ihipStream_tbEUlmE_tEESB_NS0_8identityIvEEEESG_SJ_SK_mSL_SN_bEUlT_E_NS1_11comp_targetILNS1_3genE4ELNS1_11target_archE910ELNS1_3gpuE8ELNS1_3repE0EEENS1_30default_config_static_selectorELNS0_4arch9wavefront6targetE1EEEvT1_
; %bb.0:
	.section	.rodata,"a",@progbits
	.p2align	6, 0x0
	.amdhsa_kernel _ZN7rocprim17ROCPRIM_400000_NS6detail17trampoline_kernelINS0_14default_configENS1_25transform_config_selectorItLb0EEEZNS1_14transform_implILb0ES3_S5_NS0_18transform_iteratorINS0_17counting_iteratorImlEEZNS1_24adjacent_difference_implIS3_Lb1ELb0EPtSB_N6thrust23THRUST_200600_302600_NS5minusItEEEE10hipError_tPvRmT2_T3_mT4_P12ihipStream_tbEUlmE_tEESB_NS0_8identityIvEEEESG_SJ_SK_mSL_SN_bEUlT_E_NS1_11comp_targetILNS1_3genE4ELNS1_11target_archE910ELNS1_3gpuE8ELNS1_3repE0EEENS1_30default_config_static_selectorELNS0_4arch9wavefront6targetE1EEEvT1_
		.amdhsa_group_segment_fixed_size 0
		.amdhsa_private_segment_fixed_size 0
		.amdhsa_kernarg_size 56
		.amdhsa_user_sgpr_count 6
		.amdhsa_user_sgpr_private_segment_buffer 1
		.amdhsa_user_sgpr_dispatch_ptr 0
		.amdhsa_user_sgpr_queue_ptr 0
		.amdhsa_user_sgpr_kernarg_segment_ptr 1
		.amdhsa_user_sgpr_dispatch_id 0
		.amdhsa_user_sgpr_flat_scratch_init 0
		.amdhsa_user_sgpr_private_segment_size 0
		.amdhsa_uses_dynamic_stack 0
		.amdhsa_system_sgpr_private_segment_wavefront_offset 0
		.amdhsa_system_sgpr_workgroup_id_x 1
		.amdhsa_system_sgpr_workgroup_id_y 0
		.amdhsa_system_sgpr_workgroup_id_z 0
		.amdhsa_system_sgpr_workgroup_info 0
		.amdhsa_system_vgpr_workitem_id 0
		.amdhsa_next_free_vgpr 1
		.amdhsa_next_free_sgpr 0
		.amdhsa_reserve_vcc 0
		.amdhsa_reserve_flat_scratch 0
		.amdhsa_float_round_mode_32 0
		.amdhsa_float_round_mode_16_64 0
		.amdhsa_float_denorm_mode_32 3
		.amdhsa_float_denorm_mode_16_64 3
		.amdhsa_dx10_clamp 1
		.amdhsa_ieee_mode 1
		.amdhsa_fp16_overflow 0
		.amdhsa_exception_fp_ieee_invalid_op 0
		.amdhsa_exception_fp_denorm_src 0
		.amdhsa_exception_fp_ieee_div_zero 0
		.amdhsa_exception_fp_ieee_overflow 0
		.amdhsa_exception_fp_ieee_underflow 0
		.amdhsa_exception_fp_ieee_inexact 0
		.amdhsa_exception_int_div_zero 0
	.end_amdhsa_kernel
	.section	.text._ZN7rocprim17ROCPRIM_400000_NS6detail17trampoline_kernelINS0_14default_configENS1_25transform_config_selectorItLb0EEEZNS1_14transform_implILb0ES3_S5_NS0_18transform_iteratorINS0_17counting_iteratorImlEEZNS1_24adjacent_difference_implIS3_Lb1ELb0EPtSB_N6thrust23THRUST_200600_302600_NS5minusItEEEE10hipError_tPvRmT2_T3_mT4_P12ihipStream_tbEUlmE_tEESB_NS0_8identityIvEEEESG_SJ_SK_mSL_SN_bEUlT_E_NS1_11comp_targetILNS1_3genE4ELNS1_11target_archE910ELNS1_3gpuE8ELNS1_3repE0EEENS1_30default_config_static_selectorELNS0_4arch9wavefront6targetE1EEEvT1_,"axG",@progbits,_ZN7rocprim17ROCPRIM_400000_NS6detail17trampoline_kernelINS0_14default_configENS1_25transform_config_selectorItLb0EEEZNS1_14transform_implILb0ES3_S5_NS0_18transform_iteratorINS0_17counting_iteratorImlEEZNS1_24adjacent_difference_implIS3_Lb1ELb0EPtSB_N6thrust23THRUST_200600_302600_NS5minusItEEEE10hipError_tPvRmT2_T3_mT4_P12ihipStream_tbEUlmE_tEESB_NS0_8identityIvEEEESG_SJ_SK_mSL_SN_bEUlT_E_NS1_11comp_targetILNS1_3genE4ELNS1_11target_archE910ELNS1_3gpuE8ELNS1_3repE0EEENS1_30default_config_static_selectorELNS0_4arch9wavefront6targetE1EEEvT1_,comdat
.Lfunc_end216:
	.size	_ZN7rocprim17ROCPRIM_400000_NS6detail17trampoline_kernelINS0_14default_configENS1_25transform_config_selectorItLb0EEEZNS1_14transform_implILb0ES3_S5_NS0_18transform_iteratorINS0_17counting_iteratorImlEEZNS1_24adjacent_difference_implIS3_Lb1ELb0EPtSB_N6thrust23THRUST_200600_302600_NS5minusItEEEE10hipError_tPvRmT2_T3_mT4_P12ihipStream_tbEUlmE_tEESB_NS0_8identityIvEEEESG_SJ_SK_mSL_SN_bEUlT_E_NS1_11comp_targetILNS1_3genE4ELNS1_11target_archE910ELNS1_3gpuE8ELNS1_3repE0EEENS1_30default_config_static_selectorELNS0_4arch9wavefront6targetE1EEEvT1_, .Lfunc_end216-_ZN7rocprim17ROCPRIM_400000_NS6detail17trampoline_kernelINS0_14default_configENS1_25transform_config_selectorItLb0EEEZNS1_14transform_implILb0ES3_S5_NS0_18transform_iteratorINS0_17counting_iteratorImlEEZNS1_24adjacent_difference_implIS3_Lb1ELb0EPtSB_N6thrust23THRUST_200600_302600_NS5minusItEEEE10hipError_tPvRmT2_T3_mT4_P12ihipStream_tbEUlmE_tEESB_NS0_8identityIvEEEESG_SJ_SK_mSL_SN_bEUlT_E_NS1_11comp_targetILNS1_3genE4ELNS1_11target_archE910ELNS1_3gpuE8ELNS1_3repE0EEENS1_30default_config_static_selectorELNS0_4arch9wavefront6targetE1EEEvT1_
                                        ; -- End function
	.set _ZN7rocprim17ROCPRIM_400000_NS6detail17trampoline_kernelINS0_14default_configENS1_25transform_config_selectorItLb0EEEZNS1_14transform_implILb0ES3_S5_NS0_18transform_iteratorINS0_17counting_iteratorImlEEZNS1_24adjacent_difference_implIS3_Lb1ELb0EPtSB_N6thrust23THRUST_200600_302600_NS5minusItEEEE10hipError_tPvRmT2_T3_mT4_P12ihipStream_tbEUlmE_tEESB_NS0_8identityIvEEEESG_SJ_SK_mSL_SN_bEUlT_E_NS1_11comp_targetILNS1_3genE4ELNS1_11target_archE910ELNS1_3gpuE8ELNS1_3repE0EEENS1_30default_config_static_selectorELNS0_4arch9wavefront6targetE1EEEvT1_.num_vgpr, 0
	.set _ZN7rocprim17ROCPRIM_400000_NS6detail17trampoline_kernelINS0_14default_configENS1_25transform_config_selectorItLb0EEEZNS1_14transform_implILb0ES3_S5_NS0_18transform_iteratorINS0_17counting_iteratorImlEEZNS1_24adjacent_difference_implIS3_Lb1ELb0EPtSB_N6thrust23THRUST_200600_302600_NS5minusItEEEE10hipError_tPvRmT2_T3_mT4_P12ihipStream_tbEUlmE_tEESB_NS0_8identityIvEEEESG_SJ_SK_mSL_SN_bEUlT_E_NS1_11comp_targetILNS1_3genE4ELNS1_11target_archE910ELNS1_3gpuE8ELNS1_3repE0EEENS1_30default_config_static_selectorELNS0_4arch9wavefront6targetE1EEEvT1_.num_agpr, 0
	.set _ZN7rocprim17ROCPRIM_400000_NS6detail17trampoline_kernelINS0_14default_configENS1_25transform_config_selectorItLb0EEEZNS1_14transform_implILb0ES3_S5_NS0_18transform_iteratorINS0_17counting_iteratorImlEEZNS1_24adjacent_difference_implIS3_Lb1ELb0EPtSB_N6thrust23THRUST_200600_302600_NS5minusItEEEE10hipError_tPvRmT2_T3_mT4_P12ihipStream_tbEUlmE_tEESB_NS0_8identityIvEEEESG_SJ_SK_mSL_SN_bEUlT_E_NS1_11comp_targetILNS1_3genE4ELNS1_11target_archE910ELNS1_3gpuE8ELNS1_3repE0EEENS1_30default_config_static_selectorELNS0_4arch9wavefront6targetE1EEEvT1_.numbered_sgpr, 0
	.set _ZN7rocprim17ROCPRIM_400000_NS6detail17trampoline_kernelINS0_14default_configENS1_25transform_config_selectorItLb0EEEZNS1_14transform_implILb0ES3_S5_NS0_18transform_iteratorINS0_17counting_iteratorImlEEZNS1_24adjacent_difference_implIS3_Lb1ELb0EPtSB_N6thrust23THRUST_200600_302600_NS5minusItEEEE10hipError_tPvRmT2_T3_mT4_P12ihipStream_tbEUlmE_tEESB_NS0_8identityIvEEEESG_SJ_SK_mSL_SN_bEUlT_E_NS1_11comp_targetILNS1_3genE4ELNS1_11target_archE910ELNS1_3gpuE8ELNS1_3repE0EEENS1_30default_config_static_selectorELNS0_4arch9wavefront6targetE1EEEvT1_.num_named_barrier, 0
	.set _ZN7rocprim17ROCPRIM_400000_NS6detail17trampoline_kernelINS0_14default_configENS1_25transform_config_selectorItLb0EEEZNS1_14transform_implILb0ES3_S5_NS0_18transform_iteratorINS0_17counting_iteratorImlEEZNS1_24adjacent_difference_implIS3_Lb1ELb0EPtSB_N6thrust23THRUST_200600_302600_NS5minusItEEEE10hipError_tPvRmT2_T3_mT4_P12ihipStream_tbEUlmE_tEESB_NS0_8identityIvEEEESG_SJ_SK_mSL_SN_bEUlT_E_NS1_11comp_targetILNS1_3genE4ELNS1_11target_archE910ELNS1_3gpuE8ELNS1_3repE0EEENS1_30default_config_static_selectorELNS0_4arch9wavefront6targetE1EEEvT1_.private_seg_size, 0
	.set _ZN7rocprim17ROCPRIM_400000_NS6detail17trampoline_kernelINS0_14default_configENS1_25transform_config_selectorItLb0EEEZNS1_14transform_implILb0ES3_S5_NS0_18transform_iteratorINS0_17counting_iteratorImlEEZNS1_24adjacent_difference_implIS3_Lb1ELb0EPtSB_N6thrust23THRUST_200600_302600_NS5minusItEEEE10hipError_tPvRmT2_T3_mT4_P12ihipStream_tbEUlmE_tEESB_NS0_8identityIvEEEESG_SJ_SK_mSL_SN_bEUlT_E_NS1_11comp_targetILNS1_3genE4ELNS1_11target_archE910ELNS1_3gpuE8ELNS1_3repE0EEENS1_30default_config_static_selectorELNS0_4arch9wavefront6targetE1EEEvT1_.uses_vcc, 0
	.set _ZN7rocprim17ROCPRIM_400000_NS6detail17trampoline_kernelINS0_14default_configENS1_25transform_config_selectorItLb0EEEZNS1_14transform_implILb0ES3_S5_NS0_18transform_iteratorINS0_17counting_iteratorImlEEZNS1_24adjacent_difference_implIS3_Lb1ELb0EPtSB_N6thrust23THRUST_200600_302600_NS5minusItEEEE10hipError_tPvRmT2_T3_mT4_P12ihipStream_tbEUlmE_tEESB_NS0_8identityIvEEEESG_SJ_SK_mSL_SN_bEUlT_E_NS1_11comp_targetILNS1_3genE4ELNS1_11target_archE910ELNS1_3gpuE8ELNS1_3repE0EEENS1_30default_config_static_selectorELNS0_4arch9wavefront6targetE1EEEvT1_.uses_flat_scratch, 0
	.set _ZN7rocprim17ROCPRIM_400000_NS6detail17trampoline_kernelINS0_14default_configENS1_25transform_config_selectorItLb0EEEZNS1_14transform_implILb0ES3_S5_NS0_18transform_iteratorINS0_17counting_iteratorImlEEZNS1_24adjacent_difference_implIS3_Lb1ELb0EPtSB_N6thrust23THRUST_200600_302600_NS5minusItEEEE10hipError_tPvRmT2_T3_mT4_P12ihipStream_tbEUlmE_tEESB_NS0_8identityIvEEEESG_SJ_SK_mSL_SN_bEUlT_E_NS1_11comp_targetILNS1_3genE4ELNS1_11target_archE910ELNS1_3gpuE8ELNS1_3repE0EEENS1_30default_config_static_selectorELNS0_4arch9wavefront6targetE1EEEvT1_.has_dyn_sized_stack, 0
	.set _ZN7rocprim17ROCPRIM_400000_NS6detail17trampoline_kernelINS0_14default_configENS1_25transform_config_selectorItLb0EEEZNS1_14transform_implILb0ES3_S5_NS0_18transform_iteratorINS0_17counting_iteratorImlEEZNS1_24adjacent_difference_implIS3_Lb1ELb0EPtSB_N6thrust23THRUST_200600_302600_NS5minusItEEEE10hipError_tPvRmT2_T3_mT4_P12ihipStream_tbEUlmE_tEESB_NS0_8identityIvEEEESG_SJ_SK_mSL_SN_bEUlT_E_NS1_11comp_targetILNS1_3genE4ELNS1_11target_archE910ELNS1_3gpuE8ELNS1_3repE0EEENS1_30default_config_static_selectorELNS0_4arch9wavefront6targetE1EEEvT1_.has_recursion, 0
	.set _ZN7rocprim17ROCPRIM_400000_NS6detail17trampoline_kernelINS0_14default_configENS1_25transform_config_selectorItLb0EEEZNS1_14transform_implILb0ES3_S5_NS0_18transform_iteratorINS0_17counting_iteratorImlEEZNS1_24adjacent_difference_implIS3_Lb1ELb0EPtSB_N6thrust23THRUST_200600_302600_NS5minusItEEEE10hipError_tPvRmT2_T3_mT4_P12ihipStream_tbEUlmE_tEESB_NS0_8identityIvEEEESG_SJ_SK_mSL_SN_bEUlT_E_NS1_11comp_targetILNS1_3genE4ELNS1_11target_archE910ELNS1_3gpuE8ELNS1_3repE0EEENS1_30default_config_static_selectorELNS0_4arch9wavefront6targetE1EEEvT1_.has_indirect_call, 0
	.section	.AMDGPU.csdata,"",@progbits
; Kernel info:
; codeLenInByte = 0
; TotalNumSgprs: 4
; NumVgprs: 0
; ScratchSize: 0
; MemoryBound: 0
; FloatMode: 240
; IeeeMode: 1
; LDSByteSize: 0 bytes/workgroup (compile time only)
; SGPRBlocks: 0
; VGPRBlocks: 0
; NumSGPRsForWavesPerEU: 4
; NumVGPRsForWavesPerEU: 1
; Occupancy: 10
; WaveLimiterHint : 0
; COMPUTE_PGM_RSRC2:SCRATCH_EN: 0
; COMPUTE_PGM_RSRC2:USER_SGPR: 6
; COMPUTE_PGM_RSRC2:TRAP_HANDLER: 0
; COMPUTE_PGM_RSRC2:TGID_X_EN: 1
; COMPUTE_PGM_RSRC2:TGID_Y_EN: 0
; COMPUTE_PGM_RSRC2:TGID_Z_EN: 0
; COMPUTE_PGM_RSRC2:TIDIG_COMP_CNT: 0
	.section	.text._ZN7rocprim17ROCPRIM_400000_NS6detail17trampoline_kernelINS0_14default_configENS1_25transform_config_selectorItLb0EEEZNS1_14transform_implILb0ES3_S5_NS0_18transform_iteratorINS0_17counting_iteratorImlEEZNS1_24adjacent_difference_implIS3_Lb1ELb0EPtSB_N6thrust23THRUST_200600_302600_NS5minusItEEEE10hipError_tPvRmT2_T3_mT4_P12ihipStream_tbEUlmE_tEESB_NS0_8identityIvEEEESG_SJ_SK_mSL_SN_bEUlT_E_NS1_11comp_targetILNS1_3genE3ELNS1_11target_archE908ELNS1_3gpuE7ELNS1_3repE0EEENS1_30default_config_static_selectorELNS0_4arch9wavefront6targetE1EEEvT1_,"axG",@progbits,_ZN7rocprim17ROCPRIM_400000_NS6detail17trampoline_kernelINS0_14default_configENS1_25transform_config_selectorItLb0EEEZNS1_14transform_implILb0ES3_S5_NS0_18transform_iteratorINS0_17counting_iteratorImlEEZNS1_24adjacent_difference_implIS3_Lb1ELb0EPtSB_N6thrust23THRUST_200600_302600_NS5minusItEEEE10hipError_tPvRmT2_T3_mT4_P12ihipStream_tbEUlmE_tEESB_NS0_8identityIvEEEESG_SJ_SK_mSL_SN_bEUlT_E_NS1_11comp_targetILNS1_3genE3ELNS1_11target_archE908ELNS1_3gpuE7ELNS1_3repE0EEENS1_30default_config_static_selectorELNS0_4arch9wavefront6targetE1EEEvT1_,comdat
	.protected	_ZN7rocprim17ROCPRIM_400000_NS6detail17trampoline_kernelINS0_14default_configENS1_25transform_config_selectorItLb0EEEZNS1_14transform_implILb0ES3_S5_NS0_18transform_iteratorINS0_17counting_iteratorImlEEZNS1_24adjacent_difference_implIS3_Lb1ELb0EPtSB_N6thrust23THRUST_200600_302600_NS5minusItEEEE10hipError_tPvRmT2_T3_mT4_P12ihipStream_tbEUlmE_tEESB_NS0_8identityIvEEEESG_SJ_SK_mSL_SN_bEUlT_E_NS1_11comp_targetILNS1_3genE3ELNS1_11target_archE908ELNS1_3gpuE7ELNS1_3repE0EEENS1_30default_config_static_selectorELNS0_4arch9wavefront6targetE1EEEvT1_ ; -- Begin function _ZN7rocprim17ROCPRIM_400000_NS6detail17trampoline_kernelINS0_14default_configENS1_25transform_config_selectorItLb0EEEZNS1_14transform_implILb0ES3_S5_NS0_18transform_iteratorINS0_17counting_iteratorImlEEZNS1_24adjacent_difference_implIS3_Lb1ELb0EPtSB_N6thrust23THRUST_200600_302600_NS5minusItEEEE10hipError_tPvRmT2_T3_mT4_P12ihipStream_tbEUlmE_tEESB_NS0_8identityIvEEEESG_SJ_SK_mSL_SN_bEUlT_E_NS1_11comp_targetILNS1_3genE3ELNS1_11target_archE908ELNS1_3gpuE7ELNS1_3repE0EEENS1_30default_config_static_selectorELNS0_4arch9wavefront6targetE1EEEvT1_
	.globl	_ZN7rocprim17ROCPRIM_400000_NS6detail17trampoline_kernelINS0_14default_configENS1_25transform_config_selectorItLb0EEEZNS1_14transform_implILb0ES3_S5_NS0_18transform_iteratorINS0_17counting_iteratorImlEEZNS1_24adjacent_difference_implIS3_Lb1ELb0EPtSB_N6thrust23THRUST_200600_302600_NS5minusItEEEE10hipError_tPvRmT2_T3_mT4_P12ihipStream_tbEUlmE_tEESB_NS0_8identityIvEEEESG_SJ_SK_mSL_SN_bEUlT_E_NS1_11comp_targetILNS1_3genE3ELNS1_11target_archE908ELNS1_3gpuE7ELNS1_3repE0EEENS1_30default_config_static_selectorELNS0_4arch9wavefront6targetE1EEEvT1_
	.p2align	8
	.type	_ZN7rocprim17ROCPRIM_400000_NS6detail17trampoline_kernelINS0_14default_configENS1_25transform_config_selectorItLb0EEEZNS1_14transform_implILb0ES3_S5_NS0_18transform_iteratorINS0_17counting_iteratorImlEEZNS1_24adjacent_difference_implIS3_Lb1ELb0EPtSB_N6thrust23THRUST_200600_302600_NS5minusItEEEE10hipError_tPvRmT2_T3_mT4_P12ihipStream_tbEUlmE_tEESB_NS0_8identityIvEEEESG_SJ_SK_mSL_SN_bEUlT_E_NS1_11comp_targetILNS1_3genE3ELNS1_11target_archE908ELNS1_3gpuE7ELNS1_3repE0EEENS1_30default_config_static_selectorELNS0_4arch9wavefront6targetE1EEEvT1_,@function
_ZN7rocprim17ROCPRIM_400000_NS6detail17trampoline_kernelINS0_14default_configENS1_25transform_config_selectorItLb0EEEZNS1_14transform_implILb0ES3_S5_NS0_18transform_iteratorINS0_17counting_iteratorImlEEZNS1_24adjacent_difference_implIS3_Lb1ELb0EPtSB_N6thrust23THRUST_200600_302600_NS5minusItEEEE10hipError_tPvRmT2_T3_mT4_P12ihipStream_tbEUlmE_tEESB_NS0_8identityIvEEEESG_SJ_SK_mSL_SN_bEUlT_E_NS1_11comp_targetILNS1_3genE3ELNS1_11target_archE908ELNS1_3gpuE7ELNS1_3repE0EEENS1_30default_config_static_selectorELNS0_4arch9wavefront6targetE1EEEvT1_: ; @_ZN7rocprim17ROCPRIM_400000_NS6detail17trampoline_kernelINS0_14default_configENS1_25transform_config_selectorItLb0EEEZNS1_14transform_implILb0ES3_S5_NS0_18transform_iteratorINS0_17counting_iteratorImlEEZNS1_24adjacent_difference_implIS3_Lb1ELb0EPtSB_N6thrust23THRUST_200600_302600_NS5minusItEEEE10hipError_tPvRmT2_T3_mT4_P12ihipStream_tbEUlmE_tEESB_NS0_8identityIvEEEESG_SJ_SK_mSL_SN_bEUlT_E_NS1_11comp_targetILNS1_3genE3ELNS1_11target_archE908ELNS1_3gpuE7ELNS1_3repE0EEENS1_30default_config_static_selectorELNS0_4arch9wavefront6targetE1EEEvT1_
; %bb.0:
	.section	.rodata,"a",@progbits
	.p2align	6, 0x0
	.amdhsa_kernel _ZN7rocprim17ROCPRIM_400000_NS6detail17trampoline_kernelINS0_14default_configENS1_25transform_config_selectorItLb0EEEZNS1_14transform_implILb0ES3_S5_NS0_18transform_iteratorINS0_17counting_iteratorImlEEZNS1_24adjacent_difference_implIS3_Lb1ELb0EPtSB_N6thrust23THRUST_200600_302600_NS5minusItEEEE10hipError_tPvRmT2_T3_mT4_P12ihipStream_tbEUlmE_tEESB_NS0_8identityIvEEEESG_SJ_SK_mSL_SN_bEUlT_E_NS1_11comp_targetILNS1_3genE3ELNS1_11target_archE908ELNS1_3gpuE7ELNS1_3repE0EEENS1_30default_config_static_selectorELNS0_4arch9wavefront6targetE1EEEvT1_
		.amdhsa_group_segment_fixed_size 0
		.amdhsa_private_segment_fixed_size 0
		.amdhsa_kernarg_size 56
		.amdhsa_user_sgpr_count 6
		.amdhsa_user_sgpr_private_segment_buffer 1
		.amdhsa_user_sgpr_dispatch_ptr 0
		.amdhsa_user_sgpr_queue_ptr 0
		.amdhsa_user_sgpr_kernarg_segment_ptr 1
		.amdhsa_user_sgpr_dispatch_id 0
		.amdhsa_user_sgpr_flat_scratch_init 0
		.amdhsa_user_sgpr_private_segment_size 0
		.amdhsa_uses_dynamic_stack 0
		.amdhsa_system_sgpr_private_segment_wavefront_offset 0
		.amdhsa_system_sgpr_workgroup_id_x 1
		.amdhsa_system_sgpr_workgroup_id_y 0
		.amdhsa_system_sgpr_workgroup_id_z 0
		.amdhsa_system_sgpr_workgroup_info 0
		.amdhsa_system_vgpr_workitem_id 0
		.amdhsa_next_free_vgpr 1
		.amdhsa_next_free_sgpr 0
		.amdhsa_reserve_vcc 0
		.amdhsa_reserve_flat_scratch 0
		.amdhsa_float_round_mode_32 0
		.amdhsa_float_round_mode_16_64 0
		.amdhsa_float_denorm_mode_32 3
		.amdhsa_float_denorm_mode_16_64 3
		.amdhsa_dx10_clamp 1
		.amdhsa_ieee_mode 1
		.amdhsa_fp16_overflow 0
		.amdhsa_exception_fp_ieee_invalid_op 0
		.amdhsa_exception_fp_denorm_src 0
		.amdhsa_exception_fp_ieee_div_zero 0
		.amdhsa_exception_fp_ieee_overflow 0
		.amdhsa_exception_fp_ieee_underflow 0
		.amdhsa_exception_fp_ieee_inexact 0
		.amdhsa_exception_int_div_zero 0
	.end_amdhsa_kernel
	.section	.text._ZN7rocprim17ROCPRIM_400000_NS6detail17trampoline_kernelINS0_14default_configENS1_25transform_config_selectorItLb0EEEZNS1_14transform_implILb0ES3_S5_NS0_18transform_iteratorINS0_17counting_iteratorImlEEZNS1_24adjacent_difference_implIS3_Lb1ELb0EPtSB_N6thrust23THRUST_200600_302600_NS5minusItEEEE10hipError_tPvRmT2_T3_mT4_P12ihipStream_tbEUlmE_tEESB_NS0_8identityIvEEEESG_SJ_SK_mSL_SN_bEUlT_E_NS1_11comp_targetILNS1_3genE3ELNS1_11target_archE908ELNS1_3gpuE7ELNS1_3repE0EEENS1_30default_config_static_selectorELNS0_4arch9wavefront6targetE1EEEvT1_,"axG",@progbits,_ZN7rocprim17ROCPRIM_400000_NS6detail17trampoline_kernelINS0_14default_configENS1_25transform_config_selectorItLb0EEEZNS1_14transform_implILb0ES3_S5_NS0_18transform_iteratorINS0_17counting_iteratorImlEEZNS1_24adjacent_difference_implIS3_Lb1ELb0EPtSB_N6thrust23THRUST_200600_302600_NS5minusItEEEE10hipError_tPvRmT2_T3_mT4_P12ihipStream_tbEUlmE_tEESB_NS0_8identityIvEEEESG_SJ_SK_mSL_SN_bEUlT_E_NS1_11comp_targetILNS1_3genE3ELNS1_11target_archE908ELNS1_3gpuE7ELNS1_3repE0EEENS1_30default_config_static_selectorELNS0_4arch9wavefront6targetE1EEEvT1_,comdat
.Lfunc_end217:
	.size	_ZN7rocprim17ROCPRIM_400000_NS6detail17trampoline_kernelINS0_14default_configENS1_25transform_config_selectorItLb0EEEZNS1_14transform_implILb0ES3_S5_NS0_18transform_iteratorINS0_17counting_iteratorImlEEZNS1_24adjacent_difference_implIS3_Lb1ELb0EPtSB_N6thrust23THRUST_200600_302600_NS5minusItEEEE10hipError_tPvRmT2_T3_mT4_P12ihipStream_tbEUlmE_tEESB_NS0_8identityIvEEEESG_SJ_SK_mSL_SN_bEUlT_E_NS1_11comp_targetILNS1_3genE3ELNS1_11target_archE908ELNS1_3gpuE7ELNS1_3repE0EEENS1_30default_config_static_selectorELNS0_4arch9wavefront6targetE1EEEvT1_, .Lfunc_end217-_ZN7rocprim17ROCPRIM_400000_NS6detail17trampoline_kernelINS0_14default_configENS1_25transform_config_selectorItLb0EEEZNS1_14transform_implILb0ES3_S5_NS0_18transform_iteratorINS0_17counting_iteratorImlEEZNS1_24adjacent_difference_implIS3_Lb1ELb0EPtSB_N6thrust23THRUST_200600_302600_NS5minusItEEEE10hipError_tPvRmT2_T3_mT4_P12ihipStream_tbEUlmE_tEESB_NS0_8identityIvEEEESG_SJ_SK_mSL_SN_bEUlT_E_NS1_11comp_targetILNS1_3genE3ELNS1_11target_archE908ELNS1_3gpuE7ELNS1_3repE0EEENS1_30default_config_static_selectorELNS0_4arch9wavefront6targetE1EEEvT1_
                                        ; -- End function
	.set _ZN7rocprim17ROCPRIM_400000_NS6detail17trampoline_kernelINS0_14default_configENS1_25transform_config_selectorItLb0EEEZNS1_14transform_implILb0ES3_S5_NS0_18transform_iteratorINS0_17counting_iteratorImlEEZNS1_24adjacent_difference_implIS3_Lb1ELb0EPtSB_N6thrust23THRUST_200600_302600_NS5minusItEEEE10hipError_tPvRmT2_T3_mT4_P12ihipStream_tbEUlmE_tEESB_NS0_8identityIvEEEESG_SJ_SK_mSL_SN_bEUlT_E_NS1_11comp_targetILNS1_3genE3ELNS1_11target_archE908ELNS1_3gpuE7ELNS1_3repE0EEENS1_30default_config_static_selectorELNS0_4arch9wavefront6targetE1EEEvT1_.num_vgpr, 0
	.set _ZN7rocprim17ROCPRIM_400000_NS6detail17trampoline_kernelINS0_14default_configENS1_25transform_config_selectorItLb0EEEZNS1_14transform_implILb0ES3_S5_NS0_18transform_iteratorINS0_17counting_iteratorImlEEZNS1_24adjacent_difference_implIS3_Lb1ELb0EPtSB_N6thrust23THRUST_200600_302600_NS5minusItEEEE10hipError_tPvRmT2_T3_mT4_P12ihipStream_tbEUlmE_tEESB_NS0_8identityIvEEEESG_SJ_SK_mSL_SN_bEUlT_E_NS1_11comp_targetILNS1_3genE3ELNS1_11target_archE908ELNS1_3gpuE7ELNS1_3repE0EEENS1_30default_config_static_selectorELNS0_4arch9wavefront6targetE1EEEvT1_.num_agpr, 0
	.set _ZN7rocprim17ROCPRIM_400000_NS6detail17trampoline_kernelINS0_14default_configENS1_25transform_config_selectorItLb0EEEZNS1_14transform_implILb0ES3_S5_NS0_18transform_iteratorINS0_17counting_iteratorImlEEZNS1_24adjacent_difference_implIS3_Lb1ELb0EPtSB_N6thrust23THRUST_200600_302600_NS5minusItEEEE10hipError_tPvRmT2_T3_mT4_P12ihipStream_tbEUlmE_tEESB_NS0_8identityIvEEEESG_SJ_SK_mSL_SN_bEUlT_E_NS1_11comp_targetILNS1_3genE3ELNS1_11target_archE908ELNS1_3gpuE7ELNS1_3repE0EEENS1_30default_config_static_selectorELNS0_4arch9wavefront6targetE1EEEvT1_.numbered_sgpr, 0
	.set _ZN7rocprim17ROCPRIM_400000_NS6detail17trampoline_kernelINS0_14default_configENS1_25transform_config_selectorItLb0EEEZNS1_14transform_implILb0ES3_S5_NS0_18transform_iteratorINS0_17counting_iteratorImlEEZNS1_24adjacent_difference_implIS3_Lb1ELb0EPtSB_N6thrust23THRUST_200600_302600_NS5minusItEEEE10hipError_tPvRmT2_T3_mT4_P12ihipStream_tbEUlmE_tEESB_NS0_8identityIvEEEESG_SJ_SK_mSL_SN_bEUlT_E_NS1_11comp_targetILNS1_3genE3ELNS1_11target_archE908ELNS1_3gpuE7ELNS1_3repE0EEENS1_30default_config_static_selectorELNS0_4arch9wavefront6targetE1EEEvT1_.num_named_barrier, 0
	.set _ZN7rocprim17ROCPRIM_400000_NS6detail17trampoline_kernelINS0_14default_configENS1_25transform_config_selectorItLb0EEEZNS1_14transform_implILb0ES3_S5_NS0_18transform_iteratorINS0_17counting_iteratorImlEEZNS1_24adjacent_difference_implIS3_Lb1ELb0EPtSB_N6thrust23THRUST_200600_302600_NS5minusItEEEE10hipError_tPvRmT2_T3_mT4_P12ihipStream_tbEUlmE_tEESB_NS0_8identityIvEEEESG_SJ_SK_mSL_SN_bEUlT_E_NS1_11comp_targetILNS1_3genE3ELNS1_11target_archE908ELNS1_3gpuE7ELNS1_3repE0EEENS1_30default_config_static_selectorELNS0_4arch9wavefront6targetE1EEEvT1_.private_seg_size, 0
	.set _ZN7rocprim17ROCPRIM_400000_NS6detail17trampoline_kernelINS0_14default_configENS1_25transform_config_selectorItLb0EEEZNS1_14transform_implILb0ES3_S5_NS0_18transform_iteratorINS0_17counting_iteratorImlEEZNS1_24adjacent_difference_implIS3_Lb1ELb0EPtSB_N6thrust23THRUST_200600_302600_NS5minusItEEEE10hipError_tPvRmT2_T3_mT4_P12ihipStream_tbEUlmE_tEESB_NS0_8identityIvEEEESG_SJ_SK_mSL_SN_bEUlT_E_NS1_11comp_targetILNS1_3genE3ELNS1_11target_archE908ELNS1_3gpuE7ELNS1_3repE0EEENS1_30default_config_static_selectorELNS0_4arch9wavefront6targetE1EEEvT1_.uses_vcc, 0
	.set _ZN7rocprim17ROCPRIM_400000_NS6detail17trampoline_kernelINS0_14default_configENS1_25transform_config_selectorItLb0EEEZNS1_14transform_implILb0ES3_S5_NS0_18transform_iteratorINS0_17counting_iteratorImlEEZNS1_24adjacent_difference_implIS3_Lb1ELb0EPtSB_N6thrust23THRUST_200600_302600_NS5minusItEEEE10hipError_tPvRmT2_T3_mT4_P12ihipStream_tbEUlmE_tEESB_NS0_8identityIvEEEESG_SJ_SK_mSL_SN_bEUlT_E_NS1_11comp_targetILNS1_3genE3ELNS1_11target_archE908ELNS1_3gpuE7ELNS1_3repE0EEENS1_30default_config_static_selectorELNS0_4arch9wavefront6targetE1EEEvT1_.uses_flat_scratch, 0
	.set _ZN7rocprim17ROCPRIM_400000_NS6detail17trampoline_kernelINS0_14default_configENS1_25transform_config_selectorItLb0EEEZNS1_14transform_implILb0ES3_S5_NS0_18transform_iteratorINS0_17counting_iteratorImlEEZNS1_24adjacent_difference_implIS3_Lb1ELb0EPtSB_N6thrust23THRUST_200600_302600_NS5minusItEEEE10hipError_tPvRmT2_T3_mT4_P12ihipStream_tbEUlmE_tEESB_NS0_8identityIvEEEESG_SJ_SK_mSL_SN_bEUlT_E_NS1_11comp_targetILNS1_3genE3ELNS1_11target_archE908ELNS1_3gpuE7ELNS1_3repE0EEENS1_30default_config_static_selectorELNS0_4arch9wavefront6targetE1EEEvT1_.has_dyn_sized_stack, 0
	.set _ZN7rocprim17ROCPRIM_400000_NS6detail17trampoline_kernelINS0_14default_configENS1_25transform_config_selectorItLb0EEEZNS1_14transform_implILb0ES3_S5_NS0_18transform_iteratorINS0_17counting_iteratorImlEEZNS1_24adjacent_difference_implIS3_Lb1ELb0EPtSB_N6thrust23THRUST_200600_302600_NS5minusItEEEE10hipError_tPvRmT2_T3_mT4_P12ihipStream_tbEUlmE_tEESB_NS0_8identityIvEEEESG_SJ_SK_mSL_SN_bEUlT_E_NS1_11comp_targetILNS1_3genE3ELNS1_11target_archE908ELNS1_3gpuE7ELNS1_3repE0EEENS1_30default_config_static_selectorELNS0_4arch9wavefront6targetE1EEEvT1_.has_recursion, 0
	.set _ZN7rocprim17ROCPRIM_400000_NS6detail17trampoline_kernelINS0_14default_configENS1_25transform_config_selectorItLb0EEEZNS1_14transform_implILb0ES3_S5_NS0_18transform_iteratorINS0_17counting_iteratorImlEEZNS1_24adjacent_difference_implIS3_Lb1ELb0EPtSB_N6thrust23THRUST_200600_302600_NS5minusItEEEE10hipError_tPvRmT2_T3_mT4_P12ihipStream_tbEUlmE_tEESB_NS0_8identityIvEEEESG_SJ_SK_mSL_SN_bEUlT_E_NS1_11comp_targetILNS1_3genE3ELNS1_11target_archE908ELNS1_3gpuE7ELNS1_3repE0EEENS1_30default_config_static_selectorELNS0_4arch9wavefront6targetE1EEEvT1_.has_indirect_call, 0
	.section	.AMDGPU.csdata,"",@progbits
; Kernel info:
; codeLenInByte = 0
; TotalNumSgprs: 4
; NumVgprs: 0
; ScratchSize: 0
; MemoryBound: 0
; FloatMode: 240
; IeeeMode: 1
; LDSByteSize: 0 bytes/workgroup (compile time only)
; SGPRBlocks: 0
; VGPRBlocks: 0
; NumSGPRsForWavesPerEU: 4
; NumVGPRsForWavesPerEU: 1
; Occupancy: 10
; WaveLimiterHint : 0
; COMPUTE_PGM_RSRC2:SCRATCH_EN: 0
; COMPUTE_PGM_RSRC2:USER_SGPR: 6
; COMPUTE_PGM_RSRC2:TRAP_HANDLER: 0
; COMPUTE_PGM_RSRC2:TGID_X_EN: 1
; COMPUTE_PGM_RSRC2:TGID_Y_EN: 0
; COMPUTE_PGM_RSRC2:TGID_Z_EN: 0
; COMPUTE_PGM_RSRC2:TIDIG_COMP_CNT: 0
	.section	.text._ZN7rocprim17ROCPRIM_400000_NS6detail17trampoline_kernelINS0_14default_configENS1_25transform_config_selectorItLb0EEEZNS1_14transform_implILb0ES3_S5_NS0_18transform_iteratorINS0_17counting_iteratorImlEEZNS1_24adjacent_difference_implIS3_Lb1ELb0EPtSB_N6thrust23THRUST_200600_302600_NS5minusItEEEE10hipError_tPvRmT2_T3_mT4_P12ihipStream_tbEUlmE_tEESB_NS0_8identityIvEEEESG_SJ_SK_mSL_SN_bEUlT_E_NS1_11comp_targetILNS1_3genE2ELNS1_11target_archE906ELNS1_3gpuE6ELNS1_3repE0EEENS1_30default_config_static_selectorELNS0_4arch9wavefront6targetE1EEEvT1_,"axG",@progbits,_ZN7rocprim17ROCPRIM_400000_NS6detail17trampoline_kernelINS0_14default_configENS1_25transform_config_selectorItLb0EEEZNS1_14transform_implILb0ES3_S5_NS0_18transform_iteratorINS0_17counting_iteratorImlEEZNS1_24adjacent_difference_implIS3_Lb1ELb0EPtSB_N6thrust23THRUST_200600_302600_NS5minusItEEEE10hipError_tPvRmT2_T3_mT4_P12ihipStream_tbEUlmE_tEESB_NS0_8identityIvEEEESG_SJ_SK_mSL_SN_bEUlT_E_NS1_11comp_targetILNS1_3genE2ELNS1_11target_archE906ELNS1_3gpuE6ELNS1_3repE0EEENS1_30default_config_static_selectorELNS0_4arch9wavefront6targetE1EEEvT1_,comdat
	.protected	_ZN7rocprim17ROCPRIM_400000_NS6detail17trampoline_kernelINS0_14default_configENS1_25transform_config_selectorItLb0EEEZNS1_14transform_implILb0ES3_S5_NS0_18transform_iteratorINS0_17counting_iteratorImlEEZNS1_24adjacent_difference_implIS3_Lb1ELb0EPtSB_N6thrust23THRUST_200600_302600_NS5minusItEEEE10hipError_tPvRmT2_T3_mT4_P12ihipStream_tbEUlmE_tEESB_NS0_8identityIvEEEESG_SJ_SK_mSL_SN_bEUlT_E_NS1_11comp_targetILNS1_3genE2ELNS1_11target_archE906ELNS1_3gpuE6ELNS1_3repE0EEENS1_30default_config_static_selectorELNS0_4arch9wavefront6targetE1EEEvT1_ ; -- Begin function _ZN7rocprim17ROCPRIM_400000_NS6detail17trampoline_kernelINS0_14default_configENS1_25transform_config_selectorItLb0EEEZNS1_14transform_implILb0ES3_S5_NS0_18transform_iteratorINS0_17counting_iteratorImlEEZNS1_24adjacent_difference_implIS3_Lb1ELb0EPtSB_N6thrust23THRUST_200600_302600_NS5minusItEEEE10hipError_tPvRmT2_T3_mT4_P12ihipStream_tbEUlmE_tEESB_NS0_8identityIvEEEESG_SJ_SK_mSL_SN_bEUlT_E_NS1_11comp_targetILNS1_3genE2ELNS1_11target_archE906ELNS1_3gpuE6ELNS1_3repE0EEENS1_30default_config_static_selectorELNS0_4arch9wavefront6targetE1EEEvT1_
	.globl	_ZN7rocprim17ROCPRIM_400000_NS6detail17trampoline_kernelINS0_14default_configENS1_25transform_config_selectorItLb0EEEZNS1_14transform_implILb0ES3_S5_NS0_18transform_iteratorINS0_17counting_iteratorImlEEZNS1_24adjacent_difference_implIS3_Lb1ELb0EPtSB_N6thrust23THRUST_200600_302600_NS5minusItEEEE10hipError_tPvRmT2_T3_mT4_P12ihipStream_tbEUlmE_tEESB_NS0_8identityIvEEEESG_SJ_SK_mSL_SN_bEUlT_E_NS1_11comp_targetILNS1_3genE2ELNS1_11target_archE906ELNS1_3gpuE6ELNS1_3repE0EEENS1_30default_config_static_selectorELNS0_4arch9wavefront6targetE1EEEvT1_
	.p2align	8
	.type	_ZN7rocprim17ROCPRIM_400000_NS6detail17trampoline_kernelINS0_14default_configENS1_25transform_config_selectorItLb0EEEZNS1_14transform_implILb0ES3_S5_NS0_18transform_iteratorINS0_17counting_iteratorImlEEZNS1_24adjacent_difference_implIS3_Lb1ELb0EPtSB_N6thrust23THRUST_200600_302600_NS5minusItEEEE10hipError_tPvRmT2_T3_mT4_P12ihipStream_tbEUlmE_tEESB_NS0_8identityIvEEEESG_SJ_SK_mSL_SN_bEUlT_E_NS1_11comp_targetILNS1_3genE2ELNS1_11target_archE906ELNS1_3gpuE6ELNS1_3repE0EEENS1_30default_config_static_selectorELNS0_4arch9wavefront6targetE1EEEvT1_,@function
_ZN7rocprim17ROCPRIM_400000_NS6detail17trampoline_kernelINS0_14default_configENS1_25transform_config_selectorItLb0EEEZNS1_14transform_implILb0ES3_S5_NS0_18transform_iteratorINS0_17counting_iteratorImlEEZNS1_24adjacent_difference_implIS3_Lb1ELb0EPtSB_N6thrust23THRUST_200600_302600_NS5minusItEEEE10hipError_tPvRmT2_T3_mT4_P12ihipStream_tbEUlmE_tEESB_NS0_8identityIvEEEESG_SJ_SK_mSL_SN_bEUlT_E_NS1_11comp_targetILNS1_3genE2ELNS1_11target_archE906ELNS1_3gpuE6ELNS1_3repE0EEENS1_30default_config_static_selectorELNS0_4arch9wavefront6targetE1EEEvT1_: ; @_ZN7rocprim17ROCPRIM_400000_NS6detail17trampoline_kernelINS0_14default_configENS1_25transform_config_selectorItLb0EEEZNS1_14transform_implILb0ES3_S5_NS0_18transform_iteratorINS0_17counting_iteratorImlEEZNS1_24adjacent_difference_implIS3_Lb1ELb0EPtSB_N6thrust23THRUST_200600_302600_NS5minusItEEEE10hipError_tPvRmT2_T3_mT4_P12ihipStream_tbEUlmE_tEESB_NS0_8identityIvEEEESG_SJ_SK_mSL_SN_bEUlT_E_NS1_11comp_targetILNS1_3genE2ELNS1_11target_archE906ELNS1_3gpuE6ELNS1_3repE0EEENS1_30default_config_static_selectorELNS0_4arch9wavefront6targetE1EEEvT1_
; %bb.0:
	s_load_dwordx4 s[0:3], s[4:5], 0x18
	s_load_dwordx2 s[12:13], s[4:5], 0x28
	s_load_dwordx4 s[8:11], s[4:5], 0x0
	s_load_dword s14, s[4:5], 0x10
	s_waitcnt lgkmcnt(0)
	s_load_dword s3, s[4:5], 0x38
                                        ; kill: killed $sgpr4_sgpr5
	s_lshl_b64 s[4:5], s[0:1], 1
	s_add_u32 s18, s12, s4
	s_addc_u32 s19, s13, s5
	s_lshl_b32 s12, s6, 11
	s_waitcnt lgkmcnt(0)
	s_add_i32 s3, s3, -1
	s_add_u32 s4, s8, s12
	s_addc_u32 s5, s9, 0
	s_add_u32 s20, s4, s0
	s_addc_u32 s21, s5, s1
	s_mov_b32 s13, 0
	s_cmp_lg_u32 s6, s3
	v_lshlrev_b32_e32 v5, 1, v0
	s_cbranch_scc0 .LBB218_2
; %bb.1:
	v_mov_b32_e32 v1, s21
	v_add_co_u32_e32 v2, vcc, s20, v0
	v_addc_co_u32_e32 v3, vcc, 0, v1, vcc
	v_mad_u64_u32 v[1:2], s[0:1], v2, s14, 0
	s_mov_b32 s15, s13
	s_lshl_b64 s[4:5], s[12:13], 1
	v_mad_u64_u32 v[2:3], s[0:1], v3, s14, v[2:3]
	v_mov_b32_e32 v3, s11
	s_lshl_b64 s[0:1], s[14:15], 10
	v_lshlrev_b64 v[1:2], 1, v[1:2]
	v_mov_b32_e32 v8, s1
	v_add_co_u32_e32 v1, vcc, s10, v1
	v_addc_co_u32_e32 v2, vcc, v3, v2, vcc
	v_add_co_u32_e32 v3, vcc, s0, v1
	v_addc_co_u32_e32 v4, vcc, v2, v8, vcc
	;; [unrolled: 2-line block ×3, first 2 shown]
	global_load_ushort v9, v[1:2], off
	global_load_ushort v10, v[3:4], off
	;; [unrolled: 1-line block ×3, first 2 shown]
	v_add_co_u32_e32 v1, vcc, s0, v6
	v_addc_co_u32_e32 v2, vcc, v7, v8, vcc
	global_load_ushort v1, v[1:2], off
	s_add_u32 s4, s18, s4
	s_addc_u32 s5, s19, s5
	v_mov_b32_e32 v2, s5
	v_add_co_u32_e32 v3, vcc, s4, v5
	v_addc_co_u32_e32 v4, vcc, 0, v2, vcc
	s_mov_b64 s[8:9], -1
	s_waitcnt vmcnt(3)
	global_store_short v5, v9, s[4:5]
	s_waitcnt vmcnt(3)
	global_store_short v5, v10, s[4:5] offset:1024
	s_waitcnt vmcnt(3)
	global_store_short v5, v11, s[4:5] offset:2048
	s_cbranch_execz .LBB218_3
	s_branch .LBB218_17
.LBB218_2:
	s_mov_b64 s[8:9], 0
                                        ; implicit-def: $vgpr1
                                        ; implicit-def: $vgpr3_vgpr4
.LBB218_3:
	s_sub_i32 s15, s2, s12
	s_waitcnt vmcnt(3)
	v_mov_b32_e32 v1, 0
	v_cmp_gt_u32_e32 vcc, s15, v0
	v_mov_b32_e32 v2, v1
	s_and_saveexec_b64 s[2:3], vcc
	s_cbranch_execz .LBB218_5
; %bb.4:
	v_mov_b32_e32 v2, s21
	v_add_co_u32_e64 v3, s[0:1], s20, v0
	v_addc_co_u32_e64 v4, s[0:1], 0, v2, s[0:1]
	v_mad_u64_u32 v[2:3], s[0:1], v3, s14, 0
	v_mad_u64_u32 v[3:4], s[0:1], v4, s14, v[3:4]
	v_mov_b32_e32 v4, s11
	v_lshlrev_b64 v[2:3], 1, v[2:3]
	v_add_co_u32_e64 v2, s[0:1], s10, v2
	v_addc_co_u32_e64 v3, s[0:1], v4, v3, s[0:1]
	global_load_ushort v2, v[2:3], off
	v_mov_b32_e32 v3, v1
	s_waitcnt vmcnt(0)
	v_and_b32_e32 v2, 0xffff, v2
	v_mov_b32_e32 v1, v2
	v_mov_b32_e32 v2, v3
.LBB218_5:
	s_or_b64 exec, exec, s[2:3]
	v_or_b32_e32 v3, 0x200, v0
	v_cmp_gt_u32_e64 s[0:1], s15, v3
	s_and_saveexec_b64 s[4:5], s[0:1]
	s_cbranch_execz .LBB218_7
; %bb.6:
	v_mov_b32_e32 v4, s21
	v_add_co_u32_e64 v3, s[2:3], s20, v3
	v_addc_co_u32_e64 v6, s[2:3], 0, v4, s[2:3]
	v_mad_u64_u32 v[3:4], s[2:3], v3, s14, 0
	v_mad_u64_u32 v[6:7], s[2:3], v6, s14, v[4:5]
	v_mov_b32_e32 v4, v6
	v_lshlrev_b64 v[3:4], 1, v[3:4]
	v_mov_b32_e32 v6, s11
	v_add_co_u32_e64 v3, s[2:3], s10, v3
	v_addc_co_u32_e64 v4, s[2:3], v6, v4, s[2:3]
	global_load_ushort v3, v[3:4], off
	s_mov_b32 s2, 0x5040100
	s_waitcnt vmcnt(0)
	v_perm_b32 v1, v3, v1, s2
.LBB218_7:
	s_or_b64 exec, exec, s[4:5]
	v_or_b32_e32 v3, 0x400, v0
	v_cmp_gt_u32_e64 s[2:3], s15, v3
	s_and_saveexec_b64 s[6:7], s[2:3]
	s_cbranch_execz .LBB218_9
; %bb.8:
	v_mov_b32_e32 v4, s21
	v_add_co_u32_e64 v3, s[4:5], s20, v3
	v_addc_co_u32_e64 v6, s[4:5], 0, v4, s[4:5]
	v_mad_u64_u32 v[3:4], s[4:5], v3, s14, 0
	v_mad_u64_u32 v[6:7], s[4:5], v6, s14, v[4:5]
	v_mov_b32_e32 v4, v6
	v_lshlrev_b64 v[3:4], 1, v[3:4]
	v_mov_b32_e32 v6, s11
	v_add_co_u32_e64 v3, s[4:5], s10, v3
	v_addc_co_u32_e64 v4, s[4:5], v6, v4, s[4:5]
	global_load_ushort v3, v[3:4], off
	s_mov_b32 s4, 0xffff
	s_waitcnt vmcnt(0)
	v_bfi_b32 v2, s4, v3, v2
.LBB218_9:
	s_or_b64 exec, exec, s[6:7]
	v_or_b32_e32 v0, 0x600, v0
	v_cmp_gt_u32_e64 s[4:5], s15, v0
	s_and_saveexec_b64 s[16:17], s[4:5]
	s_cbranch_execz .LBB218_11
; %bb.10:
	v_mov_b32_e32 v3, s21
	v_add_co_u32_e64 v0, s[6:7], s20, v0
	v_addc_co_u32_e64 v6, s[6:7], 0, v3, s[6:7]
	v_mad_u64_u32 v[3:4], s[6:7], v0, s14, 0
	v_mov_b32_e32 v0, v4
	v_mad_u64_u32 v[6:7], s[6:7], v6, s14, v[0:1]
	v_mov_b32_e32 v0, s11
	v_mov_b32_e32 v4, v6
	v_lshlrev_b64 v[3:4], 1, v[3:4]
	v_add_co_u32_e64 v3, s[6:7], s10, v3
	v_addc_co_u32_e64 v4, s[6:7], v0, v4, s[6:7]
	global_load_ushort v0, v[3:4], off
	s_mov_b32 s6, 0x5040100
	s_waitcnt vmcnt(0)
	v_perm_b32 v2, v0, v2, s6
.LBB218_11:
	s_or_b64 exec, exec, s[16:17]
	s_lshl_b64 s[6:7], s[12:13], 1
	s_add_u32 s6, s18, s6
	s_addc_u32 s7, s19, s7
	v_mov_b32_e32 v0, 0
	v_mov_b32_e32 v4, s7
	v_add_co_u32_e64 v3, s[6:7], s6, v5
	v_cndmask_b32_sdwa v0, v0, v1, vcc dst_sel:DWORD dst_unused:UNUSED_PAD src0_sel:DWORD src1_sel:WORD_0
	v_addc_co_u32_e64 v4, s[6:7], 0, v4, s[6:7]
	s_and_saveexec_b64 s[6:7], vcc
	s_cbranch_execnz .LBB218_20
; %bb.12:
	s_or_b64 exec, exec, s[6:7]
	v_cndmask_b32_e64 v0, v0, v1, s[0:1]
	s_and_saveexec_b64 s[6:7], s[0:1]
	s_cbranch_execnz .LBB218_21
.LBB218_13:
	s_or_b64 exec, exec, s[6:7]
	s_and_saveexec_b64 s[0:1], s[2:3]
	s_cbranch_execnz .LBB218_22
.LBB218_14:
	s_or_b64 exec, exec, s[0:1]
                                        ; implicit-def: $vgpr1
	s_and_saveexec_b64 s[0:1], s[4:5]
.LBB218_15:
	v_cndmask_b32_e64 v0, 0, v2, s[4:5]
	v_lshrrev_b32_e32 v1, 16, v0
	s_or_b64 s[8:9], s[8:9], exec
.LBB218_16:
	s_or_b64 exec, exec, s[0:1]
.LBB218_17:
	s_and_saveexec_b64 s[0:1], s[8:9]
	s_cbranch_execnz .LBB218_19
; %bb.18:
	s_endpgm
.LBB218_19:
	s_waitcnt vmcnt(3)
	global_store_short v[3:4], v1, off offset:3072
	s_endpgm
.LBB218_20:
	global_store_short v[3:4], v0, off
	s_or_b64 exec, exec, s[6:7]
	v_cndmask_b32_e64 v0, v0, v1, s[0:1]
	s_and_saveexec_b64 s[6:7], s[0:1]
	s_cbranch_execz .LBB218_13
.LBB218_21:
	global_store_short_d16_hi v[3:4], v0, off offset:1024
	s_or_b64 exec, exec, s[6:7]
	s_and_saveexec_b64 s[0:1], s[2:3]
	s_cbranch_execz .LBB218_14
.LBB218_22:
	v_cndmask_b32_e64 v0, 0, v2, s[2:3]
	global_store_short v[3:4], v0, off offset:2048
	s_or_b64 exec, exec, s[0:1]
                                        ; implicit-def: $vgpr1
	s_and_saveexec_b64 s[0:1], s[4:5]
	s_cbranch_execnz .LBB218_15
	s_branch .LBB218_16
	.section	.rodata,"a",@progbits
	.p2align	6, 0x0
	.amdhsa_kernel _ZN7rocprim17ROCPRIM_400000_NS6detail17trampoline_kernelINS0_14default_configENS1_25transform_config_selectorItLb0EEEZNS1_14transform_implILb0ES3_S5_NS0_18transform_iteratorINS0_17counting_iteratorImlEEZNS1_24adjacent_difference_implIS3_Lb1ELb0EPtSB_N6thrust23THRUST_200600_302600_NS5minusItEEEE10hipError_tPvRmT2_T3_mT4_P12ihipStream_tbEUlmE_tEESB_NS0_8identityIvEEEESG_SJ_SK_mSL_SN_bEUlT_E_NS1_11comp_targetILNS1_3genE2ELNS1_11target_archE906ELNS1_3gpuE6ELNS1_3repE0EEENS1_30default_config_static_selectorELNS0_4arch9wavefront6targetE1EEEvT1_
		.amdhsa_group_segment_fixed_size 0
		.amdhsa_private_segment_fixed_size 0
		.amdhsa_kernarg_size 312
		.amdhsa_user_sgpr_count 6
		.amdhsa_user_sgpr_private_segment_buffer 1
		.amdhsa_user_sgpr_dispatch_ptr 0
		.amdhsa_user_sgpr_queue_ptr 0
		.amdhsa_user_sgpr_kernarg_segment_ptr 1
		.amdhsa_user_sgpr_dispatch_id 0
		.amdhsa_user_sgpr_flat_scratch_init 0
		.amdhsa_user_sgpr_private_segment_size 0
		.amdhsa_uses_dynamic_stack 0
		.amdhsa_system_sgpr_private_segment_wavefront_offset 0
		.amdhsa_system_sgpr_workgroup_id_x 1
		.amdhsa_system_sgpr_workgroup_id_y 0
		.amdhsa_system_sgpr_workgroup_id_z 0
		.amdhsa_system_sgpr_workgroup_info 0
		.amdhsa_system_vgpr_workitem_id 0
		.amdhsa_next_free_vgpr 12
		.amdhsa_next_free_sgpr 22
		.amdhsa_reserve_vcc 1
		.amdhsa_reserve_flat_scratch 0
		.amdhsa_float_round_mode_32 0
		.amdhsa_float_round_mode_16_64 0
		.amdhsa_float_denorm_mode_32 3
		.amdhsa_float_denorm_mode_16_64 3
		.amdhsa_dx10_clamp 1
		.amdhsa_ieee_mode 1
		.amdhsa_fp16_overflow 0
		.amdhsa_exception_fp_ieee_invalid_op 0
		.amdhsa_exception_fp_denorm_src 0
		.amdhsa_exception_fp_ieee_div_zero 0
		.amdhsa_exception_fp_ieee_overflow 0
		.amdhsa_exception_fp_ieee_underflow 0
		.amdhsa_exception_fp_ieee_inexact 0
		.amdhsa_exception_int_div_zero 0
	.end_amdhsa_kernel
	.section	.text._ZN7rocprim17ROCPRIM_400000_NS6detail17trampoline_kernelINS0_14default_configENS1_25transform_config_selectorItLb0EEEZNS1_14transform_implILb0ES3_S5_NS0_18transform_iteratorINS0_17counting_iteratorImlEEZNS1_24adjacent_difference_implIS3_Lb1ELb0EPtSB_N6thrust23THRUST_200600_302600_NS5minusItEEEE10hipError_tPvRmT2_T3_mT4_P12ihipStream_tbEUlmE_tEESB_NS0_8identityIvEEEESG_SJ_SK_mSL_SN_bEUlT_E_NS1_11comp_targetILNS1_3genE2ELNS1_11target_archE906ELNS1_3gpuE6ELNS1_3repE0EEENS1_30default_config_static_selectorELNS0_4arch9wavefront6targetE1EEEvT1_,"axG",@progbits,_ZN7rocprim17ROCPRIM_400000_NS6detail17trampoline_kernelINS0_14default_configENS1_25transform_config_selectorItLb0EEEZNS1_14transform_implILb0ES3_S5_NS0_18transform_iteratorINS0_17counting_iteratorImlEEZNS1_24adjacent_difference_implIS3_Lb1ELb0EPtSB_N6thrust23THRUST_200600_302600_NS5minusItEEEE10hipError_tPvRmT2_T3_mT4_P12ihipStream_tbEUlmE_tEESB_NS0_8identityIvEEEESG_SJ_SK_mSL_SN_bEUlT_E_NS1_11comp_targetILNS1_3genE2ELNS1_11target_archE906ELNS1_3gpuE6ELNS1_3repE0EEENS1_30default_config_static_selectorELNS0_4arch9wavefront6targetE1EEEvT1_,comdat
.Lfunc_end218:
	.size	_ZN7rocprim17ROCPRIM_400000_NS6detail17trampoline_kernelINS0_14default_configENS1_25transform_config_selectorItLb0EEEZNS1_14transform_implILb0ES3_S5_NS0_18transform_iteratorINS0_17counting_iteratorImlEEZNS1_24adjacent_difference_implIS3_Lb1ELb0EPtSB_N6thrust23THRUST_200600_302600_NS5minusItEEEE10hipError_tPvRmT2_T3_mT4_P12ihipStream_tbEUlmE_tEESB_NS0_8identityIvEEEESG_SJ_SK_mSL_SN_bEUlT_E_NS1_11comp_targetILNS1_3genE2ELNS1_11target_archE906ELNS1_3gpuE6ELNS1_3repE0EEENS1_30default_config_static_selectorELNS0_4arch9wavefront6targetE1EEEvT1_, .Lfunc_end218-_ZN7rocprim17ROCPRIM_400000_NS6detail17trampoline_kernelINS0_14default_configENS1_25transform_config_selectorItLb0EEEZNS1_14transform_implILb0ES3_S5_NS0_18transform_iteratorINS0_17counting_iteratorImlEEZNS1_24adjacent_difference_implIS3_Lb1ELb0EPtSB_N6thrust23THRUST_200600_302600_NS5minusItEEEE10hipError_tPvRmT2_T3_mT4_P12ihipStream_tbEUlmE_tEESB_NS0_8identityIvEEEESG_SJ_SK_mSL_SN_bEUlT_E_NS1_11comp_targetILNS1_3genE2ELNS1_11target_archE906ELNS1_3gpuE6ELNS1_3repE0EEENS1_30default_config_static_selectorELNS0_4arch9wavefront6targetE1EEEvT1_
                                        ; -- End function
	.set _ZN7rocprim17ROCPRIM_400000_NS6detail17trampoline_kernelINS0_14default_configENS1_25transform_config_selectorItLb0EEEZNS1_14transform_implILb0ES3_S5_NS0_18transform_iteratorINS0_17counting_iteratorImlEEZNS1_24adjacent_difference_implIS3_Lb1ELb0EPtSB_N6thrust23THRUST_200600_302600_NS5minusItEEEE10hipError_tPvRmT2_T3_mT4_P12ihipStream_tbEUlmE_tEESB_NS0_8identityIvEEEESG_SJ_SK_mSL_SN_bEUlT_E_NS1_11comp_targetILNS1_3genE2ELNS1_11target_archE906ELNS1_3gpuE6ELNS1_3repE0EEENS1_30default_config_static_selectorELNS0_4arch9wavefront6targetE1EEEvT1_.num_vgpr, 12
	.set _ZN7rocprim17ROCPRIM_400000_NS6detail17trampoline_kernelINS0_14default_configENS1_25transform_config_selectorItLb0EEEZNS1_14transform_implILb0ES3_S5_NS0_18transform_iteratorINS0_17counting_iteratorImlEEZNS1_24adjacent_difference_implIS3_Lb1ELb0EPtSB_N6thrust23THRUST_200600_302600_NS5minusItEEEE10hipError_tPvRmT2_T3_mT4_P12ihipStream_tbEUlmE_tEESB_NS0_8identityIvEEEESG_SJ_SK_mSL_SN_bEUlT_E_NS1_11comp_targetILNS1_3genE2ELNS1_11target_archE906ELNS1_3gpuE6ELNS1_3repE0EEENS1_30default_config_static_selectorELNS0_4arch9wavefront6targetE1EEEvT1_.num_agpr, 0
	.set _ZN7rocprim17ROCPRIM_400000_NS6detail17trampoline_kernelINS0_14default_configENS1_25transform_config_selectorItLb0EEEZNS1_14transform_implILb0ES3_S5_NS0_18transform_iteratorINS0_17counting_iteratorImlEEZNS1_24adjacent_difference_implIS3_Lb1ELb0EPtSB_N6thrust23THRUST_200600_302600_NS5minusItEEEE10hipError_tPvRmT2_T3_mT4_P12ihipStream_tbEUlmE_tEESB_NS0_8identityIvEEEESG_SJ_SK_mSL_SN_bEUlT_E_NS1_11comp_targetILNS1_3genE2ELNS1_11target_archE906ELNS1_3gpuE6ELNS1_3repE0EEENS1_30default_config_static_selectorELNS0_4arch9wavefront6targetE1EEEvT1_.numbered_sgpr, 22
	.set _ZN7rocprim17ROCPRIM_400000_NS6detail17trampoline_kernelINS0_14default_configENS1_25transform_config_selectorItLb0EEEZNS1_14transform_implILb0ES3_S5_NS0_18transform_iteratorINS0_17counting_iteratorImlEEZNS1_24adjacent_difference_implIS3_Lb1ELb0EPtSB_N6thrust23THRUST_200600_302600_NS5minusItEEEE10hipError_tPvRmT2_T3_mT4_P12ihipStream_tbEUlmE_tEESB_NS0_8identityIvEEEESG_SJ_SK_mSL_SN_bEUlT_E_NS1_11comp_targetILNS1_3genE2ELNS1_11target_archE906ELNS1_3gpuE6ELNS1_3repE0EEENS1_30default_config_static_selectorELNS0_4arch9wavefront6targetE1EEEvT1_.num_named_barrier, 0
	.set _ZN7rocprim17ROCPRIM_400000_NS6detail17trampoline_kernelINS0_14default_configENS1_25transform_config_selectorItLb0EEEZNS1_14transform_implILb0ES3_S5_NS0_18transform_iteratorINS0_17counting_iteratorImlEEZNS1_24adjacent_difference_implIS3_Lb1ELb0EPtSB_N6thrust23THRUST_200600_302600_NS5minusItEEEE10hipError_tPvRmT2_T3_mT4_P12ihipStream_tbEUlmE_tEESB_NS0_8identityIvEEEESG_SJ_SK_mSL_SN_bEUlT_E_NS1_11comp_targetILNS1_3genE2ELNS1_11target_archE906ELNS1_3gpuE6ELNS1_3repE0EEENS1_30default_config_static_selectorELNS0_4arch9wavefront6targetE1EEEvT1_.private_seg_size, 0
	.set _ZN7rocprim17ROCPRIM_400000_NS6detail17trampoline_kernelINS0_14default_configENS1_25transform_config_selectorItLb0EEEZNS1_14transform_implILb0ES3_S5_NS0_18transform_iteratorINS0_17counting_iteratorImlEEZNS1_24adjacent_difference_implIS3_Lb1ELb0EPtSB_N6thrust23THRUST_200600_302600_NS5minusItEEEE10hipError_tPvRmT2_T3_mT4_P12ihipStream_tbEUlmE_tEESB_NS0_8identityIvEEEESG_SJ_SK_mSL_SN_bEUlT_E_NS1_11comp_targetILNS1_3genE2ELNS1_11target_archE906ELNS1_3gpuE6ELNS1_3repE0EEENS1_30default_config_static_selectorELNS0_4arch9wavefront6targetE1EEEvT1_.uses_vcc, 1
	.set _ZN7rocprim17ROCPRIM_400000_NS6detail17trampoline_kernelINS0_14default_configENS1_25transform_config_selectorItLb0EEEZNS1_14transform_implILb0ES3_S5_NS0_18transform_iteratorINS0_17counting_iteratorImlEEZNS1_24adjacent_difference_implIS3_Lb1ELb0EPtSB_N6thrust23THRUST_200600_302600_NS5minusItEEEE10hipError_tPvRmT2_T3_mT4_P12ihipStream_tbEUlmE_tEESB_NS0_8identityIvEEEESG_SJ_SK_mSL_SN_bEUlT_E_NS1_11comp_targetILNS1_3genE2ELNS1_11target_archE906ELNS1_3gpuE6ELNS1_3repE0EEENS1_30default_config_static_selectorELNS0_4arch9wavefront6targetE1EEEvT1_.uses_flat_scratch, 0
	.set _ZN7rocprim17ROCPRIM_400000_NS6detail17trampoline_kernelINS0_14default_configENS1_25transform_config_selectorItLb0EEEZNS1_14transform_implILb0ES3_S5_NS0_18transform_iteratorINS0_17counting_iteratorImlEEZNS1_24adjacent_difference_implIS3_Lb1ELb0EPtSB_N6thrust23THRUST_200600_302600_NS5minusItEEEE10hipError_tPvRmT2_T3_mT4_P12ihipStream_tbEUlmE_tEESB_NS0_8identityIvEEEESG_SJ_SK_mSL_SN_bEUlT_E_NS1_11comp_targetILNS1_3genE2ELNS1_11target_archE906ELNS1_3gpuE6ELNS1_3repE0EEENS1_30default_config_static_selectorELNS0_4arch9wavefront6targetE1EEEvT1_.has_dyn_sized_stack, 0
	.set _ZN7rocprim17ROCPRIM_400000_NS6detail17trampoline_kernelINS0_14default_configENS1_25transform_config_selectorItLb0EEEZNS1_14transform_implILb0ES3_S5_NS0_18transform_iteratorINS0_17counting_iteratorImlEEZNS1_24adjacent_difference_implIS3_Lb1ELb0EPtSB_N6thrust23THRUST_200600_302600_NS5minusItEEEE10hipError_tPvRmT2_T3_mT4_P12ihipStream_tbEUlmE_tEESB_NS0_8identityIvEEEESG_SJ_SK_mSL_SN_bEUlT_E_NS1_11comp_targetILNS1_3genE2ELNS1_11target_archE906ELNS1_3gpuE6ELNS1_3repE0EEENS1_30default_config_static_selectorELNS0_4arch9wavefront6targetE1EEEvT1_.has_recursion, 0
	.set _ZN7rocprim17ROCPRIM_400000_NS6detail17trampoline_kernelINS0_14default_configENS1_25transform_config_selectorItLb0EEEZNS1_14transform_implILb0ES3_S5_NS0_18transform_iteratorINS0_17counting_iteratorImlEEZNS1_24adjacent_difference_implIS3_Lb1ELb0EPtSB_N6thrust23THRUST_200600_302600_NS5minusItEEEE10hipError_tPvRmT2_T3_mT4_P12ihipStream_tbEUlmE_tEESB_NS0_8identityIvEEEESG_SJ_SK_mSL_SN_bEUlT_E_NS1_11comp_targetILNS1_3genE2ELNS1_11target_archE906ELNS1_3gpuE6ELNS1_3repE0EEENS1_30default_config_static_selectorELNS0_4arch9wavefront6targetE1EEEvT1_.has_indirect_call, 0
	.section	.AMDGPU.csdata,"",@progbits
; Kernel info:
; codeLenInByte = 1016
; TotalNumSgprs: 26
; NumVgprs: 12
; ScratchSize: 0
; MemoryBound: 0
; FloatMode: 240
; IeeeMode: 1
; LDSByteSize: 0 bytes/workgroup (compile time only)
; SGPRBlocks: 3
; VGPRBlocks: 2
; NumSGPRsForWavesPerEU: 26
; NumVGPRsForWavesPerEU: 12
; Occupancy: 10
; WaveLimiterHint : 1
; COMPUTE_PGM_RSRC2:SCRATCH_EN: 0
; COMPUTE_PGM_RSRC2:USER_SGPR: 6
; COMPUTE_PGM_RSRC2:TRAP_HANDLER: 0
; COMPUTE_PGM_RSRC2:TGID_X_EN: 1
; COMPUTE_PGM_RSRC2:TGID_Y_EN: 0
; COMPUTE_PGM_RSRC2:TGID_Z_EN: 0
; COMPUTE_PGM_RSRC2:TIDIG_COMP_CNT: 0
	.section	.text._ZN7rocprim17ROCPRIM_400000_NS6detail17trampoline_kernelINS0_14default_configENS1_25transform_config_selectorItLb0EEEZNS1_14transform_implILb0ES3_S5_NS0_18transform_iteratorINS0_17counting_iteratorImlEEZNS1_24adjacent_difference_implIS3_Lb1ELb0EPtSB_N6thrust23THRUST_200600_302600_NS5minusItEEEE10hipError_tPvRmT2_T3_mT4_P12ihipStream_tbEUlmE_tEESB_NS0_8identityIvEEEESG_SJ_SK_mSL_SN_bEUlT_E_NS1_11comp_targetILNS1_3genE10ELNS1_11target_archE1201ELNS1_3gpuE5ELNS1_3repE0EEENS1_30default_config_static_selectorELNS0_4arch9wavefront6targetE1EEEvT1_,"axG",@progbits,_ZN7rocprim17ROCPRIM_400000_NS6detail17trampoline_kernelINS0_14default_configENS1_25transform_config_selectorItLb0EEEZNS1_14transform_implILb0ES3_S5_NS0_18transform_iteratorINS0_17counting_iteratorImlEEZNS1_24adjacent_difference_implIS3_Lb1ELb0EPtSB_N6thrust23THRUST_200600_302600_NS5minusItEEEE10hipError_tPvRmT2_T3_mT4_P12ihipStream_tbEUlmE_tEESB_NS0_8identityIvEEEESG_SJ_SK_mSL_SN_bEUlT_E_NS1_11comp_targetILNS1_3genE10ELNS1_11target_archE1201ELNS1_3gpuE5ELNS1_3repE0EEENS1_30default_config_static_selectorELNS0_4arch9wavefront6targetE1EEEvT1_,comdat
	.protected	_ZN7rocprim17ROCPRIM_400000_NS6detail17trampoline_kernelINS0_14default_configENS1_25transform_config_selectorItLb0EEEZNS1_14transform_implILb0ES3_S5_NS0_18transform_iteratorINS0_17counting_iteratorImlEEZNS1_24adjacent_difference_implIS3_Lb1ELb0EPtSB_N6thrust23THRUST_200600_302600_NS5minusItEEEE10hipError_tPvRmT2_T3_mT4_P12ihipStream_tbEUlmE_tEESB_NS0_8identityIvEEEESG_SJ_SK_mSL_SN_bEUlT_E_NS1_11comp_targetILNS1_3genE10ELNS1_11target_archE1201ELNS1_3gpuE5ELNS1_3repE0EEENS1_30default_config_static_selectorELNS0_4arch9wavefront6targetE1EEEvT1_ ; -- Begin function _ZN7rocprim17ROCPRIM_400000_NS6detail17trampoline_kernelINS0_14default_configENS1_25transform_config_selectorItLb0EEEZNS1_14transform_implILb0ES3_S5_NS0_18transform_iteratorINS0_17counting_iteratorImlEEZNS1_24adjacent_difference_implIS3_Lb1ELb0EPtSB_N6thrust23THRUST_200600_302600_NS5minusItEEEE10hipError_tPvRmT2_T3_mT4_P12ihipStream_tbEUlmE_tEESB_NS0_8identityIvEEEESG_SJ_SK_mSL_SN_bEUlT_E_NS1_11comp_targetILNS1_3genE10ELNS1_11target_archE1201ELNS1_3gpuE5ELNS1_3repE0EEENS1_30default_config_static_selectorELNS0_4arch9wavefront6targetE1EEEvT1_
	.globl	_ZN7rocprim17ROCPRIM_400000_NS6detail17trampoline_kernelINS0_14default_configENS1_25transform_config_selectorItLb0EEEZNS1_14transform_implILb0ES3_S5_NS0_18transform_iteratorINS0_17counting_iteratorImlEEZNS1_24adjacent_difference_implIS3_Lb1ELb0EPtSB_N6thrust23THRUST_200600_302600_NS5minusItEEEE10hipError_tPvRmT2_T3_mT4_P12ihipStream_tbEUlmE_tEESB_NS0_8identityIvEEEESG_SJ_SK_mSL_SN_bEUlT_E_NS1_11comp_targetILNS1_3genE10ELNS1_11target_archE1201ELNS1_3gpuE5ELNS1_3repE0EEENS1_30default_config_static_selectorELNS0_4arch9wavefront6targetE1EEEvT1_
	.p2align	8
	.type	_ZN7rocprim17ROCPRIM_400000_NS6detail17trampoline_kernelINS0_14default_configENS1_25transform_config_selectorItLb0EEEZNS1_14transform_implILb0ES3_S5_NS0_18transform_iteratorINS0_17counting_iteratorImlEEZNS1_24adjacent_difference_implIS3_Lb1ELb0EPtSB_N6thrust23THRUST_200600_302600_NS5minusItEEEE10hipError_tPvRmT2_T3_mT4_P12ihipStream_tbEUlmE_tEESB_NS0_8identityIvEEEESG_SJ_SK_mSL_SN_bEUlT_E_NS1_11comp_targetILNS1_3genE10ELNS1_11target_archE1201ELNS1_3gpuE5ELNS1_3repE0EEENS1_30default_config_static_selectorELNS0_4arch9wavefront6targetE1EEEvT1_,@function
_ZN7rocprim17ROCPRIM_400000_NS6detail17trampoline_kernelINS0_14default_configENS1_25transform_config_selectorItLb0EEEZNS1_14transform_implILb0ES3_S5_NS0_18transform_iteratorINS0_17counting_iteratorImlEEZNS1_24adjacent_difference_implIS3_Lb1ELb0EPtSB_N6thrust23THRUST_200600_302600_NS5minusItEEEE10hipError_tPvRmT2_T3_mT4_P12ihipStream_tbEUlmE_tEESB_NS0_8identityIvEEEESG_SJ_SK_mSL_SN_bEUlT_E_NS1_11comp_targetILNS1_3genE10ELNS1_11target_archE1201ELNS1_3gpuE5ELNS1_3repE0EEENS1_30default_config_static_selectorELNS0_4arch9wavefront6targetE1EEEvT1_: ; @_ZN7rocprim17ROCPRIM_400000_NS6detail17trampoline_kernelINS0_14default_configENS1_25transform_config_selectorItLb0EEEZNS1_14transform_implILb0ES3_S5_NS0_18transform_iteratorINS0_17counting_iteratorImlEEZNS1_24adjacent_difference_implIS3_Lb1ELb0EPtSB_N6thrust23THRUST_200600_302600_NS5minusItEEEE10hipError_tPvRmT2_T3_mT4_P12ihipStream_tbEUlmE_tEESB_NS0_8identityIvEEEESG_SJ_SK_mSL_SN_bEUlT_E_NS1_11comp_targetILNS1_3genE10ELNS1_11target_archE1201ELNS1_3gpuE5ELNS1_3repE0EEENS1_30default_config_static_selectorELNS0_4arch9wavefront6targetE1EEEvT1_
; %bb.0:
	.section	.rodata,"a",@progbits
	.p2align	6, 0x0
	.amdhsa_kernel _ZN7rocprim17ROCPRIM_400000_NS6detail17trampoline_kernelINS0_14default_configENS1_25transform_config_selectorItLb0EEEZNS1_14transform_implILb0ES3_S5_NS0_18transform_iteratorINS0_17counting_iteratorImlEEZNS1_24adjacent_difference_implIS3_Lb1ELb0EPtSB_N6thrust23THRUST_200600_302600_NS5minusItEEEE10hipError_tPvRmT2_T3_mT4_P12ihipStream_tbEUlmE_tEESB_NS0_8identityIvEEEESG_SJ_SK_mSL_SN_bEUlT_E_NS1_11comp_targetILNS1_3genE10ELNS1_11target_archE1201ELNS1_3gpuE5ELNS1_3repE0EEENS1_30default_config_static_selectorELNS0_4arch9wavefront6targetE1EEEvT1_
		.amdhsa_group_segment_fixed_size 0
		.amdhsa_private_segment_fixed_size 0
		.amdhsa_kernarg_size 56
		.amdhsa_user_sgpr_count 6
		.amdhsa_user_sgpr_private_segment_buffer 1
		.amdhsa_user_sgpr_dispatch_ptr 0
		.amdhsa_user_sgpr_queue_ptr 0
		.amdhsa_user_sgpr_kernarg_segment_ptr 1
		.amdhsa_user_sgpr_dispatch_id 0
		.amdhsa_user_sgpr_flat_scratch_init 0
		.amdhsa_user_sgpr_private_segment_size 0
		.amdhsa_uses_dynamic_stack 0
		.amdhsa_system_sgpr_private_segment_wavefront_offset 0
		.amdhsa_system_sgpr_workgroup_id_x 1
		.amdhsa_system_sgpr_workgroup_id_y 0
		.amdhsa_system_sgpr_workgroup_id_z 0
		.amdhsa_system_sgpr_workgroup_info 0
		.amdhsa_system_vgpr_workitem_id 0
		.amdhsa_next_free_vgpr 1
		.amdhsa_next_free_sgpr 0
		.amdhsa_reserve_vcc 0
		.amdhsa_reserve_flat_scratch 0
		.amdhsa_float_round_mode_32 0
		.amdhsa_float_round_mode_16_64 0
		.amdhsa_float_denorm_mode_32 3
		.amdhsa_float_denorm_mode_16_64 3
		.amdhsa_dx10_clamp 1
		.amdhsa_ieee_mode 1
		.amdhsa_fp16_overflow 0
		.amdhsa_exception_fp_ieee_invalid_op 0
		.amdhsa_exception_fp_denorm_src 0
		.amdhsa_exception_fp_ieee_div_zero 0
		.amdhsa_exception_fp_ieee_overflow 0
		.amdhsa_exception_fp_ieee_underflow 0
		.amdhsa_exception_fp_ieee_inexact 0
		.amdhsa_exception_int_div_zero 0
	.end_amdhsa_kernel
	.section	.text._ZN7rocprim17ROCPRIM_400000_NS6detail17trampoline_kernelINS0_14default_configENS1_25transform_config_selectorItLb0EEEZNS1_14transform_implILb0ES3_S5_NS0_18transform_iteratorINS0_17counting_iteratorImlEEZNS1_24adjacent_difference_implIS3_Lb1ELb0EPtSB_N6thrust23THRUST_200600_302600_NS5minusItEEEE10hipError_tPvRmT2_T3_mT4_P12ihipStream_tbEUlmE_tEESB_NS0_8identityIvEEEESG_SJ_SK_mSL_SN_bEUlT_E_NS1_11comp_targetILNS1_3genE10ELNS1_11target_archE1201ELNS1_3gpuE5ELNS1_3repE0EEENS1_30default_config_static_selectorELNS0_4arch9wavefront6targetE1EEEvT1_,"axG",@progbits,_ZN7rocprim17ROCPRIM_400000_NS6detail17trampoline_kernelINS0_14default_configENS1_25transform_config_selectorItLb0EEEZNS1_14transform_implILb0ES3_S5_NS0_18transform_iteratorINS0_17counting_iteratorImlEEZNS1_24adjacent_difference_implIS3_Lb1ELb0EPtSB_N6thrust23THRUST_200600_302600_NS5minusItEEEE10hipError_tPvRmT2_T3_mT4_P12ihipStream_tbEUlmE_tEESB_NS0_8identityIvEEEESG_SJ_SK_mSL_SN_bEUlT_E_NS1_11comp_targetILNS1_3genE10ELNS1_11target_archE1201ELNS1_3gpuE5ELNS1_3repE0EEENS1_30default_config_static_selectorELNS0_4arch9wavefront6targetE1EEEvT1_,comdat
.Lfunc_end219:
	.size	_ZN7rocprim17ROCPRIM_400000_NS6detail17trampoline_kernelINS0_14default_configENS1_25transform_config_selectorItLb0EEEZNS1_14transform_implILb0ES3_S5_NS0_18transform_iteratorINS0_17counting_iteratorImlEEZNS1_24adjacent_difference_implIS3_Lb1ELb0EPtSB_N6thrust23THRUST_200600_302600_NS5minusItEEEE10hipError_tPvRmT2_T3_mT4_P12ihipStream_tbEUlmE_tEESB_NS0_8identityIvEEEESG_SJ_SK_mSL_SN_bEUlT_E_NS1_11comp_targetILNS1_3genE10ELNS1_11target_archE1201ELNS1_3gpuE5ELNS1_3repE0EEENS1_30default_config_static_selectorELNS0_4arch9wavefront6targetE1EEEvT1_, .Lfunc_end219-_ZN7rocprim17ROCPRIM_400000_NS6detail17trampoline_kernelINS0_14default_configENS1_25transform_config_selectorItLb0EEEZNS1_14transform_implILb0ES3_S5_NS0_18transform_iteratorINS0_17counting_iteratorImlEEZNS1_24adjacent_difference_implIS3_Lb1ELb0EPtSB_N6thrust23THRUST_200600_302600_NS5minusItEEEE10hipError_tPvRmT2_T3_mT4_P12ihipStream_tbEUlmE_tEESB_NS0_8identityIvEEEESG_SJ_SK_mSL_SN_bEUlT_E_NS1_11comp_targetILNS1_3genE10ELNS1_11target_archE1201ELNS1_3gpuE5ELNS1_3repE0EEENS1_30default_config_static_selectorELNS0_4arch9wavefront6targetE1EEEvT1_
                                        ; -- End function
	.set _ZN7rocprim17ROCPRIM_400000_NS6detail17trampoline_kernelINS0_14default_configENS1_25transform_config_selectorItLb0EEEZNS1_14transform_implILb0ES3_S5_NS0_18transform_iteratorINS0_17counting_iteratorImlEEZNS1_24adjacent_difference_implIS3_Lb1ELb0EPtSB_N6thrust23THRUST_200600_302600_NS5minusItEEEE10hipError_tPvRmT2_T3_mT4_P12ihipStream_tbEUlmE_tEESB_NS0_8identityIvEEEESG_SJ_SK_mSL_SN_bEUlT_E_NS1_11comp_targetILNS1_3genE10ELNS1_11target_archE1201ELNS1_3gpuE5ELNS1_3repE0EEENS1_30default_config_static_selectorELNS0_4arch9wavefront6targetE1EEEvT1_.num_vgpr, 0
	.set _ZN7rocprim17ROCPRIM_400000_NS6detail17trampoline_kernelINS0_14default_configENS1_25transform_config_selectorItLb0EEEZNS1_14transform_implILb0ES3_S5_NS0_18transform_iteratorINS0_17counting_iteratorImlEEZNS1_24adjacent_difference_implIS3_Lb1ELb0EPtSB_N6thrust23THRUST_200600_302600_NS5minusItEEEE10hipError_tPvRmT2_T3_mT4_P12ihipStream_tbEUlmE_tEESB_NS0_8identityIvEEEESG_SJ_SK_mSL_SN_bEUlT_E_NS1_11comp_targetILNS1_3genE10ELNS1_11target_archE1201ELNS1_3gpuE5ELNS1_3repE0EEENS1_30default_config_static_selectorELNS0_4arch9wavefront6targetE1EEEvT1_.num_agpr, 0
	.set _ZN7rocprim17ROCPRIM_400000_NS6detail17trampoline_kernelINS0_14default_configENS1_25transform_config_selectorItLb0EEEZNS1_14transform_implILb0ES3_S5_NS0_18transform_iteratorINS0_17counting_iteratorImlEEZNS1_24adjacent_difference_implIS3_Lb1ELb0EPtSB_N6thrust23THRUST_200600_302600_NS5minusItEEEE10hipError_tPvRmT2_T3_mT4_P12ihipStream_tbEUlmE_tEESB_NS0_8identityIvEEEESG_SJ_SK_mSL_SN_bEUlT_E_NS1_11comp_targetILNS1_3genE10ELNS1_11target_archE1201ELNS1_3gpuE5ELNS1_3repE0EEENS1_30default_config_static_selectorELNS0_4arch9wavefront6targetE1EEEvT1_.numbered_sgpr, 0
	.set _ZN7rocprim17ROCPRIM_400000_NS6detail17trampoline_kernelINS0_14default_configENS1_25transform_config_selectorItLb0EEEZNS1_14transform_implILb0ES3_S5_NS0_18transform_iteratorINS0_17counting_iteratorImlEEZNS1_24adjacent_difference_implIS3_Lb1ELb0EPtSB_N6thrust23THRUST_200600_302600_NS5minusItEEEE10hipError_tPvRmT2_T3_mT4_P12ihipStream_tbEUlmE_tEESB_NS0_8identityIvEEEESG_SJ_SK_mSL_SN_bEUlT_E_NS1_11comp_targetILNS1_3genE10ELNS1_11target_archE1201ELNS1_3gpuE5ELNS1_3repE0EEENS1_30default_config_static_selectorELNS0_4arch9wavefront6targetE1EEEvT1_.num_named_barrier, 0
	.set _ZN7rocprim17ROCPRIM_400000_NS6detail17trampoline_kernelINS0_14default_configENS1_25transform_config_selectorItLb0EEEZNS1_14transform_implILb0ES3_S5_NS0_18transform_iteratorINS0_17counting_iteratorImlEEZNS1_24adjacent_difference_implIS3_Lb1ELb0EPtSB_N6thrust23THRUST_200600_302600_NS5minusItEEEE10hipError_tPvRmT2_T3_mT4_P12ihipStream_tbEUlmE_tEESB_NS0_8identityIvEEEESG_SJ_SK_mSL_SN_bEUlT_E_NS1_11comp_targetILNS1_3genE10ELNS1_11target_archE1201ELNS1_3gpuE5ELNS1_3repE0EEENS1_30default_config_static_selectorELNS0_4arch9wavefront6targetE1EEEvT1_.private_seg_size, 0
	.set _ZN7rocprim17ROCPRIM_400000_NS6detail17trampoline_kernelINS0_14default_configENS1_25transform_config_selectorItLb0EEEZNS1_14transform_implILb0ES3_S5_NS0_18transform_iteratorINS0_17counting_iteratorImlEEZNS1_24adjacent_difference_implIS3_Lb1ELb0EPtSB_N6thrust23THRUST_200600_302600_NS5minusItEEEE10hipError_tPvRmT2_T3_mT4_P12ihipStream_tbEUlmE_tEESB_NS0_8identityIvEEEESG_SJ_SK_mSL_SN_bEUlT_E_NS1_11comp_targetILNS1_3genE10ELNS1_11target_archE1201ELNS1_3gpuE5ELNS1_3repE0EEENS1_30default_config_static_selectorELNS0_4arch9wavefront6targetE1EEEvT1_.uses_vcc, 0
	.set _ZN7rocprim17ROCPRIM_400000_NS6detail17trampoline_kernelINS0_14default_configENS1_25transform_config_selectorItLb0EEEZNS1_14transform_implILb0ES3_S5_NS0_18transform_iteratorINS0_17counting_iteratorImlEEZNS1_24adjacent_difference_implIS3_Lb1ELb0EPtSB_N6thrust23THRUST_200600_302600_NS5minusItEEEE10hipError_tPvRmT2_T3_mT4_P12ihipStream_tbEUlmE_tEESB_NS0_8identityIvEEEESG_SJ_SK_mSL_SN_bEUlT_E_NS1_11comp_targetILNS1_3genE10ELNS1_11target_archE1201ELNS1_3gpuE5ELNS1_3repE0EEENS1_30default_config_static_selectorELNS0_4arch9wavefront6targetE1EEEvT1_.uses_flat_scratch, 0
	.set _ZN7rocprim17ROCPRIM_400000_NS6detail17trampoline_kernelINS0_14default_configENS1_25transform_config_selectorItLb0EEEZNS1_14transform_implILb0ES3_S5_NS0_18transform_iteratorINS0_17counting_iteratorImlEEZNS1_24adjacent_difference_implIS3_Lb1ELb0EPtSB_N6thrust23THRUST_200600_302600_NS5minusItEEEE10hipError_tPvRmT2_T3_mT4_P12ihipStream_tbEUlmE_tEESB_NS0_8identityIvEEEESG_SJ_SK_mSL_SN_bEUlT_E_NS1_11comp_targetILNS1_3genE10ELNS1_11target_archE1201ELNS1_3gpuE5ELNS1_3repE0EEENS1_30default_config_static_selectorELNS0_4arch9wavefront6targetE1EEEvT1_.has_dyn_sized_stack, 0
	.set _ZN7rocprim17ROCPRIM_400000_NS6detail17trampoline_kernelINS0_14default_configENS1_25transform_config_selectorItLb0EEEZNS1_14transform_implILb0ES3_S5_NS0_18transform_iteratorINS0_17counting_iteratorImlEEZNS1_24adjacent_difference_implIS3_Lb1ELb0EPtSB_N6thrust23THRUST_200600_302600_NS5minusItEEEE10hipError_tPvRmT2_T3_mT4_P12ihipStream_tbEUlmE_tEESB_NS0_8identityIvEEEESG_SJ_SK_mSL_SN_bEUlT_E_NS1_11comp_targetILNS1_3genE10ELNS1_11target_archE1201ELNS1_3gpuE5ELNS1_3repE0EEENS1_30default_config_static_selectorELNS0_4arch9wavefront6targetE1EEEvT1_.has_recursion, 0
	.set _ZN7rocprim17ROCPRIM_400000_NS6detail17trampoline_kernelINS0_14default_configENS1_25transform_config_selectorItLb0EEEZNS1_14transform_implILb0ES3_S5_NS0_18transform_iteratorINS0_17counting_iteratorImlEEZNS1_24adjacent_difference_implIS3_Lb1ELb0EPtSB_N6thrust23THRUST_200600_302600_NS5minusItEEEE10hipError_tPvRmT2_T3_mT4_P12ihipStream_tbEUlmE_tEESB_NS0_8identityIvEEEESG_SJ_SK_mSL_SN_bEUlT_E_NS1_11comp_targetILNS1_3genE10ELNS1_11target_archE1201ELNS1_3gpuE5ELNS1_3repE0EEENS1_30default_config_static_selectorELNS0_4arch9wavefront6targetE1EEEvT1_.has_indirect_call, 0
	.section	.AMDGPU.csdata,"",@progbits
; Kernel info:
; codeLenInByte = 0
; TotalNumSgprs: 4
; NumVgprs: 0
; ScratchSize: 0
; MemoryBound: 0
; FloatMode: 240
; IeeeMode: 1
; LDSByteSize: 0 bytes/workgroup (compile time only)
; SGPRBlocks: 0
; VGPRBlocks: 0
; NumSGPRsForWavesPerEU: 4
; NumVGPRsForWavesPerEU: 1
; Occupancy: 10
; WaveLimiterHint : 0
; COMPUTE_PGM_RSRC2:SCRATCH_EN: 0
; COMPUTE_PGM_RSRC2:USER_SGPR: 6
; COMPUTE_PGM_RSRC2:TRAP_HANDLER: 0
; COMPUTE_PGM_RSRC2:TGID_X_EN: 1
; COMPUTE_PGM_RSRC2:TGID_Y_EN: 0
; COMPUTE_PGM_RSRC2:TGID_Z_EN: 0
; COMPUTE_PGM_RSRC2:TIDIG_COMP_CNT: 0
	.section	.text._ZN7rocprim17ROCPRIM_400000_NS6detail17trampoline_kernelINS0_14default_configENS1_25transform_config_selectorItLb0EEEZNS1_14transform_implILb0ES3_S5_NS0_18transform_iteratorINS0_17counting_iteratorImlEEZNS1_24adjacent_difference_implIS3_Lb1ELb0EPtSB_N6thrust23THRUST_200600_302600_NS5minusItEEEE10hipError_tPvRmT2_T3_mT4_P12ihipStream_tbEUlmE_tEESB_NS0_8identityIvEEEESG_SJ_SK_mSL_SN_bEUlT_E_NS1_11comp_targetILNS1_3genE10ELNS1_11target_archE1200ELNS1_3gpuE4ELNS1_3repE0EEENS1_30default_config_static_selectorELNS0_4arch9wavefront6targetE1EEEvT1_,"axG",@progbits,_ZN7rocprim17ROCPRIM_400000_NS6detail17trampoline_kernelINS0_14default_configENS1_25transform_config_selectorItLb0EEEZNS1_14transform_implILb0ES3_S5_NS0_18transform_iteratorINS0_17counting_iteratorImlEEZNS1_24adjacent_difference_implIS3_Lb1ELb0EPtSB_N6thrust23THRUST_200600_302600_NS5minusItEEEE10hipError_tPvRmT2_T3_mT4_P12ihipStream_tbEUlmE_tEESB_NS0_8identityIvEEEESG_SJ_SK_mSL_SN_bEUlT_E_NS1_11comp_targetILNS1_3genE10ELNS1_11target_archE1200ELNS1_3gpuE4ELNS1_3repE0EEENS1_30default_config_static_selectorELNS0_4arch9wavefront6targetE1EEEvT1_,comdat
	.protected	_ZN7rocprim17ROCPRIM_400000_NS6detail17trampoline_kernelINS0_14default_configENS1_25transform_config_selectorItLb0EEEZNS1_14transform_implILb0ES3_S5_NS0_18transform_iteratorINS0_17counting_iteratorImlEEZNS1_24adjacent_difference_implIS3_Lb1ELb0EPtSB_N6thrust23THRUST_200600_302600_NS5minusItEEEE10hipError_tPvRmT2_T3_mT4_P12ihipStream_tbEUlmE_tEESB_NS0_8identityIvEEEESG_SJ_SK_mSL_SN_bEUlT_E_NS1_11comp_targetILNS1_3genE10ELNS1_11target_archE1200ELNS1_3gpuE4ELNS1_3repE0EEENS1_30default_config_static_selectorELNS0_4arch9wavefront6targetE1EEEvT1_ ; -- Begin function _ZN7rocprim17ROCPRIM_400000_NS6detail17trampoline_kernelINS0_14default_configENS1_25transform_config_selectorItLb0EEEZNS1_14transform_implILb0ES3_S5_NS0_18transform_iteratorINS0_17counting_iteratorImlEEZNS1_24adjacent_difference_implIS3_Lb1ELb0EPtSB_N6thrust23THRUST_200600_302600_NS5minusItEEEE10hipError_tPvRmT2_T3_mT4_P12ihipStream_tbEUlmE_tEESB_NS0_8identityIvEEEESG_SJ_SK_mSL_SN_bEUlT_E_NS1_11comp_targetILNS1_3genE10ELNS1_11target_archE1200ELNS1_3gpuE4ELNS1_3repE0EEENS1_30default_config_static_selectorELNS0_4arch9wavefront6targetE1EEEvT1_
	.globl	_ZN7rocprim17ROCPRIM_400000_NS6detail17trampoline_kernelINS0_14default_configENS1_25transform_config_selectorItLb0EEEZNS1_14transform_implILb0ES3_S5_NS0_18transform_iteratorINS0_17counting_iteratorImlEEZNS1_24adjacent_difference_implIS3_Lb1ELb0EPtSB_N6thrust23THRUST_200600_302600_NS5minusItEEEE10hipError_tPvRmT2_T3_mT4_P12ihipStream_tbEUlmE_tEESB_NS0_8identityIvEEEESG_SJ_SK_mSL_SN_bEUlT_E_NS1_11comp_targetILNS1_3genE10ELNS1_11target_archE1200ELNS1_3gpuE4ELNS1_3repE0EEENS1_30default_config_static_selectorELNS0_4arch9wavefront6targetE1EEEvT1_
	.p2align	8
	.type	_ZN7rocprim17ROCPRIM_400000_NS6detail17trampoline_kernelINS0_14default_configENS1_25transform_config_selectorItLb0EEEZNS1_14transform_implILb0ES3_S5_NS0_18transform_iteratorINS0_17counting_iteratorImlEEZNS1_24adjacent_difference_implIS3_Lb1ELb0EPtSB_N6thrust23THRUST_200600_302600_NS5minusItEEEE10hipError_tPvRmT2_T3_mT4_P12ihipStream_tbEUlmE_tEESB_NS0_8identityIvEEEESG_SJ_SK_mSL_SN_bEUlT_E_NS1_11comp_targetILNS1_3genE10ELNS1_11target_archE1200ELNS1_3gpuE4ELNS1_3repE0EEENS1_30default_config_static_selectorELNS0_4arch9wavefront6targetE1EEEvT1_,@function
_ZN7rocprim17ROCPRIM_400000_NS6detail17trampoline_kernelINS0_14default_configENS1_25transform_config_selectorItLb0EEEZNS1_14transform_implILb0ES3_S5_NS0_18transform_iteratorINS0_17counting_iteratorImlEEZNS1_24adjacent_difference_implIS3_Lb1ELb0EPtSB_N6thrust23THRUST_200600_302600_NS5minusItEEEE10hipError_tPvRmT2_T3_mT4_P12ihipStream_tbEUlmE_tEESB_NS0_8identityIvEEEESG_SJ_SK_mSL_SN_bEUlT_E_NS1_11comp_targetILNS1_3genE10ELNS1_11target_archE1200ELNS1_3gpuE4ELNS1_3repE0EEENS1_30default_config_static_selectorELNS0_4arch9wavefront6targetE1EEEvT1_: ; @_ZN7rocprim17ROCPRIM_400000_NS6detail17trampoline_kernelINS0_14default_configENS1_25transform_config_selectorItLb0EEEZNS1_14transform_implILb0ES3_S5_NS0_18transform_iteratorINS0_17counting_iteratorImlEEZNS1_24adjacent_difference_implIS3_Lb1ELb0EPtSB_N6thrust23THRUST_200600_302600_NS5minusItEEEE10hipError_tPvRmT2_T3_mT4_P12ihipStream_tbEUlmE_tEESB_NS0_8identityIvEEEESG_SJ_SK_mSL_SN_bEUlT_E_NS1_11comp_targetILNS1_3genE10ELNS1_11target_archE1200ELNS1_3gpuE4ELNS1_3repE0EEENS1_30default_config_static_selectorELNS0_4arch9wavefront6targetE1EEEvT1_
; %bb.0:
	.section	.rodata,"a",@progbits
	.p2align	6, 0x0
	.amdhsa_kernel _ZN7rocprim17ROCPRIM_400000_NS6detail17trampoline_kernelINS0_14default_configENS1_25transform_config_selectorItLb0EEEZNS1_14transform_implILb0ES3_S5_NS0_18transform_iteratorINS0_17counting_iteratorImlEEZNS1_24adjacent_difference_implIS3_Lb1ELb0EPtSB_N6thrust23THRUST_200600_302600_NS5minusItEEEE10hipError_tPvRmT2_T3_mT4_P12ihipStream_tbEUlmE_tEESB_NS0_8identityIvEEEESG_SJ_SK_mSL_SN_bEUlT_E_NS1_11comp_targetILNS1_3genE10ELNS1_11target_archE1200ELNS1_3gpuE4ELNS1_3repE0EEENS1_30default_config_static_selectorELNS0_4arch9wavefront6targetE1EEEvT1_
		.amdhsa_group_segment_fixed_size 0
		.amdhsa_private_segment_fixed_size 0
		.amdhsa_kernarg_size 56
		.amdhsa_user_sgpr_count 6
		.amdhsa_user_sgpr_private_segment_buffer 1
		.amdhsa_user_sgpr_dispatch_ptr 0
		.amdhsa_user_sgpr_queue_ptr 0
		.amdhsa_user_sgpr_kernarg_segment_ptr 1
		.amdhsa_user_sgpr_dispatch_id 0
		.amdhsa_user_sgpr_flat_scratch_init 0
		.amdhsa_user_sgpr_private_segment_size 0
		.amdhsa_uses_dynamic_stack 0
		.amdhsa_system_sgpr_private_segment_wavefront_offset 0
		.amdhsa_system_sgpr_workgroup_id_x 1
		.amdhsa_system_sgpr_workgroup_id_y 0
		.amdhsa_system_sgpr_workgroup_id_z 0
		.amdhsa_system_sgpr_workgroup_info 0
		.amdhsa_system_vgpr_workitem_id 0
		.amdhsa_next_free_vgpr 1
		.amdhsa_next_free_sgpr 0
		.amdhsa_reserve_vcc 0
		.amdhsa_reserve_flat_scratch 0
		.amdhsa_float_round_mode_32 0
		.amdhsa_float_round_mode_16_64 0
		.amdhsa_float_denorm_mode_32 3
		.amdhsa_float_denorm_mode_16_64 3
		.amdhsa_dx10_clamp 1
		.amdhsa_ieee_mode 1
		.amdhsa_fp16_overflow 0
		.amdhsa_exception_fp_ieee_invalid_op 0
		.amdhsa_exception_fp_denorm_src 0
		.amdhsa_exception_fp_ieee_div_zero 0
		.amdhsa_exception_fp_ieee_overflow 0
		.amdhsa_exception_fp_ieee_underflow 0
		.amdhsa_exception_fp_ieee_inexact 0
		.amdhsa_exception_int_div_zero 0
	.end_amdhsa_kernel
	.section	.text._ZN7rocprim17ROCPRIM_400000_NS6detail17trampoline_kernelINS0_14default_configENS1_25transform_config_selectorItLb0EEEZNS1_14transform_implILb0ES3_S5_NS0_18transform_iteratorINS0_17counting_iteratorImlEEZNS1_24adjacent_difference_implIS3_Lb1ELb0EPtSB_N6thrust23THRUST_200600_302600_NS5minusItEEEE10hipError_tPvRmT2_T3_mT4_P12ihipStream_tbEUlmE_tEESB_NS0_8identityIvEEEESG_SJ_SK_mSL_SN_bEUlT_E_NS1_11comp_targetILNS1_3genE10ELNS1_11target_archE1200ELNS1_3gpuE4ELNS1_3repE0EEENS1_30default_config_static_selectorELNS0_4arch9wavefront6targetE1EEEvT1_,"axG",@progbits,_ZN7rocprim17ROCPRIM_400000_NS6detail17trampoline_kernelINS0_14default_configENS1_25transform_config_selectorItLb0EEEZNS1_14transform_implILb0ES3_S5_NS0_18transform_iteratorINS0_17counting_iteratorImlEEZNS1_24adjacent_difference_implIS3_Lb1ELb0EPtSB_N6thrust23THRUST_200600_302600_NS5minusItEEEE10hipError_tPvRmT2_T3_mT4_P12ihipStream_tbEUlmE_tEESB_NS0_8identityIvEEEESG_SJ_SK_mSL_SN_bEUlT_E_NS1_11comp_targetILNS1_3genE10ELNS1_11target_archE1200ELNS1_3gpuE4ELNS1_3repE0EEENS1_30default_config_static_selectorELNS0_4arch9wavefront6targetE1EEEvT1_,comdat
.Lfunc_end220:
	.size	_ZN7rocprim17ROCPRIM_400000_NS6detail17trampoline_kernelINS0_14default_configENS1_25transform_config_selectorItLb0EEEZNS1_14transform_implILb0ES3_S5_NS0_18transform_iteratorINS0_17counting_iteratorImlEEZNS1_24adjacent_difference_implIS3_Lb1ELb0EPtSB_N6thrust23THRUST_200600_302600_NS5minusItEEEE10hipError_tPvRmT2_T3_mT4_P12ihipStream_tbEUlmE_tEESB_NS0_8identityIvEEEESG_SJ_SK_mSL_SN_bEUlT_E_NS1_11comp_targetILNS1_3genE10ELNS1_11target_archE1200ELNS1_3gpuE4ELNS1_3repE0EEENS1_30default_config_static_selectorELNS0_4arch9wavefront6targetE1EEEvT1_, .Lfunc_end220-_ZN7rocprim17ROCPRIM_400000_NS6detail17trampoline_kernelINS0_14default_configENS1_25transform_config_selectorItLb0EEEZNS1_14transform_implILb0ES3_S5_NS0_18transform_iteratorINS0_17counting_iteratorImlEEZNS1_24adjacent_difference_implIS3_Lb1ELb0EPtSB_N6thrust23THRUST_200600_302600_NS5minusItEEEE10hipError_tPvRmT2_T3_mT4_P12ihipStream_tbEUlmE_tEESB_NS0_8identityIvEEEESG_SJ_SK_mSL_SN_bEUlT_E_NS1_11comp_targetILNS1_3genE10ELNS1_11target_archE1200ELNS1_3gpuE4ELNS1_3repE0EEENS1_30default_config_static_selectorELNS0_4arch9wavefront6targetE1EEEvT1_
                                        ; -- End function
	.set _ZN7rocprim17ROCPRIM_400000_NS6detail17trampoline_kernelINS0_14default_configENS1_25transform_config_selectorItLb0EEEZNS1_14transform_implILb0ES3_S5_NS0_18transform_iteratorINS0_17counting_iteratorImlEEZNS1_24adjacent_difference_implIS3_Lb1ELb0EPtSB_N6thrust23THRUST_200600_302600_NS5minusItEEEE10hipError_tPvRmT2_T3_mT4_P12ihipStream_tbEUlmE_tEESB_NS0_8identityIvEEEESG_SJ_SK_mSL_SN_bEUlT_E_NS1_11comp_targetILNS1_3genE10ELNS1_11target_archE1200ELNS1_3gpuE4ELNS1_3repE0EEENS1_30default_config_static_selectorELNS0_4arch9wavefront6targetE1EEEvT1_.num_vgpr, 0
	.set _ZN7rocprim17ROCPRIM_400000_NS6detail17trampoline_kernelINS0_14default_configENS1_25transform_config_selectorItLb0EEEZNS1_14transform_implILb0ES3_S5_NS0_18transform_iteratorINS0_17counting_iteratorImlEEZNS1_24adjacent_difference_implIS3_Lb1ELb0EPtSB_N6thrust23THRUST_200600_302600_NS5minusItEEEE10hipError_tPvRmT2_T3_mT4_P12ihipStream_tbEUlmE_tEESB_NS0_8identityIvEEEESG_SJ_SK_mSL_SN_bEUlT_E_NS1_11comp_targetILNS1_3genE10ELNS1_11target_archE1200ELNS1_3gpuE4ELNS1_3repE0EEENS1_30default_config_static_selectorELNS0_4arch9wavefront6targetE1EEEvT1_.num_agpr, 0
	.set _ZN7rocprim17ROCPRIM_400000_NS6detail17trampoline_kernelINS0_14default_configENS1_25transform_config_selectorItLb0EEEZNS1_14transform_implILb0ES3_S5_NS0_18transform_iteratorINS0_17counting_iteratorImlEEZNS1_24adjacent_difference_implIS3_Lb1ELb0EPtSB_N6thrust23THRUST_200600_302600_NS5minusItEEEE10hipError_tPvRmT2_T3_mT4_P12ihipStream_tbEUlmE_tEESB_NS0_8identityIvEEEESG_SJ_SK_mSL_SN_bEUlT_E_NS1_11comp_targetILNS1_3genE10ELNS1_11target_archE1200ELNS1_3gpuE4ELNS1_3repE0EEENS1_30default_config_static_selectorELNS0_4arch9wavefront6targetE1EEEvT1_.numbered_sgpr, 0
	.set _ZN7rocprim17ROCPRIM_400000_NS6detail17trampoline_kernelINS0_14default_configENS1_25transform_config_selectorItLb0EEEZNS1_14transform_implILb0ES3_S5_NS0_18transform_iteratorINS0_17counting_iteratorImlEEZNS1_24adjacent_difference_implIS3_Lb1ELb0EPtSB_N6thrust23THRUST_200600_302600_NS5minusItEEEE10hipError_tPvRmT2_T3_mT4_P12ihipStream_tbEUlmE_tEESB_NS0_8identityIvEEEESG_SJ_SK_mSL_SN_bEUlT_E_NS1_11comp_targetILNS1_3genE10ELNS1_11target_archE1200ELNS1_3gpuE4ELNS1_3repE0EEENS1_30default_config_static_selectorELNS0_4arch9wavefront6targetE1EEEvT1_.num_named_barrier, 0
	.set _ZN7rocprim17ROCPRIM_400000_NS6detail17trampoline_kernelINS0_14default_configENS1_25transform_config_selectorItLb0EEEZNS1_14transform_implILb0ES3_S5_NS0_18transform_iteratorINS0_17counting_iteratorImlEEZNS1_24adjacent_difference_implIS3_Lb1ELb0EPtSB_N6thrust23THRUST_200600_302600_NS5minusItEEEE10hipError_tPvRmT2_T3_mT4_P12ihipStream_tbEUlmE_tEESB_NS0_8identityIvEEEESG_SJ_SK_mSL_SN_bEUlT_E_NS1_11comp_targetILNS1_3genE10ELNS1_11target_archE1200ELNS1_3gpuE4ELNS1_3repE0EEENS1_30default_config_static_selectorELNS0_4arch9wavefront6targetE1EEEvT1_.private_seg_size, 0
	.set _ZN7rocprim17ROCPRIM_400000_NS6detail17trampoline_kernelINS0_14default_configENS1_25transform_config_selectorItLb0EEEZNS1_14transform_implILb0ES3_S5_NS0_18transform_iteratorINS0_17counting_iteratorImlEEZNS1_24adjacent_difference_implIS3_Lb1ELb0EPtSB_N6thrust23THRUST_200600_302600_NS5minusItEEEE10hipError_tPvRmT2_T3_mT4_P12ihipStream_tbEUlmE_tEESB_NS0_8identityIvEEEESG_SJ_SK_mSL_SN_bEUlT_E_NS1_11comp_targetILNS1_3genE10ELNS1_11target_archE1200ELNS1_3gpuE4ELNS1_3repE0EEENS1_30default_config_static_selectorELNS0_4arch9wavefront6targetE1EEEvT1_.uses_vcc, 0
	.set _ZN7rocprim17ROCPRIM_400000_NS6detail17trampoline_kernelINS0_14default_configENS1_25transform_config_selectorItLb0EEEZNS1_14transform_implILb0ES3_S5_NS0_18transform_iteratorINS0_17counting_iteratorImlEEZNS1_24adjacent_difference_implIS3_Lb1ELb0EPtSB_N6thrust23THRUST_200600_302600_NS5minusItEEEE10hipError_tPvRmT2_T3_mT4_P12ihipStream_tbEUlmE_tEESB_NS0_8identityIvEEEESG_SJ_SK_mSL_SN_bEUlT_E_NS1_11comp_targetILNS1_3genE10ELNS1_11target_archE1200ELNS1_3gpuE4ELNS1_3repE0EEENS1_30default_config_static_selectorELNS0_4arch9wavefront6targetE1EEEvT1_.uses_flat_scratch, 0
	.set _ZN7rocprim17ROCPRIM_400000_NS6detail17trampoline_kernelINS0_14default_configENS1_25transform_config_selectorItLb0EEEZNS1_14transform_implILb0ES3_S5_NS0_18transform_iteratorINS0_17counting_iteratorImlEEZNS1_24adjacent_difference_implIS3_Lb1ELb0EPtSB_N6thrust23THRUST_200600_302600_NS5minusItEEEE10hipError_tPvRmT2_T3_mT4_P12ihipStream_tbEUlmE_tEESB_NS0_8identityIvEEEESG_SJ_SK_mSL_SN_bEUlT_E_NS1_11comp_targetILNS1_3genE10ELNS1_11target_archE1200ELNS1_3gpuE4ELNS1_3repE0EEENS1_30default_config_static_selectorELNS0_4arch9wavefront6targetE1EEEvT1_.has_dyn_sized_stack, 0
	.set _ZN7rocprim17ROCPRIM_400000_NS6detail17trampoline_kernelINS0_14default_configENS1_25transform_config_selectorItLb0EEEZNS1_14transform_implILb0ES3_S5_NS0_18transform_iteratorINS0_17counting_iteratorImlEEZNS1_24adjacent_difference_implIS3_Lb1ELb0EPtSB_N6thrust23THRUST_200600_302600_NS5minusItEEEE10hipError_tPvRmT2_T3_mT4_P12ihipStream_tbEUlmE_tEESB_NS0_8identityIvEEEESG_SJ_SK_mSL_SN_bEUlT_E_NS1_11comp_targetILNS1_3genE10ELNS1_11target_archE1200ELNS1_3gpuE4ELNS1_3repE0EEENS1_30default_config_static_selectorELNS0_4arch9wavefront6targetE1EEEvT1_.has_recursion, 0
	.set _ZN7rocprim17ROCPRIM_400000_NS6detail17trampoline_kernelINS0_14default_configENS1_25transform_config_selectorItLb0EEEZNS1_14transform_implILb0ES3_S5_NS0_18transform_iteratorINS0_17counting_iteratorImlEEZNS1_24adjacent_difference_implIS3_Lb1ELb0EPtSB_N6thrust23THRUST_200600_302600_NS5minusItEEEE10hipError_tPvRmT2_T3_mT4_P12ihipStream_tbEUlmE_tEESB_NS0_8identityIvEEEESG_SJ_SK_mSL_SN_bEUlT_E_NS1_11comp_targetILNS1_3genE10ELNS1_11target_archE1200ELNS1_3gpuE4ELNS1_3repE0EEENS1_30default_config_static_selectorELNS0_4arch9wavefront6targetE1EEEvT1_.has_indirect_call, 0
	.section	.AMDGPU.csdata,"",@progbits
; Kernel info:
; codeLenInByte = 0
; TotalNumSgprs: 4
; NumVgprs: 0
; ScratchSize: 0
; MemoryBound: 0
; FloatMode: 240
; IeeeMode: 1
; LDSByteSize: 0 bytes/workgroup (compile time only)
; SGPRBlocks: 0
; VGPRBlocks: 0
; NumSGPRsForWavesPerEU: 4
; NumVGPRsForWavesPerEU: 1
; Occupancy: 10
; WaveLimiterHint : 0
; COMPUTE_PGM_RSRC2:SCRATCH_EN: 0
; COMPUTE_PGM_RSRC2:USER_SGPR: 6
; COMPUTE_PGM_RSRC2:TRAP_HANDLER: 0
; COMPUTE_PGM_RSRC2:TGID_X_EN: 1
; COMPUTE_PGM_RSRC2:TGID_Y_EN: 0
; COMPUTE_PGM_RSRC2:TGID_Z_EN: 0
; COMPUTE_PGM_RSRC2:TIDIG_COMP_CNT: 0
	.section	.text._ZN7rocprim17ROCPRIM_400000_NS6detail17trampoline_kernelINS0_14default_configENS1_25transform_config_selectorItLb0EEEZNS1_14transform_implILb0ES3_S5_NS0_18transform_iteratorINS0_17counting_iteratorImlEEZNS1_24adjacent_difference_implIS3_Lb1ELb0EPtSB_N6thrust23THRUST_200600_302600_NS5minusItEEEE10hipError_tPvRmT2_T3_mT4_P12ihipStream_tbEUlmE_tEESB_NS0_8identityIvEEEESG_SJ_SK_mSL_SN_bEUlT_E_NS1_11comp_targetILNS1_3genE9ELNS1_11target_archE1100ELNS1_3gpuE3ELNS1_3repE0EEENS1_30default_config_static_selectorELNS0_4arch9wavefront6targetE1EEEvT1_,"axG",@progbits,_ZN7rocprim17ROCPRIM_400000_NS6detail17trampoline_kernelINS0_14default_configENS1_25transform_config_selectorItLb0EEEZNS1_14transform_implILb0ES3_S5_NS0_18transform_iteratorINS0_17counting_iteratorImlEEZNS1_24adjacent_difference_implIS3_Lb1ELb0EPtSB_N6thrust23THRUST_200600_302600_NS5minusItEEEE10hipError_tPvRmT2_T3_mT4_P12ihipStream_tbEUlmE_tEESB_NS0_8identityIvEEEESG_SJ_SK_mSL_SN_bEUlT_E_NS1_11comp_targetILNS1_3genE9ELNS1_11target_archE1100ELNS1_3gpuE3ELNS1_3repE0EEENS1_30default_config_static_selectorELNS0_4arch9wavefront6targetE1EEEvT1_,comdat
	.protected	_ZN7rocprim17ROCPRIM_400000_NS6detail17trampoline_kernelINS0_14default_configENS1_25transform_config_selectorItLb0EEEZNS1_14transform_implILb0ES3_S5_NS0_18transform_iteratorINS0_17counting_iteratorImlEEZNS1_24adjacent_difference_implIS3_Lb1ELb0EPtSB_N6thrust23THRUST_200600_302600_NS5minusItEEEE10hipError_tPvRmT2_T3_mT4_P12ihipStream_tbEUlmE_tEESB_NS0_8identityIvEEEESG_SJ_SK_mSL_SN_bEUlT_E_NS1_11comp_targetILNS1_3genE9ELNS1_11target_archE1100ELNS1_3gpuE3ELNS1_3repE0EEENS1_30default_config_static_selectorELNS0_4arch9wavefront6targetE1EEEvT1_ ; -- Begin function _ZN7rocprim17ROCPRIM_400000_NS6detail17trampoline_kernelINS0_14default_configENS1_25transform_config_selectorItLb0EEEZNS1_14transform_implILb0ES3_S5_NS0_18transform_iteratorINS0_17counting_iteratorImlEEZNS1_24adjacent_difference_implIS3_Lb1ELb0EPtSB_N6thrust23THRUST_200600_302600_NS5minusItEEEE10hipError_tPvRmT2_T3_mT4_P12ihipStream_tbEUlmE_tEESB_NS0_8identityIvEEEESG_SJ_SK_mSL_SN_bEUlT_E_NS1_11comp_targetILNS1_3genE9ELNS1_11target_archE1100ELNS1_3gpuE3ELNS1_3repE0EEENS1_30default_config_static_selectorELNS0_4arch9wavefront6targetE1EEEvT1_
	.globl	_ZN7rocprim17ROCPRIM_400000_NS6detail17trampoline_kernelINS0_14default_configENS1_25transform_config_selectorItLb0EEEZNS1_14transform_implILb0ES3_S5_NS0_18transform_iteratorINS0_17counting_iteratorImlEEZNS1_24adjacent_difference_implIS3_Lb1ELb0EPtSB_N6thrust23THRUST_200600_302600_NS5minusItEEEE10hipError_tPvRmT2_T3_mT4_P12ihipStream_tbEUlmE_tEESB_NS0_8identityIvEEEESG_SJ_SK_mSL_SN_bEUlT_E_NS1_11comp_targetILNS1_3genE9ELNS1_11target_archE1100ELNS1_3gpuE3ELNS1_3repE0EEENS1_30default_config_static_selectorELNS0_4arch9wavefront6targetE1EEEvT1_
	.p2align	8
	.type	_ZN7rocprim17ROCPRIM_400000_NS6detail17trampoline_kernelINS0_14default_configENS1_25transform_config_selectorItLb0EEEZNS1_14transform_implILb0ES3_S5_NS0_18transform_iteratorINS0_17counting_iteratorImlEEZNS1_24adjacent_difference_implIS3_Lb1ELb0EPtSB_N6thrust23THRUST_200600_302600_NS5minusItEEEE10hipError_tPvRmT2_T3_mT4_P12ihipStream_tbEUlmE_tEESB_NS0_8identityIvEEEESG_SJ_SK_mSL_SN_bEUlT_E_NS1_11comp_targetILNS1_3genE9ELNS1_11target_archE1100ELNS1_3gpuE3ELNS1_3repE0EEENS1_30default_config_static_selectorELNS0_4arch9wavefront6targetE1EEEvT1_,@function
_ZN7rocprim17ROCPRIM_400000_NS6detail17trampoline_kernelINS0_14default_configENS1_25transform_config_selectorItLb0EEEZNS1_14transform_implILb0ES3_S5_NS0_18transform_iteratorINS0_17counting_iteratorImlEEZNS1_24adjacent_difference_implIS3_Lb1ELb0EPtSB_N6thrust23THRUST_200600_302600_NS5minusItEEEE10hipError_tPvRmT2_T3_mT4_P12ihipStream_tbEUlmE_tEESB_NS0_8identityIvEEEESG_SJ_SK_mSL_SN_bEUlT_E_NS1_11comp_targetILNS1_3genE9ELNS1_11target_archE1100ELNS1_3gpuE3ELNS1_3repE0EEENS1_30default_config_static_selectorELNS0_4arch9wavefront6targetE1EEEvT1_: ; @_ZN7rocprim17ROCPRIM_400000_NS6detail17trampoline_kernelINS0_14default_configENS1_25transform_config_selectorItLb0EEEZNS1_14transform_implILb0ES3_S5_NS0_18transform_iteratorINS0_17counting_iteratorImlEEZNS1_24adjacent_difference_implIS3_Lb1ELb0EPtSB_N6thrust23THRUST_200600_302600_NS5minusItEEEE10hipError_tPvRmT2_T3_mT4_P12ihipStream_tbEUlmE_tEESB_NS0_8identityIvEEEESG_SJ_SK_mSL_SN_bEUlT_E_NS1_11comp_targetILNS1_3genE9ELNS1_11target_archE1100ELNS1_3gpuE3ELNS1_3repE0EEENS1_30default_config_static_selectorELNS0_4arch9wavefront6targetE1EEEvT1_
; %bb.0:
	.section	.rodata,"a",@progbits
	.p2align	6, 0x0
	.amdhsa_kernel _ZN7rocprim17ROCPRIM_400000_NS6detail17trampoline_kernelINS0_14default_configENS1_25transform_config_selectorItLb0EEEZNS1_14transform_implILb0ES3_S5_NS0_18transform_iteratorINS0_17counting_iteratorImlEEZNS1_24adjacent_difference_implIS3_Lb1ELb0EPtSB_N6thrust23THRUST_200600_302600_NS5minusItEEEE10hipError_tPvRmT2_T3_mT4_P12ihipStream_tbEUlmE_tEESB_NS0_8identityIvEEEESG_SJ_SK_mSL_SN_bEUlT_E_NS1_11comp_targetILNS1_3genE9ELNS1_11target_archE1100ELNS1_3gpuE3ELNS1_3repE0EEENS1_30default_config_static_selectorELNS0_4arch9wavefront6targetE1EEEvT1_
		.amdhsa_group_segment_fixed_size 0
		.amdhsa_private_segment_fixed_size 0
		.amdhsa_kernarg_size 56
		.amdhsa_user_sgpr_count 6
		.amdhsa_user_sgpr_private_segment_buffer 1
		.amdhsa_user_sgpr_dispatch_ptr 0
		.amdhsa_user_sgpr_queue_ptr 0
		.amdhsa_user_sgpr_kernarg_segment_ptr 1
		.amdhsa_user_sgpr_dispatch_id 0
		.amdhsa_user_sgpr_flat_scratch_init 0
		.amdhsa_user_sgpr_private_segment_size 0
		.amdhsa_uses_dynamic_stack 0
		.amdhsa_system_sgpr_private_segment_wavefront_offset 0
		.amdhsa_system_sgpr_workgroup_id_x 1
		.amdhsa_system_sgpr_workgroup_id_y 0
		.amdhsa_system_sgpr_workgroup_id_z 0
		.amdhsa_system_sgpr_workgroup_info 0
		.amdhsa_system_vgpr_workitem_id 0
		.amdhsa_next_free_vgpr 1
		.amdhsa_next_free_sgpr 0
		.amdhsa_reserve_vcc 0
		.amdhsa_reserve_flat_scratch 0
		.amdhsa_float_round_mode_32 0
		.amdhsa_float_round_mode_16_64 0
		.amdhsa_float_denorm_mode_32 3
		.amdhsa_float_denorm_mode_16_64 3
		.amdhsa_dx10_clamp 1
		.amdhsa_ieee_mode 1
		.amdhsa_fp16_overflow 0
		.amdhsa_exception_fp_ieee_invalid_op 0
		.amdhsa_exception_fp_denorm_src 0
		.amdhsa_exception_fp_ieee_div_zero 0
		.amdhsa_exception_fp_ieee_overflow 0
		.amdhsa_exception_fp_ieee_underflow 0
		.amdhsa_exception_fp_ieee_inexact 0
		.amdhsa_exception_int_div_zero 0
	.end_amdhsa_kernel
	.section	.text._ZN7rocprim17ROCPRIM_400000_NS6detail17trampoline_kernelINS0_14default_configENS1_25transform_config_selectorItLb0EEEZNS1_14transform_implILb0ES3_S5_NS0_18transform_iteratorINS0_17counting_iteratorImlEEZNS1_24adjacent_difference_implIS3_Lb1ELb0EPtSB_N6thrust23THRUST_200600_302600_NS5minusItEEEE10hipError_tPvRmT2_T3_mT4_P12ihipStream_tbEUlmE_tEESB_NS0_8identityIvEEEESG_SJ_SK_mSL_SN_bEUlT_E_NS1_11comp_targetILNS1_3genE9ELNS1_11target_archE1100ELNS1_3gpuE3ELNS1_3repE0EEENS1_30default_config_static_selectorELNS0_4arch9wavefront6targetE1EEEvT1_,"axG",@progbits,_ZN7rocprim17ROCPRIM_400000_NS6detail17trampoline_kernelINS0_14default_configENS1_25transform_config_selectorItLb0EEEZNS1_14transform_implILb0ES3_S5_NS0_18transform_iteratorINS0_17counting_iteratorImlEEZNS1_24adjacent_difference_implIS3_Lb1ELb0EPtSB_N6thrust23THRUST_200600_302600_NS5minusItEEEE10hipError_tPvRmT2_T3_mT4_P12ihipStream_tbEUlmE_tEESB_NS0_8identityIvEEEESG_SJ_SK_mSL_SN_bEUlT_E_NS1_11comp_targetILNS1_3genE9ELNS1_11target_archE1100ELNS1_3gpuE3ELNS1_3repE0EEENS1_30default_config_static_selectorELNS0_4arch9wavefront6targetE1EEEvT1_,comdat
.Lfunc_end221:
	.size	_ZN7rocprim17ROCPRIM_400000_NS6detail17trampoline_kernelINS0_14default_configENS1_25transform_config_selectorItLb0EEEZNS1_14transform_implILb0ES3_S5_NS0_18transform_iteratorINS0_17counting_iteratorImlEEZNS1_24adjacent_difference_implIS3_Lb1ELb0EPtSB_N6thrust23THRUST_200600_302600_NS5minusItEEEE10hipError_tPvRmT2_T3_mT4_P12ihipStream_tbEUlmE_tEESB_NS0_8identityIvEEEESG_SJ_SK_mSL_SN_bEUlT_E_NS1_11comp_targetILNS1_3genE9ELNS1_11target_archE1100ELNS1_3gpuE3ELNS1_3repE0EEENS1_30default_config_static_selectorELNS0_4arch9wavefront6targetE1EEEvT1_, .Lfunc_end221-_ZN7rocprim17ROCPRIM_400000_NS6detail17trampoline_kernelINS0_14default_configENS1_25transform_config_selectorItLb0EEEZNS1_14transform_implILb0ES3_S5_NS0_18transform_iteratorINS0_17counting_iteratorImlEEZNS1_24adjacent_difference_implIS3_Lb1ELb0EPtSB_N6thrust23THRUST_200600_302600_NS5minusItEEEE10hipError_tPvRmT2_T3_mT4_P12ihipStream_tbEUlmE_tEESB_NS0_8identityIvEEEESG_SJ_SK_mSL_SN_bEUlT_E_NS1_11comp_targetILNS1_3genE9ELNS1_11target_archE1100ELNS1_3gpuE3ELNS1_3repE0EEENS1_30default_config_static_selectorELNS0_4arch9wavefront6targetE1EEEvT1_
                                        ; -- End function
	.set _ZN7rocprim17ROCPRIM_400000_NS6detail17trampoline_kernelINS0_14default_configENS1_25transform_config_selectorItLb0EEEZNS1_14transform_implILb0ES3_S5_NS0_18transform_iteratorINS0_17counting_iteratorImlEEZNS1_24adjacent_difference_implIS3_Lb1ELb0EPtSB_N6thrust23THRUST_200600_302600_NS5minusItEEEE10hipError_tPvRmT2_T3_mT4_P12ihipStream_tbEUlmE_tEESB_NS0_8identityIvEEEESG_SJ_SK_mSL_SN_bEUlT_E_NS1_11comp_targetILNS1_3genE9ELNS1_11target_archE1100ELNS1_3gpuE3ELNS1_3repE0EEENS1_30default_config_static_selectorELNS0_4arch9wavefront6targetE1EEEvT1_.num_vgpr, 0
	.set _ZN7rocprim17ROCPRIM_400000_NS6detail17trampoline_kernelINS0_14default_configENS1_25transform_config_selectorItLb0EEEZNS1_14transform_implILb0ES3_S5_NS0_18transform_iteratorINS0_17counting_iteratorImlEEZNS1_24adjacent_difference_implIS3_Lb1ELb0EPtSB_N6thrust23THRUST_200600_302600_NS5minusItEEEE10hipError_tPvRmT2_T3_mT4_P12ihipStream_tbEUlmE_tEESB_NS0_8identityIvEEEESG_SJ_SK_mSL_SN_bEUlT_E_NS1_11comp_targetILNS1_3genE9ELNS1_11target_archE1100ELNS1_3gpuE3ELNS1_3repE0EEENS1_30default_config_static_selectorELNS0_4arch9wavefront6targetE1EEEvT1_.num_agpr, 0
	.set _ZN7rocprim17ROCPRIM_400000_NS6detail17trampoline_kernelINS0_14default_configENS1_25transform_config_selectorItLb0EEEZNS1_14transform_implILb0ES3_S5_NS0_18transform_iteratorINS0_17counting_iteratorImlEEZNS1_24adjacent_difference_implIS3_Lb1ELb0EPtSB_N6thrust23THRUST_200600_302600_NS5minusItEEEE10hipError_tPvRmT2_T3_mT4_P12ihipStream_tbEUlmE_tEESB_NS0_8identityIvEEEESG_SJ_SK_mSL_SN_bEUlT_E_NS1_11comp_targetILNS1_3genE9ELNS1_11target_archE1100ELNS1_3gpuE3ELNS1_3repE0EEENS1_30default_config_static_selectorELNS0_4arch9wavefront6targetE1EEEvT1_.numbered_sgpr, 0
	.set _ZN7rocprim17ROCPRIM_400000_NS6detail17trampoline_kernelINS0_14default_configENS1_25transform_config_selectorItLb0EEEZNS1_14transform_implILb0ES3_S5_NS0_18transform_iteratorINS0_17counting_iteratorImlEEZNS1_24adjacent_difference_implIS3_Lb1ELb0EPtSB_N6thrust23THRUST_200600_302600_NS5minusItEEEE10hipError_tPvRmT2_T3_mT4_P12ihipStream_tbEUlmE_tEESB_NS0_8identityIvEEEESG_SJ_SK_mSL_SN_bEUlT_E_NS1_11comp_targetILNS1_3genE9ELNS1_11target_archE1100ELNS1_3gpuE3ELNS1_3repE0EEENS1_30default_config_static_selectorELNS0_4arch9wavefront6targetE1EEEvT1_.num_named_barrier, 0
	.set _ZN7rocprim17ROCPRIM_400000_NS6detail17trampoline_kernelINS0_14default_configENS1_25transform_config_selectorItLb0EEEZNS1_14transform_implILb0ES3_S5_NS0_18transform_iteratorINS0_17counting_iteratorImlEEZNS1_24adjacent_difference_implIS3_Lb1ELb0EPtSB_N6thrust23THRUST_200600_302600_NS5minusItEEEE10hipError_tPvRmT2_T3_mT4_P12ihipStream_tbEUlmE_tEESB_NS0_8identityIvEEEESG_SJ_SK_mSL_SN_bEUlT_E_NS1_11comp_targetILNS1_3genE9ELNS1_11target_archE1100ELNS1_3gpuE3ELNS1_3repE0EEENS1_30default_config_static_selectorELNS0_4arch9wavefront6targetE1EEEvT1_.private_seg_size, 0
	.set _ZN7rocprim17ROCPRIM_400000_NS6detail17trampoline_kernelINS0_14default_configENS1_25transform_config_selectorItLb0EEEZNS1_14transform_implILb0ES3_S5_NS0_18transform_iteratorINS0_17counting_iteratorImlEEZNS1_24adjacent_difference_implIS3_Lb1ELb0EPtSB_N6thrust23THRUST_200600_302600_NS5minusItEEEE10hipError_tPvRmT2_T3_mT4_P12ihipStream_tbEUlmE_tEESB_NS0_8identityIvEEEESG_SJ_SK_mSL_SN_bEUlT_E_NS1_11comp_targetILNS1_3genE9ELNS1_11target_archE1100ELNS1_3gpuE3ELNS1_3repE0EEENS1_30default_config_static_selectorELNS0_4arch9wavefront6targetE1EEEvT1_.uses_vcc, 0
	.set _ZN7rocprim17ROCPRIM_400000_NS6detail17trampoline_kernelINS0_14default_configENS1_25transform_config_selectorItLb0EEEZNS1_14transform_implILb0ES3_S5_NS0_18transform_iteratorINS0_17counting_iteratorImlEEZNS1_24adjacent_difference_implIS3_Lb1ELb0EPtSB_N6thrust23THRUST_200600_302600_NS5minusItEEEE10hipError_tPvRmT2_T3_mT4_P12ihipStream_tbEUlmE_tEESB_NS0_8identityIvEEEESG_SJ_SK_mSL_SN_bEUlT_E_NS1_11comp_targetILNS1_3genE9ELNS1_11target_archE1100ELNS1_3gpuE3ELNS1_3repE0EEENS1_30default_config_static_selectorELNS0_4arch9wavefront6targetE1EEEvT1_.uses_flat_scratch, 0
	.set _ZN7rocprim17ROCPRIM_400000_NS6detail17trampoline_kernelINS0_14default_configENS1_25transform_config_selectorItLb0EEEZNS1_14transform_implILb0ES3_S5_NS0_18transform_iteratorINS0_17counting_iteratorImlEEZNS1_24adjacent_difference_implIS3_Lb1ELb0EPtSB_N6thrust23THRUST_200600_302600_NS5minusItEEEE10hipError_tPvRmT2_T3_mT4_P12ihipStream_tbEUlmE_tEESB_NS0_8identityIvEEEESG_SJ_SK_mSL_SN_bEUlT_E_NS1_11comp_targetILNS1_3genE9ELNS1_11target_archE1100ELNS1_3gpuE3ELNS1_3repE0EEENS1_30default_config_static_selectorELNS0_4arch9wavefront6targetE1EEEvT1_.has_dyn_sized_stack, 0
	.set _ZN7rocprim17ROCPRIM_400000_NS6detail17trampoline_kernelINS0_14default_configENS1_25transform_config_selectorItLb0EEEZNS1_14transform_implILb0ES3_S5_NS0_18transform_iteratorINS0_17counting_iteratorImlEEZNS1_24adjacent_difference_implIS3_Lb1ELb0EPtSB_N6thrust23THRUST_200600_302600_NS5minusItEEEE10hipError_tPvRmT2_T3_mT4_P12ihipStream_tbEUlmE_tEESB_NS0_8identityIvEEEESG_SJ_SK_mSL_SN_bEUlT_E_NS1_11comp_targetILNS1_3genE9ELNS1_11target_archE1100ELNS1_3gpuE3ELNS1_3repE0EEENS1_30default_config_static_selectorELNS0_4arch9wavefront6targetE1EEEvT1_.has_recursion, 0
	.set _ZN7rocprim17ROCPRIM_400000_NS6detail17trampoline_kernelINS0_14default_configENS1_25transform_config_selectorItLb0EEEZNS1_14transform_implILb0ES3_S5_NS0_18transform_iteratorINS0_17counting_iteratorImlEEZNS1_24adjacent_difference_implIS3_Lb1ELb0EPtSB_N6thrust23THRUST_200600_302600_NS5minusItEEEE10hipError_tPvRmT2_T3_mT4_P12ihipStream_tbEUlmE_tEESB_NS0_8identityIvEEEESG_SJ_SK_mSL_SN_bEUlT_E_NS1_11comp_targetILNS1_3genE9ELNS1_11target_archE1100ELNS1_3gpuE3ELNS1_3repE0EEENS1_30default_config_static_selectorELNS0_4arch9wavefront6targetE1EEEvT1_.has_indirect_call, 0
	.section	.AMDGPU.csdata,"",@progbits
; Kernel info:
; codeLenInByte = 0
; TotalNumSgprs: 4
; NumVgprs: 0
; ScratchSize: 0
; MemoryBound: 0
; FloatMode: 240
; IeeeMode: 1
; LDSByteSize: 0 bytes/workgroup (compile time only)
; SGPRBlocks: 0
; VGPRBlocks: 0
; NumSGPRsForWavesPerEU: 4
; NumVGPRsForWavesPerEU: 1
; Occupancy: 10
; WaveLimiterHint : 0
; COMPUTE_PGM_RSRC2:SCRATCH_EN: 0
; COMPUTE_PGM_RSRC2:USER_SGPR: 6
; COMPUTE_PGM_RSRC2:TRAP_HANDLER: 0
; COMPUTE_PGM_RSRC2:TGID_X_EN: 1
; COMPUTE_PGM_RSRC2:TGID_Y_EN: 0
; COMPUTE_PGM_RSRC2:TGID_Z_EN: 0
; COMPUTE_PGM_RSRC2:TIDIG_COMP_CNT: 0
	.section	.text._ZN7rocprim17ROCPRIM_400000_NS6detail17trampoline_kernelINS0_14default_configENS1_25transform_config_selectorItLb0EEEZNS1_14transform_implILb0ES3_S5_NS0_18transform_iteratorINS0_17counting_iteratorImlEEZNS1_24adjacent_difference_implIS3_Lb1ELb0EPtSB_N6thrust23THRUST_200600_302600_NS5minusItEEEE10hipError_tPvRmT2_T3_mT4_P12ihipStream_tbEUlmE_tEESB_NS0_8identityIvEEEESG_SJ_SK_mSL_SN_bEUlT_E_NS1_11comp_targetILNS1_3genE8ELNS1_11target_archE1030ELNS1_3gpuE2ELNS1_3repE0EEENS1_30default_config_static_selectorELNS0_4arch9wavefront6targetE1EEEvT1_,"axG",@progbits,_ZN7rocprim17ROCPRIM_400000_NS6detail17trampoline_kernelINS0_14default_configENS1_25transform_config_selectorItLb0EEEZNS1_14transform_implILb0ES3_S5_NS0_18transform_iteratorINS0_17counting_iteratorImlEEZNS1_24adjacent_difference_implIS3_Lb1ELb0EPtSB_N6thrust23THRUST_200600_302600_NS5minusItEEEE10hipError_tPvRmT2_T3_mT4_P12ihipStream_tbEUlmE_tEESB_NS0_8identityIvEEEESG_SJ_SK_mSL_SN_bEUlT_E_NS1_11comp_targetILNS1_3genE8ELNS1_11target_archE1030ELNS1_3gpuE2ELNS1_3repE0EEENS1_30default_config_static_selectorELNS0_4arch9wavefront6targetE1EEEvT1_,comdat
	.protected	_ZN7rocprim17ROCPRIM_400000_NS6detail17trampoline_kernelINS0_14default_configENS1_25transform_config_selectorItLb0EEEZNS1_14transform_implILb0ES3_S5_NS0_18transform_iteratorINS0_17counting_iteratorImlEEZNS1_24adjacent_difference_implIS3_Lb1ELb0EPtSB_N6thrust23THRUST_200600_302600_NS5minusItEEEE10hipError_tPvRmT2_T3_mT4_P12ihipStream_tbEUlmE_tEESB_NS0_8identityIvEEEESG_SJ_SK_mSL_SN_bEUlT_E_NS1_11comp_targetILNS1_3genE8ELNS1_11target_archE1030ELNS1_3gpuE2ELNS1_3repE0EEENS1_30default_config_static_selectorELNS0_4arch9wavefront6targetE1EEEvT1_ ; -- Begin function _ZN7rocprim17ROCPRIM_400000_NS6detail17trampoline_kernelINS0_14default_configENS1_25transform_config_selectorItLb0EEEZNS1_14transform_implILb0ES3_S5_NS0_18transform_iteratorINS0_17counting_iteratorImlEEZNS1_24adjacent_difference_implIS3_Lb1ELb0EPtSB_N6thrust23THRUST_200600_302600_NS5minusItEEEE10hipError_tPvRmT2_T3_mT4_P12ihipStream_tbEUlmE_tEESB_NS0_8identityIvEEEESG_SJ_SK_mSL_SN_bEUlT_E_NS1_11comp_targetILNS1_3genE8ELNS1_11target_archE1030ELNS1_3gpuE2ELNS1_3repE0EEENS1_30default_config_static_selectorELNS0_4arch9wavefront6targetE1EEEvT1_
	.globl	_ZN7rocprim17ROCPRIM_400000_NS6detail17trampoline_kernelINS0_14default_configENS1_25transform_config_selectorItLb0EEEZNS1_14transform_implILb0ES3_S5_NS0_18transform_iteratorINS0_17counting_iteratorImlEEZNS1_24adjacent_difference_implIS3_Lb1ELb0EPtSB_N6thrust23THRUST_200600_302600_NS5minusItEEEE10hipError_tPvRmT2_T3_mT4_P12ihipStream_tbEUlmE_tEESB_NS0_8identityIvEEEESG_SJ_SK_mSL_SN_bEUlT_E_NS1_11comp_targetILNS1_3genE8ELNS1_11target_archE1030ELNS1_3gpuE2ELNS1_3repE0EEENS1_30default_config_static_selectorELNS0_4arch9wavefront6targetE1EEEvT1_
	.p2align	8
	.type	_ZN7rocprim17ROCPRIM_400000_NS6detail17trampoline_kernelINS0_14default_configENS1_25transform_config_selectorItLb0EEEZNS1_14transform_implILb0ES3_S5_NS0_18transform_iteratorINS0_17counting_iteratorImlEEZNS1_24adjacent_difference_implIS3_Lb1ELb0EPtSB_N6thrust23THRUST_200600_302600_NS5minusItEEEE10hipError_tPvRmT2_T3_mT4_P12ihipStream_tbEUlmE_tEESB_NS0_8identityIvEEEESG_SJ_SK_mSL_SN_bEUlT_E_NS1_11comp_targetILNS1_3genE8ELNS1_11target_archE1030ELNS1_3gpuE2ELNS1_3repE0EEENS1_30default_config_static_selectorELNS0_4arch9wavefront6targetE1EEEvT1_,@function
_ZN7rocprim17ROCPRIM_400000_NS6detail17trampoline_kernelINS0_14default_configENS1_25transform_config_selectorItLb0EEEZNS1_14transform_implILb0ES3_S5_NS0_18transform_iteratorINS0_17counting_iteratorImlEEZNS1_24adjacent_difference_implIS3_Lb1ELb0EPtSB_N6thrust23THRUST_200600_302600_NS5minusItEEEE10hipError_tPvRmT2_T3_mT4_P12ihipStream_tbEUlmE_tEESB_NS0_8identityIvEEEESG_SJ_SK_mSL_SN_bEUlT_E_NS1_11comp_targetILNS1_3genE8ELNS1_11target_archE1030ELNS1_3gpuE2ELNS1_3repE0EEENS1_30default_config_static_selectorELNS0_4arch9wavefront6targetE1EEEvT1_: ; @_ZN7rocprim17ROCPRIM_400000_NS6detail17trampoline_kernelINS0_14default_configENS1_25transform_config_selectorItLb0EEEZNS1_14transform_implILb0ES3_S5_NS0_18transform_iteratorINS0_17counting_iteratorImlEEZNS1_24adjacent_difference_implIS3_Lb1ELb0EPtSB_N6thrust23THRUST_200600_302600_NS5minusItEEEE10hipError_tPvRmT2_T3_mT4_P12ihipStream_tbEUlmE_tEESB_NS0_8identityIvEEEESG_SJ_SK_mSL_SN_bEUlT_E_NS1_11comp_targetILNS1_3genE8ELNS1_11target_archE1030ELNS1_3gpuE2ELNS1_3repE0EEENS1_30default_config_static_selectorELNS0_4arch9wavefront6targetE1EEEvT1_
; %bb.0:
	.section	.rodata,"a",@progbits
	.p2align	6, 0x0
	.amdhsa_kernel _ZN7rocprim17ROCPRIM_400000_NS6detail17trampoline_kernelINS0_14default_configENS1_25transform_config_selectorItLb0EEEZNS1_14transform_implILb0ES3_S5_NS0_18transform_iteratorINS0_17counting_iteratorImlEEZNS1_24adjacent_difference_implIS3_Lb1ELb0EPtSB_N6thrust23THRUST_200600_302600_NS5minusItEEEE10hipError_tPvRmT2_T3_mT4_P12ihipStream_tbEUlmE_tEESB_NS0_8identityIvEEEESG_SJ_SK_mSL_SN_bEUlT_E_NS1_11comp_targetILNS1_3genE8ELNS1_11target_archE1030ELNS1_3gpuE2ELNS1_3repE0EEENS1_30default_config_static_selectorELNS0_4arch9wavefront6targetE1EEEvT1_
		.amdhsa_group_segment_fixed_size 0
		.amdhsa_private_segment_fixed_size 0
		.amdhsa_kernarg_size 56
		.amdhsa_user_sgpr_count 6
		.amdhsa_user_sgpr_private_segment_buffer 1
		.amdhsa_user_sgpr_dispatch_ptr 0
		.amdhsa_user_sgpr_queue_ptr 0
		.amdhsa_user_sgpr_kernarg_segment_ptr 1
		.amdhsa_user_sgpr_dispatch_id 0
		.amdhsa_user_sgpr_flat_scratch_init 0
		.amdhsa_user_sgpr_private_segment_size 0
		.amdhsa_uses_dynamic_stack 0
		.amdhsa_system_sgpr_private_segment_wavefront_offset 0
		.amdhsa_system_sgpr_workgroup_id_x 1
		.amdhsa_system_sgpr_workgroup_id_y 0
		.amdhsa_system_sgpr_workgroup_id_z 0
		.amdhsa_system_sgpr_workgroup_info 0
		.amdhsa_system_vgpr_workitem_id 0
		.amdhsa_next_free_vgpr 1
		.amdhsa_next_free_sgpr 0
		.amdhsa_reserve_vcc 0
		.amdhsa_reserve_flat_scratch 0
		.amdhsa_float_round_mode_32 0
		.amdhsa_float_round_mode_16_64 0
		.amdhsa_float_denorm_mode_32 3
		.amdhsa_float_denorm_mode_16_64 3
		.amdhsa_dx10_clamp 1
		.amdhsa_ieee_mode 1
		.amdhsa_fp16_overflow 0
		.amdhsa_exception_fp_ieee_invalid_op 0
		.amdhsa_exception_fp_denorm_src 0
		.amdhsa_exception_fp_ieee_div_zero 0
		.amdhsa_exception_fp_ieee_overflow 0
		.amdhsa_exception_fp_ieee_underflow 0
		.amdhsa_exception_fp_ieee_inexact 0
		.amdhsa_exception_int_div_zero 0
	.end_amdhsa_kernel
	.section	.text._ZN7rocprim17ROCPRIM_400000_NS6detail17trampoline_kernelINS0_14default_configENS1_25transform_config_selectorItLb0EEEZNS1_14transform_implILb0ES3_S5_NS0_18transform_iteratorINS0_17counting_iteratorImlEEZNS1_24adjacent_difference_implIS3_Lb1ELb0EPtSB_N6thrust23THRUST_200600_302600_NS5minusItEEEE10hipError_tPvRmT2_T3_mT4_P12ihipStream_tbEUlmE_tEESB_NS0_8identityIvEEEESG_SJ_SK_mSL_SN_bEUlT_E_NS1_11comp_targetILNS1_3genE8ELNS1_11target_archE1030ELNS1_3gpuE2ELNS1_3repE0EEENS1_30default_config_static_selectorELNS0_4arch9wavefront6targetE1EEEvT1_,"axG",@progbits,_ZN7rocprim17ROCPRIM_400000_NS6detail17trampoline_kernelINS0_14default_configENS1_25transform_config_selectorItLb0EEEZNS1_14transform_implILb0ES3_S5_NS0_18transform_iteratorINS0_17counting_iteratorImlEEZNS1_24adjacent_difference_implIS3_Lb1ELb0EPtSB_N6thrust23THRUST_200600_302600_NS5minusItEEEE10hipError_tPvRmT2_T3_mT4_P12ihipStream_tbEUlmE_tEESB_NS0_8identityIvEEEESG_SJ_SK_mSL_SN_bEUlT_E_NS1_11comp_targetILNS1_3genE8ELNS1_11target_archE1030ELNS1_3gpuE2ELNS1_3repE0EEENS1_30default_config_static_selectorELNS0_4arch9wavefront6targetE1EEEvT1_,comdat
.Lfunc_end222:
	.size	_ZN7rocprim17ROCPRIM_400000_NS6detail17trampoline_kernelINS0_14default_configENS1_25transform_config_selectorItLb0EEEZNS1_14transform_implILb0ES3_S5_NS0_18transform_iteratorINS0_17counting_iteratorImlEEZNS1_24adjacent_difference_implIS3_Lb1ELb0EPtSB_N6thrust23THRUST_200600_302600_NS5minusItEEEE10hipError_tPvRmT2_T3_mT4_P12ihipStream_tbEUlmE_tEESB_NS0_8identityIvEEEESG_SJ_SK_mSL_SN_bEUlT_E_NS1_11comp_targetILNS1_3genE8ELNS1_11target_archE1030ELNS1_3gpuE2ELNS1_3repE0EEENS1_30default_config_static_selectorELNS0_4arch9wavefront6targetE1EEEvT1_, .Lfunc_end222-_ZN7rocprim17ROCPRIM_400000_NS6detail17trampoline_kernelINS0_14default_configENS1_25transform_config_selectorItLb0EEEZNS1_14transform_implILb0ES3_S5_NS0_18transform_iteratorINS0_17counting_iteratorImlEEZNS1_24adjacent_difference_implIS3_Lb1ELb0EPtSB_N6thrust23THRUST_200600_302600_NS5minusItEEEE10hipError_tPvRmT2_T3_mT4_P12ihipStream_tbEUlmE_tEESB_NS0_8identityIvEEEESG_SJ_SK_mSL_SN_bEUlT_E_NS1_11comp_targetILNS1_3genE8ELNS1_11target_archE1030ELNS1_3gpuE2ELNS1_3repE0EEENS1_30default_config_static_selectorELNS0_4arch9wavefront6targetE1EEEvT1_
                                        ; -- End function
	.set _ZN7rocprim17ROCPRIM_400000_NS6detail17trampoline_kernelINS0_14default_configENS1_25transform_config_selectorItLb0EEEZNS1_14transform_implILb0ES3_S5_NS0_18transform_iteratorINS0_17counting_iteratorImlEEZNS1_24adjacent_difference_implIS3_Lb1ELb0EPtSB_N6thrust23THRUST_200600_302600_NS5minusItEEEE10hipError_tPvRmT2_T3_mT4_P12ihipStream_tbEUlmE_tEESB_NS0_8identityIvEEEESG_SJ_SK_mSL_SN_bEUlT_E_NS1_11comp_targetILNS1_3genE8ELNS1_11target_archE1030ELNS1_3gpuE2ELNS1_3repE0EEENS1_30default_config_static_selectorELNS0_4arch9wavefront6targetE1EEEvT1_.num_vgpr, 0
	.set _ZN7rocprim17ROCPRIM_400000_NS6detail17trampoline_kernelINS0_14default_configENS1_25transform_config_selectorItLb0EEEZNS1_14transform_implILb0ES3_S5_NS0_18transform_iteratorINS0_17counting_iteratorImlEEZNS1_24adjacent_difference_implIS3_Lb1ELb0EPtSB_N6thrust23THRUST_200600_302600_NS5minusItEEEE10hipError_tPvRmT2_T3_mT4_P12ihipStream_tbEUlmE_tEESB_NS0_8identityIvEEEESG_SJ_SK_mSL_SN_bEUlT_E_NS1_11comp_targetILNS1_3genE8ELNS1_11target_archE1030ELNS1_3gpuE2ELNS1_3repE0EEENS1_30default_config_static_selectorELNS0_4arch9wavefront6targetE1EEEvT1_.num_agpr, 0
	.set _ZN7rocprim17ROCPRIM_400000_NS6detail17trampoline_kernelINS0_14default_configENS1_25transform_config_selectorItLb0EEEZNS1_14transform_implILb0ES3_S5_NS0_18transform_iteratorINS0_17counting_iteratorImlEEZNS1_24adjacent_difference_implIS3_Lb1ELb0EPtSB_N6thrust23THRUST_200600_302600_NS5minusItEEEE10hipError_tPvRmT2_T3_mT4_P12ihipStream_tbEUlmE_tEESB_NS0_8identityIvEEEESG_SJ_SK_mSL_SN_bEUlT_E_NS1_11comp_targetILNS1_3genE8ELNS1_11target_archE1030ELNS1_3gpuE2ELNS1_3repE0EEENS1_30default_config_static_selectorELNS0_4arch9wavefront6targetE1EEEvT1_.numbered_sgpr, 0
	.set _ZN7rocprim17ROCPRIM_400000_NS6detail17trampoline_kernelINS0_14default_configENS1_25transform_config_selectorItLb0EEEZNS1_14transform_implILb0ES3_S5_NS0_18transform_iteratorINS0_17counting_iteratorImlEEZNS1_24adjacent_difference_implIS3_Lb1ELb0EPtSB_N6thrust23THRUST_200600_302600_NS5minusItEEEE10hipError_tPvRmT2_T3_mT4_P12ihipStream_tbEUlmE_tEESB_NS0_8identityIvEEEESG_SJ_SK_mSL_SN_bEUlT_E_NS1_11comp_targetILNS1_3genE8ELNS1_11target_archE1030ELNS1_3gpuE2ELNS1_3repE0EEENS1_30default_config_static_selectorELNS0_4arch9wavefront6targetE1EEEvT1_.num_named_barrier, 0
	.set _ZN7rocprim17ROCPRIM_400000_NS6detail17trampoline_kernelINS0_14default_configENS1_25transform_config_selectorItLb0EEEZNS1_14transform_implILb0ES3_S5_NS0_18transform_iteratorINS0_17counting_iteratorImlEEZNS1_24adjacent_difference_implIS3_Lb1ELb0EPtSB_N6thrust23THRUST_200600_302600_NS5minusItEEEE10hipError_tPvRmT2_T3_mT4_P12ihipStream_tbEUlmE_tEESB_NS0_8identityIvEEEESG_SJ_SK_mSL_SN_bEUlT_E_NS1_11comp_targetILNS1_3genE8ELNS1_11target_archE1030ELNS1_3gpuE2ELNS1_3repE0EEENS1_30default_config_static_selectorELNS0_4arch9wavefront6targetE1EEEvT1_.private_seg_size, 0
	.set _ZN7rocprim17ROCPRIM_400000_NS6detail17trampoline_kernelINS0_14default_configENS1_25transform_config_selectorItLb0EEEZNS1_14transform_implILb0ES3_S5_NS0_18transform_iteratorINS0_17counting_iteratorImlEEZNS1_24adjacent_difference_implIS3_Lb1ELb0EPtSB_N6thrust23THRUST_200600_302600_NS5minusItEEEE10hipError_tPvRmT2_T3_mT4_P12ihipStream_tbEUlmE_tEESB_NS0_8identityIvEEEESG_SJ_SK_mSL_SN_bEUlT_E_NS1_11comp_targetILNS1_3genE8ELNS1_11target_archE1030ELNS1_3gpuE2ELNS1_3repE0EEENS1_30default_config_static_selectorELNS0_4arch9wavefront6targetE1EEEvT1_.uses_vcc, 0
	.set _ZN7rocprim17ROCPRIM_400000_NS6detail17trampoline_kernelINS0_14default_configENS1_25transform_config_selectorItLb0EEEZNS1_14transform_implILb0ES3_S5_NS0_18transform_iteratorINS0_17counting_iteratorImlEEZNS1_24adjacent_difference_implIS3_Lb1ELb0EPtSB_N6thrust23THRUST_200600_302600_NS5minusItEEEE10hipError_tPvRmT2_T3_mT4_P12ihipStream_tbEUlmE_tEESB_NS0_8identityIvEEEESG_SJ_SK_mSL_SN_bEUlT_E_NS1_11comp_targetILNS1_3genE8ELNS1_11target_archE1030ELNS1_3gpuE2ELNS1_3repE0EEENS1_30default_config_static_selectorELNS0_4arch9wavefront6targetE1EEEvT1_.uses_flat_scratch, 0
	.set _ZN7rocprim17ROCPRIM_400000_NS6detail17trampoline_kernelINS0_14default_configENS1_25transform_config_selectorItLb0EEEZNS1_14transform_implILb0ES3_S5_NS0_18transform_iteratorINS0_17counting_iteratorImlEEZNS1_24adjacent_difference_implIS3_Lb1ELb0EPtSB_N6thrust23THRUST_200600_302600_NS5minusItEEEE10hipError_tPvRmT2_T3_mT4_P12ihipStream_tbEUlmE_tEESB_NS0_8identityIvEEEESG_SJ_SK_mSL_SN_bEUlT_E_NS1_11comp_targetILNS1_3genE8ELNS1_11target_archE1030ELNS1_3gpuE2ELNS1_3repE0EEENS1_30default_config_static_selectorELNS0_4arch9wavefront6targetE1EEEvT1_.has_dyn_sized_stack, 0
	.set _ZN7rocprim17ROCPRIM_400000_NS6detail17trampoline_kernelINS0_14default_configENS1_25transform_config_selectorItLb0EEEZNS1_14transform_implILb0ES3_S5_NS0_18transform_iteratorINS0_17counting_iteratorImlEEZNS1_24adjacent_difference_implIS3_Lb1ELb0EPtSB_N6thrust23THRUST_200600_302600_NS5minusItEEEE10hipError_tPvRmT2_T3_mT4_P12ihipStream_tbEUlmE_tEESB_NS0_8identityIvEEEESG_SJ_SK_mSL_SN_bEUlT_E_NS1_11comp_targetILNS1_3genE8ELNS1_11target_archE1030ELNS1_3gpuE2ELNS1_3repE0EEENS1_30default_config_static_selectorELNS0_4arch9wavefront6targetE1EEEvT1_.has_recursion, 0
	.set _ZN7rocprim17ROCPRIM_400000_NS6detail17trampoline_kernelINS0_14default_configENS1_25transform_config_selectorItLb0EEEZNS1_14transform_implILb0ES3_S5_NS0_18transform_iteratorINS0_17counting_iteratorImlEEZNS1_24adjacent_difference_implIS3_Lb1ELb0EPtSB_N6thrust23THRUST_200600_302600_NS5minusItEEEE10hipError_tPvRmT2_T3_mT4_P12ihipStream_tbEUlmE_tEESB_NS0_8identityIvEEEESG_SJ_SK_mSL_SN_bEUlT_E_NS1_11comp_targetILNS1_3genE8ELNS1_11target_archE1030ELNS1_3gpuE2ELNS1_3repE0EEENS1_30default_config_static_selectorELNS0_4arch9wavefront6targetE1EEEvT1_.has_indirect_call, 0
	.section	.AMDGPU.csdata,"",@progbits
; Kernel info:
; codeLenInByte = 0
; TotalNumSgprs: 4
; NumVgprs: 0
; ScratchSize: 0
; MemoryBound: 0
; FloatMode: 240
; IeeeMode: 1
; LDSByteSize: 0 bytes/workgroup (compile time only)
; SGPRBlocks: 0
; VGPRBlocks: 0
; NumSGPRsForWavesPerEU: 4
; NumVGPRsForWavesPerEU: 1
; Occupancy: 10
; WaveLimiterHint : 0
; COMPUTE_PGM_RSRC2:SCRATCH_EN: 0
; COMPUTE_PGM_RSRC2:USER_SGPR: 6
; COMPUTE_PGM_RSRC2:TRAP_HANDLER: 0
; COMPUTE_PGM_RSRC2:TGID_X_EN: 1
; COMPUTE_PGM_RSRC2:TGID_Y_EN: 0
; COMPUTE_PGM_RSRC2:TGID_Z_EN: 0
; COMPUTE_PGM_RSRC2:TIDIG_COMP_CNT: 0
	.section	.text._ZN7rocprim17ROCPRIM_400000_NS6detail17trampoline_kernelINS0_14default_configENS1_35adjacent_difference_config_selectorILb1EtEEZNS1_24adjacent_difference_implIS3_Lb1ELb0EPtS7_N6thrust23THRUST_200600_302600_NS5minusItEEEE10hipError_tPvRmT2_T3_mT4_P12ihipStream_tbEUlT_E_NS1_11comp_targetILNS1_3genE0ELNS1_11target_archE4294967295ELNS1_3gpuE0ELNS1_3repE0EEENS1_30default_config_static_selectorELNS0_4arch9wavefront6targetE1EEEvT1_,"axG",@progbits,_ZN7rocprim17ROCPRIM_400000_NS6detail17trampoline_kernelINS0_14default_configENS1_35adjacent_difference_config_selectorILb1EtEEZNS1_24adjacent_difference_implIS3_Lb1ELb0EPtS7_N6thrust23THRUST_200600_302600_NS5minusItEEEE10hipError_tPvRmT2_T3_mT4_P12ihipStream_tbEUlT_E_NS1_11comp_targetILNS1_3genE0ELNS1_11target_archE4294967295ELNS1_3gpuE0ELNS1_3repE0EEENS1_30default_config_static_selectorELNS0_4arch9wavefront6targetE1EEEvT1_,comdat
	.protected	_ZN7rocprim17ROCPRIM_400000_NS6detail17trampoline_kernelINS0_14default_configENS1_35adjacent_difference_config_selectorILb1EtEEZNS1_24adjacent_difference_implIS3_Lb1ELb0EPtS7_N6thrust23THRUST_200600_302600_NS5minusItEEEE10hipError_tPvRmT2_T3_mT4_P12ihipStream_tbEUlT_E_NS1_11comp_targetILNS1_3genE0ELNS1_11target_archE4294967295ELNS1_3gpuE0ELNS1_3repE0EEENS1_30default_config_static_selectorELNS0_4arch9wavefront6targetE1EEEvT1_ ; -- Begin function _ZN7rocprim17ROCPRIM_400000_NS6detail17trampoline_kernelINS0_14default_configENS1_35adjacent_difference_config_selectorILb1EtEEZNS1_24adjacent_difference_implIS3_Lb1ELb0EPtS7_N6thrust23THRUST_200600_302600_NS5minusItEEEE10hipError_tPvRmT2_T3_mT4_P12ihipStream_tbEUlT_E_NS1_11comp_targetILNS1_3genE0ELNS1_11target_archE4294967295ELNS1_3gpuE0ELNS1_3repE0EEENS1_30default_config_static_selectorELNS0_4arch9wavefront6targetE1EEEvT1_
	.globl	_ZN7rocprim17ROCPRIM_400000_NS6detail17trampoline_kernelINS0_14default_configENS1_35adjacent_difference_config_selectorILb1EtEEZNS1_24adjacent_difference_implIS3_Lb1ELb0EPtS7_N6thrust23THRUST_200600_302600_NS5minusItEEEE10hipError_tPvRmT2_T3_mT4_P12ihipStream_tbEUlT_E_NS1_11comp_targetILNS1_3genE0ELNS1_11target_archE4294967295ELNS1_3gpuE0ELNS1_3repE0EEENS1_30default_config_static_selectorELNS0_4arch9wavefront6targetE1EEEvT1_
	.p2align	8
	.type	_ZN7rocprim17ROCPRIM_400000_NS6detail17trampoline_kernelINS0_14default_configENS1_35adjacent_difference_config_selectorILb1EtEEZNS1_24adjacent_difference_implIS3_Lb1ELb0EPtS7_N6thrust23THRUST_200600_302600_NS5minusItEEEE10hipError_tPvRmT2_T3_mT4_P12ihipStream_tbEUlT_E_NS1_11comp_targetILNS1_3genE0ELNS1_11target_archE4294967295ELNS1_3gpuE0ELNS1_3repE0EEENS1_30default_config_static_selectorELNS0_4arch9wavefront6targetE1EEEvT1_,@function
_ZN7rocprim17ROCPRIM_400000_NS6detail17trampoline_kernelINS0_14default_configENS1_35adjacent_difference_config_selectorILb1EtEEZNS1_24adjacent_difference_implIS3_Lb1ELb0EPtS7_N6thrust23THRUST_200600_302600_NS5minusItEEEE10hipError_tPvRmT2_T3_mT4_P12ihipStream_tbEUlT_E_NS1_11comp_targetILNS1_3genE0ELNS1_11target_archE4294967295ELNS1_3gpuE0ELNS1_3repE0EEENS1_30default_config_static_selectorELNS0_4arch9wavefront6targetE1EEEvT1_: ; @_ZN7rocprim17ROCPRIM_400000_NS6detail17trampoline_kernelINS0_14default_configENS1_35adjacent_difference_config_selectorILb1EtEEZNS1_24adjacent_difference_implIS3_Lb1ELb0EPtS7_N6thrust23THRUST_200600_302600_NS5minusItEEEE10hipError_tPvRmT2_T3_mT4_P12ihipStream_tbEUlT_E_NS1_11comp_targetILNS1_3genE0ELNS1_11target_archE4294967295ELNS1_3gpuE0ELNS1_3repE0EEENS1_30default_config_static_selectorELNS0_4arch9wavefront6targetE1EEEvT1_
; %bb.0:
	.section	.rodata,"a",@progbits
	.p2align	6, 0x0
	.amdhsa_kernel _ZN7rocprim17ROCPRIM_400000_NS6detail17trampoline_kernelINS0_14default_configENS1_35adjacent_difference_config_selectorILb1EtEEZNS1_24adjacent_difference_implIS3_Lb1ELb0EPtS7_N6thrust23THRUST_200600_302600_NS5minusItEEEE10hipError_tPvRmT2_T3_mT4_P12ihipStream_tbEUlT_E_NS1_11comp_targetILNS1_3genE0ELNS1_11target_archE4294967295ELNS1_3gpuE0ELNS1_3repE0EEENS1_30default_config_static_selectorELNS0_4arch9wavefront6targetE1EEEvT1_
		.amdhsa_group_segment_fixed_size 0
		.amdhsa_private_segment_fixed_size 0
		.amdhsa_kernarg_size 56
		.amdhsa_user_sgpr_count 6
		.amdhsa_user_sgpr_private_segment_buffer 1
		.amdhsa_user_sgpr_dispatch_ptr 0
		.amdhsa_user_sgpr_queue_ptr 0
		.amdhsa_user_sgpr_kernarg_segment_ptr 1
		.amdhsa_user_sgpr_dispatch_id 0
		.amdhsa_user_sgpr_flat_scratch_init 0
		.amdhsa_user_sgpr_private_segment_size 0
		.amdhsa_uses_dynamic_stack 0
		.amdhsa_system_sgpr_private_segment_wavefront_offset 0
		.amdhsa_system_sgpr_workgroup_id_x 1
		.amdhsa_system_sgpr_workgroup_id_y 0
		.amdhsa_system_sgpr_workgroup_id_z 0
		.amdhsa_system_sgpr_workgroup_info 0
		.amdhsa_system_vgpr_workitem_id 0
		.amdhsa_next_free_vgpr 1
		.amdhsa_next_free_sgpr 0
		.amdhsa_reserve_vcc 0
		.amdhsa_reserve_flat_scratch 0
		.amdhsa_float_round_mode_32 0
		.amdhsa_float_round_mode_16_64 0
		.amdhsa_float_denorm_mode_32 3
		.amdhsa_float_denorm_mode_16_64 3
		.amdhsa_dx10_clamp 1
		.amdhsa_ieee_mode 1
		.amdhsa_fp16_overflow 0
		.amdhsa_exception_fp_ieee_invalid_op 0
		.amdhsa_exception_fp_denorm_src 0
		.amdhsa_exception_fp_ieee_div_zero 0
		.amdhsa_exception_fp_ieee_overflow 0
		.amdhsa_exception_fp_ieee_underflow 0
		.amdhsa_exception_fp_ieee_inexact 0
		.amdhsa_exception_int_div_zero 0
	.end_amdhsa_kernel
	.section	.text._ZN7rocprim17ROCPRIM_400000_NS6detail17trampoline_kernelINS0_14default_configENS1_35adjacent_difference_config_selectorILb1EtEEZNS1_24adjacent_difference_implIS3_Lb1ELb0EPtS7_N6thrust23THRUST_200600_302600_NS5minusItEEEE10hipError_tPvRmT2_T3_mT4_P12ihipStream_tbEUlT_E_NS1_11comp_targetILNS1_3genE0ELNS1_11target_archE4294967295ELNS1_3gpuE0ELNS1_3repE0EEENS1_30default_config_static_selectorELNS0_4arch9wavefront6targetE1EEEvT1_,"axG",@progbits,_ZN7rocprim17ROCPRIM_400000_NS6detail17trampoline_kernelINS0_14default_configENS1_35adjacent_difference_config_selectorILb1EtEEZNS1_24adjacent_difference_implIS3_Lb1ELb0EPtS7_N6thrust23THRUST_200600_302600_NS5minusItEEEE10hipError_tPvRmT2_T3_mT4_P12ihipStream_tbEUlT_E_NS1_11comp_targetILNS1_3genE0ELNS1_11target_archE4294967295ELNS1_3gpuE0ELNS1_3repE0EEENS1_30default_config_static_selectorELNS0_4arch9wavefront6targetE1EEEvT1_,comdat
.Lfunc_end223:
	.size	_ZN7rocprim17ROCPRIM_400000_NS6detail17trampoline_kernelINS0_14default_configENS1_35adjacent_difference_config_selectorILb1EtEEZNS1_24adjacent_difference_implIS3_Lb1ELb0EPtS7_N6thrust23THRUST_200600_302600_NS5minusItEEEE10hipError_tPvRmT2_T3_mT4_P12ihipStream_tbEUlT_E_NS1_11comp_targetILNS1_3genE0ELNS1_11target_archE4294967295ELNS1_3gpuE0ELNS1_3repE0EEENS1_30default_config_static_selectorELNS0_4arch9wavefront6targetE1EEEvT1_, .Lfunc_end223-_ZN7rocprim17ROCPRIM_400000_NS6detail17trampoline_kernelINS0_14default_configENS1_35adjacent_difference_config_selectorILb1EtEEZNS1_24adjacent_difference_implIS3_Lb1ELb0EPtS7_N6thrust23THRUST_200600_302600_NS5minusItEEEE10hipError_tPvRmT2_T3_mT4_P12ihipStream_tbEUlT_E_NS1_11comp_targetILNS1_3genE0ELNS1_11target_archE4294967295ELNS1_3gpuE0ELNS1_3repE0EEENS1_30default_config_static_selectorELNS0_4arch9wavefront6targetE1EEEvT1_
                                        ; -- End function
	.set _ZN7rocprim17ROCPRIM_400000_NS6detail17trampoline_kernelINS0_14default_configENS1_35adjacent_difference_config_selectorILb1EtEEZNS1_24adjacent_difference_implIS3_Lb1ELb0EPtS7_N6thrust23THRUST_200600_302600_NS5minusItEEEE10hipError_tPvRmT2_T3_mT4_P12ihipStream_tbEUlT_E_NS1_11comp_targetILNS1_3genE0ELNS1_11target_archE4294967295ELNS1_3gpuE0ELNS1_3repE0EEENS1_30default_config_static_selectorELNS0_4arch9wavefront6targetE1EEEvT1_.num_vgpr, 0
	.set _ZN7rocprim17ROCPRIM_400000_NS6detail17trampoline_kernelINS0_14default_configENS1_35adjacent_difference_config_selectorILb1EtEEZNS1_24adjacent_difference_implIS3_Lb1ELb0EPtS7_N6thrust23THRUST_200600_302600_NS5minusItEEEE10hipError_tPvRmT2_T3_mT4_P12ihipStream_tbEUlT_E_NS1_11comp_targetILNS1_3genE0ELNS1_11target_archE4294967295ELNS1_3gpuE0ELNS1_3repE0EEENS1_30default_config_static_selectorELNS0_4arch9wavefront6targetE1EEEvT1_.num_agpr, 0
	.set _ZN7rocprim17ROCPRIM_400000_NS6detail17trampoline_kernelINS0_14default_configENS1_35adjacent_difference_config_selectorILb1EtEEZNS1_24adjacent_difference_implIS3_Lb1ELb0EPtS7_N6thrust23THRUST_200600_302600_NS5minusItEEEE10hipError_tPvRmT2_T3_mT4_P12ihipStream_tbEUlT_E_NS1_11comp_targetILNS1_3genE0ELNS1_11target_archE4294967295ELNS1_3gpuE0ELNS1_3repE0EEENS1_30default_config_static_selectorELNS0_4arch9wavefront6targetE1EEEvT1_.numbered_sgpr, 0
	.set _ZN7rocprim17ROCPRIM_400000_NS6detail17trampoline_kernelINS0_14default_configENS1_35adjacent_difference_config_selectorILb1EtEEZNS1_24adjacent_difference_implIS3_Lb1ELb0EPtS7_N6thrust23THRUST_200600_302600_NS5minusItEEEE10hipError_tPvRmT2_T3_mT4_P12ihipStream_tbEUlT_E_NS1_11comp_targetILNS1_3genE0ELNS1_11target_archE4294967295ELNS1_3gpuE0ELNS1_3repE0EEENS1_30default_config_static_selectorELNS0_4arch9wavefront6targetE1EEEvT1_.num_named_barrier, 0
	.set _ZN7rocprim17ROCPRIM_400000_NS6detail17trampoline_kernelINS0_14default_configENS1_35adjacent_difference_config_selectorILb1EtEEZNS1_24adjacent_difference_implIS3_Lb1ELb0EPtS7_N6thrust23THRUST_200600_302600_NS5minusItEEEE10hipError_tPvRmT2_T3_mT4_P12ihipStream_tbEUlT_E_NS1_11comp_targetILNS1_3genE0ELNS1_11target_archE4294967295ELNS1_3gpuE0ELNS1_3repE0EEENS1_30default_config_static_selectorELNS0_4arch9wavefront6targetE1EEEvT1_.private_seg_size, 0
	.set _ZN7rocprim17ROCPRIM_400000_NS6detail17trampoline_kernelINS0_14default_configENS1_35adjacent_difference_config_selectorILb1EtEEZNS1_24adjacent_difference_implIS3_Lb1ELb0EPtS7_N6thrust23THRUST_200600_302600_NS5minusItEEEE10hipError_tPvRmT2_T3_mT4_P12ihipStream_tbEUlT_E_NS1_11comp_targetILNS1_3genE0ELNS1_11target_archE4294967295ELNS1_3gpuE0ELNS1_3repE0EEENS1_30default_config_static_selectorELNS0_4arch9wavefront6targetE1EEEvT1_.uses_vcc, 0
	.set _ZN7rocprim17ROCPRIM_400000_NS6detail17trampoline_kernelINS0_14default_configENS1_35adjacent_difference_config_selectorILb1EtEEZNS1_24adjacent_difference_implIS3_Lb1ELb0EPtS7_N6thrust23THRUST_200600_302600_NS5minusItEEEE10hipError_tPvRmT2_T3_mT4_P12ihipStream_tbEUlT_E_NS1_11comp_targetILNS1_3genE0ELNS1_11target_archE4294967295ELNS1_3gpuE0ELNS1_3repE0EEENS1_30default_config_static_selectorELNS0_4arch9wavefront6targetE1EEEvT1_.uses_flat_scratch, 0
	.set _ZN7rocprim17ROCPRIM_400000_NS6detail17trampoline_kernelINS0_14default_configENS1_35adjacent_difference_config_selectorILb1EtEEZNS1_24adjacent_difference_implIS3_Lb1ELb0EPtS7_N6thrust23THRUST_200600_302600_NS5minusItEEEE10hipError_tPvRmT2_T3_mT4_P12ihipStream_tbEUlT_E_NS1_11comp_targetILNS1_3genE0ELNS1_11target_archE4294967295ELNS1_3gpuE0ELNS1_3repE0EEENS1_30default_config_static_selectorELNS0_4arch9wavefront6targetE1EEEvT1_.has_dyn_sized_stack, 0
	.set _ZN7rocprim17ROCPRIM_400000_NS6detail17trampoline_kernelINS0_14default_configENS1_35adjacent_difference_config_selectorILb1EtEEZNS1_24adjacent_difference_implIS3_Lb1ELb0EPtS7_N6thrust23THRUST_200600_302600_NS5minusItEEEE10hipError_tPvRmT2_T3_mT4_P12ihipStream_tbEUlT_E_NS1_11comp_targetILNS1_3genE0ELNS1_11target_archE4294967295ELNS1_3gpuE0ELNS1_3repE0EEENS1_30default_config_static_selectorELNS0_4arch9wavefront6targetE1EEEvT1_.has_recursion, 0
	.set _ZN7rocprim17ROCPRIM_400000_NS6detail17trampoline_kernelINS0_14default_configENS1_35adjacent_difference_config_selectorILb1EtEEZNS1_24adjacent_difference_implIS3_Lb1ELb0EPtS7_N6thrust23THRUST_200600_302600_NS5minusItEEEE10hipError_tPvRmT2_T3_mT4_P12ihipStream_tbEUlT_E_NS1_11comp_targetILNS1_3genE0ELNS1_11target_archE4294967295ELNS1_3gpuE0ELNS1_3repE0EEENS1_30default_config_static_selectorELNS0_4arch9wavefront6targetE1EEEvT1_.has_indirect_call, 0
	.section	.AMDGPU.csdata,"",@progbits
; Kernel info:
; codeLenInByte = 0
; TotalNumSgprs: 4
; NumVgprs: 0
; ScratchSize: 0
; MemoryBound: 0
; FloatMode: 240
; IeeeMode: 1
; LDSByteSize: 0 bytes/workgroup (compile time only)
; SGPRBlocks: 0
; VGPRBlocks: 0
; NumSGPRsForWavesPerEU: 4
; NumVGPRsForWavesPerEU: 1
; Occupancy: 10
; WaveLimiterHint : 0
; COMPUTE_PGM_RSRC2:SCRATCH_EN: 0
; COMPUTE_PGM_RSRC2:USER_SGPR: 6
; COMPUTE_PGM_RSRC2:TRAP_HANDLER: 0
; COMPUTE_PGM_RSRC2:TGID_X_EN: 1
; COMPUTE_PGM_RSRC2:TGID_Y_EN: 0
; COMPUTE_PGM_RSRC2:TGID_Z_EN: 0
; COMPUTE_PGM_RSRC2:TIDIG_COMP_CNT: 0
	.section	.text._ZN7rocprim17ROCPRIM_400000_NS6detail17trampoline_kernelINS0_14default_configENS1_35adjacent_difference_config_selectorILb1EtEEZNS1_24adjacent_difference_implIS3_Lb1ELb0EPtS7_N6thrust23THRUST_200600_302600_NS5minusItEEEE10hipError_tPvRmT2_T3_mT4_P12ihipStream_tbEUlT_E_NS1_11comp_targetILNS1_3genE10ELNS1_11target_archE1201ELNS1_3gpuE5ELNS1_3repE0EEENS1_30default_config_static_selectorELNS0_4arch9wavefront6targetE1EEEvT1_,"axG",@progbits,_ZN7rocprim17ROCPRIM_400000_NS6detail17trampoline_kernelINS0_14default_configENS1_35adjacent_difference_config_selectorILb1EtEEZNS1_24adjacent_difference_implIS3_Lb1ELb0EPtS7_N6thrust23THRUST_200600_302600_NS5minusItEEEE10hipError_tPvRmT2_T3_mT4_P12ihipStream_tbEUlT_E_NS1_11comp_targetILNS1_3genE10ELNS1_11target_archE1201ELNS1_3gpuE5ELNS1_3repE0EEENS1_30default_config_static_selectorELNS0_4arch9wavefront6targetE1EEEvT1_,comdat
	.protected	_ZN7rocprim17ROCPRIM_400000_NS6detail17trampoline_kernelINS0_14default_configENS1_35adjacent_difference_config_selectorILb1EtEEZNS1_24adjacent_difference_implIS3_Lb1ELb0EPtS7_N6thrust23THRUST_200600_302600_NS5minusItEEEE10hipError_tPvRmT2_T3_mT4_P12ihipStream_tbEUlT_E_NS1_11comp_targetILNS1_3genE10ELNS1_11target_archE1201ELNS1_3gpuE5ELNS1_3repE0EEENS1_30default_config_static_selectorELNS0_4arch9wavefront6targetE1EEEvT1_ ; -- Begin function _ZN7rocprim17ROCPRIM_400000_NS6detail17trampoline_kernelINS0_14default_configENS1_35adjacent_difference_config_selectorILb1EtEEZNS1_24adjacent_difference_implIS3_Lb1ELb0EPtS7_N6thrust23THRUST_200600_302600_NS5minusItEEEE10hipError_tPvRmT2_T3_mT4_P12ihipStream_tbEUlT_E_NS1_11comp_targetILNS1_3genE10ELNS1_11target_archE1201ELNS1_3gpuE5ELNS1_3repE0EEENS1_30default_config_static_selectorELNS0_4arch9wavefront6targetE1EEEvT1_
	.globl	_ZN7rocprim17ROCPRIM_400000_NS6detail17trampoline_kernelINS0_14default_configENS1_35adjacent_difference_config_selectorILb1EtEEZNS1_24adjacent_difference_implIS3_Lb1ELb0EPtS7_N6thrust23THRUST_200600_302600_NS5minusItEEEE10hipError_tPvRmT2_T3_mT4_P12ihipStream_tbEUlT_E_NS1_11comp_targetILNS1_3genE10ELNS1_11target_archE1201ELNS1_3gpuE5ELNS1_3repE0EEENS1_30default_config_static_selectorELNS0_4arch9wavefront6targetE1EEEvT1_
	.p2align	8
	.type	_ZN7rocprim17ROCPRIM_400000_NS6detail17trampoline_kernelINS0_14default_configENS1_35adjacent_difference_config_selectorILb1EtEEZNS1_24adjacent_difference_implIS3_Lb1ELb0EPtS7_N6thrust23THRUST_200600_302600_NS5minusItEEEE10hipError_tPvRmT2_T3_mT4_P12ihipStream_tbEUlT_E_NS1_11comp_targetILNS1_3genE10ELNS1_11target_archE1201ELNS1_3gpuE5ELNS1_3repE0EEENS1_30default_config_static_selectorELNS0_4arch9wavefront6targetE1EEEvT1_,@function
_ZN7rocprim17ROCPRIM_400000_NS6detail17trampoline_kernelINS0_14default_configENS1_35adjacent_difference_config_selectorILb1EtEEZNS1_24adjacent_difference_implIS3_Lb1ELb0EPtS7_N6thrust23THRUST_200600_302600_NS5minusItEEEE10hipError_tPvRmT2_T3_mT4_P12ihipStream_tbEUlT_E_NS1_11comp_targetILNS1_3genE10ELNS1_11target_archE1201ELNS1_3gpuE5ELNS1_3repE0EEENS1_30default_config_static_selectorELNS0_4arch9wavefront6targetE1EEEvT1_: ; @_ZN7rocprim17ROCPRIM_400000_NS6detail17trampoline_kernelINS0_14default_configENS1_35adjacent_difference_config_selectorILb1EtEEZNS1_24adjacent_difference_implIS3_Lb1ELb0EPtS7_N6thrust23THRUST_200600_302600_NS5minusItEEEE10hipError_tPvRmT2_T3_mT4_P12ihipStream_tbEUlT_E_NS1_11comp_targetILNS1_3genE10ELNS1_11target_archE1201ELNS1_3gpuE5ELNS1_3repE0EEENS1_30default_config_static_selectorELNS0_4arch9wavefront6targetE1EEEvT1_
; %bb.0:
	.section	.rodata,"a",@progbits
	.p2align	6, 0x0
	.amdhsa_kernel _ZN7rocprim17ROCPRIM_400000_NS6detail17trampoline_kernelINS0_14default_configENS1_35adjacent_difference_config_selectorILb1EtEEZNS1_24adjacent_difference_implIS3_Lb1ELb0EPtS7_N6thrust23THRUST_200600_302600_NS5minusItEEEE10hipError_tPvRmT2_T3_mT4_P12ihipStream_tbEUlT_E_NS1_11comp_targetILNS1_3genE10ELNS1_11target_archE1201ELNS1_3gpuE5ELNS1_3repE0EEENS1_30default_config_static_selectorELNS0_4arch9wavefront6targetE1EEEvT1_
		.amdhsa_group_segment_fixed_size 0
		.amdhsa_private_segment_fixed_size 0
		.amdhsa_kernarg_size 56
		.amdhsa_user_sgpr_count 6
		.amdhsa_user_sgpr_private_segment_buffer 1
		.amdhsa_user_sgpr_dispatch_ptr 0
		.amdhsa_user_sgpr_queue_ptr 0
		.amdhsa_user_sgpr_kernarg_segment_ptr 1
		.amdhsa_user_sgpr_dispatch_id 0
		.amdhsa_user_sgpr_flat_scratch_init 0
		.amdhsa_user_sgpr_private_segment_size 0
		.amdhsa_uses_dynamic_stack 0
		.amdhsa_system_sgpr_private_segment_wavefront_offset 0
		.amdhsa_system_sgpr_workgroup_id_x 1
		.amdhsa_system_sgpr_workgroup_id_y 0
		.amdhsa_system_sgpr_workgroup_id_z 0
		.amdhsa_system_sgpr_workgroup_info 0
		.amdhsa_system_vgpr_workitem_id 0
		.amdhsa_next_free_vgpr 1
		.amdhsa_next_free_sgpr 0
		.amdhsa_reserve_vcc 0
		.amdhsa_reserve_flat_scratch 0
		.amdhsa_float_round_mode_32 0
		.amdhsa_float_round_mode_16_64 0
		.amdhsa_float_denorm_mode_32 3
		.amdhsa_float_denorm_mode_16_64 3
		.amdhsa_dx10_clamp 1
		.amdhsa_ieee_mode 1
		.amdhsa_fp16_overflow 0
		.amdhsa_exception_fp_ieee_invalid_op 0
		.amdhsa_exception_fp_denorm_src 0
		.amdhsa_exception_fp_ieee_div_zero 0
		.amdhsa_exception_fp_ieee_overflow 0
		.amdhsa_exception_fp_ieee_underflow 0
		.amdhsa_exception_fp_ieee_inexact 0
		.amdhsa_exception_int_div_zero 0
	.end_amdhsa_kernel
	.section	.text._ZN7rocprim17ROCPRIM_400000_NS6detail17trampoline_kernelINS0_14default_configENS1_35adjacent_difference_config_selectorILb1EtEEZNS1_24adjacent_difference_implIS3_Lb1ELb0EPtS7_N6thrust23THRUST_200600_302600_NS5minusItEEEE10hipError_tPvRmT2_T3_mT4_P12ihipStream_tbEUlT_E_NS1_11comp_targetILNS1_3genE10ELNS1_11target_archE1201ELNS1_3gpuE5ELNS1_3repE0EEENS1_30default_config_static_selectorELNS0_4arch9wavefront6targetE1EEEvT1_,"axG",@progbits,_ZN7rocprim17ROCPRIM_400000_NS6detail17trampoline_kernelINS0_14default_configENS1_35adjacent_difference_config_selectorILb1EtEEZNS1_24adjacent_difference_implIS3_Lb1ELb0EPtS7_N6thrust23THRUST_200600_302600_NS5minusItEEEE10hipError_tPvRmT2_T3_mT4_P12ihipStream_tbEUlT_E_NS1_11comp_targetILNS1_3genE10ELNS1_11target_archE1201ELNS1_3gpuE5ELNS1_3repE0EEENS1_30default_config_static_selectorELNS0_4arch9wavefront6targetE1EEEvT1_,comdat
.Lfunc_end224:
	.size	_ZN7rocprim17ROCPRIM_400000_NS6detail17trampoline_kernelINS0_14default_configENS1_35adjacent_difference_config_selectorILb1EtEEZNS1_24adjacent_difference_implIS3_Lb1ELb0EPtS7_N6thrust23THRUST_200600_302600_NS5minusItEEEE10hipError_tPvRmT2_T3_mT4_P12ihipStream_tbEUlT_E_NS1_11comp_targetILNS1_3genE10ELNS1_11target_archE1201ELNS1_3gpuE5ELNS1_3repE0EEENS1_30default_config_static_selectorELNS0_4arch9wavefront6targetE1EEEvT1_, .Lfunc_end224-_ZN7rocprim17ROCPRIM_400000_NS6detail17trampoline_kernelINS0_14default_configENS1_35adjacent_difference_config_selectorILb1EtEEZNS1_24adjacent_difference_implIS3_Lb1ELb0EPtS7_N6thrust23THRUST_200600_302600_NS5minusItEEEE10hipError_tPvRmT2_T3_mT4_P12ihipStream_tbEUlT_E_NS1_11comp_targetILNS1_3genE10ELNS1_11target_archE1201ELNS1_3gpuE5ELNS1_3repE0EEENS1_30default_config_static_selectorELNS0_4arch9wavefront6targetE1EEEvT1_
                                        ; -- End function
	.set _ZN7rocprim17ROCPRIM_400000_NS6detail17trampoline_kernelINS0_14default_configENS1_35adjacent_difference_config_selectorILb1EtEEZNS1_24adjacent_difference_implIS3_Lb1ELb0EPtS7_N6thrust23THRUST_200600_302600_NS5minusItEEEE10hipError_tPvRmT2_T3_mT4_P12ihipStream_tbEUlT_E_NS1_11comp_targetILNS1_3genE10ELNS1_11target_archE1201ELNS1_3gpuE5ELNS1_3repE0EEENS1_30default_config_static_selectorELNS0_4arch9wavefront6targetE1EEEvT1_.num_vgpr, 0
	.set _ZN7rocprim17ROCPRIM_400000_NS6detail17trampoline_kernelINS0_14default_configENS1_35adjacent_difference_config_selectorILb1EtEEZNS1_24adjacent_difference_implIS3_Lb1ELb0EPtS7_N6thrust23THRUST_200600_302600_NS5minusItEEEE10hipError_tPvRmT2_T3_mT4_P12ihipStream_tbEUlT_E_NS1_11comp_targetILNS1_3genE10ELNS1_11target_archE1201ELNS1_3gpuE5ELNS1_3repE0EEENS1_30default_config_static_selectorELNS0_4arch9wavefront6targetE1EEEvT1_.num_agpr, 0
	.set _ZN7rocprim17ROCPRIM_400000_NS6detail17trampoline_kernelINS0_14default_configENS1_35adjacent_difference_config_selectorILb1EtEEZNS1_24adjacent_difference_implIS3_Lb1ELb0EPtS7_N6thrust23THRUST_200600_302600_NS5minusItEEEE10hipError_tPvRmT2_T3_mT4_P12ihipStream_tbEUlT_E_NS1_11comp_targetILNS1_3genE10ELNS1_11target_archE1201ELNS1_3gpuE5ELNS1_3repE0EEENS1_30default_config_static_selectorELNS0_4arch9wavefront6targetE1EEEvT1_.numbered_sgpr, 0
	.set _ZN7rocprim17ROCPRIM_400000_NS6detail17trampoline_kernelINS0_14default_configENS1_35adjacent_difference_config_selectorILb1EtEEZNS1_24adjacent_difference_implIS3_Lb1ELb0EPtS7_N6thrust23THRUST_200600_302600_NS5minusItEEEE10hipError_tPvRmT2_T3_mT4_P12ihipStream_tbEUlT_E_NS1_11comp_targetILNS1_3genE10ELNS1_11target_archE1201ELNS1_3gpuE5ELNS1_3repE0EEENS1_30default_config_static_selectorELNS0_4arch9wavefront6targetE1EEEvT1_.num_named_barrier, 0
	.set _ZN7rocprim17ROCPRIM_400000_NS6detail17trampoline_kernelINS0_14default_configENS1_35adjacent_difference_config_selectorILb1EtEEZNS1_24adjacent_difference_implIS3_Lb1ELb0EPtS7_N6thrust23THRUST_200600_302600_NS5minusItEEEE10hipError_tPvRmT2_T3_mT4_P12ihipStream_tbEUlT_E_NS1_11comp_targetILNS1_3genE10ELNS1_11target_archE1201ELNS1_3gpuE5ELNS1_3repE0EEENS1_30default_config_static_selectorELNS0_4arch9wavefront6targetE1EEEvT1_.private_seg_size, 0
	.set _ZN7rocprim17ROCPRIM_400000_NS6detail17trampoline_kernelINS0_14default_configENS1_35adjacent_difference_config_selectorILb1EtEEZNS1_24adjacent_difference_implIS3_Lb1ELb0EPtS7_N6thrust23THRUST_200600_302600_NS5minusItEEEE10hipError_tPvRmT2_T3_mT4_P12ihipStream_tbEUlT_E_NS1_11comp_targetILNS1_3genE10ELNS1_11target_archE1201ELNS1_3gpuE5ELNS1_3repE0EEENS1_30default_config_static_selectorELNS0_4arch9wavefront6targetE1EEEvT1_.uses_vcc, 0
	.set _ZN7rocprim17ROCPRIM_400000_NS6detail17trampoline_kernelINS0_14default_configENS1_35adjacent_difference_config_selectorILb1EtEEZNS1_24adjacent_difference_implIS3_Lb1ELb0EPtS7_N6thrust23THRUST_200600_302600_NS5minusItEEEE10hipError_tPvRmT2_T3_mT4_P12ihipStream_tbEUlT_E_NS1_11comp_targetILNS1_3genE10ELNS1_11target_archE1201ELNS1_3gpuE5ELNS1_3repE0EEENS1_30default_config_static_selectorELNS0_4arch9wavefront6targetE1EEEvT1_.uses_flat_scratch, 0
	.set _ZN7rocprim17ROCPRIM_400000_NS6detail17trampoline_kernelINS0_14default_configENS1_35adjacent_difference_config_selectorILb1EtEEZNS1_24adjacent_difference_implIS3_Lb1ELb0EPtS7_N6thrust23THRUST_200600_302600_NS5minusItEEEE10hipError_tPvRmT2_T3_mT4_P12ihipStream_tbEUlT_E_NS1_11comp_targetILNS1_3genE10ELNS1_11target_archE1201ELNS1_3gpuE5ELNS1_3repE0EEENS1_30default_config_static_selectorELNS0_4arch9wavefront6targetE1EEEvT1_.has_dyn_sized_stack, 0
	.set _ZN7rocprim17ROCPRIM_400000_NS6detail17trampoline_kernelINS0_14default_configENS1_35adjacent_difference_config_selectorILb1EtEEZNS1_24adjacent_difference_implIS3_Lb1ELb0EPtS7_N6thrust23THRUST_200600_302600_NS5minusItEEEE10hipError_tPvRmT2_T3_mT4_P12ihipStream_tbEUlT_E_NS1_11comp_targetILNS1_3genE10ELNS1_11target_archE1201ELNS1_3gpuE5ELNS1_3repE0EEENS1_30default_config_static_selectorELNS0_4arch9wavefront6targetE1EEEvT1_.has_recursion, 0
	.set _ZN7rocprim17ROCPRIM_400000_NS6detail17trampoline_kernelINS0_14default_configENS1_35adjacent_difference_config_selectorILb1EtEEZNS1_24adjacent_difference_implIS3_Lb1ELb0EPtS7_N6thrust23THRUST_200600_302600_NS5minusItEEEE10hipError_tPvRmT2_T3_mT4_P12ihipStream_tbEUlT_E_NS1_11comp_targetILNS1_3genE10ELNS1_11target_archE1201ELNS1_3gpuE5ELNS1_3repE0EEENS1_30default_config_static_selectorELNS0_4arch9wavefront6targetE1EEEvT1_.has_indirect_call, 0
	.section	.AMDGPU.csdata,"",@progbits
; Kernel info:
; codeLenInByte = 0
; TotalNumSgprs: 4
; NumVgprs: 0
; ScratchSize: 0
; MemoryBound: 0
; FloatMode: 240
; IeeeMode: 1
; LDSByteSize: 0 bytes/workgroup (compile time only)
; SGPRBlocks: 0
; VGPRBlocks: 0
; NumSGPRsForWavesPerEU: 4
; NumVGPRsForWavesPerEU: 1
; Occupancy: 10
; WaveLimiterHint : 0
; COMPUTE_PGM_RSRC2:SCRATCH_EN: 0
; COMPUTE_PGM_RSRC2:USER_SGPR: 6
; COMPUTE_PGM_RSRC2:TRAP_HANDLER: 0
; COMPUTE_PGM_RSRC2:TGID_X_EN: 1
; COMPUTE_PGM_RSRC2:TGID_Y_EN: 0
; COMPUTE_PGM_RSRC2:TGID_Z_EN: 0
; COMPUTE_PGM_RSRC2:TIDIG_COMP_CNT: 0
	.section	.text._ZN7rocprim17ROCPRIM_400000_NS6detail17trampoline_kernelINS0_14default_configENS1_35adjacent_difference_config_selectorILb1EtEEZNS1_24adjacent_difference_implIS3_Lb1ELb0EPtS7_N6thrust23THRUST_200600_302600_NS5minusItEEEE10hipError_tPvRmT2_T3_mT4_P12ihipStream_tbEUlT_E_NS1_11comp_targetILNS1_3genE5ELNS1_11target_archE942ELNS1_3gpuE9ELNS1_3repE0EEENS1_30default_config_static_selectorELNS0_4arch9wavefront6targetE1EEEvT1_,"axG",@progbits,_ZN7rocprim17ROCPRIM_400000_NS6detail17trampoline_kernelINS0_14default_configENS1_35adjacent_difference_config_selectorILb1EtEEZNS1_24adjacent_difference_implIS3_Lb1ELb0EPtS7_N6thrust23THRUST_200600_302600_NS5minusItEEEE10hipError_tPvRmT2_T3_mT4_P12ihipStream_tbEUlT_E_NS1_11comp_targetILNS1_3genE5ELNS1_11target_archE942ELNS1_3gpuE9ELNS1_3repE0EEENS1_30default_config_static_selectorELNS0_4arch9wavefront6targetE1EEEvT1_,comdat
	.protected	_ZN7rocprim17ROCPRIM_400000_NS6detail17trampoline_kernelINS0_14default_configENS1_35adjacent_difference_config_selectorILb1EtEEZNS1_24adjacent_difference_implIS3_Lb1ELb0EPtS7_N6thrust23THRUST_200600_302600_NS5minusItEEEE10hipError_tPvRmT2_T3_mT4_P12ihipStream_tbEUlT_E_NS1_11comp_targetILNS1_3genE5ELNS1_11target_archE942ELNS1_3gpuE9ELNS1_3repE0EEENS1_30default_config_static_selectorELNS0_4arch9wavefront6targetE1EEEvT1_ ; -- Begin function _ZN7rocprim17ROCPRIM_400000_NS6detail17trampoline_kernelINS0_14default_configENS1_35adjacent_difference_config_selectorILb1EtEEZNS1_24adjacent_difference_implIS3_Lb1ELb0EPtS7_N6thrust23THRUST_200600_302600_NS5minusItEEEE10hipError_tPvRmT2_T3_mT4_P12ihipStream_tbEUlT_E_NS1_11comp_targetILNS1_3genE5ELNS1_11target_archE942ELNS1_3gpuE9ELNS1_3repE0EEENS1_30default_config_static_selectorELNS0_4arch9wavefront6targetE1EEEvT1_
	.globl	_ZN7rocprim17ROCPRIM_400000_NS6detail17trampoline_kernelINS0_14default_configENS1_35adjacent_difference_config_selectorILb1EtEEZNS1_24adjacent_difference_implIS3_Lb1ELb0EPtS7_N6thrust23THRUST_200600_302600_NS5minusItEEEE10hipError_tPvRmT2_T3_mT4_P12ihipStream_tbEUlT_E_NS1_11comp_targetILNS1_3genE5ELNS1_11target_archE942ELNS1_3gpuE9ELNS1_3repE0EEENS1_30default_config_static_selectorELNS0_4arch9wavefront6targetE1EEEvT1_
	.p2align	8
	.type	_ZN7rocprim17ROCPRIM_400000_NS6detail17trampoline_kernelINS0_14default_configENS1_35adjacent_difference_config_selectorILb1EtEEZNS1_24adjacent_difference_implIS3_Lb1ELb0EPtS7_N6thrust23THRUST_200600_302600_NS5minusItEEEE10hipError_tPvRmT2_T3_mT4_P12ihipStream_tbEUlT_E_NS1_11comp_targetILNS1_3genE5ELNS1_11target_archE942ELNS1_3gpuE9ELNS1_3repE0EEENS1_30default_config_static_selectorELNS0_4arch9wavefront6targetE1EEEvT1_,@function
_ZN7rocprim17ROCPRIM_400000_NS6detail17trampoline_kernelINS0_14default_configENS1_35adjacent_difference_config_selectorILb1EtEEZNS1_24adjacent_difference_implIS3_Lb1ELb0EPtS7_N6thrust23THRUST_200600_302600_NS5minusItEEEE10hipError_tPvRmT2_T3_mT4_P12ihipStream_tbEUlT_E_NS1_11comp_targetILNS1_3genE5ELNS1_11target_archE942ELNS1_3gpuE9ELNS1_3repE0EEENS1_30default_config_static_selectorELNS0_4arch9wavefront6targetE1EEEvT1_: ; @_ZN7rocprim17ROCPRIM_400000_NS6detail17trampoline_kernelINS0_14default_configENS1_35adjacent_difference_config_selectorILb1EtEEZNS1_24adjacent_difference_implIS3_Lb1ELb0EPtS7_N6thrust23THRUST_200600_302600_NS5minusItEEEE10hipError_tPvRmT2_T3_mT4_P12ihipStream_tbEUlT_E_NS1_11comp_targetILNS1_3genE5ELNS1_11target_archE942ELNS1_3gpuE9ELNS1_3repE0EEENS1_30default_config_static_selectorELNS0_4arch9wavefront6targetE1EEEvT1_
; %bb.0:
	.section	.rodata,"a",@progbits
	.p2align	6, 0x0
	.amdhsa_kernel _ZN7rocprim17ROCPRIM_400000_NS6detail17trampoline_kernelINS0_14default_configENS1_35adjacent_difference_config_selectorILb1EtEEZNS1_24adjacent_difference_implIS3_Lb1ELb0EPtS7_N6thrust23THRUST_200600_302600_NS5minusItEEEE10hipError_tPvRmT2_T3_mT4_P12ihipStream_tbEUlT_E_NS1_11comp_targetILNS1_3genE5ELNS1_11target_archE942ELNS1_3gpuE9ELNS1_3repE0EEENS1_30default_config_static_selectorELNS0_4arch9wavefront6targetE1EEEvT1_
		.amdhsa_group_segment_fixed_size 0
		.amdhsa_private_segment_fixed_size 0
		.amdhsa_kernarg_size 56
		.amdhsa_user_sgpr_count 6
		.amdhsa_user_sgpr_private_segment_buffer 1
		.amdhsa_user_sgpr_dispatch_ptr 0
		.amdhsa_user_sgpr_queue_ptr 0
		.amdhsa_user_sgpr_kernarg_segment_ptr 1
		.amdhsa_user_sgpr_dispatch_id 0
		.amdhsa_user_sgpr_flat_scratch_init 0
		.amdhsa_user_sgpr_private_segment_size 0
		.amdhsa_uses_dynamic_stack 0
		.amdhsa_system_sgpr_private_segment_wavefront_offset 0
		.amdhsa_system_sgpr_workgroup_id_x 1
		.amdhsa_system_sgpr_workgroup_id_y 0
		.amdhsa_system_sgpr_workgroup_id_z 0
		.amdhsa_system_sgpr_workgroup_info 0
		.amdhsa_system_vgpr_workitem_id 0
		.amdhsa_next_free_vgpr 1
		.amdhsa_next_free_sgpr 0
		.amdhsa_reserve_vcc 0
		.amdhsa_reserve_flat_scratch 0
		.amdhsa_float_round_mode_32 0
		.amdhsa_float_round_mode_16_64 0
		.amdhsa_float_denorm_mode_32 3
		.amdhsa_float_denorm_mode_16_64 3
		.amdhsa_dx10_clamp 1
		.amdhsa_ieee_mode 1
		.amdhsa_fp16_overflow 0
		.amdhsa_exception_fp_ieee_invalid_op 0
		.amdhsa_exception_fp_denorm_src 0
		.amdhsa_exception_fp_ieee_div_zero 0
		.amdhsa_exception_fp_ieee_overflow 0
		.amdhsa_exception_fp_ieee_underflow 0
		.amdhsa_exception_fp_ieee_inexact 0
		.amdhsa_exception_int_div_zero 0
	.end_amdhsa_kernel
	.section	.text._ZN7rocprim17ROCPRIM_400000_NS6detail17trampoline_kernelINS0_14default_configENS1_35adjacent_difference_config_selectorILb1EtEEZNS1_24adjacent_difference_implIS3_Lb1ELb0EPtS7_N6thrust23THRUST_200600_302600_NS5minusItEEEE10hipError_tPvRmT2_T3_mT4_P12ihipStream_tbEUlT_E_NS1_11comp_targetILNS1_3genE5ELNS1_11target_archE942ELNS1_3gpuE9ELNS1_3repE0EEENS1_30default_config_static_selectorELNS0_4arch9wavefront6targetE1EEEvT1_,"axG",@progbits,_ZN7rocprim17ROCPRIM_400000_NS6detail17trampoline_kernelINS0_14default_configENS1_35adjacent_difference_config_selectorILb1EtEEZNS1_24adjacent_difference_implIS3_Lb1ELb0EPtS7_N6thrust23THRUST_200600_302600_NS5minusItEEEE10hipError_tPvRmT2_T3_mT4_P12ihipStream_tbEUlT_E_NS1_11comp_targetILNS1_3genE5ELNS1_11target_archE942ELNS1_3gpuE9ELNS1_3repE0EEENS1_30default_config_static_selectorELNS0_4arch9wavefront6targetE1EEEvT1_,comdat
.Lfunc_end225:
	.size	_ZN7rocprim17ROCPRIM_400000_NS6detail17trampoline_kernelINS0_14default_configENS1_35adjacent_difference_config_selectorILb1EtEEZNS1_24adjacent_difference_implIS3_Lb1ELb0EPtS7_N6thrust23THRUST_200600_302600_NS5minusItEEEE10hipError_tPvRmT2_T3_mT4_P12ihipStream_tbEUlT_E_NS1_11comp_targetILNS1_3genE5ELNS1_11target_archE942ELNS1_3gpuE9ELNS1_3repE0EEENS1_30default_config_static_selectorELNS0_4arch9wavefront6targetE1EEEvT1_, .Lfunc_end225-_ZN7rocprim17ROCPRIM_400000_NS6detail17trampoline_kernelINS0_14default_configENS1_35adjacent_difference_config_selectorILb1EtEEZNS1_24adjacent_difference_implIS3_Lb1ELb0EPtS7_N6thrust23THRUST_200600_302600_NS5minusItEEEE10hipError_tPvRmT2_T3_mT4_P12ihipStream_tbEUlT_E_NS1_11comp_targetILNS1_3genE5ELNS1_11target_archE942ELNS1_3gpuE9ELNS1_3repE0EEENS1_30default_config_static_selectorELNS0_4arch9wavefront6targetE1EEEvT1_
                                        ; -- End function
	.set _ZN7rocprim17ROCPRIM_400000_NS6detail17trampoline_kernelINS0_14default_configENS1_35adjacent_difference_config_selectorILb1EtEEZNS1_24adjacent_difference_implIS3_Lb1ELb0EPtS7_N6thrust23THRUST_200600_302600_NS5minusItEEEE10hipError_tPvRmT2_T3_mT4_P12ihipStream_tbEUlT_E_NS1_11comp_targetILNS1_3genE5ELNS1_11target_archE942ELNS1_3gpuE9ELNS1_3repE0EEENS1_30default_config_static_selectorELNS0_4arch9wavefront6targetE1EEEvT1_.num_vgpr, 0
	.set _ZN7rocprim17ROCPRIM_400000_NS6detail17trampoline_kernelINS0_14default_configENS1_35adjacent_difference_config_selectorILb1EtEEZNS1_24adjacent_difference_implIS3_Lb1ELb0EPtS7_N6thrust23THRUST_200600_302600_NS5minusItEEEE10hipError_tPvRmT2_T3_mT4_P12ihipStream_tbEUlT_E_NS1_11comp_targetILNS1_3genE5ELNS1_11target_archE942ELNS1_3gpuE9ELNS1_3repE0EEENS1_30default_config_static_selectorELNS0_4arch9wavefront6targetE1EEEvT1_.num_agpr, 0
	.set _ZN7rocprim17ROCPRIM_400000_NS6detail17trampoline_kernelINS0_14default_configENS1_35adjacent_difference_config_selectorILb1EtEEZNS1_24adjacent_difference_implIS3_Lb1ELb0EPtS7_N6thrust23THRUST_200600_302600_NS5minusItEEEE10hipError_tPvRmT2_T3_mT4_P12ihipStream_tbEUlT_E_NS1_11comp_targetILNS1_3genE5ELNS1_11target_archE942ELNS1_3gpuE9ELNS1_3repE0EEENS1_30default_config_static_selectorELNS0_4arch9wavefront6targetE1EEEvT1_.numbered_sgpr, 0
	.set _ZN7rocprim17ROCPRIM_400000_NS6detail17trampoline_kernelINS0_14default_configENS1_35adjacent_difference_config_selectorILb1EtEEZNS1_24adjacent_difference_implIS3_Lb1ELb0EPtS7_N6thrust23THRUST_200600_302600_NS5minusItEEEE10hipError_tPvRmT2_T3_mT4_P12ihipStream_tbEUlT_E_NS1_11comp_targetILNS1_3genE5ELNS1_11target_archE942ELNS1_3gpuE9ELNS1_3repE0EEENS1_30default_config_static_selectorELNS0_4arch9wavefront6targetE1EEEvT1_.num_named_barrier, 0
	.set _ZN7rocprim17ROCPRIM_400000_NS6detail17trampoline_kernelINS0_14default_configENS1_35adjacent_difference_config_selectorILb1EtEEZNS1_24adjacent_difference_implIS3_Lb1ELb0EPtS7_N6thrust23THRUST_200600_302600_NS5minusItEEEE10hipError_tPvRmT2_T3_mT4_P12ihipStream_tbEUlT_E_NS1_11comp_targetILNS1_3genE5ELNS1_11target_archE942ELNS1_3gpuE9ELNS1_3repE0EEENS1_30default_config_static_selectorELNS0_4arch9wavefront6targetE1EEEvT1_.private_seg_size, 0
	.set _ZN7rocprim17ROCPRIM_400000_NS6detail17trampoline_kernelINS0_14default_configENS1_35adjacent_difference_config_selectorILb1EtEEZNS1_24adjacent_difference_implIS3_Lb1ELb0EPtS7_N6thrust23THRUST_200600_302600_NS5minusItEEEE10hipError_tPvRmT2_T3_mT4_P12ihipStream_tbEUlT_E_NS1_11comp_targetILNS1_3genE5ELNS1_11target_archE942ELNS1_3gpuE9ELNS1_3repE0EEENS1_30default_config_static_selectorELNS0_4arch9wavefront6targetE1EEEvT1_.uses_vcc, 0
	.set _ZN7rocprim17ROCPRIM_400000_NS6detail17trampoline_kernelINS0_14default_configENS1_35adjacent_difference_config_selectorILb1EtEEZNS1_24adjacent_difference_implIS3_Lb1ELb0EPtS7_N6thrust23THRUST_200600_302600_NS5minusItEEEE10hipError_tPvRmT2_T3_mT4_P12ihipStream_tbEUlT_E_NS1_11comp_targetILNS1_3genE5ELNS1_11target_archE942ELNS1_3gpuE9ELNS1_3repE0EEENS1_30default_config_static_selectorELNS0_4arch9wavefront6targetE1EEEvT1_.uses_flat_scratch, 0
	.set _ZN7rocprim17ROCPRIM_400000_NS6detail17trampoline_kernelINS0_14default_configENS1_35adjacent_difference_config_selectorILb1EtEEZNS1_24adjacent_difference_implIS3_Lb1ELb0EPtS7_N6thrust23THRUST_200600_302600_NS5minusItEEEE10hipError_tPvRmT2_T3_mT4_P12ihipStream_tbEUlT_E_NS1_11comp_targetILNS1_3genE5ELNS1_11target_archE942ELNS1_3gpuE9ELNS1_3repE0EEENS1_30default_config_static_selectorELNS0_4arch9wavefront6targetE1EEEvT1_.has_dyn_sized_stack, 0
	.set _ZN7rocprim17ROCPRIM_400000_NS6detail17trampoline_kernelINS0_14default_configENS1_35adjacent_difference_config_selectorILb1EtEEZNS1_24adjacent_difference_implIS3_Lb1ELb0EPtS7_N6thrust23THRUST_200600_302600_NS5minusItEEEE10hipError_tPvRmT2_T3_mT4_P12ihipStream_tbEUlT_E_NS1_11comp_targetILNS1_3genE5ELNS1_11target_archE942ELNS1_3gpuE9ELNS1_3repE0EEENS1_30default_config_static_selectorELNS0_4arch9wavefront6targetE1EEEvT1_.has_recursion, 0
	.set _ZN7rocprim17ROCPRIM_400000_NS6detail17trampoline_kernelINS0_14default_configENS1_35adjacent_difference_config_selectorILb1EtEEZNS1_24adjacent_difference_implIS3_Lb1ELb0EPtS7_N6thrust23THRUST_200600_302600_NS5minusItEEEE10hipError_tPvRmT2_T3_mT4_P12ihipStream_tbEUlT_E_NS1_11comp_targetILNS1_3genE5ELNS1_11target_archE942ELNS1_3gpuE9ELNS1_3repE0EEENS1_30default_config_static_selectorELNS0_4arch9wavefront6targetE1EEEvT1_.has_indirect_call, 0
	.section	.AMDGPU.csdata,"",@progbits
; Kernel info:
; codeLenInByte = 0
; TotalNumSgprs: 4
; NumVgprs: 0
; ScratchSize: 0
; MemoryBound: 0
; FloatMode: 240
; IeeeMode: 1
; LDSByteSize: 0 bytes/workgroup (compile time only)
; SGPRBlocks: 0
; VGPRBlocks: 0
; NumSGPRsForWavesPerEU: 4
; NumVGPRsForWavesPerEU: 1
; Occupancy: 10
; WaveLimiterHint : 0
; COMPUTE_PGM_RSRC2:SCRATCH_EN: 0
; COMPUTE_PGM_RSRC2:USER_SGPR: 6
; COMPUTE_PGM_RSRC2:TRAP_HANDLER: 0
; COMPUTE_PGM_RSRC2:TGID_X_EN: 1
; COMPUTE_PGM_RSRC2:TGID_Y_EN: 0
; COMPUTE_PGM_RSRC2:TGID_Z_EN: 0
; COMPUTE_PGM_RSRC2:TIDIG_COMP_CNT: 0
	.section	.text._ZN7rocprim17ROCPRIM_400000_NS6detail17trampoline_kernelINS0_14default_configENS1_35adjacent_difference_config_selectorILb1EtEEZNS1_24adjacent_difference_implIS3_Lb1ELb0EPtS7_N6thrust23THRUST_200600_302600_NS5minusItEEEE10hipError_tPvRmT2_T3_mT4_P12ihipStream_tbEUlT_E_NS1_11comp_targetILNS1_3genE4ELNS1_11target_archE910ELNS1_3gpuE8ELNS1_3repE0EEENS1_30default_config_static_selectorELNS0_4arch9wavefront6targetE1EEEvT1_,"axG",@progbits,_ZN7rocprim17ROCPRIM_400000_NS6detail17trampoline_kernelINS0_14default_configENS1_35adjacent_difference_config_selectorILb1EtEEZNS1_24adjacent_difference_implIS3_Lb1ELb0EPtS7_N6thrust23THRUST_200600_302600_NS5minusItEEEE10hipError_tPvRmT2_T3_mT4_P12ihipStream_tbEUlT_E_NS1_11comp_targetILNS1_3genE4ELNS1_11target_archE910ELNS1_3gpuE8ELNS1_3repE0EEENS1_30default_config_static_selectorELNS0_4arch9wavefront6targetE1EEEvT1_,comdat
	.protected	_ZN7rocprim17ROCPRIM_400000_NS6detail17trampoline_kernelINS0_14default_configENS1_35adjacent_difference_config_selectorILb1EtEEZNS1_24adjacent_difference_implIS3_Lb1ELb0EPtS7_N6thrust23THRUST_200600_302600_NS5minusItEEEE10hipError_tPvRmT2_T3_mT4_P12ihipStream_tbEUlT_E_NS1_11comp_targetILNS1_3genE4ELNS1_11target_archE910ELNS1_3gpuE8ELNS1_3repE0EEENS1_30default_config_static_selectorELNS0_4arch9wavefront6targetE1EEEvT1_ ; -- Begin function _ZN7rocprim17ROCPRIM_400000_NS6detail17trampoline_kernelINS0_14default_configENS1_35adjacent_difference_config_selectorILb1EtEEZNS1_24adjacent_difference_implIS3_Lb1ELb0EPtS7_N6thrust23THRUST_200600_302600_NS5minusItEEEE10hipError_tPvRmT2_T3_mT4_P12ihipStream_tbEUlT_E_NS1_11comp_targetILNS1_3genE4ELNS1_11target_archE910ELNS1_3gpuE8ELNS1_3repE0EEENS1_30default_config_static_selectorELNS0_4arch9wavefront6targetE1EEEvT1_
	.globl	_ZN7rocprim17ROCPRIM_400000_NS6detail17trampoline_kernelINS0_14default_configENS1_35adjacent_difference_config_selectorILb1EtEEZNS1_24adjacent_difference_implIS3_Lb1ELb0EPtS7_N6thrust23THRUST_200600_302600_NS5minusItEEEE10hipError_tPvRmT2_T3_mT4_P12ihipStream_tbEUlT_E_NS1_11comp_targetILNS1_3genE4ELNS1_11target_archE910ELNS1_3gpuE8ELNS1_3repE0EEENS1_30default_config_static_selectorELNS0_4arch9wavefront6targetE1EEEvT1_
	.p2align	8
	.type	_ZN7rocprim17ROCPRIM_400000_NS6detail17trampoline_kernelINS0_14default_configENS1_35adjacent_difference_config_selectorILb1EtEEZNS1_24adjacent_difference_implIS3_Lb1ELb0EPtS7_N6thrust23THRUST_200600_302600_NS5minusItEEEE10hipError_tPvRmT2_T3_mT4_P12ihipStream_tbEUlT_E_NS1_11comp_targetILNS1_3genE4ELNS1_11target_archE910ELNS1_3gpuE8ELNS1_3repE0EEENS1_30default_config_static_selectorELNS0_4arch9wavefront6targetE1EEEvT1_,@function
_ZN7rocprim17ROCPRIM_400000_NS6detail17trampoline_kernelINS0_14default_configENS1_35adjacent_difference_config_selectorILb1EtEEZNS1_24adjacent_difference_implIS3_Lb1ELb0EPtS7_N6thrust23THRUST_200600_302600_NS5minusItEEEE10hipError_tPvRmT2_T3_mT4_P12ihipStream_tbEUlT_E_NS1_11comp_targetILNS1_3genE4ELNS1_11target_archE910ELNS1_3gpuE8ELNS1_3repE0EEENS1_30default_config_static_selectorELNS0_4arch9wavefront6targetE1EEEvT1_: ; @_ZN7rocprim17ROCPRIM_400000_NS6detail17trampoline_kernelINS0_14default_configENS1_35adjacent_difference_config_selectorILb1EtEEZNS1_24adjacent_difference_implIS3_Lb1ELb0EPtS7_N6thrust23THRUST_200600_302600_NS5minusItEEEE10hipError_tPvRmT2_T3_mT4_P12ihipStream_tbEUlT_E_NS1_11comp_targetILNS1_3genE4ELNS1_11target_archE910ELNS1_3gpuE8ELNS1_3repE0EEENS1_30default_config_static_selectorELNS0_4arch9wavefront6targetE1EEEvT1_
; %bb.0:
	.section	.rodata,"a",@progbits
	.p2align	6, 0x0
	.amdhsa_kernel _ZN7rocprim17ROCPRIM_400000_NS6detail17trampoline_kernelINS0_14default_configENS1_35adjacent_difference_config_selectorILb1EtEEZNS1_24adjacent_difference_implIS3_Lb1ELb0EPtS7_N6thrust23THRUST_200600_302600_NS5minusItEEEE10hipError_tPvRmT2_T3_mT4_P12ihipStream_tbEUlT_E_NS1_11comp_targetILNS1_3genE4ELNS1_11target_archE910ELNS1_3gpuE8ELNS1_3repE0EEENS1_30default_config_static_selectorELNS0_4arch9wavefront6targetE1EEEvT1_
		.amdhsa_group_segment_fixed_size 0
		.amdhsa_private_segment_fixed_size 0
		.amdhsa_kernarg_size 56
		.amdhsa_user_sgpr_count 6
		.amdhsa_user_sgpr_private_segment_buffer 1
		.amdhsa_user_sgpr_dispatch_ptr 0
		.amdhsa_user_sgpr_queue_ptr 0
		.amdhsa_user_sgpr_kernarg_segment_ptr 1
		.amdhsa_user_sgpr_dispatch_id 0
		.amdhsa_user_sgpr_flat_scratch_init 0
		.amdhsa_user_sgpr_private_segment_size 0
		.amdhsa_uses_dynamic_stack 0
		.amdhsa_system_sgpr_private_segment_wavefront_offset 0
		.amdhsa_system_sgpr_workgroup_id_x 1
		.amdhsa_system_sgpr_workgroup_id_y 0
		.amdhsa_system_sgpr_workgroup_id_z 0
		.amdhsa_system_sgpr_workgroup_info 0
		.amdhsa_system_vgpr_workitem_id 0
		.amdhsa_next_free_vgpr 1
		.amdhsa_next_free_sgpr 0
		.amdhsa_reserve_vcc 0
		.amdhsa_reserve_flat_scratch 0
		.amdhsa_float_round_mode_32 0
		.amdhsa_float_round_mode_16_64 0
		.amdhsa_float_denorm_mode_32 3
		.amdhsa_float_denorm_mode_16_64 3
		.amdhsa_dx10_clamp 1
		.amdhsa_ieee_mode 1
		.amdhsa_fp16_overflow 0
		.amdhsa_exception_fp_ieee_invalid_op 0
		.amdhsa_exception_fp_denorm_src 0
		.amdhsa_exception_fp_ieee_div_zero 0
		.amdhsa_exception_fp_ieee_overflow 0
		.amdhsa_exception_fp_ieee_underflow 0
		.amdhsa_exception_fp_ieee_inexact 0
		.amdhsa_exception_int_div_zero 0
	.end_amdhsa_kernel
	.section	.text._ZN7rocprim17ROCPRIM_400000_NS6detail17trampoline_kernelINS0_14default_configENS1_35adjacent_difference_config_selectorILb1EtEEZNS1_24adjacent_difference_implIS3_Lb1ELb0EPtS7_N6thrust23THRUST_200600_302600_NS5minusItEEEE10hipError_tPvRmT2_T3_mT4_P12ihipStream_tbEUlT_E_NS1_11comp_targetILNS1_3genE4ELNS1_11target_archE910ELNS1_3gpuE8ELNS1_3repE0EEENS1_30default_config_static_selectorELNS0_4arch9wavefront6targetE1EEEvT1_,"axG",@progbits,_ZN7rocprim17ROCPRIM_400000_NS6detail17trampoline_kernelINS0_14default_configENS1_35adjacent_difference_config_selectorILb1EtEEZNS1_24adjacent_difference_implIS3_Lb1ELb0EPtS7_N6thrust23THRUST_200600_302600_NS5minusItEEEE10hipError_tPvRmT2_T3_mT4_P12ihipStream_tbEUlT_E_NS1_11comp_targetILNS1_3genE4ELNS1_11target_archE910ELNS1_3gpuE8ELNS1_3repE0EEENS1_30default_config_static_selectorELNS0_4arch9wavefront6targetE1EEEvT1_,comdat
.Lfunc_end226:
	.size	_ZN7rocprim17ROCPRIM_400000_NS6detail17trampoline_kernelINS0_14default_configENS1_35adjacent_difference_config_selectorILb1EtEEZNS1_24adjacent_difference_implIS3_Lb1ELb0EPtS7_N6thrust23THRUST_200600_302600_NS5minusItEEEE10hipError_tPvRmT2_T3_mT4_P12ihipStream_tbEUlT_E_NS1_11comp_targetILNS1_3genE4ELNS1_11target_archE910ELNS1_3gpuE8ELNS1_3repE0EEENS1_30default_config_static_selectorELNS0_4arch9wavefront6targetE1EEEvT1_, .Lfunc_end226-_ZN7rocprim17ROCPRIM_400000_NS6detail17trampoline_kernelINS0_14default_configENS1_35adjacent_difference_config_selectorILb1EtEEZNS1_24adjacent_difference_implIS3_Lb1ELb0EPtS7_N6thrust23THRUST_200600_302600_NS5minusItEEEE10hipError_tPvRmT2_T3_mT4_P12ihipStream_tbEUlT_E_NS1_11comp_targetILNS1_3genE4ELNS1_11target_archE910ELNS1_3gpuE8ELNS1_3repE0EEENS1_30default_config_static_selectorELNS0_4arch9wavefront6targetE1EEEvT1_
                                        ; -- End function
	.set _ZN7rocprim17ROCPRIM_400000_NS6detail17trampoline_kernelINS0_14default_configENS1_35adjacent_difference_config_selectorILb1EtEEZNS1_24adjacent_difference_implIS3_Lb1ELb0EPtS7_N6thrust23THRUST_200600_302600_NS5minusItEEEE10hipError_tPvRmT2_T3_mT4_P12ihipStream_tbEUlT_E_NS1_11comp_targetILNS1_3genE4ELNS1_11target_archE910ELNS1_3gpuE8ELNS1_3repE0EEENS1_30default_config_static_selectorELNS0_4arch9wavefront6targetE1EEEvT1_.num_vgpr, 0
	.set _ZN7rocprim17ROCPRIM_400000_NS6detail17trampoline_kernelINS0_14default_configENS1_35adjacent_difference_config_selectorILb1EtEEZNS1_24adjacent_difference_implIS3_Lb1ELb0EPtS7_N6thrust23THRUST_200600_302600_NS5minusItEEEE10hipError_tPvRmT2_T3_mT4_P12ihipStream_tbEUlT_E_NS1_11comp_targetILNS1_3genE4ELNS1_11target_archE910ELNS1_3gpuE8ELNS1_3repE0EEENS1_30default_config_static_selectorELNS0_4arch9wavefront6targetE1EEEvT1_.num_agpr, 0
	.set _ZN7rocprim17ROCPRIM_400000_NS6detail17trampoline_kernelINS0_14default_configENS1_35adjacent_difference_config_selectorILb1EtEEZNS1_24adjacent_difference_implIS3_Lb1ELb0EPtS7_N6thrust23THRUST_200600_302600_NS5minusItEEEE10hipError_tPvRmT2_T3_mT4_P12ihipStream_tbEUlT_E_NS1_11comp_targetILNS1_3genE4ELNS1_11target_archE910ELNS1_3gpuE8ELNS1_3repE0EEENS1_30default_config_static_selectorELNS0_4arch9wavefront6targetE1EEEvT1_.numbered_sgpr, 0
	.set _ZN7rocprim17ROCPRIM_400000_NS6detail17trampoline_kernelINS0_14default_configENS1_35adjacent_difference_config_selectorILb1EtEEZNS1_24adjacent_difference_implIS3_Lb1ELb0EPtS7_N6thrust23THRUST_200600_302600_NS5minusItEEEE10hipError_tPvRmT2_T3_mT4_P12ihipStream_tbEUlT_E_NS1_11comp_targetILNS1_3genE4ELNS1_11target_archE910ELNS1_3gpuE8ELNS1_3repE0EEENS1_30default_config_static_selectorELNS0_4arch9wavefront6targetE1EEEvT1_.num_named_barrier, 0
	.set _ZN7rocprim17ROCPRIM_400000_NS6detail17trampoline_kernelINS0_14default_configENS1_35adjacent_difference_config_selectorILb1EtEEZNS1_24adjacent_difference_implIS3_Lb1ELb0EPtS7_N6thrust23THRUST_200600_302600_NS5minusItEEEE10hipError_tPvRmT2_T3_mT4_P12ihipStream_tbEUlT_E_NS1_11comp_targetILNS1_3genE4ELNS1_11target_archE910ELNS1_3gpuE8ELNS1_3repE0EEENS1_30default_config_static_selectorELNS0_4arch9wavefront6targetE1EEEvT1_.private_seg_size, 0
	.set _ZN7rocprim17ROCPRIM_400000_NS6detail17trampoline_kernelINS0_14default_configENS1_35adjacent_difference_config_selectorILb1EtEEZNS1_24adjacent_difference_implIS3_Lb1ELb0EPtS7_N6thrust23THRUST_200600_302600_NS5minusItEEEE10hipError_tPvRmT2_T3_mT4_P12ihipStream_tbEUlT_E_NS1_11comp_targetILNS1_3genE4ELNS1_11target_archE910ELNS1_3gpuE8ELNS1_3repE0EEENS1_30default_config_static_selectorELNS0_4arch9wavefront6targetE1EEEvT1_.uses_vcc, 0
	.set _ZN7rocprim17ROCPRIM_400000_NS6detail17trampoline_kernelINS0_14default_configENS1_35adjacent_difference_config_selectorILb1EtEEZNS1_24adjacent_difference_implIS3_Lb1ELb0EPtS7_N6thrust23THRUST_200600_302600_NS5minusItEEEE10hipError_tPvRmT2_T3_mT4_P12ihipStream_tbEUlT_E_NS1_11comp_targetILNS1_3genE4ELNS1_11target_archE910ELNS1_3gpuE8ELNS1_3repE0EEENS1_30default_config_static_selectorELNS0_4arch9wavefront6targetE1EEEvT1_.uses_flat_scratch, 0
	.set _ZN7rocprim17ROCPRIM_400000_NS6detail17trampoline_kernelINS0_14default_configENS1_35adjacent_difference_config_selectorILb1EtEEZNS1_24adjacent_difference_implIS3_Lb1ELb0EPtS7_N6thrust23THRUST_200600_302600_NS5minusItEEEE10hipError_tPvRmT2_T3_mT4_P12ihipStream_tbEUlT_E_NS1_11comp_targetILNS1_3genE4ELNS1_11target_archE910ELNS1_3gpuE8ELNS1_3repE0EEENS1_30default_config_static_selectorELNS0_4arch9wavefront6targetE1EEEvT1_.has_dyn_sized_stack, 0
	.set _ZN7rocprim17ROCPRIM_400000_NS6detail17trampoline_kernelINS0_14default_configENS1_35adjacent_difference_config_selectorILb1EtEEZNS1_24adjacent_difference_implIS3_Lb1ELb0EPtS7_N6thrust23THRUST_200600_302600_NS5minusItEEEE10hipError_tPvRmT2_T3_mT4_P12ihipStream_tbEUlT_E_NS1_11comp_targetILNS1_3genE4ELNS1_11target_archE910ELNS1_3gpuE8ELNS1_3repE0EEENS1_30default_config_static_selectorELNS0_4arch9wavefront6targetE1EEEvT1_.has_recursion, 0
	.set _ZN7rocprim17ROCPRIM_400000_NS6detail17trampoline_kernelINS0_14default_configENS1_35adjacent_difference_config_selectorILb1EtEEZNS1_24adjacent_difference_implIS3_Lb1ELb0EPtS7_N6thrust23THRUST_200600_302600_NS5minusItEEEE10hipError_tPvRmT2_T3_mT4_P12ihipStream_tbEUlT_E_NS1_11comp_targetILNS1_3genE4ELNS1_11target_archE910ELNS1_3gpuE8ELNS1_3repE0EEENS1_30default_config_static_selectorELNS0_4arch9wavefront6targetE1EEEvT1_.has_indirect_call, 0
	.section	.AMDGPU.csdata,"",@progbits
; Kernel info:
; codeLenInByte = 0
; TotalNumSgprs: 4
; NumVgprs: 0
; ScratchSize: 0
; MemoryBound: 0
; FloatMode: 240
; IeeeMode: 1
; LDSByteSize: 0 bytes/workgroup (compile time only)
; SGPRBlocks: 0
; VGPRBlocks: 0
; NumSGPRsForWavesPerEU: 4
; NumVGPRsForWavesPerEU: 1
; Occupancy: 10
; WaveLimiterHint : 0
; COMPUTE_PGM_RSRC2:SCRATCH_EN: 0
; COMPUTE_PGM_RSRC2:USER_SGPR: 6
; COMPUTE_PGM_RSRC2:TRAP_HANDLER: 0
; COMPUTE_PGM_RSRC2:TGID_X_EN: 1
; COMPUTE_PGM_RSRC2:TGID_Y_EN: 0
; COMPUTE_PGM_RSRC2:TGID_Z_EN: 0
; COMPUTE_PGM_RSRC2:TIDIG_COMP_CNT: 0
	.section	.text._ZN7rocprim17ROCPRIM_400000_NS6detail17trampoline_kernelINS0_14default_configENS1_35adjacent_difference_config_selectorILb1EtEEZNS1_24adjacent_difference_implIS3_Lb1ELb0EPtS7_N6thrust23THRUST_200600_302600_NS5minusItEEEE10hipError_tPvRmT2_T3_mT4_P12ihipStream_tbEUlT_E_NS1_11comp_targetILNS1_3genE3ELNS1_11target_archE908ELNS1_3gpuE7ELNS1_3repE0EEENS1_30default_config_static_selectorELNS0_4arch9wavefront6targetE1EEEvT1_,"axG",@progbits,_ZN7rocprim17ROCPRIM_400000_NS6detail17trampoline_kernelINS0_14default_configENS1_35adjacent_difference_config_selectorILb1EtEEZNS1_24adjacent_difference_implIS3_Lb1ELb0EPtS7_N6thrust23THRUST_200600_302600_NS5minusItEEEE10hipError_tPvRmT2_T3_mT4_P12ihipStream_tbEUlT_E_NS1_11comp_targetILNS1_3genE3ELNS1_11target_archE908ELNS1_3gpuE7ELNS1_3repE0EEENS1_30default_config_static_selectorELNS0_4arch9wavefront6targetE1EEEvT1_,comdat
	.protected	_ZN7rocprim17ROCPRIM_400000_NS6detail17trampoline_kernelINS0_14default_configENS1_35adjacent_difference_config_selectorILb1EtEEZNS1_24adjacent_difference_implIS3_Lb1ELb0EPtS7_N6thrust23THRUST_200600_302600_NS5minusItEEEE10hipError_tPvRmT2_T3_mT4_P12ihipStream_tbEUlT_E_NS1_11comp_targetILNS1_3genE3ELNS1_11target_archE908ELNS1_3gpuE7ELNS1_3repE0EEENS1_30default_config_static_selectorELNS0_4arch9wavefront6targetE1EEEvT1_ ; -- Begin function _ZN7rocprim17ROCPRIM_400000_NS6detail17trampoline_kernelINS0_14default_configENS1_35adjacent_difference_config_selectorILb1EtEEZNS1_24adjacent_difference_implIS3_Lb1ELb0EPtS7_N6thrust23THRUST_200600_302600_NS5minusItEEEE10hipError_tPvRmT2_T3_mT4_P12ihipStream_tbEUlT_E_NS1_11comp_targetILNS1_3genE3ELNS1_11target_archE908ELNS1_3gpuE7ELNS1_3repE0EEENS1_30default_config_static_selectorELNS0_4arch9wavefront6targetE1EEEvT1_
	.globl	_ZN7rocprim17ROCPRIM_400000_NS6detail17trampoline_kernelINS0_14default_configENS1_35adjacent_difference_config_selectorILb1EtEEZNS1_24adjacent_difference_implIS3_Lb1ELb0EPtS7_N6thrust23THRUST_200600_302600_NS5minusItEEEE10hipError_tPvRmT2_T3_mT4_P12ihipStream_tbEUlT_E_NS1_11comp_targetILNS1_3genE3ELNS1_11target_archE908ELNS1_3gpuE7ELNS1_3repE0EEENS1_30default_config_static_selectorELNS0_4arch9wavefront6targetE1EEEvT1_
	.p2align	8
	.type	_ZN7rocprim17ROCPRIM_400000_NS6detail17trampoline_kernelINS0_14default_configENS1_35adjacent_difference_config_selectorILb1EtEEZNS1_24adjacent_difference_implIS3_Lb1ELb0EPtS7_N6thrust23THRUST_200600_302600_NS5minusItEEEE10hipError_tPvRmT2_T3_mT4_P12ihipStream_tbEUlT_E_NS1_11comp_targetILNS1_3genE3ELNS1_11target_archE908ELNS1_3gpuE7ELNS1_3repE0EEENS1_30default_config_static_selectorELNS0_4arch9wavefront6targetE1EEEvT1_,@function
_ZN7rocprim17ROCPRIM_400000_NS6detail17trampoline_kernelINS0_14default_configENS1_35adjacent_difference_config_selectorILb1EtEEZNS1_24adjacent_difference_implIS3_Lb1ELb0EPtS7_N6thrust23THRUST_200600_302600_NS5minusItEEEE10hipError_tPvRmT2_T3_mT4_P12ihipStream_tbEUlT_E_NS1_11comp_targetILNS1_3genE3ELNS1_11target_archE908ELNS1_3gpuE7ELNS1_3repE0EEENS1_30default_config_static_selectorELNS0_4arch9wavefront6targetE1EEEvT1_: ; @_ZN7rocprim17ROCPRIM_400000_NS6detail17trampoline_kernelINS0_14default_configENS1_35adjacent_difference_config_selectorILb1EtEEZNS1_24adjacent_difference_implIS3_Lb1ELb0EPtS7_N6thrust23THRUST_200600_302600_NS5minusItEEEE10hipError_tPvRmT2_T3_mT4_P12ihipStream_tbEUlT_E_NS1_11comp_targetILNS1_3genE3ELNS1_11target_archE908ELNS1_3gpuE7ELNS1_3repE0EEENS1_30default_config_static_selectorELNS0_4arch9wavefront6targetE1EEEvT1_
; %bb.0:
	.section	.rodata,"a",@progbits
	.p2align	6, 0x0
	.amdhsa_kernel _ZN7rocprim17ROCPRIM_400000_NS6detail17trampoline_kernelINS0_14default_configENS1_35adjacent_difference_config_selectorILb1EtEEZNS1_24adjacent_difference_implIS3_Lb1ELb0EPtS7_N6thrust23THRUST_200600_302600_NS5minusItEEEE10hipError_tPvRmT2_T3_mT4_P12ihipStream_tbEUlT_E_NS1_11comp_targetILNS1_3genE3ELNS1_11target_archE908ELNS1_3gpuE7ELNS1_3repE0EEENS1_30default_config_static_selectorELNS0_4arch9wavefront6targetE1EEEvT1_
		.amdhsa_group_segment_fixed_size 0
		.amdhsa_private_segment_fixed_size 0
		.amdhsa_kernarg_size 56
		.amdhsa_user_sgpr_count 6
		.amdhsa_user_sgpr_private_segment_buffer 1
		.amdhsa_user_sgpr_dispatch_ptr 0
		.amdhsa_user_sgpr_queue_ptr 0
		.amdhsa_user_sgpr_kernarg_segment_ptr 1
		.amdhsa_user_sgpr_dispatch_id 0
		.amdhsa_user_sgpr_flat_scratch_init 0
		.amdhsa_user_sgpr_private_segment_size 0
		.amdhsa_uses_dynamic_stack 0
		.amdhsa_system_sgpr_private_segment_wavefront_offset 0
		.amdhsa_system_sgpr_workgroup_id_x 1
		.amdhsa_system_sgpr_workgroup_id_y 0
		.amdhsa_system_sgpr_workgroup_id_z 0
		.amdhsa_system_sgpr_workgroup_info 0
		.amdhsa_system_vgpr_workitem_id 0
		.amdhsa_next_free_vgpr 1
		.amdhsa_next_free_sgpr 0
		.amdhsa_reserve_vcc 0
		.amdhsa_reserve_flat_scratch 0
		.amdhsa_float_round_mode_32 0
		.amdhsa_float_round_mode_16_64 0
		.amdhsa_float_denorm_mode_32 3
		.amdhsa_float_denorm_mode_16_64 3
		.amdhsa_dx10_clamp 1
		.amdhsa_ieee_mode 1
		.amdhsa_fp16_overflow 0
		.amdhsa_exception_fp_ieee_invalid_op 0
		.amdhsa_exception_fp_denorm_src 0
		.amdhsa_exception_fp_ieee_div_zero 0
		.amdhsa_exception_fp_ieee_overflow 0
		.amdhsa_exception_fp_ieee_underflow 0
		.amdhsa_exception_fp_ieee_inexact 0
		.amdhsa_exception_int_div_zero 0
	.end_amdhsa_kernel
	.section	.text._ZN7rocprim17ROCPRIM_400000_NS6detail17trampoline_kernelINS0_14default_configENS1_35adjacent_difference_config_selectorILb1EtEEZNS1_24adjacent_difference_implIS3_Lb1ELb0EPtS7_N6thrust23THRUST_200600_302600_NS5minusItEEEE10hipError_tPvRmT2_T3_mT4_P12ihipStream_tbEUlT_E_NS1_11comp_targetILNS1_3genE3ELNS1_11target_archE908ELNS1_3gpuE7ELNS1_3repE0EEENS1_30default_config_static_selectorELNS0_4arch9wavefront6targetE1EEEvT1_,"axG",@progbits,_ZN7rocprim17ROCPRIM_400000_NS6detail17trampoline_kernelINS0_14default_configENS1_35adjacent_difference_config_selectorILb1EtEEZNS1_24adjacent_difference_implIS3_Lb1ELb0EPtS7_N6thrust23THRUST_200600_302600_NS5minusItEEEE10hipError_tPvRmT2_T3_mT4_P12ihipStream_tbEUlT_E_NS1_11comp_targetILNS1_3genE3ELNS1_11target_archE908ELNS1_3gpuE7ELNS1_3repE0EEENS1_30default_config_static_selectorELNS0_4arch9wavefront6targetE1EEEvT1_,comdat
.Lfunc_end227:
	.size	_ZN7rocprim17ROCPRIM_400000_NS6detail17trampoline_kernelINS0_14default_configENS1_35adjacent_difference_config_selectorILb1EtEEZNS1_24adjacent_difference_implIS3_Lb1ELb0EPtS7_N6thrust23THRUST_200600_302600_NS5minusItEEEE10hipError_tPvRmT2_T3_mT4_P12ihipStream_tbEUlT_E_NS1_11comp_targetILNS1_3genE3ELNS1_11target_archE908ELNS1_3gpuE7ELNS1_3repE0EEENS1_30default_config_static_selectorELNS0_4arch9wavefront6targetE1EEEvT1_, .Lfunc_end227-_ZN7rocprim17ROCPRIM_400000_NS6detail17trampoline_kernelINS0_14default_configENS1_35adjacent_difference_config_selectorILb1EtEEZNS1_24adjacent_difference_implIS3_Lb1ELb0EPtS7_N6thrust23THRUST_200600_302600_NS5minusItEEEE10hipError_tPvRmT2_T3_mT4_P12ihipStream_tbEUlT_E_NS1_11comp_targetILNS1_3genE3ELNS1_11target_archE908ELNS1_3gpuE7ELNS1_3repE0EEENS1_30default_config_static_selectorELNS0_4arch9wavefront6targetE1EEEvT1_
                                        ; -- End function
	.set _ZN7rocprim17ROCPRIM_400000_NS6detail17trampoline_kernelINS0_14default_configENS1_35adjacent_difference_config_selectorILb1EtEEZNS1_24adjacent_difference_implIS3_Lb1ELb0EPtS7_N6thrust23THRUST_200600_302600_NS5minusItEEEE10hipError_tPvRmT2_T3_mT4_P12ihipStream_tbEUlT_E_NS1_11comp_targetILNS1_3genE3ELNS1_11target_archE908ELNS1_3gpuE7ELNS1_3repE0EEENS1_30default_config_static_selectorELNS0_4arch9wavefront6targetE1EEEvT1_.num_vgpr, 0
	.set _ZN7rocprim17ROCPRIM_400000_NS6detail17trampoline_kernelINS0_14default_configENS1_35adjacent_difference_config_selectorILb1EtEEZNS1_24adjacent_difference_implIS3_Lb1ELb0EPtS7_N6thrust23THRUST_200600_302600_NS5minusItEEEE10hipError_tPvRmT2_T3_mT4_P12ihipStream_tbEUlT_E_NS1_11comp_targetILNS1_3genE3ELNS1_11target_archE908ELNS1_3gpuE7ELNS1_3repE0EEENS1_30default_config_static_selectorELNS0_4arch9wavefront6targetE1EEEvT1_.num_agpr, 0
	.set _ZN7rocprim17ROCPRIM_400000_NS6detail17trampoline_kernelINS0_14default_configENS1_35adjacent_difference_config_selectorILb1EtEEZNS1_24adjacent_difference_implIS3_Lb1ELb0EPtS7_N6thrust23THRUST_200600_302600_NS5minusItEEEE10hipError_tPvRmT2_T3_mT4_P12ihipStream_tbEUlT_E_NS1_11comp_targetILNS1_3genE3ELNS1_11target_archE908ELNS1_3gpuE7ELNS1_3repE0EEENS1_30default_config_static_selectorELNS0_4arch9wavefront6targetE1EEEvT1_.numbered_sgpr, 0
	.set _ZN7rocprim17ROCPRIM_400000_NS6detail17trampoline_kernelINS0_14default_configENS1_35adjacent_difference_config_selectorILb1EtEEZNS1_24adjacent_difference_implIS3_Lb1ELb0EPtS7_N6thrust23THRUST_200600_302600_NS5minusItEEEE10hipError_tPvRmT2_T3_mT4_P12ihipStream_tbEUlT_E_NS1_11comp_targetILNS1_3genE3ELNS1_11target_archE908ELNS1_3gpuE7ELNS1_3repE0EEENS1_30default_config_static_selectorELNS0_4arch9wavefront6targetE1EEEvT1_.num_named_barrier, 0
	.set _ZN7rocprim17ROCPRIM_400000_NS6detail17trampoline_kernelINS0_14default_configENS1_35adjacent_difference_config_selectorILb1EtEEZNS1_24adjacent_difference_implIS3_Lb1ELb0EPtS7_N6thrust23THRUST_200600_302600_NS5minusItEEEE10hipError_tPvRmT2_T3_mT4_P12ihipStream_tbEUlT_E_NS1_11comp_targetILNS1_3genE3ELNS1_11target_archE908ELNS1_3gpuE7ELNS1_3repE0EEENS1_30default_config_static_selectorELNS0_4arch9wavefront6targetE1EEEvT1_.private_seg_size, 0
	.set _ZN7rocprim17ROCPRIM_400000_NS6detail17trampoline_kernelINS0_14default_configENS1_35adjacent_difference_config_selectorILb1EtEEZNS1_24adjacent_difference_implIS3_Lb1ELb0EPtS7_N6thrust23THRUST_200600_302600_NS5minusItEEEE10hipError_tPvRmT2_T3_mT4_P12ihipStream_tbEUlT_E_NS1_11comp_targetILNS1_3genE3ELNS1_11target_archE908ELNS1_3gpuE7ELNS1_3repE0EEENS1_30default_config_static_selectorELNS0_4arch9wavefront6targetE1EEEvT1_.uses_vcc, 0
	.set _ZN7rocprim17ROCPRIM_400000_NS6detail17trampoline_kernelINS0_14default_configENS1_35adjacent_difference_config_selectorILb1EtEEZNS1_24adjacent_difference_implIS3_Lb1ELb0EPtS7_N6thrust23THRUST_200600_302600_NS5minusItEEEE10hipError_tPvRmT2_T3_mT4_P12ihipStream_tbEUlT_E_NS1_11comp_targetILNS1_3genE3ELNS1_11target_archE908ELNS1_3gpuE7ELNS1_3repE0EEENS1_30default_config_static_selectorELNS0_4arch9wavefront6targetE1EEEvT1_.uses_flat_scratch, 0
	.set _ZN7rocprim17ROCPRIM_400000_NS6detail17trampoline_kernelINS0_14default_configENS1_35adjacent_difference_config_selectorILb1EtEEZNS1_24adjacent_difference_implIS3_Lb1ELb0EPtS7_N6thrust23THRUST_200600_302600_NS5minusItEEEE10hipError_tPvRmT2_T3_mT4_P12ihipStream_tbEUlT_E_NS1_11comp_targetILNS1_3genE3ELNS1_11target_archE908ELNS1_3gpuE7ELNS1_3repE0EEENS1_30default_config_static_selectorELNS0_4arch9wavefront6targetE1EEEvT1_.has_dyn_sized_stack, 0
	.set _ZN7rocprim17ROCPRIM_400000_NS6detail17trampoline_kernelINS0_14default_configENS1_35adjacent_difference_config_selectorILb1EtEEZNS1_24adjacent_difference_implIS3_Lb1ELb0EPtS7_N6thrust23THRUST_200600_302600_NS5minusItEEEE10hipError_tPvRmT2_T3_mT4_P12ihipStream_tbEUlT_E_NS1_11comp_targetILNS1_3genE3ELNS1_11target_archE908ELNS1_3gpuE7ELNS1_3repE0EEENS1_30default_config_static_selectorELNS0_4arch9wavefront6targetE1EEEvT1_.has_recursion, 0
	.set _ZN7rocprim17ROCPRIM_400000_NS6detail17trampoline_kernelINS0_14default_configENS1_35adjacent_difference_config_selectorILb1EtEEZNS1_24adjacent_difference_implIS3_Lb1ELb0EPtS7_N6thrust23THRUST_200600_302600_NS5minusItEEEE10hipError_tPvRmT2_T3_mT4_P12ihipStream_tbEUlT_E_NS1_11comp_targetILNS1_3genE3ELNS1_11target_archE908ELNS1_3gpuE7ELNS1_3repE0EEENS1_30default_config_static_selectorELNS0_4arch9wavefront6targetE1EEEvT1_.has_indirect_call, 0
	.section	.AMDGPU.csdata,"",@progbits
; Kernel info:
; codeLenInByte = 0
; TotalNumSgprs: 4
; NumVgprs: 0
; ScratchSize: 0
; MemoryBound: 0
; FloatMode: 240
; IeeeMode: 1
; LDSByteSize: 0 bytes/workgroup (compile time only)
; SGPRBlocks: 0
; VGPRBlocks: 0
; NumSGPRsForWavesPerEU: 4
; NumVGPRsForWavesPerEU: 1
; Occupancy: 10
; WaveLimiterHint : 0
; COMPUTE_PGM_RSRC2:SCRATCH_EN: 0
; COMPUTE_PGM_RSRC2:USER_SGPR: 6
; COMPUTE_PGM_RSRC2:TRAP_HANDLER: 0
; COMPUTE_PGM_RSRC2:TGID_X_EN: 1
; COMPUTE_PGM_RSRC2:TGID_Y_EN: 0
; COMPUTE_PGM_RSRC2:TGID_Z_EN: 0
; COMPUTE_PGM_RSRC2:TIDIG_COMP_CNT: 0
	.section	.text._ZN7rocprim17ROCPRIM_400000_NS6detail17trampoline_kernelINS0_14default_configENS1_35adjacent_difference_config_selectorILb1EtEEZNS1_24adjacent_difference_implIS3_Lb1ELb0EPtS7_N6thrust23THRUST_200600_302600_NS5minusItEEEE10hipError_tPvRmT2_T3_mT4_P12ihipStream_tbEUlT_E_NS1_11comp_targetILNS1_3genE2ELNS1_11target_archE906ELNS1_3gpuE6ELNS1_3repE0EEENS1_30default_config_static_selectorELNS0_4arch9wavefront6targetE1EEEvT1_,"axG",@progbits,_ZN7rocprim17ROCPRIM_400000_NS6detail17trampoline_kernelINS0_14default_configENS1_35adjacent_difference_config_selectorILb1EtEEZNS1_24adjacent_difference_implIS3_Lb1ELb0EPtS7_N6thrust23THRUST_200600_302600_NS5minusItEEEE10hipError_tPvRmT2_T3_mT4_P12ihipStream_tbEUlT_E_NS1_11comp_targetILNS1_3genE2ELNS1_11target_archE906ELNS1_3gpuE6ELNS1_3repE0EEENS1_30default_config_static_selectorELNS0_4arch9wavefront6targetE1EEEvT1_,comdat
	.protected	_ZN7rocprim17ROCPRIM_400000_NS6detail17trampoline_kernelINS0_14default_configENS1_35adjacent_difference_config_selectorILb1EtEEZNS1_24adjacent_difference_implIS3_Lb1ELb0EPtS7_N6thrust23THRUST_200600_302600_NS5minusItEEEE10hipError_tPvRmT2_T3_mT4_P12ihipStream_tbEUlT_E_NS1_11comp_targetILNS1_3genE2ELNS1_11target_archE906ELNS1_3gpuE6ELNS1_3repE0EEENS1_30default_config_static_selectorELNS0_4arch9wavefront6targetE1EEEvT1_ ; -- Begin function _ZN7rocprim17ROCPRIM_400000_NS6detail17trampoline_kernelINS0_14default_configENS1_35adjacent_difference_config_selectorILb1EtEEZNS1_24adjacent_difference_implIS3_Lb1ELb0EPtS7_N6thrust23THRUST_200600_302600_NS5minusItEEEE10hipError_tPvRmT2_T3_mT4_P12ihipStream_tbEUlT_E_NS1_11comp_targetILNS1_3genE2ELNS1_11target_archE906ELNS1_3gpuE6ELNS1_3repE0EEENS1_30default_config_static_selectorELNS0_4arch9wavefront6targetE1EEEvT1_
	.globl	_ZN7rocprim17ROCPRIM_400000_NS6detail17trampoline_kernelINS0_14default_configENS1_35adjacent_difference_config_selectorILb1EtEEZNS1_24adjacent_difference_implIS3_Lb1ELb0EPtS7_N6thrust23THRUST_200600_302600_NS5minusItEEEE10hipError_tPvRmT2_T3_mT4_P12ihipStream_tbEUlT_E_NS1_11comp_targetILNS1_3genE2ELNS1_11target_archE906ELNS1_3gpuE6ELNS1_3repE0EEENS1_30default_config_static_selectorELNS0_4arch9wavefront6targetE1EEEvT1_
	.p2align	8
	.type	_ZN7rocprim17ROCPRIM_400000_NS6detail17trampoline_kernelINS0_14default_configENS1_35adjacent_difference_config_selectorILb1EtEEZNS1_24adjacent_difference_implIS3_Lb1ELb0EPtS7_N6thrust23THRUST_200600_302600_NS5minusItEEEE10hipError_tPvRmT2_T3_mT4_P12ihipStream_tbEUlT_E_NS1_11comp_targetILNS1_3genE2ELNS1_11target_archE906ELNS1_3gpuE6ELNS1_3repE0EEENS1_30default_config_static_selectorELNS0_4arch9wavefront6targetE1EEEvT1_,@function
_ZN7rocprim17ROCPRIM_400000_NS6detail17trampoline_kernelINS0_14default_configENS1_35adjacent_difference_config_selectorILb1EtEEZNS1_24adjacent_difference_implIS3_Lb1ELb0EPtS7_N6thrust23THRUST_200600_302600_NS5minusItEEEE10hipError_tPvRmT2_T3_mT4_P12ihipStream_tbEUlT_E_NS1_11comp_targetILNS1_3genE2ELNS1_11target_archE906ELNS1_3gpuE6ELNS1_3repE0EEENS1_30default_config_static_selectorELNS0_4arch9wavefront6targetE1EEEvT1_: ; @_ZN7rocprim17ROCPRIM_400000_NS6detail17trampoline_kernelINS0_14default_configENS1_35adjacent_difference_config_selectorILb1EtEEZNS1_24adjacent_difference_implIS3_Lb1ELb0EPtS7_N6thrust23THRUST_200600_302600_NS5minusItEEEE10hipError_tPvRmT2_T3_mT4_P12ihipStream_tbEUlT_E_NS1_11comp_targetILNS1_3genE2ELNS1_11target_archE906ELNS1_3gpuE6ELNS1_3repE0EEENS1_30default_config_static_selectorELNS0_4arch9wavefront6targetE1EEEvT1_
; %bb.0:
	s_load_dwordx8 s[36:43], s[4:5], 0x0
	s_load_dwordx4 s[8:11], s[4:5], 0x28
	s_mul_i32 s44, s6, 0x440
	s_mov_b32 s7, 0
	s_mov_b64 s[14:15], -1
	s_waitcnt lgkmcnt(0)
	s_lshl_b64 s[38:39], s[38:39], 1
	s_add_u32 s18, s36, s38
	s_addc_u32 s19, s37, s39
	s_mul_i32 s3, s43, 0xf0f0f0f1
	s_mul_hi_u32 s4, s42, 0xf0f0f0f1
	s_mul_hi_u32 s2, s43, 0xf0f0f0f1
	s_add_u32 s3, s3, s4
	s_mul_i32 s1, s42, 0xf0f0f0f0
	s_addc_u32 s2, s2, 0
	s_mul_hi_u32 s0, s42, 0xf0f0f0f0
	s_add_u32 s1, s1, s3
	s_addc_u32 s0, s0, 0
	s_add_u32 s0, s2, s0
	s_addc_u32 s1, 0, 0
	s_mul_i32 s3, s43, 0xf0f0f0f0
	s_mul_hi_u32 s2, s43, 0xf0f0f0f0
	s_add_u32 s0, s3, s0
	s_addc_u32 s1, s2, s1
	s_lshr_b64 s[2:3], s[0:1], 10
	s_lshr_b32 s0, s1, 10
	s_mulk_i32 s0, 0x440
	s_mul_hi_u32 s1, s2, 0x440
	s_add_i32 s1, s1, s0
	s_mul_i32 s0, s2, 0x440
	s_sub_u32 s0, s42, s0
	s_subb_u32 s1, s43, s1
	s_cmp_lg_u64 s[0:1], 0
	s_cselect_b64 s[0:1], -1, 0
	v_cndmask_b32_e64 v1, 0, 1, s[0:1]
	v_readfirstlane_b32 s0, v1
	s_add_u32 s2, s2, s0
	s_addc_u32 s3, s3, 0
	s_add_u32 s4, s10, s6
	s_addc_u32 s5, s11, 0
	s_add_u32 s12, s2, -1
	s_addc_u32 s13, s3, -1
	v_mov_b32_e32 v1, s12
	v_mov_b32_e32 v2, s13
	v_cmp_ge_u64_e64 s[0:1], s[4:5], v[1:2]
	s_mul_i32 s33, s12, 0xfffffbc0
	s_and_b64 vcc, exec, s[0:1]
	s_cbranch_vccz .LBB228_36
; %bb.1:
	s_mov_b32 s45, s7
	s_add_i32 s20, s33, s42
	s_lshl_b64 s[14:15], s[44:45], 1
	s_add_u32 s14, s18, s14
	v_mov_b32_e32 v1, 0
	s_addc_u32 s15, s19, s15
	v_cmp_gt_u32_e32 vcc, s20, v0
	v_mov_b32_e32 v2, v1
	v_mov_b32_e32 v3, v1
	;; [unrolled: 1-line block ×8, first 2 shown]
	s_and_saveexec_b64 s[16:17], vcc
	s_cbranch_execz .LBB228_3
; %bb.2:
	v_lshlrev_b32_e32 v2, 1, v0
	global_load_ushort v10, v2, s[14:15]
	v_mov_b32_e32 v2, v1
	v_mov_b32_e32 v3, v1
	;; [unrolled: 1-line block ×8, first 2 shown]
	s_waitcnt vmcnt(0)
	v_and_b32_e32 v1, 0xffff, v10
.LBB228_3:
	s_or_b64 exec, exec, s[16:17]
	v_or_b32_e32 v10, 64, v0
	v_cmp_gt_u32_e32 vcc, s20, v10
	s_and_saveexec_b64 s[16:17], vcc
	s_cbranch_execz .LBB228_5
; %bb.4:
	v_lshlrev_b32_e32 v10, 1, v0
	global_load_ushort v10, v10, s[14:15] offset:128
	s_mov_b32 s21, 0x5040100
	s_waitcnt vmcnt(0)
	v_perm_b32 v1, v10, v1, s21
.LBB228_5:
	s_or_b64 exec, exec, s[16:17]
	v_or_b32_e32 v10, 0x80, v0
	v_cmp_gt_u32_e32 vcc, s20, v10
	s_and_saveexec_b64 s[16:17], vcc
	s_cbranch_execz .LBB228_7
; %bb.6:
	v_lshlrev_b32_e32 v10, 1, v0
	global_load_ushort v10, v10, s[14:15] offset:256
	s_mov_b32 s21, 0xffff
	s_waitcnt vmcnt(0)
	v_bfi_b32 v2, s21, v10, v2
.LBB228_7:
	s_or_b64 exec, exec, s[16:17]
	v_or_b32_e32 v10, 0xc0, v0
	v_cmp_gt_u32_e32 vcc, s20, v10
	s_and_saveexec_b64 s[16:17], vcc
	s_cbranch_execz .LBB228_9
; %bb.8:
	v_lshlrev_b32_e32 v10, 1, v0
	global_load_ushort v10, v10, s[14:15] offset:384
	s_mov_b32 s21, 0x5040100
	s_waitcnt vmcnt(0)
	v_perm_b32 v2, v10, v2, s21
.LBB228_9:
	s_or_b64 exec, exec, s[16:17]
	v_or_b32_e32 v10, 0x100, v0
	v_cmp_gt_u32_e32 vcc, s20, v10
	s_and_saveexec_b64 s[16:17], vcc
	s_cbranch_execz .LBB228_11
; %bb.10:
	v_lshlrev_b32_e32 v10, 1, v0
	global_load_ushort v10, v10, s[14:15] offset:512
	s_mov_b32 s21, 0xffff
	s_waitcnt vmcnt(0)
	v_bfi_b32 v3, s21, v10, v3
.LBB228_11:
	;; [unrolled: 24-line block ×7, first 2 shown]
	s_or_b64 exec, exec, s[16:17]
	v_or_b32_e32 v10, 0x3c0, v0
	v_cmp_gt_u32_e32 vcc, s20, v10
	s_and_saveexec_b64 s[16:17], vcc
	s_cbranch_execz .LBB228_33
; %bb.32:
	v_lshlrev_b32_e32 v10, 1, v0
	global_load_ushort v10, v10, s[14:15] offset:1920
	s_mov_b32 s21, 0x5040100
	s_waitcnt vmcnt(0)
	v_perm_b32 v8, v10, v8, s21
.LBB228_33:
	s_or_b64 exec, exec, s[16:17]
	v_or_b32_e32 v10, 0x400, v0
	v_cmp_gt_u32_e32 vcc, s20, v10
	s_and_saveexec_b64 s[16:17], vcc
	s_cbranch_execz .LBB228_35
; %bb.34:
	v_lshlrev_b32_e32 v9, 1, v0
	global_load_ushort v9, v9, s[14:15] offset:2048
.LBB228_35:
	s_or_b64 exec, exec, s[16:17]
	v_lshlrev_b32_e32 v10, 1, v0
	s_mov_b64 s[14:15], 0
	ds_write_b16 v10, v1
	ds_write_b16_d16_hi v10, v1 offset:128
	ds_write_b16 v10, v2 offset:256
	ds_write_b16_d16_hi v10, v2 offset:384
	ds_write_b16 v10, v3 offset:512
	;; [unrolled: 2-line block ×7, first 2 shown]
	ds_write_b16_d16_hi v10, v8 offset:1920
	s_waitcnt vmcnt(0)
	ds_write_b16 v10, v9 offset:2048
	s_waitcnt lgkmcnt(0)
	; wave barrier
.LBB228_36:
	s_and_b64 vcc, exec, s[14:15]
	v_lshlrev_b32_e32 v9, 1, v0
	s_cbranch_vccz .LBB228_38
; %bb.37:
	s_mov_b32 s45, 0
	s_lshl_b64 s[14:15], s[44:45], 1
	s_add_u32 s14, s18, s14
	s_addc_u32 s15, s19, s15
	global_load_ushort v1, v9, s[14:15]
	global_load_ushort v2, v9, s[14:15] offset:128
	global_load_ushort v3, v9, s[14:15] offset:256
	;; [unrolled: 1-line block ×16, first 2 shown]
	s_waitcnt vmcnt(16)
	ds_write_b16 v9, v1
	s_waitcnt vmcnt(15)
	ds_write_b16 v9, v2 offset:128
	s_waitcnt vmcnt(14)
	ds_write_b16 v9, v3 offset:256
	;; [unrolled: 2-line block ×16, first 2 shown]
	s_waitcnt lgkmcnt(0)
	; wave barrier
.LBB228_38:
	v_mul_u32_u24_e32 v10, 34, v0
	ds_read_b128 v[5:8], v10
	ds_read_b128 v[1:4], v10 offset:16
	ds_read_u16 v14, v10 offset:32
	s_cmp_eq_u64 s[4:5], 0
	s_waitcnt lgkmcnt(0)
	v_lshrrev_b32_e32 v12, 16, v5
	v_lshrrev_b32_e32 v13, 16, v6
	;; [unrolled: 1-line block ×8, first 2 shown]
	; wave barrier
	s_cbranch_scc1 .LBB228_43
; %bb.39:
	s_lshl_b64 s[10:11], s[10:11], 1
	s_add_u32 s8, s8, s10
	s_addc_u32 s9, s9, s11
	s_lshl_b64 s[6:7], s[6:7], 1
	s_add_u32 s6, s8, s6
	s_addc_u32 s7, s9, s7
	v_mov_b32_e32 v11, 0
	global_load_ushort v37, v11, s[6:7] offset:-2
	s_cmp_eq_u64 s[4:5], s[12:13]
	s_cbranch_scc1 .LBB228_44
; %bb.40:
	v_cmp_ne_u32_e32 vcc, 0, v0
	s_waitcnt vmcnt(0)
	v_mov_b32_e32 v11, v37
	ds_write_b16 v9, v14
	s_waitcnt lgkmcnt(0)
	; wave barrier
	s_and_saveexec_b64 s[6:7], vcc
; %bb.41:
	v_add_u32_e32 v11, -2, v9
	ds_read_u16 v11, v11
; %bb.42:
	s_or_b64 exec, exec, s[6:7]
	s_waitcnt lgkmcnt(0)
	v_sub_u16_e32 v11, v5, v11
	s_mov_b64 s[6:7], 0
	s_branch .LBB228_45
.LBB228_43:
                                        ; implicit-def: $vgpr21
                                        ; implicit-def: $vgpr22
                                        ; implicit-def: $vgpr23
                                        ; implicit-def: $vgpr11
                                        ; implicit-def: $vgpr36
                                        ; implicit-def: $vgpr35
                                        ; implicit-def: $vgpr34
                                        ; implicit-def: $vgpr33
                                        ; implicit-def: $vgpr32
                                        ; implicit-def: $vgpr24
                                        ; implicit-def: $vgpr25
                                        ; implicit-def: $vgpr31
                                        ; implicit-def: $vgpr30
                                        ; implicit-def: $vgpr29
                                        ; implicit-def: $vgpr28
                                        ; implicit-def: $vgpr27
                                        ; implicit-def: $vgpr26
	s_branch .LBB228_50
.LBB228_44:
	s_mov_b64 s[6:7], -1
                                        ; implicit-def: $vgpr11
.LBB228_45:
	s_and_b64 vcc, exec, s[6:7]
	v_mov_b32_e32 v21, v20
	v_mov_b32_e32 v22, v4
	;; [unrolled: 1-line block ×16, first 2 shown]
	s_cbranch_vccz .LBB228_49
; %bb.46:
	v_mul_u32_u24_e32 v11, 17, v0
	v_cmp_ne_u32_e32 vcc, 0, v0
	ds_write_b16 v9, v14
	s_waitcnt lgkmcnt(0)
	; wave barrier
	s_and_saveexec_b64 s[6:7], vcc
	s_cbranch_execz .LBB228_48
; %bb.47:
	v_add_u32_e32 v21, -2, v9
	s_waitcnt vmcnt(0)
	ds_read_u16 v37, v21
.LBB228_48:
	s_or_b64 exec, exec, s[6:7]
	s_mulk_i32 s4, 0xfbc0
	s_add_i32 s4, s4, s42
	v_add_u32_e32 v21, 16, v11
	v_cmp_gt_u32_e32 vcc, s4, v21
	v_add_u32_e32 v22, 15, v11
	v_cndmask_b32_e32 v21, 0, v20, vcc
	v_cmp_gt_u32_e32 vcc, s4, v22
	v_add_u32_e32 v23, 14, v11
	v_cndmask_b32_e32 v22, 0, v4, vcc
	;; [unrolled: 3-line block ×15, first 2 shown]
	v_cmp_gt_u32_e32 vcc, s4, v36
	v_cndmask_b32_e32 v36, 0, v5, vcc
	v_cmp_gt_u32_e32 vcc, s4, v11
	s_waitcnt vmcnt(0) lgkmcnt(0)
	v_cndmask_b32_e32 v11, 0, v37, vcc
	v_sub_u16_e32 v11, v5, v11
.LBB228_49:
	s_cbranch_execnz .LBB228_60
.LBB228_50:
	s_cmp_eq_u64 s[2:3], 1
	v_cmp_ne_u32_e32 vcc, 0, v0
	s_cbranch_scc1 .LBB228_55
; %bb.51:
	v_mov_b32_e32 v11, v5
	ds_write_b16 v9, v14
	s_waitcnt lgkmcnt(0)
	; wave barrier
	s_and_saveexec_b64 s[2:3], vcc
	s_cbranch_execz .LBB228_53
; %bb.52:
	v_add_u32_e32 v11, -2, v9
	ds_read_u16 v11, v11
	s_waitcnt lgkmcnt(0)
	v_sub_u16_e32 v11, v5, v11
.LBB228_53:
	s_or_b64 exec, exec, s[2:3]
	s_cbranch_execz .LBB228_56
; %bb.54:
	v_mov_b32_e32 v21, v20
	v_mov_b32_e32 v22, v4
	v_mov_b32_e32 v23, v19
	v_mov_b32_e32 v35, v12
	v_mov_b32_e32 v34, v6
	v_mov_b32_e32 v33, v13
	v_mov_b32_e32 v32, v7
	v_mov_b32_e32 v24, v15
	v_mov_b32_e32 v25, v8
	v_mov_b32_e32 v31, v16
	v_mov_b32_e32 v30, v1
	v_mov_b32_e32 v29, v17
	v_mov_b32_e32 v28, v2
	v_mov_b32_e32 v27, v18
	v_mov_b32_e32 v26, v3
	s_branch .LBB228_59
.LBB228_55:
                                        ; implicit-def: $vgpr11
.LBB228_56:
	v_mad_u32_u24 v21, v0, 17, 16
	v_cmp_gt_u32_e32 vcc, s42, v21
	v_mad_u32_u24 v21, v0, 17, 15
	v_cmp_gt_u32_e64 s[2:3], s42, v21
	v_mad_u32_u24 v21, v0, 17, 14
	v_cmp_gt_u32_e64 s[4:5], s42, v21
	;; [unrolled: 2-line block ×12, first 2 shown]
	v_mad_u32_u24 v21, v0, 17, 3
	v_mul_u32_u24_e32 v11, 17, v0
	v_cmp_gt_u32_e64 s[26:27], s42, v21
	v_mad_u32_u24 v21, v0, 17, 2
	v_cmp_gt_u32_e64 s[28:29], s42, v21
	v_mad_u32_u24 v21, v0, 17, 1
	v_cmp_ne_u32_e64 s[34:35], 0, v0
	v_cmp_gt_u32_e64 s[36:37], s42, v11
	v_cmp_gt_u32_e64 s[30:31], s42, v21
	s_and_b64 s[36:37], s[34:35], s[36:37]
	v_mov_b32_e32 v11, v5
	ds_write_b16 v9, v14
	s_waitcnt lgkmcnt(0)
	; wave barrier
	s_and_saveexec_b64 s[34:35], s[36:37]
	s_cbranch_execz .LBB228_58
; %bb.57:
	v_add_u32_e32 v11, -2, v9
	ds_read_u16 v11, v11
	s_waitcnt lgkmcnt(0)
	v_sub_u16_e32 v11, v5, v11
.LBB228_58:
	s_or_b64 exec, exec, s[34:35]
	v_cndmask_b32_e32 v21, 0, v20, vcc
	v_cndmask_b32_e64 v22, 0, v4, s[2:3]
	v_cndmask_b32_e64 v23, 0, v19, s[4:5]
	;; [unrolled: 1-line block ×15, first 2 shown]
.LBB228_59:
	v_mov_b32_e32 v36, v5
.LBB228_60:
	s_add_u32 s4, s40, s38
	s_addc_u32 s5, s41, s39
	v_sub_u16_e32 v5, v14, v21
	v_sub_u16_e32 v14, v20, v22
	;; [unrolled: 1-line block ×16, first 2 shown]
	s_and_b64 vcc, exec, s[0:1]
	v_lshlrev_b32_e32 v3, 5, v0
	; wave barrier
	s_cbranch_vccz .LBB228_94
; %bb.61:
	s_mov_b32 s2, 0x5040100
	v_perm_b32 v29, v25, v24, s2
	v_perm_b32 v28, v23, v22, s2
	;; [unrolled: 1-line block ×4, first 2 shown]
	ds_write_b128 v10, v[26:29]
	v_perm_b32 v29, v14, v4, s2
	v_perm_b32 v28, v16, v15, s2
	;; [unrolled: 1-line block ×4, first 2 shown]
	v_sub_u32_e32 v1, v10, v3
	ds_write_b128 v10, v[26:29] offset:16
	ds_write_b16 v10, v5 offset:32
	s_waitcnt lgkmcnt(0)
	; wave barrier
	ds_read_u16 v38, v1 offset:128
	s_waitcnt vmcnt(0)
	ds_read_u16 v37, v1 offset:256
	ds_read_u16 v36, v1 offset:384
	;; [unrolled: 1-line block ×15, first 2 shown]
	s_mov_b32 s45, 0
	s_add_i32 s33, s33, s42
	s_lshl_b64 s[0:1], s[44:45], 1
	s_add_u32 s0, s4, s0
	s_addc_u32 s1, s5, s1
	v_mov_b32_e32 v2, s1
	v_add_co_u32_e32 v1, vcc, s0, v9
	v_addc_co_u32_e32 v2, vcc, 0, v2, vcc
	v_cmp_gt_u32_e32 vcc, s33, v0
	s_and_saveexec_b64 s[0:1], vcc
	s_cbranch_execz .LBB228_63
; %bb.62:
	v_sub_u32_e32 v39, 0, v3
	v_add_u32_e32 v39, v10, v39
	ds_read_u16 v39, v39
	s_waitcnt lgkmcnt(0)
	global_store_short v[1:2], v39, off
.LBB228_63:
	s_or_b64 exec, exec, s[0:1]
	v_or_b32_e32 v39, 64, v0
	v_cmp_gt_u32_e32 vcc, s33, v39
	s_and_saveexec_b64 s[0:1], vcc
	s_cbranch_execz .LBB228_65
; %bb.64:
	s_waitcnt lgkmcnt(14)
	global_store_short v[1:2], v38, off offset:128
.LBB228_65:
	s_or_b64 exec, exec, s[0:1]
	s_waitcnt lgkmcnt(14)
	v_or_b32_e32 v38, 0x80, v0
	v_cmp_gt_u32_e32 vcc, s33, v38
	s_and_saveexec_b64 s[0:1], vcc
	s_cbranch_execz .LBB228_67
; %bb.66:
	global_store_short v[1:2], v37, off offset:256
.LBB228_67:
	s_or_b64 exec, exec, s[0:1]
	v_or_b32_e32 v37, 0xc0, v0
	v_cmp_gt_u32_e32 vcc, s33, v37
	s_and_saveexec_b64 s[0:1], vcc
	s_cbranch_execz .LBB228_69
; %bb.68:
	s_waitcnt lgkmcnt(13)
	global_store_short v[1:2], v36, off offset:384
.LBB228_69:
	s_or_b64 exec, exec, s[0:1]
	s_waitcnt lgkmcnt(13)
	v_or_b32_e32 v36, 0x100, v0
	v_cmp_gt_u32_e32 vcc, s33, v36
	s_and_saveexec_b64 s[0:1], vcc
	s_cbranch_execz .LBB228_71
; %bb.70:
	s_waitcnt lgkmcnt(12)
	global_store_short v[1:2], v35, off offset:512
.LBB228_71:
	s_or_b64 exec, exec, s[0:1]
	s_waitcnt lgkmcnt(12)
	;; [unrolled: 10-line block ×6, first 2 shown]
	v_or_b32_e32 v30, 0x240, v0
	v_cmp_gt_u32_e32 vcc, s33, v30
	s_and_saveexec_b64 s[0:1], vcc
	s_cbranch_execz .LBB228_81
; %bb.80:
	s_waitcnt lgkmcnt(7)
	global_store_short v[1:2], v31, off offset:1152
.LBB228_81:
	s_or_b64 exec, exec, s[0:1]
	v_or_b32_e32 v30, 0x280, v0
	v_cmp_gt_u32_e32 vcc, s33, v30
	s_and_saveexec_b64 s[0:1], vcc
	s_cbranch_execz .LBB228_83
; %bb.82:
	s_waitcnt lgkmcnt(6)
	global_store_short v[1:2], v29, off offset:1280
.LBB228_83:
	s_or_b64 exec, exec, s[0:1]
	s_waitcnt lgkmcnt(6)
	v_or_b32_e32 v29, 0x2c0, v0
	v_cmp_gt_u32_e32 vcc, s33, v29
	s_and_saveexec_b64 s[0:1], vcc
	s_cbranch_execz .LBB228_85
; %bb.84:
	s_waitcnt lgkmcnt(5)
	global_store_short v[1:2], v28, off offset:1408
.LBB228_85:
	s_or_b64 exec, exec, s[0:1]
	s_waitcnt lgkmcnt(5)
	;; [unrolled: 10-line block ×5, first 2 shown]
	v_or_b32_e32 v19, 0x3c0, v0
	v_cmp_gt_u32_e32 vcc, s33, v19
	s_and_saveexec_b64 s[0:1], vcc
	s_cbranch_execz .LBB228_93
; %bb.92:
	s_waitcnt lgkmcnt(1)
	global_store_short v[1:2], v18, off offset:1920
.LBB228_93:
	s_or_b64 exec, exec, s[0:1]
	v_or_b32_e32 v0, 0x400, v0
	v_cmp_gt_u32_e64 s[0:1], s33, v0
	s_branch .LBB228_96
.LBB228_94:
	s_mov_b64 s[0:1], 0
                                        ; implicit-def: $vgpr17
                                        ; implicit-def: $vgpr1_vgpr2
	s_cbranch_execz .LBB228_96
; %bb.95:
	s_mov_b32 s45, 0
	s_lshl_b64 s[2:3], s[44:45], 1
	s_add_u32 s2, s4, s2
	s_mov_b32 s4, 0x5040100
	v_perm_b32 v24, v25, v24, s4
	v_perm_b32 v23, v23, v22, s4
	;; [unrolled: 1-line block ×4, first 2 shown]
	s_waitcnt lgkmcnt(0)
	v_perm_b32 v17, v14, v4, s4
	v_perm_b32 v16, v16, v15, s4
	;; [unrolled: 1-line block ×4, first 2 shown]
	v_sub_u32_e32 v0, v10, v3
	ds_write_b128 v10, v[21:24]
	ds_write_b128 v10, v[14:17] offset:16
	ds_write_b16 v10, v5 offset:32
	s_waitcnt lgkmcnt(0)
	; wave barrier
	ds_read_u16 v3, v0
	ds_read_u16 v4, v0 offset:128
	ds_read_u16 v5, v0 offset:256
	;; [unrolled: 1-line block ×16, first 2 shown]
	s_addc_u32 s3, s5, s3
	v_mov_b32_e32 v0, s3
	v_add_co_u32_e32 v1, vcc, s2, v9
	v_addc_co_u32_e32 v2, vcc, 0, v0, vcc
	s_or_b64 s[0:1], s[0:1], exec
	s_waitcnt lgkmcnt(14)
	global_store_short v9, v3, s[2:3]
	global_store_short v9, v4, s[2:3] offset:128
	global_store_short v9, v5, s[2:3] offset:256
	s_waitcnt lgkmcnt(13)
	global_store_short v9, v6, s[2:3] offset:384
	s_waitcnt lgkmcnt(12)
	;; [unrolled: 2-line block ×13, first 2 shown]
	global_store_short v9, v20, s[2:3] offset:1920
.LBB228_96:
	s_and_saveexec_b64 s[2:3], s[0:1]
	s_cbranch_execnz .LBB228_98
; %bb.97:
	s_endpgm
.LBB228_98:
	s_waitcnt lgkmcnt(0)
	global_store_short v[1:2], v17, off offset:2048
	s_endpgm
	.section	.rodata,"a",@progbits
	.p2align	6, 0x0
	.amdhsa_kernel _ZN7rocprim17ROCPRIM_400000_NS6detail17trampoline_kernelINS0_14default_configENS1_35adjacent_difference_config_selectorILb1EtEEZNS1_24adjacent_difference_implIS3_Lb1ELb0EPtS7_N6thrust23THRUST_200600_302600_NS5minusItEEEE10hipError_tPvRmT2_T3_mT4_P12ihipStream_tbEUlT_E_NS1_11comp_targetILNS1_3genE2ELNS1_11target_archE906ELNS1_3gpuE6ELNS1_3repE0EEENS1_30default_config_static_selectorELNS0_4arch9wavefront6targetE1EEEvT1_
		.amdhsa_group_segment_fixed_size 2176
		.amdhsa_private_segment_fixed_size 0
		.amdhsa_kernarg_size 56
		.amdhsa_user_sgpr_count 6
		.amdhsa_user_sgpr_private_segment_buffer 1
		.amdhsa_user_sgpr_dispatch_ptr 0
		.amdhsa_user_sgpr_queue_ptr 0
		.amdhsa_user_sgpr_kernarg_segment_ptr 1
		.amdhsa_user_sgpr_dispatch_id 0
		.amdhsa_user_sgpr_flat_scratch_init 0
		.amdhsa_user_sgpr_private_segment_size 0
		.amdhsa_uses_dynamic_stack 0
		.amdhsa_system_sgpr_private_segment_wavefront_offset 0
		.amdhsa_system_sgpr_workgroup_id_x 1
		.amdhsa_system_sgpr_workgroup_id_y 0
		.amdhsa_system_sgpr_workgroup_id_z 0
		.amdhsa_system_sgpr_workgroup_info 0
		.amdhsa_system_vgpr_workitem_id 0
		.amdhsa_next_free_vgpr 40
		.amdhsa_next_free_sgpr 61
		.amdhsa_reserve_vcc 1
		.amdhsa_reserve_flat_scratch 0
		.amdhsa_float_round_mode_32 0
		.amdhsa_float_round_mode_16_64 0
		.amdhsa_float_denorm_mode_32 3
		.amdhsa_float_denorm_mode_16_64 3
		.amdhsa_dx10_clamp 1
		.amdhsa_ieee_mode 1
		.amdhsa_fp16_overflow 0
		.amdhsa_exception_fp_ieee_invalid_op 0
		.amdhsa_exception_fp_denorm_src 0
		.amdhsa_exception_fp_ieee_div_zero 0
		.amdhsa_exception_fp_ieee_overflow 0
		.amdhsa_exception_fp_ieee_underflow 0
		.amdhsa_exception_fp_ieee_inexact 0
		.amdhsa_exception_int_div_zero 0
	.end_amdhsa_kernel
	.section	.text._ZN7rocprim17ROCPRIM_400000_NS6detail17trampoline_kernelINS0_14default_configENS1_35adjacent_difference_config_selectorILb1EtEEZNS1_24adjacent_difference_implIS3_Lb1ELb0EPtS7_N6thrust23THRUST_200600_302600_NS5minusItEEEE10hipError_tPvRmT2_T3_mT4_P12ihipStream_tbEUlT_E_NS1_11comp_targetILNS1_3genE2ELNS1_11target_archE906ELNS1_3gpuE6ELNS1_3repE0EEENS1_30default_config_static_selectorELNS0_4arch9wavefront6targetE1EEEvT1_,"axG",@progbits,_ZN7rocprim17ROCPRIM_400000_NS6detail17trampoline_kernelINS0_14default_configENS1_35adjacent_difference_config_selectorILb1EtEEZNS1_24adjacent_difference_implIS3_Lb1ELb0EPtS7_N6thrust23THRUST_200600_302600_NS5minusItEEEE10hipError_tPvRmT2_T3_mT4_P12ihipStream_tbEUlT_E_NS1_11comp_targetILNS1_3genE2ELNS1_11target_archE906ELNS1_3gpuE6ELNS1_3repE0EEENS1_30default_config_static_selectorELNS0_4arch9wavefront6targetE1EEEvT1_,comdat
.Lfunc_end228:
	.size	_ZN7rocprim17ROCPRIM_400000_NS6detail17trampoline_kernelINS0_14default_configENS1_35adjacent_difference_config_selectorILb1EtEEZNS1_24adjacent_difference_implIS3_Lb1ELb0EPtS7_N6thrust23THRUST_200600_302600_NS5minusItEEEE10hipError_tPvRmT2_T3_mT4_P12ihipStream_tbEUlT_E_NS1_11comp_targetILNS1_3genE2ELNS1_11target_archE906ELNS1_3gpuE6ELNS1_3repE0EEENS1_30default_config_static_selectorELNS0_4arch9wavefront6targetE1EEEvT1_, .Lfunc_end228-_ZN7rocprim17ROCPRIM_400000_NS6detail17trampoline_kernelINS0_14default_configENS1_35adjacent_difference_config_selectorILb1EtEEZNS1_24adjacent_difference_implIS3_Lb1ELb0EPtS7_N6thrust23THRUST_200600_302600_NS5minusItEEEE10hipError_tPvRmT2_T3_mT4_P12ihipStream_tbEUlT_E_NS1_11comp_targetILNS1_3genE2ELNS1_11target_archE906ELNS1_3gpuE6ELNS1_3repE0EEENS1_30default_config_static_selectorELNS0_4arch9wavefront6targetE1EEEvT1_
                                        ; -- End function
	.set _ZN7rocprim17ROCPRIM_400000_NS6detail17trampoline_kernelINS0_14default_configENS1_35adjacent_difference_config_selectorILb1EtEEZNS1_24adjacent_difference_implIS3_Lb1ELb0EPtS7_N6thrust23THRUST_200600_302600_NS5minusItEEEE10hipError_tPvRmT2_T3_mT4_P12ihipStream_tbEUlT_E_NS1_11comp_targetILNS1_3genE2ELNS1_11target_archE906ELNS1_3gpuE6ELNS1_3repE0EEENS1_30default_config_static_selectorELNS0_4arch9wavefront6targetE1EEEvT1_.num_vgpr, 40
	.set _ZN7rocprim17ROCPRIM_400000_NS6detail17trampoline_kernelINS0_14default_configENS1_35adjacent_difference_config_selectorILb1EtEEZNS1_24adjacent_difference_implIS3_Lb1ELb0EPtS7_N6thrust23THRUST_200600_302600_NS5minusItEEEE10hipError_tPvRmT2_T3_mT4_P12ihipStream_tbEUlT_E_NS1_11comp_targetILNS1_3genE2ELNS1_11target_archE906ELNS1_3gpuE6ELNS1_3repE0EEENS1_30default_config_static_selectorELNS0_4arch9wavefront6targetE1EEEvT1_.num_agpr, 0
	.set _ZN7rocprim17ROCPRIM_400000_NS6detail17trampoline_kernelINS0_14default_configENS1_35adjacent_difference_config_selectorILb1EtEEZNS1_24adjacent_difference_implIS3_Lb1ELb0EPtS7_N6thrust23THRUST_200600_302600_NS5minusItEEEE10hipError_tPvRmT2_T3_mT4_P12ihipStream_tbEUlT_E_NS1_11comp_targetILNS1_3genE2ELNS1_11target_archE906ELNS1_3gpuE6ELNS1_3repE0EEENS1_30default_config_static_selectorELNS0_4arch9wavefront6targetE1EEEvT1_.numbered_sgpr, 46
	.set _ZN7rocprim17ROCPRIM_400000_NS6detail17trampoline_kernelINS0_14default_configENS1_35adjacent_difference_config_selectorILb1EtEEZNS1_24adjacent_difference_implIS3_Lb1ELb0EPtS7_N6thrust23THRUST_200600_302600_NS5minusItEEEE10hipError_tPvRmT2_T3_mT4_P12ihipStream_tbEUlT_E_NS1_11comp_targetILNS1_3genE2ELNS1_11target_archE906ELNS1_3gpuE6ELNS1_3repE0EEENS1_30default_config_static_selectorELNS0_4arch9wavefront6targetE1EEEvT1_.num_named_barrier, 0
	.set _ZN7rocprim17ROCPRIM_400000_NS6detail17trampoline_kernelINS0_14default_configENS1_35adjacent_difference_config_selectorILb1EtEEZNS1_24adjacent_difference_implIS3_Lb1ELb0EPtS7_N6thrust23THRUST_200600_302600_NS5minusItEEEE10hipError_tPvRmT2_T3_mT4_P12ihipStream_tbEUlT_E_NS1_11comp_targetILNS1_3genE2ELNS1_11target_archE906ELNS1_3gpuE6ELNS1_3repE0EEENS1_30default_config_static_selectorELNS0_4arch9wavefront6targetE1EEEvT1_.private_seg_size, 0
	.set _ZN7rocprim17ROCPRIM_400000_NS6detail17trampoline_kernelINS0_14default_configENS1_35adjacent_difference_config_selectorILb1EtEEZNS1_24adjacent_difference_implIS3_Lb1ELb0EPtS7_N6thrust23THRUST_200600_302600_NS5minusItEEEE10hipError_tPvRmT2_T3_mT4_P12ihipStream_tbEUlT_E_NS1_11comp_targetILNS1_3genE2ELNS1_11target_archE906ELNS1_3gpuE6ELNS1_3repE0EEENS1_30default_config_static_selectorELNS0_4arch9wavefront6targetE1EEEvT1_.uses_vcc, 1
	.set _ZN7rocprim17ROCPRIM_400000_NS6detail17trampoline_kernelINS0_14default_configENS1_35adjacent_difference_config_selectorILb1EtEEZNS1_24adjacent_difference_implIS3_Lb1ELb0EPtS7_N6thrust23THRUST_200600_302600_NS5minusItEEEE10hipError_tPvRmT2_T3_mT4_P12ihipStream_tbEUlT_E_NS1_11comp_targetILNS1_3genE2ELNS1_11target_archE906ELNS1_3gpuE6ELNS1_3repE0EEENS1_30default_config_static_selectorELNS0_4arch9wavefront6targetE1EEEvT1_.uses_flat_scratch, 0
	.set _ZN7rocprim17ROCPRIM_400000_NS6detail17trampoline_kernelINS0_14default_configENS1_35adjacent_difference_config_selectorILb1EtEEZNS1_24adjacent_difference_implIS3_Lb1ELb0EPtS7_N6thrust23THRUST_200600_302600_NS5minusItEEEE10hipError_tPvRmT2_T3_mT4_P12ihipStream_tbEUlT_E_NS1_11comp_targetILNS1_3genE2ELNS1_11target_archE906ELNS1_3gpuE6ELNS1_3repE0EEENS1_30default_config_static_selectorELNS0_4arch9wavefront6targetE1EEEvT1_.has_dyn_sized_stack, 0
	.set _ZN7rocprim17ROCPRIM_400000_NS6detail17trampoline_kernelINS0_14default_configENS1_35adjacent_difference_config_selectorILb1EtEEZNS1_24adjacent_difference_implIS3_Lb1ELb0EPtS7_N6thrust23THRUST_200600_302600_NS5minusItEEEE10hipError_tPvRmT2_T3_mT4_P12ihipStream_tbEUlT_E_NS1_11comp_targetILNS1_3genE2ELNS1_11target_archE906ELNS1_3gpuE6ELNS1_3repE0EEENS1_30default_config_static_selectorELNS0_4arch9wavefront6targetE1EEEvT1_.has_recursion, 0
	.set _ZN7rocprim17ROCPRIM_400000_NS6detail17trampoline_kernelINS0_14default_configENS1_35adjacent_difference_config_selectorILb1EtEEZNS1_24adjacent_difference_implIS3_Lb1ELb0EPtS7_N6thrust23THRUST_200600_302600_NS5minusItEEEE10hipError_tPvRmT2_T3_mT4_P12ihipStream_tbEUlT_E_NS1_11comp_targetILNS1_3genE2ELNS1_11target_archE906ELNS1_3gpuE6ELNS1_3repE0EEENS1_30default_config_static_selectorELNS0_4arch9wavefront6targetE1EEEvT1_.has_indirect_call, 0
	.section	.AMDGPU.csdata,"",@progbits
; Kernel info:
; codeLenInByte = 4372
; TotalNumSgprs: 50
; NumVgprs: 40
; ScratchSize: 0
; MemoryBound: 0
; FloatMode: 240
; IeeeMode: 1
; LDSByteSize: 2176 bytes/workgroup (compile time only)
; SGPRBlocks: 8
; VGPRBlocks: 9
; NumSGPRsForWavesPerEU: 65
; NumVGPRsForWavesPerEU: 40
; Occupancy: 6
; WaveLimiterHint : 1
; COMPUTE_PGM_RSRC2:SCRATCH_EN: 0
; COMPUTE_PGM_RSRC2:USER_SGPR: 6
; COMPUTE_PGM_RSRC2:TRAP_HANDLER: 0
; COMPUTE_PGM_RSRC2:TGID_X_EN: 1
; COMPUTE_PGM_RSRC2:TGID_Y_EN: 0
; COMPUTE_PGM_RSRC2:TGID_Z_EN: 0
; COMPUTE_PGM_RSRC2:TIDIG_COMP_CNT: 0
	.section	.text._ZN7rocprim17ROCPRIM_400000_NS6detail17trampoline_kernelINS0_14default_configENS1_35adjacent_difference_config_selectorILb1EtEEZNS1_24adjacent_difference_implIS3_Lb1ELb0EPtS7_N6thrust23THRUST_200600_302600_NS5minusItEEEE10hipError_tPvRmT2_T3_mT4_P12ihipStream_tbEUlT_E_NS1_11comp_targetILNS1_3genE9ELNS1_11target_archE1100ELNS1_3gpuE3ELNS1_3repE0EEENS1_30default_config_static_selectorELNS0_4arch9wavefront6targetE1EEEvT1_,"axG",@progbits,_ZN7rocprim17ROCPRIM_400000_NS6detail17trampoline_kernelINS0_14default_configENS1_35adjacent_difference_config_selectorILb1EtEEZNS1_24adjacent_difference_implIS3_Lb1ELb0EPtS7_N6thrust23THRUST_200600_302600_NS5minusItEEEE10hipError_tPvRmT2_T3_mT4_P12ihipStream_tbEUlT_E_NS1_11comp_targetILNS1_3genE9ELNS1_11target_archE1100ELNS1_3gpuE3ELNS1_3repE0EEENS1_30default_config_static_selectorELNS0_4arch9wavefront6targetE1EEEvT1_,comdat
	.protected	_ZN7rocprim17ROCPRIM_400000_NS6detail17trampoline_kernelINS0_14default_configENS1_35adjacent_difference_config_selectorILb1EtEEZNS1_24adjacent_difference_implIS3_Lb1ELb0EPtS7_N6thrust23THRUST_200600_302600_NS5minusItEEEE10hipError_tPvRmT2_T3_mT4_P12ihipStream_tbEUlT_E_NS1_11comp_targetILNS1_3genE9ELNS1_11target_archE1100ELNS1_3gpuE3ELNS1_3repE0EEENS1_30default_config_static_selectorELNS0_4arch9wavefront6targetE1EEEvT1_ ; -- Begin function _ZN7rocprim17ROCPRIM_400000_NS6detail17trampoline_kernelINS0_14default_configENS1_35adjacent_difference_config_selectorILb1EtEEZNS1_24adjacent_difference_implIS3_Lb1ELb0EPtS7_N6thrust23THRUST_200600_302600_NS5minusItEEEE10hipError_tPvRmT2_T3_mT4_P12ihipStream_tbEUlT_E_NS1_11comp_targetILNS1_3genE9ELNS1_11target_archE1100ELNS1_3gpuE3ELNS1_3repE0EEENS1_30default_config_static_selectorELNS0_4arch9wavefront6targetE1EEEvT1_
	.globl	_ZN7rocprim17ROCPRIM_400000_NS6detail17trampoline_kernelINS0_14default_configENS1_35adjacent_difference_config_selectorILb1EtEEZNS1_24adjacent_difference_implIS3_Lb1ELb0EPtS7_N6thrust23THRUST_200600_302600_NS5minusItEEEE10hipError_tPvRmT2_T3_mT4_P12ihipStream_tbEUlT_E_NS1_11comp_targetILNS1_3genE9ELNS1_11target_archE1100ELNS1_3gpuE3ELNS1_3repE0EEENS1_30default_config_static_selectorELNS0_4arch9wavefront6targetE1EEEvT1_
	.p2align	8
	.type	_ZN7rocprim17ROCPRIM_400000_NS6detail17trampoline_kernelINS0_14default_configENS1_35adjacent_difference_config_selectorILb1EtEEZNS1_24adjacent_difference_implIS3_Lb1ELb0EPtS7_N6thrust23THRUST_200600_302600_NS5minusItEEEE10hipError_tPvRmT2_T3_mT4_P12ihipStream_tbEUlT_E_NS1_11comp_targetILNS1_3genE9ELNS1_11target_archE1100ELNS1_3gpuE3ELNS1_3repE0EEENS1_30default_config_static_selectorELNS0_4arch9wavefront6targetE1EEEvT1_,@function
_ZN7rocprim17ROCPRIM_400000_NS6detail17trampoline_kernelINS0_14default_configENS1_35adjacent_difference_config_selectorILb1EtEEZNS1_24adjacent_difference_implIS3_Lb1ELb0EPtS7_N6thrust23THRUST_200600_302600_NS5minusItEEEE10hipError_tPvRmT2_T3_mT4_P12ihipStream_tbEUlT_E_NS1_11comp_targetILNS1_3genE9ELNS1_11target_archE1100ELNS1_3gpuE3ELNS1_3repE0EEENS1_30default_config_static_selectorELNS0_4arch9wavefront6targetE1EEEvT1_: ; @_ZN7rocprim17ROCPRIM_400000_NS6detail17trampoline_kernelINS0_14default_configENS1_35adjacent_difference_config_selectorILb1EtEEZNS1_24adjacent_difference_implIS3_Lb1ELb0EPtS7_N6thrust23THRUST_200600_302600_NS5minusItEEEE10hipError_tPvRmT2_T3_mT4_P12ihipStream_tbEUlT_E_NS1_11comp_targetILNS1_3genE9ELNS1_11target_archE1100ELNS1_3gpuE3ELNS1_3repE0EEENS1_30default_config_static_selectorELNS0_4arch9wavefront6targetE1EEEvT1_
; %bb.0:
	.section	.rodata,"a",@progbits
	.p2align	6, 0x0
	.amdhsa_kernel _ZN7rocprim17ROCPRIM_400000_NS6detail17trampoline_kernelINS0_14default_configENS1_35adjacent_difference_config_selectorILb1EtEEZNS1_24adjacent_difference_implIS3_Lb1ELb0EPtS7_N6thrust23THRUST_200600_302600_NS5minusItEEEE10hipError_tPvRmT2_T3_mT4_P12ihipStream_tbEUlT_E_NS1_11comp_targetILNS1_3genE9ELNS1_11target_archE1100ELNS1_3gpuE3ELNS1_3repE0EEENS1_30default_config_static_selectorELNS0_4arch9wavefront6targetE1EEEvT1_
		.amdhsa_group_segment_fixed_size 0
		.amdhsa_private_segment_fixed_size 0
		.amdhsa_kernarg_size 56
		.amdhsa_user_sgpr_count 6
		.amdhsa_user_sgpr_private_segment_buffer 1
		.amdhsa_user_sgpr_dispatch_ptr 0
		.amdhsa_user_sgpr_queue_ptr 0
		.amdhsa_user_sgpr_kernarg_segment_ptr 1
		.amdhsa_user_sgpr_dispatch_id 0
		.amdhsa_user_sgpr_flat_scratch_init 0
		.amdhsa_user_sgpr_private_segment_size 0
		.amdhsa_uses_dynamic_stack 0
		.amdhsa_system_sgpr_private_segment_wavefront_offset 0
		.amdhsa_system_sgpr_workgroup_id_x 1
		.amdhsa_system_sgpr_workgroup_id_y 0
		.amdhsa_system_sgpr_workgroup_id_z 0
		.amdhsa_system_sgpr_workgroup_info 0
		.amdhsa_system_vgpr_workitem_id 0
		.amdhsa_next_free_vgpr 1
		.amdhsa_next_free_sgpr 0
		.amdhsa_reserve_vcc 0
		.amdhsa_reserve_flat_scratch 0
		.amdhsa_float_round_mode_32 0
		.amdhsa_float_round_mode_16_64 0
		.amdhsa_float_denorm_mode_32 3
		.amdhsa_float_denorm_mode_16_64 3
		.amdhsa_dx10_clamp 1
		.amdhsa_ieee_mode 1
		.amdhsa_fp16_overflow 0
		.amdhsa_exception_fp_ieee_invalid_op 0
		.amdhsa_exception_fp_denorm_src 0
		.amdhsa_exception_fp_ieee_div_zero 0
		.amdhsa_exception_fp_ieee_overflow 0
		.amdhsa_exception_fp_ieee_underflow 0
		.amdhsa_exception_fp_ieee_inexact 0
		.amdhsa_exception_int_div_zero 0
	.end_amdhsa_kernel
	.section	.text._ZN7rocprim17ROCPRIM_400000_NS6detail17trampoline_kernelINS0_14default_configENS1_35adjacent_difference_config_selectorILb1EtEEZNS1_24adjacent_difference_implIS3_Lb1ELb0EPtS7_N6thrust23THRUST_200600_302600_NS5minusItEEEE10hipError_tPvRmT2_T3_mT4_P12ihipStream_tbEUlT_E_NS1_11comp_targetILNS1_3genE9ELNS1_11target_archE1100ELNS1_3gpuE3ELNS1_3repE0EEENS1_30default_config_static_selectorELNS0_4arch9wavefront6targetE1EEEvT1_,"axG",@progbits,_ZN7rocprim17ROCPRIM_400000_NS6detail17trampoline_kernelINS0_14default_configENS1_35adjacent_difference_config_selectorILb1EtEEZNS1_24adjacent_difference_implIS3_Lb1ELb0EPtS7_N6thrust23THRUST_200600_302600_NS5minusItEEEE10hipError_tPvRmT2_T3_mT4_P12ihipStream_tbEUlT_E_NS1_11comp_targetILNS1_3genE9ELNS1_11target_archE1100ELNS1_3gpuE3ELNS1_3repE0EEENS1_30default_config_static_selectorELNS0_4arch9wavefront6targetE1EEEvT1_,comdat
.Lfunc_end229:
	.size	_ZN7rocprim17ROCPRIM_400000_NS6detail17trampoline_kernelINS0_14default_configENS1_35adjacent_difference_config_selectorILb1EtEEZNS1_24adjacent_difference_implIS3_Lb1ELb0EPtS7_N6thrust23THRUST_200600_302600_NS5minusItEEEE10hipError_tPvRmT2_T3_mT4_P12ihipStream_tbEUlT_E_NS1_11comp_targetILNS1_3genE9ELNS1_11target_archE1100ELNS1_3gpuE3ELNS1_3repE0EEENS1_30default_config_static_selectorELNS0_4arch9wavefront6targetE1EEEvT1_, .Lfunc_end229-_ZN7rocprim17ROCPRIM_400000_NS6detail17trampoline_kernelINS0_14default_configENS1_35adjacent_difference_config_selectorILb1EtEEZNS1_24adjacent_difference_implIS3_Lb1ELb0EPtS7_N6thrust23THRUST_200600_302600_NS5minusItEEEE10hipError_tPvRmT2_T3_mT4_P12ihipStream_tbEUlT_E_NS1_11comp_targetILNS1_3genE9ELNS1_11target_archE1100ELNS1_3gpuE3ELNS1_3repE0EEENS1_30default_config_static_selectorELNS0_4arch9wavefront6targetE1EEEvT1_
                                        ; -- End function
	.set _ZN7rocprim17ROCPRIM_400000_NS6detail17trampoline_kernelINS0_14default_configENS1_35adjacent_difference_config_selectorILb1EtEEZNS1_24adjacent_difference_implIS3_Lb1ELb0EPtS7_N6thrust23THRUST_200600_302600_NS5minusItEEEE10hipError_tPvRmT2_T3_mT4_P12ihipStream_tbEUlT_E_NS1_11comp_targetILNS1_3genE9ELNS1_11target_archE1100ELNS1_3gpuE3ELNS1_3repE0EEENS1_30default_config_static_selectorELNS0_4arch9wavefront6targetE1EEEvT1_.num_vgpr, 0
	.set _ZN7rocprim17ROCPRIM_400000_NS6detail17trampoline_kernelINS0_14default_configENS1_35adjacent_difference_config_selectorILb1EtEEZNS1_24adjacent_difference_implIS3_Lb1ELb0EPtS7_N6thrust23THRUST_200600_302600_NS5minusItEEEE10hipError_tPvRmT2_T3_mT4_P12ihipStream_tbEUlT_E_NS1_11comp_targetILNS1_3genE9ELNS1_11target_archE1100ELNS1_3gpuE3ELNS1_3repE0EEENS1_30default_config_static_selectorELNS0_4arch9wavefront6targetE1EEEvT1_.num_agpr, 0
	.set _ZN7rocprim17ROCPRIM_400000_NS6detail17trampoline_kernelINS0_14default_configENS1_35adjacent_difference_config_selectorILb1EtEEZNS1_24adjacent_difference_implIS3_Lb1ELb0EPtS7_N6thrust23THRUST_200600_302600_NS5minusItEEEE10hipError_tPvRmT2_T3_mT4_P12ihipStream_tbEUlT_E_NS1_11comp_targetILNS1_3genE9ELNS1_11target_archE1100ELNS1_3gpuE3ELNS1_3repE0EEENS1_30default_config_static_selectorELNS0_4arch9wavefront6targetE1EEEvT1_.numbered_sgpr, 0
	.set _ZN7rocprim17ROCPRIM_400000_NS6detail17trampoline_kernelINS0_14default_configENS1_35adjacent_difference_config_selectorILb1EtEEZNS1_24adjacent_difference_implIS3_Lb1ELb0EPtS7_N6thrust23THRUST_200600_302600_NS5minusItEEEE10hipError_tPvRmT2_T3_mT4_P12ihipStream_tbEUlT_E_NS1_11comp_targetILNS1_3genE9ELNS1_11target_archE1100ELNS1_3gpuE3ELNS1_3repE0EEENS1_30default_config_static_selectorELNS0_4arch9wavefront6targetE1EEEvT1_.num_named_barrier, 0
	.set _ZN7rocprim17ROCPRIM_400000_NS6detail17trampoline_kernelINS0_14default_configENS1_35adjacent_difference_config_selectorILb1EtEEZNS1_24adjacent_difference_implIS3_Lb1ELb0EPtS7_N6thrust23THRUST_200600_302600_NS5minusItEEEE10hipError_tPvRmT2_T3_mT4_P12ihipStream_tbEUlT_E_NS1_11comp_targetILNS1_3genE9ELNS1_11target_archE1100ELNS1_3gpuE3ELNS1_3repE0EEENS1_30default_config_static_selectorELNS0_4arch9wavefront6targetE1EEEvT1_.private_seg_size, 0
	.set _ZN7rocprim17ROCPRIM_400000_NS6detail17trampoline_kernelINS0_14default_configENS1_35adjacent_difference_config_selectorILb1EtEEZNS1_24adjacent_difference_implIS3_Lb1ELb0EPtS7_N6thrust23THRUST_200600_302600_NS5minusItEEEE10hipError_tPvRmT2_T3_mT4_P12ihipStream_tbEUlT_E_NS1_11comp_targetILNS1_3genE9ELNS1_11target_archE1100ELNS1_3gpuE3ELNS1_3repE0EEENS1_30default_config_static_selectorELNS0_4arch9wavefront6targetE1EEEvT1_.uses_vcc, 0
	.set _ZN7rocprim17ROCPRIM_400000_NS6detail17trampoline_kernelINS0_14default_configENS1_35adjacent_difference_config_selectorILb1EtEEZNS1_24adjacent_difference_implIS3_Lb1ELb0EPtS7_N6thrust23THRUST_200600_302600_NS5minusItEEEE10hipError_tPvRmT2_T3_mT4_P12ihipStream_tbEUlT_E_NS1_11comp_targetILNS1_3genE9ELNS1_11target_archE1100ELNS1_3gpuE3ELNS1_3repE0EEENS1_30default_config_static_selectorELNS0_4arch9wavefront6targetE1EEEvT1_.uses_flat_scratch, 0
	.set _ZN7rocprim17ROCPRIM_400000_NS6detail17trampoline_kernelINS0_14default_configENS1_35adjacent_difference_config_selectorILb1EtEEZNS1_24adjacent_difference_implIS3_Lb1ELb0EPtS7_N6thrust23THRUST_200600_302600_NS5minusItEEEE10hipError_tPvRmT2_T3_mT4_P12ihipStream_tbEUlT_E_NS1_11comp_targetILNS1_3genE9ELNS1_11target_archE1100ELNS1_3gpuE3ELNS1_3repE0EEENS1_30default_config_static_selectorELNS0_4arch9wavefront6targetE1EEEvT1_.has_dyn_sized_stack, 0
	.set _ZN7rocprim17ROCPRIM_400000_NS6detail17trampoline_kernelINS0_14default_configENS1_35adjacent_difference_config_selectorILb1EtEEZNS1_24adjacent_difference_implIS3_Lb1ELb0EPtS7_N6thrust23THRUST_200600_302600_NS5minusItEEEE10hipError_tPvRmT2_T3_mT4_P12ihipStream_tbEUlT_E_NS1_11comp_targetILNS1_3genE9ELNS1_11target_archE1100ELNS1_3gpuE3ELNS1_3repE0EEENS1_30default_config_static_selectorELNS0_4arch9wavefront6targetE1EEEvT1_.has_recursion, 0
	.set _ZN7rocprim17ROCPRIM_400000_NS6detail17trampoline_kernelINS0_14default_configENS1_35adjacent_difference_config_selectorILb1EtEEZNS1_24adjacent_difference_implIS3_Lb1ELb0EPtS7_N6thrust23THRUST_200600_302600_NS5minusItEEEE10hipError_tPvRmT2_T3_mT4_P12ihipStream_tbEUlT_E_NS1_11comp_targetILNS1_3genE9ELNS1_11target_archE1100ELNS1_3gpuE3ELNS1_3repE0EEENS1_30default_config_static_selectorELNS0_4arch9wavefront6targetE1EEEvT1_.has_indirect_call, 0
	.section	.AMDGPU.csdata,"",@progbits
; Kernel info:
; codeLenInByte = 0
; TotalNumSgprs: 4
; NumVgprs: 0
; ScratchSize: 0
; MemoryBound: 0
; FloatMode: 240
; IeeeMode: 1
; LDSByteSize: 0 bytes/workgroup (compile time only)
; SGPRBlocks: 0
; VGPRBlocks: 0
; NumSGPRsForWavesPerEU: 4
; NumVGPRsForWavesPerEU: 1
; Occupancy: 10
; WaveLimiterHint : 0
; COMPUTE_PGM_RSRC2:SCRATCH_EN: 0
; COMPUTE_PGM_RSRC2:USER_SGPR: 6
; COMPUTE_PGM_RSRC2:TRAP_HANDLER: 0
; COMPUTE_PGM_RSRC2:TGID_X_EN: 1
; COMPUTE_PGM_RSRC2:TGID_Y_EN: 0
; COMPUTE_PGM_RSRC2:TGID_Z_EN: 0
; COMPUTE_PGM_RSRC2:TIDIG_COMP_CNT: 0
	.section	.text._ZN7rocprim17ROCPRIM_400000_NS6detail17trampoline_kernelINS0_14default_configENS1_35adjacent_difference_config_selectorILb1EtEEZNS1_24adjacent_difference_implIS3_Lb1ELb0EPtS7_N6thrust23THRUST_200600_302600_NS5minusItEEEE10hipError_tPvRmT2_T3_mT4_P12ihipStream_tbEUlT_E_NS1_11comp_targetILNS1_3genE8ELNS1_11target_archE1030ELNS1_3gpuE2ELNS1_3repE0EEENS1_30default_config_static_selectorELNS0_4arch9wavefront6targetE1EEEvT1_,"axG",@progbits,_ZN7rocprim17ROCPRIM_400000_NS6detail17trampoline_kernelINS0_14default_configENS1_35adjacent_difference_config_selectorILb1EtEEZNS1_24adjacent_difference_implIS3_Lb1ELb0EPtS7_N6thrust23THRUST_200600_302600_NS5minusItEEEE10hipError_tPvRmT2_T3_mT4_P12ihipStream_tbEUlT_E_NS1_11comp_targetILNS1_3genE8ELNS1_11target_archE1030ELNS1_3gpuE2ELNS1_3repE0EEENS1_30default_config_static_selectorELNS0_4arch9wavefront6targetE1EEEvT1_,comdat
	.protected	_ZN7rocprim17ROCPRIM_400000_NS6detail17trampoline_kernelINS0_14default_configENS1_35adjacent_difference_config_selectorILb1EtEEZNS1_24adjacent_difference_implIS3_Lb1ELb0EPtS7_N6thrust23THRUST_200600_302600_NS5minusItEEEE10hipError_tPvRmT2_T3_mT4_P12ihipStream_tbEUlT_E_NS1_11comp_targetILNS1_3genE8ELNS1_11target_archE1030ELNS1_3gpuE2ELNS1_3repE0EEENS1_30default_config_static_selectorELNS0_4arch9wavefront6targetE1EEEvT1_ ; -- Begin function _ZN7rocprim17ROCPRIM_400000_NS6detail17trampoline_kernelINS0_14default_configENS1_35adjacent_difference_config_selectorILb1EtEEZNS1_24adjacent_difference_implIS3_Lb1ELb0EPtS7_N6thrust23THRUST_200600_302600_NS5minusItEEEE10hipError_tPvRmT2_T3_mT4_P12ihipStream_tbEUlT_E_NS1_11comp_targetILNS1_3genE8ELNS1_11target_archE1030ELNS1_3gpuE2ELNS1_3repE0EEENS1_30default_config_static_selectorELNS0_4arch9wavefront6targetE1EEEvT1_
	.globl	_ZN7rocprim17ROCPRIM_400000_NS6detail17trampoline_kernelINS0_14default_configENS1_35adjacent_difference_config_selectorILb1EtEEZNS1_24adjacent_difference_implIS3_Lb1ELb0EPtS7_N6thrust23THRUST_200600_302600_NS5minusItEEEE10hipError_tPvRmT2_T3_mT4_P12ihipStream_tbEUlT_E_NS1_11comp_targetILNS1_3genE8ELNS1_11target_archE1030ELNS1_3gpuE2ELNS1_3repE0EEENS1_30default_config_static_selectorELNS0_4arch9wavefront6targetE1EEEvT1_
	.p2align	8
	.type	_ZN7rocprim17ROCPRIM_400000_NS6detail17trampoline_kernelINS0_14default_configENS1_35adjacent_difference_config_selectorILb1EtEEZNS1_24adjacent_difference_implIS3_Lb1ELb0EPtS7_N6thrust23THRUST_200600_302600_NS5minusItEEEE10hipError_tPvRmT2_T3_mT4_P12ihipStream_tbEUlT_E_NS1_11comp_targetILNS1_3genE8ELNS1_11target_archE1030ELNS1_3gpuE2ELNS1_3repE0EEENS1_30default_config_static_selectorELNS0_4arch9wavefront6targetE1EEEvT1_,@function
_ZN7rocprim17ROCPRIM_400000_NS6detail17trampoline_kernelINS0_14default_configENS1_35adjacent_difference_config_selectorILb1EtEEZNS1_24adjacent_difference_implIS3_Lb1ELb0EPtS7_N6thrust23THRUST_200600_302600_NS5minusItEEEE10hipError_tPvRmT2_T3_mT4_P12ihipStream_tbEUlT_E_NS1_11comp_targetILNS1_3genE8ELNS1_11target_archE1030ELNS1_3gpuE2ELNS1_3repE0EEENS1_30default_config_static_selectorELNS0_4arch9wavefront6targetE1EEEvT1_: ; @_ZN7rocprim17ROCPRIM_400000_NS6detail17trampoline_kernelINS0_14default_configENS1_35adjacent_difference_config_selectorILb1EtEEZNS1_24adjacent_difference_implIS3_Lb1ELb0EPtS7_N6thrust23THRUST_200600_302600_NS5minusItEEEE10hipError_tPvRmT2_T3_mT4_P12ihipStream_tbEUlT_E_NS1_11comp_targetILNS1_3genE8ELNS1_11target_archE1030ELNS1_3gpuE2ELNS1_3repE0EEENS1_30default_config_static_selectorELNS0_4arch9wavefront6targetE1EEEvT1_
; %bb.0:
	.section	.rodata,"a",@progbits
	.p2align	6, 0x0
	.amdhsa_kernel _ZN7rocprim17ROCPRIM_400000_NS6detail17trampoline_kernelINS0_14default_configENS1_35adjacent_difference_config_selectorILb1EtEEZNS1_24adjacent_difference_implIS3_Lb1ELb0EPtS7_N6thrust23THRUST_200600_302600_NS5minusItEEEE10hipError_tPvRmT2_T3_mT4_P12ihipStream_tbEUlT_E_NS1_11comp_targetILNS1_3genE8ELNS1_11target_archE1030ELNS1_3gpuE2ELNS1_3repE0EEENS1_30default_config_static_selectorELNS0_4arch9wavefront6targetE1EEEvT1_
		.amdhsa_group_segment_fixed_size 0
		.amdhsa_private_segment_fixed_size 0
		.amdhsa_kernarg_size 56
		.amdhsa_user_sgpr_count 6
		.amdhsa_user_sgpr_private_segment_buffer 1
		.amdhsa_user_sgpr_dispatch_ptr 0
		.amdhsa_user_sgpr_queue_ptr 0
		.amdhsa_user_sgpr_kernarg_segment_ptr 1
		.amdhsa_user_sgpr_dispatch_id 0
		.amdhsa_user_sgpr_flat_scratch_init 0
		.amdhsa_user_sgpr_private_segment_size 0
		.amdhsa_uses_dynamic_stack 0
		.amdhsa_system_sgpr_private_segment_wavefront_offset 0
		.amdhsa_system_sgpr_workgroup_id_x 1
		.amdhsa_system_sgpr_workgroup_id_y 0
		.amdhsa_system_sgpr_workgroup_id_z 0
		.amdhsa_system_sgpr_workgroup_info 0
		.amdhsa_system_vgpr_workitem_id 0
		.amdhsa_next_free_vgpr 1
		.amdhsa_next_free_sgpr 0
		.amdhsa_reserve_vcc 0
		.amdhsa_reserve_flat_scratch 0
		.amdhsa_float_round_mode_32 0
		.amdhsa_float_round_mode_16_64 0
		.amdhsa_float_denorm_mode_32 3
		.amdhsa_float_denorm_mode_16_64 3
		.amdhsa_dx10_clamp 1
		.amdhsa_ieee_mode 1
		.amdhsa_fp16_overflow 0
		.amdhsa_exception_fp_ieee_invalid_op 0
		.amdhsa_exception_fp_denorm_src 0
		.amdhsa_exception_fp_ieee_div_zero 0
		.amdhsa_exception_fp_ieee_overflow 0
		.amdhsa_exception_fp_ieee_underflow 0
		.amdhsa_exception_fp_ieee_inexact 0
		.amdhsa_exception_int_div_zero 0
	.end_amdhsa_kernel
	.section	.text._ZN7rocprim17ROCPRIM_400000_NS6detail17trampoline_kernelINS0_14default_configENS1_35adjacent_difference_config_selectorILb1EtEEZNS1_24adjacent_difference_implIS3_Lb1ELb0EPtS7_N6thrust23THRUST_200600_302600_NS5minusItEEEE10hipError_tPvRmT2_T3_mT4_P12ihipStream_tbEUlT_E_NS1_11comp_targetILNS1_3genE8ELNS1_11target_archE1030ELNS1_3gpuE2ELNS1_3repE0EEENS1_30default_config_static_selectorELNS0_4arch9wavefront6targetE1EEEvT1_,"axG",@progbits,_ZN7rocprim17ROCPRIM_400000_NS6detail17trampoline_kernelINS0_14default_configENS1_35adjacent_difference_config_selectorILb1EtEEZNS1_24adjacent_difference_implIS3_Lb1ELb0EPtS7_N6thrust23THRUST_200600_302600_NS5minusItEEEE10hipError_tPvRmT2_T3_mT4_P12ihipStream_tbEUlT_E_NS1_11comp_targetILNS1_3genE8ELNS1_11target_archE1030ELNS1_3gpuE2ELNS1_3repE0EEENS1_30default_config_static_selectorELNS0_4arch9wavefront6targetE1EEEvT1_,comdat
.Lfunc_end230:
	.size	_ZN7rocprim17ROCPRIM_400000_NS6detail17trampoline_kernelINS0_14default_configENS1_35adjacent_difference_config_selectorILb1EtEEZNS1_24adjacent_difference_implIS3_Lb1ELb0EPtS7_N6thrust23THRUST_200600_302600_NS5minusItEEEE10hipError_tPvRmT2_T3_mT4_P12ihipStream_tbEUlT_E_NS1_11comp_targetILNS1_3genE8ELNS1_11target_archE1030ELNS1_3gpuE2ELNS1_3repE0EEENS1_30default_config_static_selectorELNS0_4arch9wavefront6targetE1EEEvT1_, .Lfunc_end230-_ZN7rocprim17ROCPRIM_400000_NS6detail17trampoline_kernelINS0_14default_configENS1_35adjacent_difference_config_selectorILb1EtEEZNS1_24adjacent_difference_implIS3_Lb1ELb0EPtS7_N6thrust23THRUST_200600_302600_NS5minusItEEEE10hipError_tPvRmT2_T3_mT4_P12ihipStream_tbEUlT_E_NS1_11comp_targetILNS1_3genE8ELNS1_11target_archE1030ELNS1_3gpuE2ELNS1_3repE0EEENS1_30default_config_static_selectorELNS0_4arch9wavefront6targetE1EEEvT1_
                                        ; -- End function
	.set _ZN7rocprim17ROCPRIM_400000_NS6detail17trampoline_kernelINS0_14default_configENS1_35adjacent_difference_config_selectorILb1EtEEZNS1_24adjacent_difference_implIS3_Lb1ELb0EPtS7_N6thrust23THRUST_200600_302600_NS5minusItEEEE10hipError_tPvRmT2_T3_mT4_P12ihipStream_tbEUlT_E_NS1_11comp_targetILNS1_3genE8ELNS1_11target_archE1030ELNS1_3gpuE2ELNS1_3repE0EEENS1_30default_config_static_selectorELNS0_4arch9wavefront6targetE1EEEvT1_.num_vgpr, 0
	.set _ZN7rocprim17ROCPRIM_400000_NS6detail17trampoline_kernelINS0_14default_configENS1_35adjacent_difference_config_selectorILb1EtEEZNS1_24adjacent_difference_implIS3_Lb1ELb0EPtS7_N6thrust23THRUST_200600_302600_NS5minusItEEEE10hipError_tPvRmT2_T3_mT4_P12ihipStream_tbEUlT_E_NS1_11comp_targetILNS1_3genE8ELNS1_11target_archE1030ELNS1_3gpuE2ELNS1_3repE0EEENS1_30default_config_static_selectorELNS0_4arch9wavefront6targetE1EEEvT1_.num_agpr, 0
	.set _ZN7rocprim17ROCPRIM_400000_NS6detail17trampoline_kernelINS0_14default_configENS1_35adjacent_difference_config_selectorILb1EtEEZNS1_24adjacent_difference_implIS3_Lb1ELb0EPtS7_N6thrust23THRUST_200600_302600_NS5minusItEEEE10hipError_tPvRmT2_T3_mT4_P12ihipStream_tbEUlT_E_NS1_11comp_targetILNS1_3genE8ELNS1_11target_archE1030ELNS1_3gpuE2ELNS1_3repE0EEENS1_30default_config_static_selectorELNS0_4arch9wavefront6targetE1EEEvT1_.numbered_sgpr, 0
	.set _ZN7rocprim17ROCPRIM_400000_NS6detail17trampoline_kernelINS0_14default_configENS1_35adjacent_difference_config_selectorILb1EtEEZNS1_24adjacent_difference_implIS3_Lb1ELb0EPtS7_N6thrust23THRUST_200600_302600_NS5minusItEEEE10hipError_tPvRmT2_T3_mT4_P12ihipStream_tbEUlT_E_NS1_11comp_targetILNS1_3genE8ELNS1_11target_archE1030ELNS1_3gpuE2ELNS1_3repE0EEENS1_30default_config_static_selectorELNS0_4arch9wavefront6targetE1EEEvT1_.num_named_barrier, 0
	.set _ZN7rocprim17ROCPRIM_400000_NS6detail17trampoline_kernelINS0_14default_configENS1_35adjacent_difference_config_selectorILb1EtEEZNS1_24adjacent_difference_implIS3_Lb1ELb0EPtS7_N6thrust23THRUST_200600_302600_NS5minusItEEEE10hipError_tPvRmT2_T3_mT4_P12ihipStream_tbEUlT_E_NS1_11comp_targetILNS1_3genE8ELNS1_11target_archE1030ELNS1_3gpuE2ELNS1_3repE0EEENS1_30default_config_static_selectorELNS0_4arch9wavefront6targetE1EEEvT1_.private_seg_size, 0
	.set _ZN7rocprim17ROCPRIM_400000_NS6detail17trampoline_kernelINS0_14default_configENS1_35adjacent_difference_config_selectorILb1EtEEZNS1_24adjacent_difference_implIS3_Lb1ELb0EPtS7_N6thrust23THRUST_200600_302600_NS5minusItEEEE10hipError_tPvRmT2_T3_mT4_P12ihipStream_tbEUlT_E_NS1_11comp_targetILNS1_3genE8ELNS1_11target_archE1030ELNS1_3gpuE2ELNS1_3repE0EEENS1_30default_config_static_selectorELNS0_4arch9wavefront6targetE1EEEvT1_.uses_vcc, 0
	.set _ZN7rocprim17ROCPRIM_400000_NS6detail17trampoline_kernelINS0_14default_configENS1_35adjacent_difference_config_selectorILb1EtEEZNS1_24adjacent_difference_implIS3_Lb1ELb0EPtS7_N6thrust23THRUST_200600_302600_NS5minusItEEEE10hipError_tPvRmT2_T3_mT4_P12ihipStream_tbEUlT_E_NS1_11comp_targetILNS1_3genE8ELNS1_11target_archE1030ELNS1_3gpuE2ELNS1_3repE0EEENS1_30default_config_static_selectorELNS0_4arch9wavefront6targetE1EEEvT1_.uses_flat_scratch, 0
	.set _ZN7rocprim17ROCPRIM_400000_NS6detail17trampoline_kernelINS0_14default_configENS1_35adjacent_difference_config_selectorILb1EtEEZNS1_24adjacent_difference_implIS3_Lb1ELb0EPtS7_N6thrust23THRUST_200600_302600_NS5minusItEEEE10hipError_tPvRmT2_T3_mT4_P12ihipStream_tbEUlT_E_NS1_11comp_targetILNS1_3genE8ELNS1_11target_archE1030ELNS1_3gpuE2ELNS1_3repE0EEENS1_30default_config_static_selectorELNS0_4arch9wavefront6targetE1EEEvT1_.has_dyn_sized_stack, 0
	.set _ZN7rocprim17ROCPRIM_400000_NS6detail17trampoline_kernelINS0_14default_configENS1_35adjacent_difference_config_selectorILb1EtEEZNS1_24adjacent_difference_implIS3_Lb1ELb0EPtS7_N6thrust23THRUST_200600_302600_NS5minusItEEEE10hipError_tPvRmT2_T3_mT4_P12ihipStream_tbEUlT_E_NS1_11comp_targetILNS1_3genE8ELNS1_11target_archE1030ELNS1_3gpuE2ELNS1_3repE0EEENS1_30default_config_static_selectorELNS0_4arch9wavefront6targetE1EEEvT1_.has_recursion, 0
	.set _ZN7rocprim17ROCPRIM_400000_NS6detail17trampoline_kernelINS0_14default_configENS1_35adjacent_difference_config_selectorILb1EtEEZNS1_24adjacent_difference_implIS3_Lb1ELb0EPtS7_N6thrust23THRUST_200600_302600_NS5minusItEEEE10hipError_tPvRmT2_T3_mT4_P12ihipStream_tbEUlT_E_NS1_11comp_targetILNS1_3genE8ELNS1_11target_archE1030ELNS1_3gpuE2ELNS1_3repE0EEENS1_30default_config_static_selectorELNS0_4arch9wavefront6targetE1EEEvT1_.has_indirect_call, 0
	.section	.AMDGPU.csdata,"",@progbits
; Kernel info:
; codeLenInByte = 0
; TotalNumSgprs: 4
; NumVgprs: 0
; ScratchSize: 0
; MemoryBound: 0
; FloatMode: 240
; IeeeMode: 1
; LDSByteSize: 0 bytes/workgroup (compile time only)
; SGPRBlocks: 0
; VGPRBlocks: 0
; NumSGPRsForWavesPerEU: 4
; NumVGPRsForWavesPerEU: 1
; Occupancy: 10
; WaveLimiterHint : 0
; COMPUTE_PGM_RSRC2:SCRATCH_EN: 0
; COMPUTE_PGM_RSRC2:USER_SGPR: 6
; COMPUTE_PGM_RSRC2:TRAP_HANDLER: 0
; COMPUTE_PGM_RSRC2:TGID_X_EN: 1
; COMPUTE_PGM_RSRC2:TGID_Y_EN: 0
; COMPUTE_PGM_RSRC2:TGID_Z_EN: 0
; COMPUTE_PGM_RSRC2:TIDIG_COMP_CNT: 0
	.section	.text._ZN7rocprim17ROCPRIM_400000_NS6detail17trampoline_kernelINS0_14default_configENS1_35adjacent_difference_config_selectorILb0EtEEZNS1_24adjacent_difference_implIS3_Lb0ELb0EPtS7_N6thrust23THRUST_200600_302600_NS4plusItEEEE10hipError_tPvRmT2_T3_mT4_P12ihipStream_tbEUlT_E_NS1_11comp_targetILNS1_3genE0ELNS1_11target_archE4294967295ELNS1_3gpuE0ELNS1_3repE0EEENS1_30default_config_static_selectorELNS0_4arch9wavefront6targetE1EEEvT1_,"axG",@progbits,_ZN7rocprim17ROCPRIM_400000_NS6detail17trampoline_kernelINS0_14default_configENS1_35adjacent_difference_config_selectorILb0EtEEZNS1_24adjacent_difference_implIS3_Lb0ELb0EPtS7_N6thrust23THRUST_200600_302600_NS4plusItEEEE10hipError_tPvRmT2_T3_mT4_P12ihipStream_tbEUlT_E_NS1_11comp_targetILNS1_3genE0ELNS1_11target_archE4294967295ELNS1_3gpuE0ELNS1_3repE0EEENS1_30default_config_static_selectorELNS0_4arch9wavefront6targetE1EEEvT1_,comdat
	.protected	_ZN7rocprim17ROCPRIM_400000_NS6detail17trampoline_kernelINS0_14default_configENS1_35adjacent_difference_config_selectorILb0EtEEZNS1_24adjacent_difference_implIS3_Lb0ELb0EPtS7_N6thrust23THRUST_200600_302600_NS4plusItEEEE10hipError_tPvRmT2_T3_mT4_P12ihipStream_tbEUlT_E_NS1_11comp_targetILNS1_3genE0ELNS1_11target_archE4294967295ELNS1_3gpuE0ELNS1_3repE0EEENS1_30default_config_static_selectorELNS0_4arch9wavefront6targetE1EEEvT1_ ; -- Begin function _ZN7rocprim17ROCPRIM_400000_NS6detail17trampoline_kernelINS0_14default_configENS1_35adjacent_difference_config_selectorILb0EtEEZNS1_24adjacent_difference_implIS3_Lb0ELb0EPtS7_N6thrust23THRUST_200600_302600_NS4plusItEEEE10hipError_tPvRmT2_T3_mT4_P12ihipStream_tbEUlT_E_NS1_11comp_targetILNS1_3genE0ELNS1_11target_archE4294967295ELNS1_3gpuE0ELNS1_3repE0EEENS1_30default_config_static_selectorELNS0_4arch9wavefront6targetE1EEEvT1_
	.globl	_ZN7rocprim17ROCPRIM_400000_NS6detail17trampoline_kernelINS0_14default_configENS1_35adjacent_difference_config_selectorILb0EtEEZNS1_24adjacent_difference_implIS3_Lb0ELb0EPtS7_N6thrust23THRUST_200600_302600_NS4plusItEEEE10hipError_tPvRmT2_T3_mT4_P12ihipStream_tbEUlT_E_NS1_11comp_targetILNS1_3genE0ELNS1_11target_archE4294967295ELNS1_3gpuE0ELNS1_3repE0EEENS1_30default_config_static_selectorELNS0_4arch9wavefront6targetE1EEEvT1_
	.p2align	8
	.type	_ZN7rocprim17ROCPRIM_400000_NS6detail17trampoline_kernelINS0_14default_configENS1_35adjacent_difference_config_selectorILb0EtEEZNS1_24adjacent_difference_implIS3_Lb0ELb0EPtS7_N6thrust23THRUST_200600_302600_NS4plusItEEEE10hipError_tPvRmT2_T3_mT4_P12ihipStream_tbEUlT_E_NS1_11comp_targetILNS1_3genE0ELNS1_11target_archE4294967295ELNS1_3gpuE0ELNS1_3repE0EEENS1_30default_config_static_selectorELNS0_4arch9wavefront6targetE1EEEvT1_,@function
_ZN7rocprim17ROCPRIM_400000_NS6detail17trampoline_kernelINS0_14default_configENS1_35adjacent_difference_config_selectorILb0EtEEZNS1_24adjacent_difference_implIS3_Lb0ELb0EPtS7_N6thrust23THRUST_200600_302600_NS4plusItEEEE10hipError_tPvRmT2_T3_mT4_P12ihipStream_tbEUlT_E_NS1_11comp_targetILNS1_3genE0ELNS1_11target_archE4294967295ELNS1_3gpuE0ELNS1_3repE0EEENS1_30default_config_static_selectorELNS0_4arch9wavefront6targetE1EEEvT1_: ; @_ZN7rocprim17ROCPRIM_400000_NS6detail17trampoline_kernelINS0_14default_configENS1_35adjacent_difference_config_selectorILb0EtEEZNS1_24adjacent_difference_implIS3_Lb0ELb0EPtS7_N6thrust23THRUST_200600_302600_NS4plusItEEEE10hipError_tPvRmT2_T3_mT4_P12ihipStream_tbEUlT_E_NS1_11comp_targetILNS1_3genE0ELNS1_11target_archE4294967295ELNS1_3gpuE0ELNS1_3repE0EEENS1_30default_config_static_selectorELNS0_4arch9wavefront6targetE1EEEvT1_
; %bb.0:
	.section	.rodata,"a",@progbits
	.p2align	6, 0x0
	.amdhsa_kernel _ZN7rocprim17ROCPRIM_400000_NS6detail17trampoline_kernelINS0_14default_configENS1_35adjacent_difference_config_selectorILb0EtEEZNS1_24adjacent_difference_implIS3_Lb0ELb0EPtS7_N6thrust23THRUST_200600_302600_NS4plusItEEEE10hipError_tPvRmT2_T3_mT4_P12ihipStream_tbEUlT_E_NS1_11comp_targetILNS1_3genE0ELNS1_11target_archE4294967295ELNS1_3gpuE0ELNS1_3repE0EEENS1_30default_config_static_selectorELNS0_4arch9wavefront6targetE1EEEvT1_
		.amdhsa_group_segment_fixed_size 0
		.amdhsa_private_segment_fixed_size 0
		.amdhsa_kernarg_size 56
		.amdhsa_user_sgpr_count 6
		.amdhsa_user_sgpr_private_segment_buffer 1
		.amdhsa_user_sgpr_dispatch_ptr 0
		.amdhsa_user_sgpr_queue_ptr 0
		.amdhsa_user_sgpr_kernarg_segment_ptr 1
		.amdhsa_user_sgpr_dispatch_id 0
		.amdhsa_user_sgpr_flat_scratch_init 0
		.amdhsa_user_sgpr_private_segment_size 0
		.amdhsa_uses_dynamic_stack 0
		.amdhsa_system_sgpr_private_segment_wavefront_offset 0
		.amdhsa_system_sgpr_workgroup_id_x 1
		.amdhsa_system_sgpr_workgroup_id_y 0
		.amdhsa_system_sgpr_workgroup_id_z 0
		.amdhsa_system_sgpr_workgroup_info 0
		.amdhsa_system_vgpr_workitem_id 0
		.amdhsa_next_free_vgpr 1
		.amdhsa_next_free_sgpr 0
		.amdhsa_reserve_vcc 0
		.amdhsa_reserve_flat_scratch 0
		.amdhsa_float_round_mode_32 0
		.amdhsa_float_round_mode_16_64 0
		.amdhsa_float_denorm_mode_32 3
		.amdhsa_float_denorm_mode_16_64 3
		.amdhsa_dx10_clamp 1
		.amdhsa_ieee_mode 1
		.amdhsa_fp16_overflow 0
		.amdhsa_exception_fp_ieee_invalid_op 0
		.amdhsa_exception_fp_denorm_src 0
		.amdhsa_exception_fp_ieee_div_zero 0
		.amdhsa_exception_fp_ieee_overflow 0
		.amdhsa_exception_fp_ieee_underflow 0
		.amdhsa_exception_fp_ieee_inexact 0
		.amdhsa_exception_int_div_zero 0
	.end_amdhsa_kernel
	.section	.text._ZN7rocprim17ROCPRIM_400000_NS6detail17trampoline_kernelINS0_14default_configENS1_35adjacent_difference_config_selectorILb0EtEEZNS1_24adjacent_difference_implIS3_Lb0ELb0EPtS7_N6thrust23THRUST_200600_302600_NS4plusItEEEE10hipError_tPvRmT2_T3_mT4_P12ihipStream_tbEUlT_E_NS1_11comp_targetILNS1_3genE0ELNS1_11target_archE4294967295ELNS1_3gpuE0ELNS1_3repE0EEENS1_30default_config_static_selectorELNS0_4arch9wavefront6targetE1EEEvT1_,"axG",@progbits,_ZN7rocprim17ROCPRIM_400000_NS6detail17trampoline_kernelINS0_14default_configENS1_35adjacent_difference_config_selectorILb0EtEEZNS1_24adjacent_difference_implIS3_Lb0ELb0EPtS7_N6thrust23THRUST_200600_302600_NS4plusItEEEE10hipError_tPvRmT2_T3_mT4_P12ihipStream_tbEUlT_E_NS1_11comp_targetILNS1_3genE0ELNS1_11target_archE4294967295ELNS1_3gpuE0ELNS1_3repE0EEENS1_30default_config_static_selectorELNS0_4arch9wavefront6targetE1EEEvT1_,comdat
.Lfunc_end231:
	.size	_ZN7rocprim17ROCPRIM_400000_NS6detail17trampoline_kernelINS0_14default_configENS1_35adjacent_difference_config_selectorILb0EtEEZNS1_24adjacent_difference_implIS3_Lb0ELb0EPtS7_N6thrust23THRUST_200600_302600_NS4plusItEEEE10hipError_tPvRmT2_T3_mT4_P12ihipStream_tbEUlT_E_NS1_11comp_targetILNS1_3genE0ELNS1_11target_archE4294967295ELNS1_3gpuE0ELNS1_3repE0EEENS1_30default_config_static_selectorELNS0_4arch9wavefront6targetE1EEEvT1_, .Lfunc_end231-_ZN7rocprim17ROCPRIM_400000_NS6detail17trampoline_kernelINS0_14default_configENS1_35adjacent_difference_config_selectorILb0EtEEZNS1_24adjacent_difference_implIS3_Lb0ELb0EPtS7_N6thrust23THRUST_200600_302600_NS4plusItEEEE10hipError_tPvRmT2_T3_mT4_P12ihipStream_tbEUlT_E_NS1_11comp_targetILNS1_3genE0ELNS1_11target_archE4294967295ELNS1_3gpuE0ELNS1_3repE0EEENS1_30default_config_static_selectorELNS0_4arch9wavefront6targetE1EEEvT1_
                                        ; -- End function
	.set _ZN7rocprim17ROCPRIM_400000_NS6detail17trampoline_kernelINS0_14default_configENS1_35adjacent_difference_config_selectorILb0EtEEZNS1_24adjacent_difference_implIS3_Lb0ELb0EPtS7_N6thrust23THRUST_200600_302600_NS4plusItEEEE10hipError_tPvRmT2_T3_mT4_P12ihipStream_tbEUlT_E_NS1_11comp_targetILNS1_3genE0ELNS1_11target_archE4294967295ELNS1_3gpuE0ELNS1_3repE0EEENS1_30default_config_static_selectorELNS0_4arch9wavefront6targetE1EEEvT1_.num_vgpr, 0
	.set _ZN7rocprim17ROCPRIM_400000_NS6detail17trampoline_kernelINS0_14default_configENS1_35adjacent_difference_config_selectorILb0EtEEZNS1_24adjacent_difference_implIS3_Lb0ELb0EPtS7_N6thrust23THRUST_200600_302600_NS4plusItEEEE10hipError_tPvRmT2_T3_mT4_P12ihipStream_tbEUlT_E_NS1_11comp_targetILNS1_3genE0ELNS1_11target_archE4294967295ELNS1_3gpuE0ELNS1_3repE0EEENS1_30default_config_static_selectorELNS0_4arch9wavefront6targetE1EEEvT1_.num_agpr, 0
	.set _ZN7rocprim17ROCPRIM_400000_NS6detail17trampoline_kernelINS0_14default_configENS1_35adjacent_difference_config_selectorILb0EtEEZNS1_24adjacent_difference_implIS3_Lb0ELb0EPtS7_N6thrust23THRUST_200600_302600_NS4plusItEEEE10hipError_tPvRmT2_T3_mT4_P12ihipStream_tbEUlT_E_NS1_11comp_targetILNS1_3genE0ELNS1_11target_archE4294967295ELNS1_3gpuE0ELNS1_3repE0EEENS1_30default_config_static_selectorELNS0_4arch9wavefront6targetE1EEEvT1_.numbered_sgpr, 0
	.set _ZN7rocprim17ROCPRIM_400000_NS6detail17trampoline_kernelINS0_14default_configENS1_35adjacent_difference_config_selectorILb0EtEEZNS1_24adjacent_difference_implIS3_Lb0ELb0EPtS7_N6thrust23THRUST_200600_302600_NS4plusItEEEE10hipError_tPvRmT2_T3_mT4_P12ihipStream_tbEUlT_E_NS1_11comp_targetILNS1_3genE0ELNS1_11target_archE4294967295ELNS1_3gpuE0ELNS1_3repE0EEENS1_30default_config_static_selectorELNS0_4arch9wavefront6targetE1EEEvT1_.num_named_barrier, 0
	.set _ZN7rocprim17ROCPRIM_400000_NS6detail17trampoline_kernelINS0_14default_configENS1_35adjacent_difference_config_selectorILb0EtEEZNS1_24adjacent_difference_implIS3_Lb0ELb0EPtS7_N6thrust23THRUST_200600_302600_NS4plusItEEEE10hipError_tPvRmT2_T3_mT4_P12ihipStream_tbEUlT_E_NS1_11comp_targetILNS1_3genE0ELNS1_11target_archE4294967295ELNS1_3gpuE0ELNS1_3repE0EEENS1_30default_config_static_selectorELNS0_4arch9wavefront6targetE1EEEvT1_.private_seg_size, 0
	.set _ZN7rocprim17ROCPRIM_400000_NS6detail17trampoline_kernelINS0_14default_configENS1_35adjacent_difference_config_selectorILb0EtEEZNS1_24adjacent_difference_implIS3_Lb0ELb0EPtS7_N6thrust23THRUST_200600_302600_NS4plusItEEEE10hipError_tPvRmT2_T3_mT4_P12ihipStream_tbEUlT_E_NS1_11comp_targetILNS1_3genE0ELNS1_11target_archE4294967295ELNS1_3gpuE0ELNS1_3repE0EEENS1_30default_config_static_selectorELNS0_4arch9wavefront6targetE1EEEvT1_.uses_vcc, 0
	.set _ZN7rocprim17ROCPRIM_400000_NS6detail17trampoline_kernelINS0_14default_configENS1_35adjacent_difference_config_selectorILb0EtEEZNS1_24adjacent_difference_implIS3_Lb0ELb0EPtS7_N6thrust23THRUST_200600_302600_NS4plusItEEEE10hipError_tPvRmT2_T3_mT4_P12ihipStream_tbEUlT_E_NS1_11comp_targetILNS1_3genE0ELNS1_11target_archE4294967295ELNS1_3gpuE0ELNS1_3repE0EEENS1_30default_config_static_selectorELNS0_4arch9wavefront6targetE1EEEvT1_.uses_flat_scratch, 0
	.set _ZN7rocprim17ROCPRIM_400000_NS6detail17trampoline_kernelINS0_14default_configENS1_35adjacent_difference_config_selectorILb0EtEEZNS1_24adjacent_difference_implIS3_Lb0ELb0EPtS7_N6thrust23THRUST_200600_302600_NS4plusItEEEE10hipError_tPvRmT2_T3_mT4_P12ihipStream_tbEUlT_E_NS1_11comp_targetILNS1_3genE0ELNS1_11target_archE4294967295ELNS1_3gpuE0ELNS1_3repE0EEENS1_30default_config_static_selectorELNS0_4arch9wavefront6targetE1EEEvT1_.has_dyn_sized_stack, 0
	.set _ZN7rocprim17ROCPRIM_400000_NS6detail17trampoline_kernelINS0_14default_configENS1_35adjacent_difference_config_selectorILb0EtEEZNS1_24adjacent_difference_implIS3_Lb0ELb0EPtS7_N6thrust23THRUST_200600_302600_NS4plusItEEEE10hipError_tPvRmT2_T3_mT4_P12ihipStream_tbEUlT_E_NS1_11comp_targetILNS1_3genE0ELNS1_11target_archE4294967295ELNS1_3gpuE0ELNS1_3repE0EEENS1_30default_config_static_selectorELNS0_4arch9wavefront6targetE1EEEvT1_.has_recursion, 0
	.set _ZN7rocprim17ROCPRIM_400000_NS6detail17trampoline_kernelINS0_14default_configENS1_35adjacent_difference_config_selectorILb0EtEEZNS1_24adjacent_difference_implIS3_Lb0ELb0EPtS7_N6thrust23THRUST_200600_302600_NS4plusItEEEE10hipError_tPvRmT2_T3_mT4_P12ihipStream_tbEUlT_E_NS1_11comp_targetILNS1_3genE0ELNS1_11target_archE4294967295ELNS1_3gpuE0ELNS1_3repE0EEENS1_30default_config_static_selectorELNS0_4arch9wavefront6targetE1EEEvT1_.has_indirect_call, 0
	.section	.AMDGPU.csdata,"",@progbits
; Kernel info:
; codeLenInByte = 0
; TotalNumSgprs: 4
; NumVgprs: 0
; ScratchSize: 0
; MemoryBound: 0
; FloatMode: 240
; IeeeMode: 1
; LDSByteSize: 0 bytes/workgroup (compile time only)
; SGPRBlocks: 0
; VGPRBlocks: 0
; NumSGPRsForWavesPerEU: 4
; NumVGPRsForWavesPerEU: 1
; Occupancy: 10
; WaveLimiterHint : 0
; COMPUTE_PGM_RSRC2:SCRATCH_EN: 0
; COMPUTE_PGM_RSRC2:USER_SGPR: 6
; COMPUTE_PGM_RSRC2:TRAP_HANDLER: 0
; COMPUTE_PGM_RSRC2:TGID_X_EN: 1
; COMPUTE_PGM_RSRC2:TGID_Y_EN: 0
; COMPUTE_PGM_RSRC2:TGID_Z_EN: 0
; COMPUTE_PGM_RSRC2:TIDIG_COMP_CNT: 0
	.section	.text._ZN7rocprim17ROCPRIM_400000_NS6detail17trampoline_kernelINS0_14default_configENS1_35adjacent_difference_config_selectorILb0EtEEZNS1_24adjacent_difference_implIS3_Lb0ELb0EPtS7_N6thrust23THRUST_200600_302600_NS4plusItEEEE10hipError_tPvRmT2_T3_mT4_P12ihipStream_tbEUlT_E_NS1_11comp_targetILNS1_3genE10ELNS1_11target_archE1201ELNS1_3gpuE5ELNS1_3repE0EEENS1_30default_config_static_selectorELNS0_4arch9wavefront6targetE1EEEvT1_,"axG",@progbits,_ZN7rocprim17ROCPRIM_400000_NS6detail17trampoline_kernelINS0_14default_configENS1_35adjacent_difference_config_selectorILb0EtEEZNS1_24adjacent_difference_implIS3_Lb0ELb0EPtS7_N6thrust23THRUST_200600_302600_NS4plusItEEEE10hipError_tPvRmT2_T3_mT4_P12ihipStream_tbEUlT_E_NS1_11comp_targetILNS1_3genE10ELNS1_11target_archE1201ELNS1_3gpuE5ELNS1_3repE0EEENS1_30default_config_static_selectorELNS0_4arch9wavefront6targetE1EEEvT1_,comdat
	.protected	_ZN7rocprim17ROCPRIM_400000_NS6detail17trampoline_kernelINS0_14default_configENS1_35adjacent_difference_config_selectorILb0EtEEZNS1_24adjacent_difference_implIS3_Lb0ELb0EPtS7_N6thrust23THRUST_200600_302600_NS4plusItEEEE10hipError_tPvRmT2_T3_mT4_P12ihipStream_tbEUlT_E_NS1_11comp_targetILNS1_3genE10ELNS1_11target_archE1201ELNS1_3gpuE5ELNS1_3repE0EEENS1_30default_config_static_selectorELNS0_4arch9wavefront6targetE1EEEvT1_ ; -- Begin function _ZN7rocprim17ROCPRIM_400000_NS6detail17trampoline_kernelINS0_14default_configENS1_35adjacent_difference_config_selectorILb0EtEEZNS1_24adjacent_difference_implIS3_Lb0ELb0EPtS7_N6thrust23THRUST_200600_302600_NS4plusItEEEE10hipError_tPvRmT2_T3_mT4_P12ihipStream_tbEUlT_E_NS1_11comp_targetILNS1_3genE10ELNS1_11target_archE1201ELNS1_3gpuE5ELNS1_3repE0EEENS1_30default_config_static_selectorELNS0_4arch9wavefront6targetE1EEEvT1_
	.globl	_ZN7rocprim17ROCPRIM_400000_NS6detail17trampoline_kernelINS0_14default_configENS1_35adjacent_difference_config_selectorILb0EtEEZNS1_24adjacent_difference_implIS3_Lb0ELb0EPtS7_N6thrust23THRUST_200600_302600_NS4plusItEEEE10hipError_tPvRmT2_T3_mT4_P12ihipStream_tbEUlT_E_NS1_11comp_targetILNS1_3genE10ELNS1_11target_archE1201ELNS1_3gpuE5ELNS1_3repE0EEENS1_30default_config_static_selectorELNS0_4arch9wavefront6targetE1EEEvT1_
	.p2align	8
	.type	_ZN7rocprim17ROCPRIM_400000_NS6detail17trampoline_kernelINS0_14default_configENS1_35adjacent_difference_config_selectorILb0EtEEZNS1_24adjacent_difference_implIS3_Lb0ELb0EPtS7_N6thrust23THRUST_200600_302600_NS4plusItEEEE10hipError_tPvRmT2_T3_mT4_P12ihipStream_tbEUlT_E_NS1_11comp_targetILNS1_3genE10ELNS1_11target_archE1201ELNS1_3gpuE5ELNS1_3repE0EEENS1_30default_config_static_selectorELNS0_4arch9wavefront6targetE1EEEvT1_,@function
_ZN7rocprim17ROCPRIM_400000_NS6detail17trampoline_kernelINS0_14default_configENS1_35adjacent_difference_config_selectorILb0EtEEZNS1_24adjacent_difference_implIS3_Lb0ELb0EPtS7_N6thrust23THRUST_200600_302600_NS4plusItEEEE10hipError_tPvRmT2_T3_mT4_P12ihipStream_tbEUlT_E_NS1_11comp_targetILNS1_3genE10ELNS1_11target_archE1201ELNS1_3gpuE5ELNS1_3repE0EEENS1_30default_config_static_selectorELNS0_4arch9wavefront6targetE1EEEvT1_: ; @_ZN7rocprim17ROCPRIM_400000_NS6detail17trampoline_kernelINS0_14default_configENS1_35adjacent_difference_config_selectorILb0EtEEZNS1_24adjacent_difference_implIS3_Lb0ELb0EPtS7_N6thrust23THRUST_200600_302600_NS4plusItEEEE10hipError_tPvRmT2_T3_mT4_P12ihipStream_tbEUlT_E_NS1_11comp_targetILNS1_3genE10ELNS1_11target_archE1201ELNS1_3gpuE5ELNS1_3repE0EEENS1_30default_config_static_selectorELNS0_4arch9wavefront6targetE1EEEvT1_
; %bb.0:
	.section	.rodata,"a",@progbits
	.p2align	6, 0x0
	.amdhsa_kernel _ZN7rocprim17ROCPRIM_400000_NS6detail17trampoline_kernelINS0_14default_configENS1_35adjacent_difference_config_selectorILb0EtEEZNS1_24adjacent_difference_implIS3_Lb0ELb0EPtS7_N6thrust23THRUST_200600_302600_NS4plusItEEEE10hipError_tPvRmT2_T3_mT4_P12ihipStream_tbEUlT_E_NS1_11comp_targetILNS1_3genE10ELNS1_11target_archE1201ELNS1_3gpuE5ELNS1_3repE0EEENS1_30default_config_static_selectorELNS0_4arch9wavefront6targetE1EEEvT1_
		.amdhsa_group_segment_fixed_size 0
		.amdhsa_private_segment_fixed_size 0
		.amdhsa_kernarg_size 56
		.amdhsa_user_sgpr_count 6
		.amdhsa_user_sgpr_private_segment_buffer 1
		.amdhsa_user_sgpr_dispatch_ptr 0
		.amdhsa_user_sgpr_queue_ptr 0
		.amdhsa_user_sgpr_kernarg_segment_ptr 1
		.amdhsa_user_sgpr_dispatch_id 0
		.amdhsa_user_sgpr_flat_scratch_init 0
		.amdhsa_user_sgpr_private_segment_size 0
		.amdhsa_uses_dynamic_stack 0
		.amdhsa_system_sgpr_private_segment_wavefront_offset 0
		.amdhsa_system_sgpr_workgroup_id_x 1
		.amdhsa_system_sgpr_workgroup_id_y 0
		.amdhsa_system_sgpr_workgroup_id_z 0
		.amdhsa_system_sgpr_workgroup_info 0
		.amdhsa_system_vgpr_workitem_id 0
		.amdhsa_next_free_vgpr 1
		.amdhsa_next_free_sgpr 0
		.amdhsa_reserve_vcc 0
		.amdhsa_reserve_flat_scratch 0
		.amdhsa_float_round_mode_32 0
		.amdhsa_float_round_mode_16_64 0
		.amdhsa_float_denorm_mode_32 3
		.amdhsa_float_denorm_mode_16_64 3
		.amdhsa_dx10_clamp 1
		.amdhsa_ieee_mode 1
		.amdhsa_fp16_overflow 0
		.amdhsa_exception_fp_ieee_invalid_op 0
		.amdhsa_exception_fp_denorm_src 0
		.amdhsa_exception_fp_ieee_div_zero 0
		.amdhsa_exception_fp_ieee_overflow 0
		.amdhsa_exception_fp_ieee_underflow 0
		.amdhsa_exception_fp_ieee_inexact 0
		.amdhsa_exception_int_div_zero 0
	.end_amdhsa_kernel
	.section	.text._ZN7rocprim17ROCPRIM_400000_NS6detail17trampoline_kernelINS0_14default_configENS1_35adjacent_difference_config_selectorILb0EtEEZNS1_24adjacent_difference_implIS3_Lb0ELb0EPtS7_N6thrust23THRUST_200600_302600_NS4plusItEEEE10hipError_tPvRmT2_T3_mT4_P12ihipStream_tbEUlT_E_NS1_11comp_targetILNS1_3genE10ELNS1_11target_archE1201ELNS1_3gpuE5ELNS1_3repE0EEENS1_30default_config_static_selectorELNS0_4arch9wavefront6targetE1EEEvT1_,"axG",@progbits,_ZN7rocprim17ROCPRIM_400000_NS6detail17trampoline_kernelINS0_14default_configENS1_35adjacent_difference_config_selectorILb0EtEEZNS1_24adjacent_difference_implIS3_Lb0ELb0EPtS7_N6thrust23THRUST_200600_302600_NS4plusItEEEE10hipError_tPvRmT2_T3_mT4_P12ihipStream_tbEUlT_E_NS1_11comp_targetILNS1_3genE10ELNS1_11target_archE1201ELNS1_3gpuE5ELNS1_3repE0EEENS1_30default_config_static_selectorELNS0_4arch9wavefront6targetE1EEEvT1_,comdat
.Lfunc_end232:
	.size	_ZN7rocprim17ROCPRIM_400000_NS6detail17trampoline_kernelINS0_14default_configENS1_35adjacent_difference_config_selectorILb0EtEEZNS1_24adjacent_difference_implIS3_Lb0ELb0EPtS7_N6thrust23THRUST_200600_302600_NS4plusItEEEE10hipError_tPvRmT2_T3_mT4_P12ihipStream_tbEUlT_E_NS1_11comp_targetILNS1_3genE10ELNS1_11target_archE1201ELNS1_3gpuE5ELNS1_3repE0EEENS1_30default_config_static_selectorELNS0_4arch9wavefront6targetE1EEEvT1_, .Lfunc_end232-_ZN7rocprim17ROCPRIM_400000_NS6detail17trampoline_kernelINS0_14default_configENS1_35adjacent_difference_config_selectorILb0EtEEZNS1_24adjacent_difference_implIS3_Lb0ELb0EPtS7_N6thrust23THRUST_200600_302600_NS4plusItEEEE10hipError_tPvRmT2_T3_mT4_P12ihipStream_tbEUlT_E_NS1_11comp_targetILNS1_3genE10ELNS1_11target_archE1201ELNS1_3gpuE5ELNS1_3repE0EEENS1_30default_config_static_selectorELNS0_4arch9wavefront6targetE1EEEvT1_
                                        ; -- End function
	.set _ZN7rocprim17ROCPRIM_400000_NS6detail17trampoline_kernelINS0_14default_configENS1_35adjacent_difference_config_selectorILb0EtEEZNS1_24adjacent_difference_implIS3_Lb0ELb0EPtS7_N6thrust23THRUST_200600_302600_NS4plusItEEEE10hipError_tPvRmT2_T3_mT4_P12ihipStream_tbEUlT_E_NS1_11comp_targetILNS1_3genE10ELNS1_11target_archE1201ELNS1_3gpuE5ELNS1_3repE0EEENS1_30default_config_static_selectorELNS0_4arch9wavefront6targetE1EEEvT1_.num_vgpr, 0
	.set _ZN7rocprim17ROCPRIM_400000_NS6detail17trampoline_kernelINS0_14default_configENS1_35adjacent_difference_config_selectorILb0EtEEZNS1_24adjacent_difference_implIS3_Lb0ELb0EPtS7_N6thrust23THRUST_200600_302600_NS4plusItEEEE10hipError_tPvRmT2_T3_mT4_P12ihipStream_tbEUlT_E_NS1_11comp_targetILNS1_3genE10ELNS1_11target_archE1201ELNS1_3gpuE5ELNS1_3repE0EEENS1_30default_config_static_selectorELNS0_4arch9wavefront6targetE1EEEvT1_.num_agpr, 0
	.set _ZN7rocprim17ROCPRIM_400000_NS6detail17trampoline_kernelINS0_14default_configENS1_35adjacent_difference_config_selectorILb0EtEEZNS1_24adjacent_difference_implIS3_Lb0ELb0EPtS7_N6thrust23THRUST_200600_302600_NS4plusItEEEE10hipError_tPvRmT2_T3_mT4_P12ihipStream_tbEUlT_E_NS1_11comp_targetILNS1_3genE10ELNS1_11target_archE1201ELNS1_3gpuE5ELNS1_3repE0EEENS1_30default_config_static_selectorELNS0_4arch9wavefront6targetE1EEEvT1_.numbered_sgpr, 0
	.set _ZN7rocprim17ROCPRIM_400000_NS6detail17trampoline_kernelINS0_14default_configENS1_35adjacent_difference_config_selectorILb0EtEEZNS1_24adjacent_difference_implIS3_Lb0ELb0EPtS7_N6thrust23THRUST_200600_302600_NS4plusItEEEE10hipError_tPvRmT2_T3_mT4_P12ihipStream_tbEUlT_E_NS1_11comp_targetILNS1_3genE10ELNS1_11target_archE1201ELNS1_3gpuE5ELNS1_3repE0EEENS1_30default_config_static_selectorELNS0_4arch9wavefront6targetE1EEEvT1_.num_named_barrier, 0
	.set _ZN7rocprim17ROCPRIM_400000_NS6detail17trampoline_kernelINS0_14default_configENS1_35adjacent_difference_config_selectorILb0EtEEZNS1_24adjacent_difference_implIS3_Lb0ELb0EPtS7_N6thrust23THRUST_200600_302600_NS4plusItEEEE10hipError_tPvRmT2_T3_mT4_P12ihipStream_tbEUlT_E_NS1_11comp_targetILNS1_3genE10ELNS1_11target_archE1201ELNS1_3gpuE5ELNS1_3repE0EEENS1_30default_config_static_selectorELNS0_4arch9wavefront6targetE1EEEvT1_.private_seg_size, 0
	.set _ZN7rocprim17ROCPRIM_400000_NS6detail17trampoline_kernelINS0_14default_configENS1_35adjacent_difference_config_selectorILb0EtEEZNS1_24adjacent_difference_implIS3_Lb0ELb0EPtS7_N6thrust23THRUST_200600_302600_NS4plusItEEEE10hipError_tPvRmT2_T3_mT4_P12ihipStream_tbEUlT_E_NS1_11comp_targetILNS1_3genE10ELNS1_11target_archE1201ELNS1_3gpuE5ELNS1_3repE0EEENS1_30default_config_static_selectorELNS0_4arch9wavefront6targetE1EEEvT1_.uses_vcc, 0
	.set _ZN7rocprim17ROCPRIM_400000_NS6detail17trampoline_kernelINS0_14default_configENS1_35adjacent_difference_config_selectorILb0EtEEZNS1_24adjacent_difference_implIS3_Lb0ELb0EPtS7_N6thrust23THRUST_200600_302600_NS4plusItEEEE10hipError_tPvRmT2_T3_mT4_P12ihipStream_tbEUlT_E_NS1_11comp_targetILNS1_3genE10ELNS1_11target_archE1201ELNS1_3gpuE5ELNS1_3repE0EEENS1_30default_config_static_selectorELNS0_4arch9wavefront6targetE1EEEvT1_.uses_flat_scratch, 0
	.set _ZN7rocprim17ROCPRIM_400000_NS6detail17trampoline_kernelINS0_14default_configENS1_35adjacent_difference_config_selectorILb0EtEEZNS1_24adjacent_difference_implIS3_Lb0ELb0EPtS7_N6thrust23THRUST_200600_302600_NS4plusItEEEE10hipError_tPvRmT2_T3_mT4_P12ihipStream_tbEUlT_E_NS1_11comp_targetILNS1_3genE10ELNS1_11target_archE1201ELNS1_3gpuE5ELNS1_3repE0EEENS1_30default_config_static_selectorELNS0_4arch9wavefront6targetE1EEEvT1_.has_dyn_sized_stack, 0
	.set _ZN7rocprim17ROCPRIM_400000_NS6detail17trampoline_kernelINS0_14default_configENS1_35adjacent_difference_config_selectorILb0EtEEZNS1_24adjacent_difference_implIS3_Lb0ELb0EPtS7_N6thrust23THRUST_200600_302600_NS4plusItEEEE10hipError_tPvRmT2_T3_mT4_P12ihipStream_tbEUlT_E_NS1_11comp_targetILNS1_3genE10ELNS1_11target_archE1201ELNS1_3gpuE5ELNS1_3repE0EEENS1_30default_config_static_selectorELNS0_4arch9wavefront6targetE1EEEvT1_.has_recursion, 0
	.set _ZN7rocprim17ROCPRIM_400000_NS6detail17trampoline_kernelINS0_14default_configENS1_35adjacent_difference_config_selectorILb0EtEEZNS1_24adjacent_difference_implIS3_Lb0ELb0EPtS7_N6thrust23THRUST_200600_302600_NS4plusItEEEE10hipError_tPvRmT2_T3_mT4_P12ihipStream_tbEUlT_E_NS1_11comp_targetILNS1_3genE10ELNS1_11target_archE1201ELNS1_3gpuE5ELNS1_3repE0EEENS1_30default_config_static_selectorELNS0_4arch9wavefront6targetE1EEEvT1_.has_indirect_call, 0
	.section	.AMDGPU.csdata,"",@progbits
; Kernel info:
; codeLenInByte = 0
; TotalNumSgprs: 4
; NumVgprs: 0
; ScratchSize: 0
; MemoryBound: 0
; FloatMode: 240
; IeeeMode: 1
; LDSByteSize: 0 bytes/workgroup (compile time only)
; SGPRBlocks: 0
; VGPRBlocks: 0
; NumSGPRsForWavesPerEU: 4
; NumVGPRsForWavesPerEU: 1
; Occupancy: 10
; WaveLimiterHint : 0
; COMPUTE_PGM_RSRC2:SCRATCH_EN: 0
; COMPUTE_PGM_RSRC2:USER_SGPR: 6
; COMPUTE_PGM_RSRC2:TRAP_HANDLER: 0
; COMPUTE_PGM_RSRC2:TGID_X_EN: 1
; COMPUTE_PGM_RSRC2:TGID_Y_EN: 0
; COMPUTE_PGM_RSRC2:TGID_Z_EN: 0
; COMPUTE_PGM_RSRC2:TIDIG_COMP_CNT: 0
	.section	.text._ZN7rocprim17ROCPRIM_400000_NS6detail17trampoline_kernelINS0_14default_configENS1_35adjacent_difference_config_selectorILb0EtEEZNS1_24adjacent_difference_implIS3_Lb0ELb0EPtS7_N6thrust23THRUST_200600_302600_NS4plusItEEEE10hipError_tPvRmT2_T3_mT4_P12ihipStream_tbEUlT_E_NS1_11comp_targetILNS1_3genE5ELNS1_11target_archE942ELNS1_3gpuE9ELNS1_3repE0EEENS1_30default_config_static_selectorELNS0_4arch9wavefront6targetE1EEEvT1_,"axG",@progbits,_ZN7rocprim17ROCPRIM_400000_NS6detail17trampoline_kernelINS0_14default_configENS1_35adjacent_difference_config_selectorILb0EtEEZNS1_24adjacent_difference_implIS3_Lb0ELb0EPtS7_N6thrust23THRUST_200600_302600_NS4plusItEEEE10hipError_tPvRmT2_T3_mT4_P12ihipStream_tbEUlT_E_NS1_11comp_targetILNS1_3genE5ELNS1_11target_archE942ELNS1_3gpuE9ELNS1_3repE0EEENS1_30default_config_static_selectorELNS0_4arch9wavefront6targetE1EEEvT1_,comdat
	.protected	_ZN7rocprim17ROCPRIM_400000_NS6detail17trampoline_kernelINS0_14default_configENS1_35adjacent_difference_config_selectorILb0EtEEZNS1_24adjacent_difference_implIS3_Lb0ELb0EPtS7_N6thrust23THRUST_200600_302600_NS4plusItEEEE10hipError_tPvRmT2_T3_mT4_P12ihipStream_tbEUlT_E_NS1_11comp_targetILNS1_3genE5ELNS1_11target_archE942ELNS1_3gpuE9ELNS1_3repE0EEENS1_30default_config_static_selectorELNS0_4arch9wavefront6targetE1EEEvT1_ ; -- Begin function _ZN7rocprim17ROCPRIM_400000_NS6detail17trampoline_kernelINS0_14default_configENS1_35adjacent_difference_config_selectorILb0EtEEZNS1_24adjacent_difference_implIS3_Lb0ELb0EPtS7_N6thrust23THRUST_200600_302600_NS4plusItEEEE10hipError_tPvRmT2_T3_mT4_P12ihipStream_tbEUlT_E_NS1_11comp_targetILNS1_3genE5ELNS1_11target_archE942ELNS1_3gpuE9ELNS1_3repE0EEENS1_30default_config_static_selectorELNS0_4arch9wavefront6targetE1EEEvT1_
	.globl	_ZN7rocprim17ROCPRIM_400000_NS6detail17trampoline_kernelINS0_14default_configENS1_35adjacent_difference_config_selectorILb0EtEEZNS1_24adjacent_difference_implIS3_Lb0ELb0EPtS7_N6thrust23THRUST_200600_302600_NS4plusItEEEE10hipError_tPvRmT2_T3_mT4_P12ihipStream_tbEUlT_E_NS1_11comp_targetILNS1_3genE5ELNS1_11target_archE942ELNS1_3gpuE9ELNS1_3repE0EEENS1_30default_config_static_selectorELNS0_4arch9wavefront6targetE1EEEvT1_
	.p2align	8
	.type	_ZN7rocprim17ROCPRIM_400000_NS6detail17trampoline_kernelINS0_14default_configENS1_35adjacent_difference_config_selectorILb0EtEEZNS1_24adjacent_difference_implIS3_Lb0ELb0EPtS7_N6thrust23THRUST_200600_302600_NS4plusItEEEE10hipError_tPvRmT2_T3_mT4_P12ihipStream_tbEUlT_E_NS1_11comp_targetILNS1_3genE5ELNS1_11target_archE942ELNS1_3gpuE9ELNS1_3repE0EEENS1_30default_config_static_selectorELNS0_4arch9wavefront6targetE1EEEvT1_,@function
_ZN7rocprim17ROCPRIM_400000_NS6detail17trampoline_kernelINS0_14default_configENS1_35adjacent_difference_config_selectorILb0EtEEZNS1_24adjacent_difference_implIS3_Lb0ELb0EPtS7_N6thrust23THRUST_200600_302600_NS4plusItEEEE10hipError_tPvRmT2_T3_mT4_P12ihipStream_tbEUlT_E_NS1_11comp_targetILNS1_3genE5ELNS1_11target_archE942ELNS1_3gpuE9ELNS1_3repE0EEENS1_30default_config_static_selectorELNS0_4arch9wavefront6targetE1EEEvT1_: ; @_ZN7rocprim17ROCPRIM_400000_NS6detail17trampoline_kernelINS0_14default_configENS1_35adjacent_difference_config_selectorILb0EtEEZNS1_24adjacent_difference_implIS3_Lb0ELb0EPtS7_N6thrust23THRUST_200600_302600_NS4plusItEEEE10hipError_tPvRmT2_T3_mT4_P12ihipStream_tbEUlT_E_NS1_11comp_targetILNS1_3genE5ELNS1_11target_archE942ELNS1_3gpuE9ELNS1_3repE0EEENS1_30default_config_static_selectorELNS0_4arch9wavefront6targetE1EEEvT1_
; %bb.0:
	.section	.rodata,"a",@progbits
	.p2align	6, 0x0
	.amdhsa_kernel _ZN7rocprim17ROCPRIM_400000_NS6detail17trampoline_kernelINS0_14default_configENS1_35adjacent_difference_config_selectorILb0EtEEZNS1_24adjacent_difference_implIS3_Lb0ELb0EPtS7_N6thrust23THRUST_200600_302600_NS4plusItEEEE10hipError_tPvRmT2_T3_mT4_P12ihipStream_tbEUlT_E_NS1_11comp_targetILNS1_3genE5ELNS1_11target_archE942ELNS1_3gpuE9ELNS1_3repE0EEENS1_30default_config_static_selectorELNS0_4arch9wavefront6targetE1EEEvT1_
		.amdhsa_group_segment_fixed_size 0
		.amdhsa_private_segment_fixed_size 0
		.amdhsa_kernarg_size 56
		.amdhsa_user_sgpr_count 6
		.amdhsa_user_sgpr_private_segment_buffer 1
		.amdhsa_user_sgpr_dispatch_ptr 0
		.amdhsa_user_sgpr_queue_ptr 0
		.amdhsa_user_sgpr_kernarg_segment_ptr 1
		.amdhsa_user_sgpr_dispatch_id 0
		.amdhsa_user_sgpr_flat_scratch_init 0
		.amdhsa_user_sgpr_private_segment_size 0
		.amdhsa_uses_dynamic_stack 0
		.amdhsa_system_sgpr_private_segment_wavefront_offset 0
		.amdhsa_system_sgpr_workgroup_id_x 1
		.amdhsa_system_sgpr_workgroup_id_y 0
		.amdhsa_system_sgpr_workgroup_id_z 0
		.amdhsa_system_sgpr_workgroup_info 0
		.amdhsa_system_vgpr_workitem_id 0
		.amdhsa_next_free_vgpr 1
		.amdhsa_next_free_sgpr 0
		.amdhsa_reserve_vcc 0
		.amdhsa_reserve_flat_scratch 0
		.amdhsa_float_round_mode_32 0
		.amdhsa_float_round_mode_16_64 0
		.amdhsa_float_denorm_mode_32 3
		.amdhsa_float_denorm_mode_16_64 3
		.amdhsa_dx10_clamp 1
		.amdhsa_ieee_mode 1
		.amdhsa_fp16_overflow 0
		.amdhsa_exception_fp_ieee_invalid_op 0
		.amdhsa_exception_fp_denorm_src 0
		.amdhsa_exception_fp_ieee_div_zero 0
		.amdhsa_exception_fp_ieee_overflow 0
		.amdhsa_exception_fp_ieee_underflow 0
		.amdhsa_exception_fp_ieee_inexact 0
		.amdhsa_exception_int_div_zero 0
	.end_amdhsa_kernel
	.section	.text._ZN7rocprim17ROCPRIM_400000_NS6detail17trampoline_kernelINS0_14default_configENS1_35adjacent_difference_config_selectorILb0EtEEZNS1_24adjacent_difference_implIS3_Lb0ELb0EPtS7_N6thrust23THRUST_200600_302600_NS4plusItEEEE10hipError_tPvRmT2_T3_mT4_P12ihipStream_tbEUlT_E_NS1_11comp_targetILNS1_3genE5ELNS1_11target_archE942ELNS1_3gpuE9ELNS1_3repE0EEENS1_30default_config_static_selectorELNS0_4arch9wavefront6targetE1EEEvT1_,"axG",@progbits,_ZN7rocprim17ROCPRIM_400000_NS6detail17trampoline_kernelINS0_14default_configENS1_35adjacent_difference_config_selectorILb0EtEEZNS1_24adjacent_difference_implIS3_Lb0ELb0EPtS7_N6thrust23THRUST_200600_302600_NS4plusItEEEE10hipError_tPvRmT2_T3_mT4_P12ihipStream_tbEUlT_E_NS1_11comp_targetILNS1_3genE5ELNS1_11target_archE942ELNS1_3gpuE9ELNS1_3repE0EEENS1_30default_config_static_selectorELNS0_4arch9wavefront6targetE1EEEvT1_,comdat
.Lfunc_end233:
	.size	_ZN7rocprim17ROCPRIM_400000_NS6detail17trampoline_kernelINS0_14default_configENS1_35adjacent_difference_config_selectorILb0EtEEZNS1_24adjacent_difference_implIS3_Lb0ELb0EPtS7_N6thrust23THRUST_200600_302600_NS4plusItEEEE10hipError_tPvRmT2_T3_mT4_P12ihipStream_tbEUlT_E_NS1_11comp_targetILNS1_3genE5ELNS1_11target_archE942ELNS1_3gpuE9ELNS1_3repE0EEENS1_30default_config_static_selectorELNS0_4arch9wavefront6targetE1EEEvT1_, .Lfunc_end233-_ZN7rocprim17ROCPRIM_400000_NS6detail17trampoline_kernelINS0_14default_configENS1_35adjacent_difference_config_selectorILb0EtEEZNS1_24adjacent_difference_implIS3_Lb0ELb0EPtS7_N6thrust23THRUST_200600_302600_NS4plusItEEEE10hipError_tPvRmT2_T3_mT4_P12ihipStream_tbEUlT_E_NS1_11comp_targetILNS1_3genE5ELNS1_11target_archE942ELNS1_3gpuE9ELNS1_3repE0EEENS1_30default_config_static_selectorELNS0_4arch9wavefront6targetE1EEEvT1_
                                        ; -- End function
	.set _ZN7rocprim17ROCPRIM_400000_NS6detail17trampoline_kernelINS0_14default_configENS1_35adjacent_difference_config_selectorILb0EtEEZNS1_24adjacent_difference_implIS3_Lb0ELb0EPtS7_N6thrust23THRUST_200600_302600_NS4plusItEEEE10hipError_tPvRmT2_T3_mT4_P12ihipStream_tbEUlT_E_NS1_11comp_targetILNS1_3genE5ELNS1_11target_archE942ELNS1_3gpuE9ELNS1_3repE0EEENS1_30default_config_static_selectorELNS0_4arch9wavefront6targetE1EEEvT1_.num_vgpr, 0
	.set _ZN7rocprim17ROCPRIM_400000_NS6detail17trampoline_kernelINS0_14default_configENS1_35adjacent_difference_config_selectorILb0EtEEZNS1_24adjacent_difference_implIS3_Lb0ELb0EPtS7_N6thrust23THRUST_200600_302600_NS4plusItEEEE10hipError_tPvRmT2_T3_mT4_P12ihipStream_tbEUlT_E_NS1_11comp_targetILNS1_3genE5ELNS1_11target_archE942ELNS1_3gpuE9ELNS1_3repE0EEENS1_30default_config_static_selectorELNS0_4arch9wavefront6targetE1EEEvT1_.num_agpr, 0
	.set _ZN7rocprim17ROCPRIM_400000_NS6detail17trampoline_kernelINS0_14default_configENS1_35adjacent_difference_config_selectorILb0EtEEZNS1_24adjacent_difference_implIS3_Lb0ELb0EPtS7_N6thrust23THRUST_200600_302600_NS4plusItEEEE10hipError_tPvRmT2_T3_mT4_P12ihipStream_tbEUlT_E_NS1_11comp_targetILNS1_3genE5ELNS1_11target_archE942ELNS1_3gpuE9ELNS1_3repE0EEENS1_30default_config_static_selectorELNS0_4arch9wavefront6targetE1EEEvT1_.numbered_sgpr, 0
	.set _ZN7rocprim17ROCPRIM_400000_NS6detail17trampoline_kernelINS0_14default_configENS1_35adjacent_difference_config_selectorILb0EtEEZNS1_24adjacent_difference_implIS3_Lb0ELb0EPtS7_N6thrust23THRUST_200600_302600_NS4plusItEEEE10hipError_tPvRmT2_T3_mT4_P12ihipStream_tbEUlT_E_NS1_11comp_targetILNS1_3genE5ELNS1_11target_archE942ELNS1_3gpuE9ELNS1_3repE0EEENS1_30default_config_static_selectorELNS0_4arch9wavefront6targetE1EEEvT1_.num_named_barrier, 0
	.set _ZN7rocprim17ROCPRIM_400000_NS6detail17trampoline_kernelINS0_14default_configENS1_35adjacent_difference_config_selectorILb0EtEEZNS1_24adjacent_difference_implIS3_Lb0ELb0EPtS7_N6thrust23THRUST_200600_302600_NS4plusItEEEE10hipError_tPvRmT2_T3_mT4_P12ihipStream_tbEUlT_E_NS1_11comp_targetILNS1_3genE5ELNS1_11target_archE942ELNS1_3gpuE9ELNS1_3repE0EEENS1_30default_config_static_selectorELNS0_4arch9wavefront6targetE1EEEvT1_.private_seg_size, 0
	.set _ZN7rocprim17ROCPRIM_400000_NS6detail17trampoline_kernelINS0_14default_configENS1_35adjacent_difference_config_selectorILb0EtEEZNS1_24adjacent_difference_implIS3_Lb0ELb0EPtS7_N6thrust23THRUST_200600_302600_NS4plusItEEEE10hipError_tPvRmT2_T3_mT4_P12ihipStream_tbEUlT_E_NS1_11comp_targetILNS1_3genE5ELNS1_11target_archE942ELNS1_3gpuE9ELNS1_3repE0EEENS1_30default_config_static_selectorELNS0_4arch9wavefront6targetE1EEEvT1_.uses_vcc, 0
	.set _ZN7rocprim17ROCPRIM_400000_NS6detail17trampoline_kernelINS0_14default_configENS1_35adjacent_difference_config_selectorILb0EtEEZNS1_24adjacent_difference_implIS3_Lb0ELb0EPtS7_N6thrust23THRUST_200600_302600_NS4plusItEEEE10hipError_tPvRmT2_T3_mT4_P12ihipStream_tbEUlT_E_NS1_11comp_targetILNS1_3genE5ELNS1_11target_archE942ELNS1_3gpuE9ELNS1_3repE0EEENS1_30default_config_static_selectorELNS0_4arch9wavefront6targetE1EEEvT1_.uses_flat_scratch, 0
	.set _ZN7rocprim17ROCPRIM_400000_NS6detail17trampoline_kernelINS0_14default_configENS1_35adjacent_difference_config_selectorILb0EtEEZNS1_24adjacent_difference_implIS3_Lb0ELb0EPtS7_N6thrust23THRUST_200600_302600_NS4plusItEEEE10hipError_tPvRmT2_T3_mT4_P12ihipStream_tbEUlT_E_NS1_11comp_targetILNS1_3genE5ELNS1_11target_archE942ELNS1_3gpuE9ELNS1_3repE0EEENS1_30default_config_static_selectorELNS0_4arch9wavefront6targetE1EEEvT1_.has_dyn_sized_stack, 0
	.set _ZN7rocprim17ROCPRIM_400000_NS6detail17trampoline_kernelINS0_14default_configENS1_35adjacent_difference_config_selectorILb0EtEEZNS1_24adjacent_difference_implIS3_Lb0ELb0EPtS7_N6thrust23THRUST_200600_302600_NS4plusItEEEE10hipError_tPvRmT2_T3_mT4_P12ihipStream_tbEUlT_E_NS1_11comp_targetILNS1_3genE5ELNS1_11target_archE942ELNS1_3gpuE9ELNS1_3repE0EEENS1_30default_config_static_selectorELNS0_4arch9wavefront6targetE1EEEvT1_.has_recursion, 0
	.set _ZN7rocprim17ROCPRIM_400000_NS6detail17trampoline_kernelINS0_14default_configENS1_35adjacent_difference_config_selectorILb0EtEEZNS1_24adjacent_difference_implIS3_Lb0ELb0EPtS7_N6thrust23THRUST_200600_302600_NS4plusItEEEE10hipError_tPvRmT2_T3_mT4_P12ihipStream_tbEUlT_E_NS1_11comp_targetILNS1_3genE5ELNS1_11target_archE942ELNS1_3gpuE9ELNS1_3repE0EEENS1_30default_config_static_selectorELNS0_4arch9wavefront6targetE1EEEvT1_.has_indirect_call, 0
	.section	.AMDGPU.csdata,"",@progbits
; Kernel info:
; codeLenInByte = 0
; TotalNumSgprs: 4
; NumVgprs: 0
; ScratchSize: 0
; MemoryBound: 0
; FloatMode: 240
; IeeeMode: 1
; LDSByteSize: 0 bytes/workgroup (compile time only)
; SGPRBlocks: 0
; VGPRBlocks: 0
; NumSGPRsForWavesPerEU: 4
; NumVGPRsForWavesPerEU: 1
; Occupancy: 10
; WaveLimiterHint : 0
; COMPUTE_PGM_RSRC2:SCRATCH_EN: 0
; COMPUTE_PGM_RSRC2:USER_SGPR: 6
; COMPUTE_PGM_RSRC2:TRAP_HANDLER: 0
; COMPUTE_PGM_RSRC2:TGID_X_EN: 1
; COMPUTE_PGM_RSRC2:TGID_Y_EN: 0
; COMPUTE_PGM_RSRC2:TGID_Z_EN: 0
; COMPUTE_PGM_RSRC2:TIDIG_COMP_CNT: 0
	.section	.text._ZN7rocprim17ROCPRIM_400000_NS6detail17trampoline_kernelINS0_14default_configENS1_35adjacent_difference_config_selectorILb0EtEEZNS1_24adjacent_difference_implIS3_Lb0ELb0EPtS7_N6thrust23THRUST_200600_302600_NS4plusItEEEE10hipError_tPvRmT2_T3_mT4_P12ihipStream_tbEUlT_E_NS1_11comp_targetILNS1_3genE4ELNS1_11target_archE910ELNS1_3gpuE8ELNS1_3repE0EEENS1_30default_config_static_selectorELNS0_4arch9wavefront6targetE1EEEvT1_,"axG",@progbits,_ZN7rocprim17ROCPRIM_400000_NS6detail17trampoline_kernelINS0_14default_configENS1_35adjacent_difference_config_selectorILb0EtEEZNS1_24adjacent_difference_implIS3_Lb0ELb0EPtS7_N6thrust23THRUST_200600_302600_NS4plusItEEEE10hipError_tPvRmT2_T3_mT4_P12ihipStream_tbEUlT_E_NS1_11comp_targetILNS1_3genE4ELNS1_11target_archE910ELNS1_3gpuE8ELNS1_3repE0EEENS1_30default_config_static_selectorELNS0_4arch9wavefront6targetE1EEEvT1_,comdat
	.protected	_ZN7rocprim17ROCPRIM_400000_NS6detail17trampoline_kernelINS0_14default_configENS1_35adjacent_difference_config_selectorILb0EtEEZNS1_24adjacent_difference_implIS3_Lb0ELb0EPtS7_N6thrust23THRUST_200600_302600_NS4plusItEEEE10hipError_tPvRmT2_T3_mT4_P12ihipStream_tbEUlT_E_NS1_11comp_targetILNS1_3genE4ELNS1_11target_archE910ELNS1_3gpuE8ELNS1_3repE0EEENS1_30default_config_static_selectorELNS0_4arch9wavefront6targetE1EEEvT1_ ; -- Begin function _ZN7rocprim17ROCPRIM_400000_NS6detail17trampoline_kernelINS0_14default_configENS1_35adjacent_difference_config_selectorILb0EtEEZNS1_24adjacent_difference_implIS3_Lb0ELb0EPtS7_N6thrust23THRUST_200600_302600_NS4plusItEEEE10hipError_tPvRmT2_T3_mT4_P12ihipStream_tbEUlT_E_NS1_11comp_targetILNS1_3genE4ELNS1_11target_archE910ELNS1_3gpuE8ELNS1_3repE0EEENS1_30default_config_static_selectorELNS0_4arch9wavefront6targetE1EEEvT1_
	.globl	_ZN7rocprim17ROCPRIM_400000_NS6detail17trampoline_kernelINS0_14default_configENS1_35adjacent_difference_config_selectorILb0EtEEZNS1_24adjacent_difference_implIS3_Lb0ELb0EPtS7_N6thrust23THRUST_200600_302600_NS4plusItEEEE10hipError_tPvRmT2_T3_mT4_P12ihipStream_tbEUlT_E_NS1_11comp_targetILNS1_3genE4ELNS1_11target_archE910ELNS1_3gpuE8ELNS1_3repE0EEENS1_30default_config_static_selectorELNS0_4arch9wavefront6targetE1EEEvT1_
	.p2align	8
	.type	_ZN7rocprim17ROCPRIM_400000_NS6detail17trampoline_kernelINS0_14default_configENS1_35adjacent_difference_config_selectorILb0EtEEZNS1_24adjacent_difference_implIS3_Lb0ELb0EPtS7_N6thrust23THRUST_200600_302600_NS4plusItEEEE10hipError_tPvRmT2_T3_mT4_P12ihipStream_tbEUlT_E_NS1_11comp_targetILNS1_3genE4ELNS1_11target_archE910ELNS1_3gpuE8ELNS1_3repE0EEENS1_30default_config_static_selectorELNS0_4arch9wavefront6targetE1EEEvT1_,@function
_ZN7rocprim17ROCPRIM_400000_NS6detail17trampoline_kernelINS0_14default_configENS1_35adjacent_difference_config_selectorILb0EtEEZNS1_24adjacent_difference_implIS3_Lb0ELb0EPtS7_N6thrust23THRUST_200600_302600_NS4plusItEEEE10hipError_tPvRmT2_T3_mT4_P12ihipStream_tbEUlT_E_NS1_11comp_targetILNS1_3genE4ELNS1_11target_archE910ELNS1_3gpuE8ELNS1_3repE0EEENS1_30default_config_static_selectorELNS0_4arch9wavefront6targetE1EEEvT1_: ; @_ZN7rocprim17ROCPRIM_400000_NS6detail17trampoline_kernelINS0_14default_configENS1_35adjacent_difference_config_selectorILb0EtEEZNS1_24adjacent_difference_implIS3_Lb0ELb0EPtS7_N6thrust23THRUST_200600_302600_NS4plusItEEEE10hipError_tPvRmT2_T3_mT4_P12ihipStream_tbEUlT_E_NS1_11comp_targetILNS1_3genE4ELNS1_11target_archE910ELNS1_3gpuE8ELNS1_3repE0EEENS1_30default_config_static_selectorELNS0_4arch9wavefront6targetE1EEEvT1_
; %bb.0:
	.section	.rodata,"a",@progbits
	.p2align	6, 0x0
	.amdhsa_kernel _ZN7rocprim17ROCPRIM_400000_NS6detail17trampoline_kernelINS0_14default_configENS1_35adjacent_difference_config_selectorILb0EtEEZNS1_24adjacent_difference_implIS3_Lb0ELb0EPtS7_N6thrust23THRUST_200600_302600_NS4plusItEEEE10hipError_tPvRmT2_T3_mT4_P12ihipStream_tbEUlT_E_NS1_11comp_targetILNS1_3genE4ELNS1_11target_archE910ELNS1_3gpuE8ELNS1_3repE0EEENS1_30default_config_static_selectorELNS0_4arch9wavefront6targetE1EEEvT1_
		.amdhsa_group_segment_fixed_size 0
		.amdhsa_private_segment_fixed_size 0
		.amdhsa_kernarg_size 56
		.amdhsa_user_sgpr_count 6
		.amdhsa_user_sgpr_private_segment_buffer 1
		.amdhsa_user_sgpr_dispatch_ptr 0
		.amdhsa_user_sgpr_queue_ptr 0
		.amdhsa_user_sgpr_kernarg_segment_ptr 1
		.amdhsa_user_sgpr_dispatch_id 0
		.amdhsa_user_sgpr_flat_scratch_init 0
		.amdhsa_user_sgpr_private_segment_size 0
		.amdhsa_uses_dynamic_stack 0
		.amdhsa_system_sgpr_private_segment_wavefront_offset 0
		.amdhsa_system_sgpr_workgroup_id_x 1
		.amdhsa_system_sgpr_workgroup_id_y 0
		.amdhsa_system_sgpr_workgroup_id_z 0
		.amdhsa_system_sgpr_workgroup_info 0
		.amdhsa_system_vgpr_workitem_id 0
		.amdhsa_next_free_vgpr 1
		.amdhsa_next_free_sgpr 0
		.amdhsa_reserve_vcc 0
		.amdhsa_reserve_flat_scratch 0
		.amdhsa_float_round_mode_32 0
		.amdhsa_float_round_mode_16_64 0
		.amdhsa_float_denorm_mode_32 3
		.amdhsa_float_denorm_mode_16_64 3
		.amdhsa_dx10_clamp 1
		.amdhsa_ieee_mode 1
		.amdhsa_fp16_overflow 0
		.amdhsa_exception_fp_ieee_invalid_op 0
		.amdhsa_exception_fp_denorm_src 0
		.amdhsa_exception_fp_ieee_div_zero 0
		.amdhsa_exception_fp_ieee_overflow 0
		.amdhsa_exception_fp_ieee_underflow 0
		.amdhsa_exception_fp_ieee_inexact 0
		.amdhsa_exception_int_div_zero 0
	.end_amdhsa_kernel
	.section	.text._ZN7rocprim17ROCPRIM_400000_NS6detail17trampoline_kernelINS0_14default_configENS1_35adjacent_difference_config_selectorILb0EtEEZNS1_24adjacent_difference_implIS3_Lb0ELb0EPtS7_N6thrust23THRUST_200600_302600_NS4plusItEEEE10hipError_tPvRmT2_T3_mT4_P12ihipStream_tbEUlT_E_NS1_11comp_targetILNS1_3genE4ELNS1_11target_archE910ELNS1_3gpuE8ELNS1_3repE0EEENS1_30default_config_static_selectorELNS0_4arch9wavefront6targetE1EEEvT1_,"axG",@progbits,_ZN7rocprim17ROCPRIM_400000_NS6detail17trampoline_kernelINS0_14default_configENS1_35adjacent_difference_config_selectorILb0EtEEZNS1_24adjacent_difference_implIS3_Lb0ELb0EPtS7_N6thrust23THRUST_200600_302600_NS4plusItEEEE10hipError_tPvRmT2_T3_mT4_P12ihipStream_tbEUlT_E_NS1_11comp_targetILNS1_3genE4ELNS1_11target_archE910ELNS1_3gpuE8ELNS1_3repE0EEENS1_30default_config_static_selectorELNS0_4arch9wavefront6targetE1EEEvT1_,comdat
.Lfunc_end234:
	.size	_ZN7rocprim17ROCPRIM_400000_NS6detail17trampoline_kernelINS0_14default_configENS1_35adjacent_difference_config_selectorILb0EtEEZNS1_24adjacent_difference_implIS3_Lb0ELb0EPtS7_N6thrust23THRUST_200600_302600_NS4plusItEEEE10hipError_tPvRmT2_T3_mT4_P12ihipStream_tbEUlT_E_NS1_11comp_targetILNS1_3genE4ELNS1_11target_archE910ELNS1_3gpuE8ELNS1_3repE0EEENS1_30default_config_static_selectorELNS0_4arch9wavefront6targetE1EEEvT1_, .Lfunc_end234-_ZN7rocprim17ROCPRIM_400000_NS6detail17trampoline_kernelINS0_14default_configENS1_35adjacent_difference_config_selectorILb0EtEEZNS1_24adjacent_difference_implIS3_Lb0ELb0EPtS7_N6thrust23THRUST_200600_302600_NS4plusItEEEE10hipError_tPvRmT2_T3_mT4_P12ihipStream_tbEUlT_E_NS1_11comp_targetILNS1_3genE4ELNS1_11target_archE910ELNS1_3gpuE8ELNS1_3repE0EEENS1_30default_config_static_selectorELNS0_4arch9wavefront6targetE1EEEvT1_
                                        ; -- End function
	.set _ZN7rocprim17ROCPRIM_400000_NS6detail17trampoline_kernelINS0_14default_configENS1_35adjacent_difference_config_selectorILb0EtEEZNS1_24adjacent_difference_implIS3_Lb0ELb0EPtS7_N6thrust23THRUST_200600_302600_NS4plusItEEEE10hipError_tPvRmT2_T3_mT4_P12ihipStream_tbEUlT_E_NS1_11comp_targetILNS1_3genE4ELNS1_11target_archE910ELNS1_3gpuE8ELNS1_3repE0EEENS1_30default_config_static_selectorELNS0_4arch9wavefront6targetE1EEEvT1_.num_vgpr, 0
	.set _ZN7rocprim17ROCPRIM_400000_NS6detail17trampoline_kernelINS0_14default_configENS1_35adjacent_difference_config_selectorILb0EtEEZNS1_24adjacent_difference_implIS3_Lb0ELb0EPtS7_N6thrust23THRUST_200600_302600_NS4plusItEEEE10hipError_tPvRmT2_T3_mT4_P12ihipStream_tbEUlT_E_NS1_11comp_targetILNS1_3genE4ELNS1_11target_archE910ELNS1_3gpuE8ELNS1_3repE0EEENS1_30default_config_static_selectorELNS0_4arch9wavefront6targetE1EEEvT1_.num_agpr, 0
	.set _ZN7rocprim17ROCPRIM_400000_NS6detail17trampoline_kernelINS0_14default_configENS1_35adjacent_difference_config_selectorILb0EtEEZNS1_24adjacent_difference_implIS3_Lb0ELb0EPtS7_N6thrust23THRUST_200600_302600_NS4plusItEEEE10hipError_tPvRmT2_T3_mT4_P12ihipStream_tbEUlT_E_NS1_11comp_targetILNS1_3genE4ELNS1_11target_archE910ELNS1_3gpuE8ELNS1_3repE0EEENS1_30default_config_static_selectorELNS0_4arch9wavefront6targetE1EEEvT1_.numbered_sgpr, 0
	.set _ZN7rocprim17ROCPRIM_400000_NS6detail17trampoline_kernelINS0_14default_configENS1_35adjacent_difference_config_selectorILb0EtEEZNS1_24adjacent_difference_implIS3_Lb0ELb0EPtS7_N6thrust23THRUST_200600_302600_NS4plusItEEEE10hipError_tPvRmT2_T3_mT4_P12ihipStream_tbEUlT_E_NS1_11comp_targetILNS1_3genE4ELNS1_11target_archE910ELNS1_3gpuE8ELNS1_3repE0EEENS1_30default_config_static_selectorELNS0_4arch9wavefront6targetE1EEEvT1_.num_named_barrier, 0
	.set _ZN7rocprim17ROCPRIM_400000_NS6detail17trampoline_kernelINS0_14default_configENS1_35adjacent_difference_config_selectorILb0EtEEZNS1_24adjacent_difference_implIS3_Lb0ELb0EPtS7_N6thrust23THRUST_200600_302600_NS4plusItEEEE10hipError_tPvRmT2_T3_mT4_P12ihipStream_tbEUlT_E_NS1_11comp_targetILNS1_3genE4ELNS1_11target_archE910ELNS1_3gpuE8ELNS1_3repE0EEENS1_30default_config_static_selectorELNS0_4arch9wavefront6targetE1EEEvT1_.private_seg_size, 0
	.set _ZN7rocprim17ROCPRIM_400000_NS6detail17trampoline_kernelINS0_14default_configENS1_35adjacent_difference_config_selectorILb0EtEEZNS1_24adjacent_difference_implIS3_Lb0ELb0EPtS7_N6thrust23THRUST_200600_302600_NS4plusItEEEE10hipError_tPvRmT2_T3_mT4_P12ihipStream_tbEUlT_E_NS1_11comp_targetILNS1_3genE4ELNS1_11target_archE910ELNS1_3gpuE8ELNS1_3repE0EEENS1_30default_config_static_selectorELNS0_4arch9wavefront6targetE1EEEvT1_.uses_vcc, 0
	.set _ZN7rocprim17ROCPRIM_400000_NS6detail17trampoline_kernelINS0_14default_configENS1_35adjacent_difference_config_selectorILb0EtEEZNS1_24adjacent_difference_implIS3_Lb0ELb0EPtS7_N6thrust23THRUST_200600_302600_NS4plusItEEEE10hipError_tPvRmT2_T3_mT4_P12ihipStream_tbEUlT_E_NS1_11comp_targetILNS1_3genE4ELNS1_11target_archE910ELNS1_3gpuE8ELNS1_3repE0EEENS1_30default_config_static_selectorELNS0_4arch9wavefront6targetE1EEEvT1_.uses_flat_scratch, 0
	.set _ZN7rocprim17ROCPRIM_400000_NS6detail17trampoline_kernelINS0_14default_configENS1_35adjacent_difference_config_selectorILb0EtEEZNS1_24adjacent_difference_implIS3_Lb0ELb0EPtS7_N6thrust23THRUST_200600_302600_NS4plusItEEEE10hipError_tPvRmT2_T3_mT4_P12ihipStream_tbEUlT_E_NS1_11comp_targetILNS1_3genE4ELNS1_11target_archE910ELNS1_3gpuE8ELNS1_3repE0EEENS1_30default_config_static_selectorELNS0_4arch9wavefront6targetE1EEEvT1_.has_dyn_sized_stack, 0
	.set _ZN7rocprim17ROCPRIM_400000_NS6detail17trampoline_kernelINS0_14default_configENS1_35adjacent_difference_config_selectorILb0EtEEZNS1_24adjacent_difference_implIS3_Lb0ELb0EPtS7_N6thrust23THRUST_200600_302600_NS4plusItEEEE10hipError_tPvRmT2_T3_mT4_P12ihipStream_tbEUlT_E_NS1_11comp_targetILNS1_3genE4ELNS1_11target_archE910ELNS1_3gpuE8ELNS1_3repE0EEENS1_30default_config_static_selectorELNS0_4arch9wavefront6targetE1EEEvT1_.has_recursion, 0
	.set _ZN7rocprim17ROCPRIM_400000_NS6detail17trampoline_kernelINS0_14default_configENS1_35adjacent_difference_config_selectorILb0EtEEZNS1_24adjacent_difference_implIS3_Lb0ELb0EPtS7_N6thrust23THRUST_200600_302600_NS4plusItEEEE10hipError_tPvRmT2_T3_mT4_P12ihipStream_tbEUlT_E_NS1_11comp_targetILNS1_3genE4ELNS1_11target_archE910ELNS1_3gpuE8ELNS1_3repE0EEENS1_30default_config_static_selectorELNS0_4arch9wavefront6targetE1EEEvT1_.has_indirect_call, 0
	.section	.AMDGPU.csdata,"",@progbits
; Kernel info:
; codeLenInByte = 0
; TotalNumSgprs: 4
; NumVgprs: 0
; ScratchSize: 0
; MemoryBound: 0
; FloatMode: 240
; IeeeMode: 1
; LDSByteSize: 0 bytes/workgroup (compile time only)
; SGPRBlocks: 0
; VGPRBlocks: 0
; NumSGPRsForWavesPerEU: 4
; NumVGPRsForWavesPerEU: 1
; Occupancy: 10
; WaveLimiterHint : 0
; COMPUTE_PGM_RSRC2:SCRATCH_EN: 0
; COMPUTE_PGM_RSRC2:USER_SGPR: 6
; COMPUTE_PGM_RSRC2:TRAP_HANDLER: 0
; COMPUTE_PGM_RSRC2:TGID_X_EN: 1
; COMPUTE_PGM_RSRC2:TGID_Y_EN: 0
; COMPUTE_PGM_RSRC2:TGID_Z_EN: 0
; COMPUTE_PGM_RSRC2:TIDIG_COMP_CNT: 0
	.section	.text._ZN7rocprim17ROCPRIM_400000_NS6detail17trampoline_kernelINS0_14default_configENS1_35adjacent_difference_config_selectorILb0EtEEZNS1_24adjacent_difference_implIS3_Lb0ELb0EPtS7_N6thrust23THRUST_200600_302600_NS4plusItEEEE10hipError_tPvRmT2_T3_mT4_P12ihipStream_tbEUlT_E_NS1_11comp_targetILNS1_3genE3ELNS1_11target_archE908ELNS1_3gpuE7ELNS1_3repE0EEENS1_30default_config_static_selectorELNS0_4arch9wavefront6targetE1EEEvT1_,"axG",@progbits,_ZN7rocprim17ROCPRIM_400000_NS6detail17trampoline_kernelINS0_14default_configENS1_35adjacent_difference_config_selectorILb0EtEEZNS1_24adjacent_difference_implIS3_Lb0ELb0EPtS7_N6thrust23THRUST_200600_302600_NS4plusItEEEE10hipError_tPvRmT2_T3_mT4_P12ihipStream_tbEUlT_E_NS1_11comp_targetILNS1_3genE3ELNS1_11target_archE908ELNS1_3gpuE7ELNS1_3repE0EEENS1_30default_config_static_selectorELNS0_4arch9wavefront6targetE1EEEvT1_,comdat
	.protected	_ZN7rocprim17ROCPRIM_400000_NS6detail17trampoline_kernelINS0_14default_configENS1_35adjacent_difference_config_selectorILb0EtEEZNS1_24adjacent_difference_implIS3_Lb0ELb0EPtS7_N6thrust23THRUST_200600_302600_NS4plusItEEEE10hipError_tPvRmT2_T3_mT4_P12ihipStream_tbEUlT_E_NS1_11comp_targetILNS1_3genE3ELNS1_11target_archE908ELNS1_3gpuE7ELNS1_3repE0EEENS1_30default_config_static_selectorELNS0_4arch9wavefront6targetE1EEEvT1_ ; -- Begin function _ZN7rocprim17ROCPRIM_400000_NS6detail17trampoline_kernelINS0_14default_configENS1_35adjacent_difference_config_selectorILb0EtEEZNS1_24adjacent_difference_implIS3_Lb0ELb0EPtS7_N6thrust23THRUST_200600_302600_NS4plusItEEEE10hipError_tPvRmT2_T3_mT4_P12ihipStream_tbEUlT_E_NS1_11comp_targetILNS1_3genE3ELNS1_11target_archE908ELNS1_3gpuE7ELNS1_3repE0EEENS1_30default_config_static_selectorELNS0_4arch9wavefront6targetE1EEEvT1_
	.globl	_ZN7rocprim17ROCPRIM_400000_NS6detail17trampoline_kernelINS0_14default_configENS1_35adjacent_difference_config_selectorILb0EtEEZNS1_24adjacent_difference_implIS3_Lb0ELb0EPtS7_N6thrust23THRUST_200600_302600_NS4plusItEEEE10hipError_tPvRmT2_T3_mT4_P12ihipStream_tbEUlT_E_NS1_11comp_targetILNS1_3genE3ELNS1_11target_archE908ELNS1_3gpuE7ELNS1_3repE0EEENS1_30default_config_static_selectorELNS0_4arch9wavefront6targetE1EEEvT1_
	.p2align	8
	.type	_ZN7rocprim17ROCPRIM_400000_NS6detail17trampoline_kernelINS0_14default_configENS1_35adjacent_difference_config_selectorILb0EtEEZNS1_24adjacent_difference_implIS3_Lb0ELb0EPtS7_N6thrust23THRUST_200600_302600_NS4plusItEEEE10hipError_tPvRmT2_T3_mT4_P12ihipStream_tbEUlT_E_NS1_11comp_targetILNS1_3genE3ELNS1_11target_archE908ELNS1_3gpuE7ELNS1_3repE0EEENS1_30default_config_static_selectorELNS0_4arch9wavefront6targetE1EEEvT1_,@function
_ZN7rocprim17ROCPRIM_400000_NS6detail17trampoline_kernelINS0_14default_configENS1_35adjacent_difference_config_selectorILb0EtEEZNS1_24adjacent_difference_implIS3_Lb0ELb0EPtS7_N6thrust23THRUST_200600_302600_NS4plusItEEEE10hipError_tPvRmT2_T3_mT4_P12ihipStream_tbEUlT_E_NS1_11comp_targetILNS1_3genE3ELNS1_11target_archE908ELNS1_3gpuE7ELNS1_3repE0EEENS1_30default_config_static_selectorELNS0_4arch9wavefront6targetE1EEEvT1_: ; @_ZN7rocprim17ROCPRIM_400000_NS6detail17trampoline_kernelINS0_14default_configENS1_35adjacent_difference_config_selectorILb0EtEEZNS1_24adjacent_difference_implIS3_Lb0ELb0EPtS7_N6thrust23THRUST_200600_302600_NS4plusItEEEE10hipError_tPvRmT2_T3_mT4_P12ihipStream_tbEUlT_E_NS1_11comp_targetILNS1_3genE3ELNS1_11target_archE908ELNS1_3gpuE7ELNS1_3repE0EEENS1_30default_config_static_selectorELNS0_4arch9wavefront6targetE1EEEvT1_
; %bb.0:
	.section	.rodata,"a",@progbits
	.p2align	6, 0x0
	.amdhsa_kernel _ZN7rocprim17ROCPRIM_400000_NS6detail17trampoline_kernelINS0_14default_configENS1_35adjacent_difference_config_selectorILb0EtEEZNS1_24adjacent_difference_implIS3_Lb0ELb0EPtS7_N6thrust23THRUST_200600_302600_NS4plusItEEEE10hipError_tPvRmT2_T3_mT4_P12ihipStream_tbEUlT_E_NS1_11comp_targetILNS1_3genE3ELNS1_11target_archE908ELNS1_3gpuE7ELNS1_3repE0EEENS1_30default_config_static_selectorELNS0_4arch9wavefront6targetE1EEEvT1_
		.amdhsa_group_segment_fixed_size 0
		.amdhsa_private_segment_fixed_size 0
		.amdhsa_kernarg_size 56
		.amdhsa_user_sgpr_count 6
		.amdhsa_user_sgpr_private_segment_buffer 1
		.amdhsa_user_sgpr_dispatch_ptr 0
		.amdhsa_user_sgpr_queue_ptr 0
		.amdhsa_user_sgpr_kernarg_segment_ptr 1
		.amdhsa_user_sgpr_dispatch_id 0
		.amdhsa_user_sgpr_flat_scratch_init 0
		.amdhsa_user_sgpr_private_segment_size 0
		.amdhsa_uses_dynamic_stack 0
		.amdhsa_system_sgpr_private_segment_wavefront_offset 0
		.amdhsa_system_sgpr_workgroup_id_x 1
		.amdhsa_system_sgpr_workgroup_id_y 0
		.amdhsa_system_sgpr_workgroup_id_z 0
		.amdhsa_system_sgpr_workgroup_info 0
		.amdhsa_system_vgpr_workitem_id 0
		.amdhsa_next_free_vgpr 1
		.amdhsa_next_free_sgpr 0
		.amdhsa_reserve_vcc 0
		.amdhsa_reserve_flat_scratch 0
		.amdhsa_float_round_mode_32 0
		.amdhsa_float_round_mode_16_64 0
		.amdhsa_float_denorm_mode_32 3
		.amdhsa_float_denorm_mode_16_64 3
		.amdhsa_dx10_clamp 1
		.amdhsa_ieee_mode 1
		.amdhsa_fp16_overflow 0
		.amdhsa_exception_fp_ieee_invalid_op 0
		.amdhsa_exception_fp_denorm_src 0
		.amdhsa_exception_fp_ieee_div_zero 0
		.amdhsa_exception_fp_ieee_overflow 0
		.amdhsa_exception_fp_ieee_underflow 0
		.amdhsa_exception_fp_ieee_inexact 0
		.amdhsa_exception_int_div_zero 0
	.end_amdhsa_kernel
	.section	.text._ZN7rocprim17ROCPRIM_400000_NS6detail17trampoline_kernelINS0_14default_configENS1_35adjacent_difference_config_selectorILb0EtEEZNS1_24adjacent_difference_implIS3_Lb0ELb0EPtS7_N6thrust23THRUST_200600_302600_NS4plusItEEEE10hipError_tPvRmT2_T3_mT4_P12ihipStream_tbEUlT_E_NS1_11comp_targetILNS1_3genE3ELNS1_11target_archE908ELNS1_3gpuE7ELNS1_3repE0EEENS1_30default_config_static_selectorELNS0_4arch9wavefront6targetE1EEEvT1_,"axG",@progbits,_ZN7rocprim17ROCPRIM_400000_NS6detail17trampoline_kernelINS0_14default_configENS1_35adjacent_difference_config_selectorILb0EtEEZNS1_24adjacent_difference_implIS3_Lb0ELb0EPtS7_N6thrust23THRUST_200600_302600_NS4plusItEEEE10hipError_tPvRmT2_T3_mT4_P12ihipStream_tbEUlT_E_NS1_11comp_targetILNS1_3genE3ELNS1_11target_archE908ELNS1_3gpuE7ELNS1_3repE0EEENS1_30default_config_static_selectorELNS0_4arch9wavefront6targetE1EEEvT1_,comdat
.Lfunc_end235:
	.size	_ZN7rocprim17ROCPRIM_400000_NS6detail17trampoline_kernelINS0_14default_configENS1_35adjacent_difference_config_selectorILb0EtEEZNS1_24adjacent_difference_implIS3_Lb0ELb0EPtS7_N6thrust23THRUST_200600_302600_NS4plusItEEEE10hipError_tPvRmT2_T3_mT4_P12ihipStream_tbEUlT_E_NS1_11comp_targetILNS1_3genE3ELNS1_11target_archE908ELNS1_3gpuE7ELNS1_3repE0EEENS1_30default_config_static_selectorELNS0_4arch9wavefront6targetE1EEEvT1_, .Lfunc_end235-_ZN7rocprim17ROCPRIM_400000_NS6detail17trampoline_kernelINS0_14default_configENS1_35adjacent_difference_config_selectorILb0EtEEZNS1_24adjacent_difference_implIS3_Lb0ELb0EPtS7_N6thrust23THRUST_200600_302600_NS4plusItEEEE10hipError_tPvRmT2_T3_mT4_P12ihipStream_tbEUlT_E_NS1_11comp_targetILNS1_3genE3ELNS1_11target_archE908ELNS1_3gpuE7ELNS1_3repE0EEENS1_30default_config_static_selectorELNS0_4arch9wavefront6targetE1EEEvT1_
                                        ; -- End function
	.set _ZN7rocprim17ROCPRIM_400000_NS6detail17trampoline_kernelINS0_14default_configENS1_35adjacent_difference_config_selectorILb0EtEEZNS1_24adjacent_difference_implIS3_Lb0ELb0EPtS7_N6thrust23THRUST_200600_302600_NS4plusItEEEE10hipError_tPvRmT2_T3_mT4_P12ihipStream_tbEUlT_E_NS1_11comp_targetILNS1_3genE3ELNS1_11target_archE908ELNS1_3gpuE7ELNS1_3repE0EEENS1_30default_config_static_selectorELNS0_4arch9wavefront6targetE1EEEvT1_.num_vgpr, 0
	.set _ZN7rocprim17ROCPRIM_400000_NS6detail17trampoline_kernelINS0_14default_configENS1_35adjacent_difference_config_selectorILb0EtEEZNS1_24adjacent_difference_implIS3_Lb0ELb0EPtS7_N6thrust23THRUST_200600_302600_NS4plusItEEEE10hipError_tPvRmT2_T3_mT4_P12ihipStream_tbEUlT_E_NS1_11comp_targetILNS1_3genE3ELNS1_11target_archE908ELNS1_3gpuE7ELNS1_3repE0EEENS1_30default_config_static_selectorELNS0_4arch9wavefront6targetE1EEEvT1_.num_agpr, 0
	.set _ZN7rocprim17ROCPRIM_400000_NS6detail17trampoline_kernelINS0_14default_configENS1_35adjacent_difference_config_selectorILb0EtEEZNS1_24adjacent_difference_implIS3_Lb0ELb0EPtS7_N6thrust23THRUST_200600_302600_NS4plusItEEEE10hipError_tPvRmT2_T3_mT4_P12ihipStream_tbEUlT_E_NS1_11comp_targetILNS1_3genE3ELNS1_11target_archE908ELNS1_3gpuE7ELNS1_3repE0EEENS1_30default_config_static_selectorELNS0_4arch9wavefront6targetE1EEEvT1_.numbered_sgpr, 0
	.set _ZN7rocprim17ROCPRIM_400000_NS6detail17trampoline_kernelINS0_14default_configENS1_35adjacent_difference_config_selectorILb0EtEEZNS1_24adjacent_difference_implIS3_Lb0ELb0EPtS7_N6thrust23THRUST_200600_302600_NS4plusItEEEE10hipError_tPvRmT2_T3_mT4_P12ihipStream_tbEUlT_E_NS1_11comp_targetILNS1_3genE3ELNS1_11target_archE908ELNS1_3gpuE7ELNS1_3repE0EEENS1_30default_config_static_selectorELNS0_4arch9wavefront6targetE1EEEvT1_.num_named_barrier, 0
	.set _ZN7rocprim17ROCPRIM_400000_NS6detail17trampoline_kernelINS0_14default_configENS1_35adjacent_difference_config_selectorILb0EtEEZNS1_24adjacent_difference_implIS3_Lb0ELb0EPtS7_N6thrust23THRUST_200600_302600_NS4plusItEEEE10hipError_tPvRmT2_T3_mT4_P12ihipStream_tbEUlT_E_NS1_11comp_targetILNS1_3genE3ELNS1_11target_archE908ELNS1_3gpuE7ELNS1_3repE0EEENS1_30default_config_static_selectorELNS0_4arch9wavefront6targetE1EEEvT1_.private_seg_size, 0
	.set _ZN7rocprim17ROCPRIM_400000_NS6detail17trampoline_kernelINS0_14default_configENS1_35adjacent_difference_config_selectorILb0EtEEZNS1_24adjacent_difference_implIS3_Lb0ELb0EPtS7_N6thrust23THRUST_200600_302600_NS4plusItEEEE10hipError_tPvRmT2_T3_mT4_P12ihipStream_tbEUlT_E_NS1_11comp_targetILNS1_3genE3ELNS1_11target_archE908ELNS1_3gpuE7ELNS1_3repE0EEENS1_30default_config_static_selectorELNS0_4arch9wavefront6targetE1EEEvT1_.uses_vcc, 0
	.set _ZN7rocprim17ROCPRIM_400000_NS6detail17trampoline_kernelINS0_14default_configENS1_35adjacent_difference_config_selectorILb0EtEEZNS1_24adjacent_difference_implIS3_Lb0ELb0EPtS7_N6thrust23THRUST_200600_302600_NS4plusItEEEE10hipError_tPvRmT2_T3_mT4_P12ihipStream_tbEUlT_E_NS1_11comp_targetILNS1_3genE3ELNS1_11target_archE908ELNS1_3gpuE7ELNS1_3repE0EEENS1_30default_config_static_selectorELNS0_4arch9wavefront6targetE1EEEvT1_.uses_flat_scratch, 0
	.set _ZN7rocprim17ROCPRIM_400000_NS6detail17trampoline_kernelINS0_14default_configENS1_35adjacent_difference_config_selectorILb0EtEEZNS1_24adjacent_difference_implIS3_Lb0ELb0EPtS7_N6thrust23THRUST_200600_302600_NS4plusItEEEE10hipError_tPvRmT2_T3_mT4_P12ihipStream_tbEUlT_E_NS1_11comp_targetILNS1_3genE3ELNS1_11target_archE908ELNS1_3gpuE7ELNS1_3repE0EEENS1_30default_config_static_selectorELNS0_4arch9wavefront6targetE1EEEvT1_.has_dyn_sized_stack, 0
	.set _ZN7rocprim17ROCPRIM_400000_NS6detail17trampoline_kernelINS0_14default_configENS1_35adjacent_difference_config_selectorILb0EtEEZNS1_24adjacent_difference_implIS3_Lb0ELb0EPtS7_N6thrust23THRUST_200600_302600_NS4plusItEEEE10hipError_tPvRmT2_T3_mT4_P12ihipStream_tbEUlT_E_NS1_11comp_targetILNS1_3genE3ELNS1_11target_archE908ELNS1_3gpuE7ELNS1_3repE0EEENS1_30default_config_static_selectorELNS0_4arch9wavefront6targetE1EEEvT1_.has_recursion, 0
	.set _ZN7rocprim17ROCPRIM_400000_NS6detail17trampoline_kernelINS0_14default_configENS1_35adjacent_difference_config_selectorILb0EtEEZNS1_24adjacent_difference_implIS3_Lb0ELb0EPtS7_N6thrust23THRUST_200600_302600_NS4plusItEEEE10hipError_tPvRmT2_T3_mT4_P12ihipStream_tbEUlT_E_NS1_11comp_targetILNS1_3genE3ELNS1_11target_archE908ELNS1_3gpuE7ELNS1_3repE0EEENS1_30default_config_static_selectorELNS0_4arch9wavefront6targetE1EEEvT1_.has_indirect_call, 0
	.section	.AMDGPU.csdata,"",@progbits
; Kernel info:
; codeLenInByte = 0
; TotalNumSgprs: 4
; NumVgprs: 0
; ScratchSize: 0
; MemoryBound: 0
; FloatMode: 240
; IeeeMode: 1
; LDSByteSize: 0 bytes/workgroup (compile time only)
; SGPRBlocks: 0
; VGPRBlocks: 0
; NumSGPRsForWavesPerEU: 4
; NumVGPRsForWavesPerEU: 1
; Occupancy: 10
; WaveLimiterHint : 0
; COMPUTE_PGM_RSRC2:SCRATCH_EN: 0
; COMPUTE_PGM_RSRC2:USER_SGPR: 6
; COMPUTE_PGM_RSRC2:TRAP_HANDLER: 0
; COMPUTE_PGM_RSRC2:TGID_X_EN: 1
; COMPUTE_PGM_RSRC2:TGID_Y_EN: 0
; COMPUTE_PGM_RSRC2:TGID_Z_EN: 0
; COMPUTE_PGM_RSRC2:TIDIG_COMP_CNT: 0
	.section	.text._ZN7rocprim17ROCPRIM_400000_NS6detail17trampoline_kernelINS0_14default_configENS1_35adjacent_difference_config_selectorILb0EtEEZNS1_24adjacent_difference_implIS3_Lb0ELb0EPtS7_N6thrust23THRUST_200600_302600_NS4plusItEEEE10hipError_tPvRmT2_T3_mT4_P12ihipStream_tbEUlT_E_NS1_11comp_targetILNS1_3genE2ELNS1_11target_archE906ELNS1_3gpuE6ELNS1_3repE0EEENS1_30default_config_static_selectorELNS0_4arch9wavefront6targetE1EEEvT1_,"axG",@progbits,_ZN7rocprim17ROCPRIM_400000_NS6detail17trampoline_kernelINS0_14default_configENS1_35adjacent_difference_config_selectorILb0EtEEZNS1_24adjacent_difference_implIS3_Lb0ELb0EPtS7_N6thrust23THRUST_200600_302600_NS4plusItEEEE10hipError_tPvRmT2_T3_mT4_P12ihipStream_tbEUlT_E_NS1_11comp_targetILNS1_3genE2ELNS1_11target_archE906ELNS1_3gpuE6ELNS1_3repE0EEENS1_30default_config_static_selectorELNS0_4arch9wavefront6targetE1EEEvT1_,comdat
	.protected	_ZN7rocprim17ROCPRIM_400000_NS6detail17trampoline_kernelINS0_14default_configENS1_35adjacent_difference_config_selectorILb0EtEEZNS1_24adjacent_difference_implIS3_Lb0ELb0EPtS7_N6thrust23THRUST_200600_302600_NS4plusItEEEE10hipError_tPvRmT2_T3_mT4_P12ihipStream_tbEUlT_E_NS1_11comp_targetILNS1_3genE2ELNS1_11target_archE906ELNS1_3gpuE6ELNS1_3repE0EEENS1_30default_config_static_selectorELNS0_4arch9wavefront6targetE1EEEvT1_ ; -- Begin function _ZN7rocprim17ROCPRIM_400000_NS6detail17trampoline_kernelINS0_14default_configENS1_35adjacent_difference_config_selectorILb0EtEEZNS1_24adjacent_difference_implIS3_Lb0ELb0EPtS7_N6thrust23THRUST_200600_302600_NS4plusItEEEE10hipError_tPvRmT2_T3_mT4_P12ihipStream_tbEUlT_E_NS1_11comp_targetILNS1_3genE2ELNS1_11target_archE906ELNS1_3gpuE6ELNS1_3repE0EEENS1_30default_config_static_selectorELNS0_4arch9wavefront6targetE1EEEvT1_
	.globl	_ZN7rocprim17ROCPRIM_400000_NS6detail17trampoline_kernelINS0_14default_configENS1_35adjacent_difference_config_selectorILb0EtEEZNS1_24adjacent_difference_implIS3_Lb0ELb0EPtS7_N6thrust23THRUST_200600_302600_NS4plusItEEEE10hipError_tPvRmT2_T3_mT4_P12ihipStream_tbEUlT_E_NS1_11comp_targetILNS1_3genE2ELNS1_11target_archE906ELNS1_3gpuE6ELNS1_3repE0EEENS1_30default_config_static_selectorELNS0_4arch9wavefront6targetE1EEEvT1_
	.p2align	8
	.type	_ZN7rocprim17ROCPRIM_400000_NS6detail17trampoline_kernelINS0_14default_configENS1_35adjacent_difference_config_selectorILb0EtEEZNS1_24adjacent_difference_implIS3_Lb0ELb0EPtS7_N6thrust23THRUST_200600_302600_NS4plusItEEEE10hipError_tPvRmT2_T3_mT4_P12ihipStream_tbEUlT_E_NS1_11comp_targetILNS1_3genE2ELNS1_11target_archE906ELNS1_3gpuE6ELNS1_3repE0EEENS1_30default_config_static_selectorELNS0_4arch9wavefront6targetE1EEEvT1_,@function
_ZN7rocprim17ROCPRIM_400000_NS6detail17trampoline_kernelINS0_14default_configENS1_35adjacent_difference_config_selectorILb0EtEEZNS1_24adjacent_difference_implIS3_Lb0ELb0EPtS7_N6thrust23THRUST_200600_302600_NS4plusItEEEE10hipError_tPvRmT2_T3_mT4_P12ihipStream_tbEUlT_E_NS1_11comp_targetILNS1_3genE2ELNS1_11target_archE906ELNS1_3gpuE6ELNS1_3repE0EEENS1_30default_config_static_selectorELNS0_4arch9wavefront6targetE1EEEvT1_: ; @_ZN7rocprim17ROCPRIM_400000_NS6detail17trampoline_kernelINS0_14default_configENS1_35adjacent_difference_config_selectorILb0EtEEZNS1_24adjacent_difference_implIS3_Lb0ELb0EPtS7_N6thrust23THRUST_200600_302600_NS4plusItEEEE10hipError_tPvRmT2_T3_mT4_P12ihipStream_tbEUlT_E_NS1_11comp_targetILNS1_3genE2ELNS1_11target_archE906ELNS1_3gpuE6ELNS1_3repE0EEENS1_30default_config_static_selectorELNS0_4arch9wavefront6targetE1EEEvT1_
; %bb.0:
	s_load_dwordx8 s[8:15], s[4:5], 0x0
	s_load_dwordx2 s[0:1], s[4:5], 0x30
	s_mul_i32 s16, s6, 0x1c0
	s_mov_b32 s17, 0
	s_waitcnt lgkmcnt(0)
	s_lshl_b64 s[10:11], s[10:11], 1
	s_add_u32 s20, s8, s10
	s_addc_u32 s21, s9, s11
	s_lshr_b64 s[2:3], s[14:15], 6
	s_lshr_b32 s5, s15, 6
	s_mul_hi_u32 s3, s2, 0x24924924
	s_mul_i32 s4, s2, 0x24924924
	s_mul_i32 s8, s5, 0x92492493
	s_mul_hi_u32 s2, s2, 0x92492493
	s_mul_hi_u32 s7, s5, 0x92492493
	s_add_u32 s2, s8, s2
	s_addc_u32 s7, s7, 0
	s_add_u32 s2, s4, s2
	s_addc_u32 s2, s3, 0
	;; [unrolled: 2-line block ×3, first 2 shown]
	s_mul_hi_u32 s4, s5, 0x24924924
	s_mul_i32 s5, s5, 0x24924924
	s_add_u32 s5, s5, s2
	s_addc_u32 s4, s4, s3
	s_mul_i32 s2, s4, 0x1c0
	s_mul_hi_u32 s3, s5, 0x1c0
	s_add_i32 s3, s3, s2
	s_mul_i32 s2, s5, 0x1c0
	s_sub_u32 s2, s14, s2
	s_subb_u32 s3, s15, s3
	s_cmp_lg_u64 s[2:3], 0
	s_cselect_b64 s[2:3], -1, 0
	v_cndmask_b32_e64 v1, 0, 1, s[2:3]
	v_readfirstlane_b32 s2, v1
	s_add_u32 s2, s5, s2
	s_addc_u32 s3, s4, 0
	s_add_u32 s4, s0, s6
	s_addc_u32 s5, s1, 0
	s_add_u32 s6, s2, -1
	s_addc_u32 s7, s3, -1
	v_mov_b32_e32 v1, s6
	v_mov_b32_e32 v2, s7
	v_cmp_ge_u64_e64 s[0:1], s[4:5], v[1:2]
	s_mov_b64 s[8:9], -1
	s_and_b64 vcc, exec, s[0:1]
	s_mul_i32 s15, s6, 0xfffffe40
	s_cbranch_vccz .LBB236_16
; %bb.1:
	s_add_i32 s22, s15, s14
	s_lshl_b64 s[8:9], s[16:17], 1
	s_add_u32 s8, s20, s8
	v_mov_b32_e32 v1, 0
	s_addc_u32 s9, s21, s9
	v_cmp_gt_u32_e32 vcc, s22, v0
	v_mov_b32_e32 v2, v1
	v_mov_b32_e32 v3, v1
	;; [unrolled: 1-line block ×3, first 2 shown]
	s_and_saveexec_b64 s[18:19], vcc
	s_cbranch_execz .LBB236_3
; %bb.2:
	v_lshlrev_b32_e32 v2, 1, v0
	global_load_ushort v2, v2, s[8:9]
	v_mov_b32_e32 v3, v1
	v_mov_b32_e32 v4, v1
	;; [unrolled: 1-line block ×3, first 2 shown]
	s_waitcnt vmcnt(0)
	v_and_b32_e32 v2, 0xffff, v2
	v_mov_b32_e32 v1, v2
	v_mov_b32_e32 v2, v3
	;; [unrolled: 1-line block ×4, first 2 shown]
.LBB236_3:
	s_or_b64 exec, exec, s[18:19]
	v_or_b32_e32 v5, 64, v0
	v_cmp_gt_u32_e32 vcc, s22, v5
	s_and_saveexec_b64 s[18:19], vcc
	s_cbranch_execz .LBB236_5
; %bb.4:
	v_lshlrev_b32_e32 v5, 1, v0
	global_load_ushort v5, v5, s[8:9] offset:128
	s_mov_b32 s17, 0x5040100
	s_waitcnt vmcnt(0)
	v_perm_b32 v1, v5, v1, s17
.LBB236_5:
	s_or_b64 exec, exec, s[18:19]
	v_or_b32_e32 v5, 0x80, v0
	v_cmp_gt_u32_e32 vcc, s22, v5
	s_and_saveexec_b64 s[18:19], vcc
	s_cbranch_execz .LBB236_7
; %bb.6:
	v_lshlrev_b32_e32 v5, 1, v0
	global_load_ushort v5, v5, s[8:9] offset:256
	s_mov_b32 s17, 0xffff
	s_waitcnt vmcnt(0)
	v_bfi_b32 v2, s17, v5, v2
.LBB236_7:
	s_or_b64 exec, exec, s[18:19]
	v_or_b32_e32 v5, 0xc0, v0
	v_cmp_gt_u32_e32 vcc, s22, v5
	s_and_saveexec_b64 s[18:19], vcc
	s_cbranch_execz .LBB236_9
; %bb.8:
	v_lshlrev_b32_e32 v5, 1, v0
	global_load_ushort v5, v5, s[8:9] offset:384
	s_mov_b32 s17, 0x5040100
	s_waitcnt vmcnt(0)
	v_perm_b32 v2, v5, v2, s17
.LBB236_9:
	s_or_b64 exec, exec, s[18:19]
	v_or_b32_e32 v5, 0x100, v0
	v_cmp_gt_u32_e32 vcc, s22, v5
	s_and_saveexec_b64 s[18:19], vcc
	s_cbranch_execz .LBB236_11
; %bb.10:
	v_lshlrev_b32_e32 v5, 1, v0
	global_load_ushort v5, v5, s[8:9] offset:512
	s_mov_b32 s17, 0xffff
	s_waitcnt vmcnt(0)
	v_bfi_b32 v3, s17, v5, v3
.LBB236_11:
	s_or_b64 exec, exec, s[18:19]
	v_or_b32_e32 v5, 0x140, v0
	v_cmp_gt_u32_e32 vcc, s22, v5
	s_and_saveexec_b64 s[18:19], vcc
	s_cbranch_execz .LBB236_13
; %bb.12:
	v_lshlrev_b32_e32 v5, 1, v0
	global_load_ushort v5, v5, s[8:9] offset:640
	s_mov_b32 s17, 0x5040100
	s_waitcnt vmcnt(0)
	v_perm_b32 v3, v5, v3, s17
.LBB236_13:
	s_or_b64 exec, exec, s[18:19]
	v_or_b32_e32 v5, 0x180, v0
	v_cmp_gt_u32_e32 vcc, s22, v5
	s_and_saveexec_b64 s[18:19], vcc
	s_cbranch_execz .LBB236_15
; %bb.14:
	v_lshlrev_b32_e32 v4, 1, v0
	global_load_ushort v4, v4, s[8:9] offset:768
.LBB236_15:
	s_or_b64 exec, exec, s[18:19]
	v_lshlrev_b32_e32 v5, 1, v0
	s_mov_b64 s[8:9], 0
	ds_write_b16 v5, v1
	ds_write_b16_d16_hi v5, v1 offset:128
	ds_write_b16 v5, v2 offset:256
	ds_write_b16_d16_hi v5, v2 offset:384
	ds_write_b16 v5, v3 offset:512
	ds_write_b16_d16_hi v5, v3 offset:640
	s_waitcnt vmcnt(0)
	ds_write_b16 v5, v4 offset:768
	s_waitcnt lgkmcnt(0)
	; wave barrier
.LBB236_16:
	s_and_b64 vcc, exec, s[8:9]
	v_lshlrev_b32_e32 v7, 1, v0
	s_cbranch_vccz .LBB236_18
; %bb.17:
	s_mov_b32 s17, 0
	s_lshl_b64 s[8:9], s[16:17], 1
	s_add_u32 s8, s20, s8
	s_addc_u32 s9, s21, s9
	global_load_ushort v1, v7, s[8:9]
	global_load_ushort v2, v7, s[8:9] offset:128
	global_load_ushort v3, v7, s[8:9] offset:256
	;; [unrolled: 1-line block ×6, first 2 shown]
	s_waitcnt vmcnt(6)
	ds_write_b16 v7, v1
	s_waitcnt vmcnt(5)
	ds_write_b16 v7, v2 offset:128
	s_waitcnt vmcnt(4)
	ds_write_b16 v7, v3 offset:256
	;; [unrolled: 2-line block ×6, first 2 shown]
	s_waitcnt lgkmcnt(0)
	; wave barrier
.LBB236_18:
	v_mul_u32_u24_e32 v8, 14, v0
	ds_read_b96 v[4:6], v8 offset:2
	ds_read_b32 v9, v8
	s_cmp_eq_u64 s[4:5], 0
	s_waitcnt lgkmcnt(0)
	; wave barrier
	v_lshrrev_b32_e32 v11, 16, v4
	v_lshrrev_b32_e32 v12, 16, v5
	;; [unrolled: 1-line block ×3, first 2 shown]
	s_cbranch_scc1 .LBB236_23
; %bb.19:
	s_mov_b32 s17, 0
	s_lshl_b64 s[8:9], s[16:17], 1
	s_add_u32 s8, s20, s8
	s_addc_u32 s9, s21, s9
	v_mov_b32_e32 v1, 0
	global_load_ushort v15, v1, s[8:9] offset:-2
	s_cmp_eq_u64 s[4:5], s[6:7]
	s_cbranch_scc1 .LBB236_24
; %bb.20:
	v_alignbit_b32 v1, v6, v5, 16
	v_pk_add_u16 v10, v6, v1
	v_alignbit_b32 v1, v5, v4, 16
	s_mov_b32 s5, 0xffff
	v_pk_add_u16 v3, v5, v1
	v_bfi_b32 v1, s5, v9, v4
	v_pk_add_u16 v2, v4, v1 op_sel_hi:[0,1]
	v_cmp_ne_u32_e32 vcc, 0, v0
	s_waitcnt vmcnt(0)
	v_mov_b32_e32 v14, v15
	ds_write_b16 v7, v13
	s_waitcnt lgkmcnt(0)
	; wave barrier
	s_and_saveexec_b64 s[6:7], vcc
; %bb.21:
	v_add_u32_e32 v1, -2, v7
	ds_read_u16 v14, v1
; %bb.22:
	s_or_b64 exec, exec, s[6:7]
	v_lshlrev_b32_e32 v1, 16, v2
	v_alignbit_b32 v2, v3, v2, 16
	v_alignbit_b32 v3, v10, v3, 16
	v_lshrrev_b32_e32 v10, 16, v10
	s_cbranch_execz .LBB236_25
	s_branch .LBB236_28
.LBB236_23:
	s_mov_b64 s[18:19], 0
                                        ; implicit-def: $vgpr3
                                        ; implicit-def: $vgpr14
                                        ; implicit-def: $vgpr10
	s_branch .LBB236_29
.LBB236_24:
                                        ; implicit-def: $vgpr10
                                        ; implicit-def: $vgpr3
                                        ; implicit-def: $vgpr14
.LBB236_25:
	s_waitcnt lgkmcnt(0)
	v_mul_u32_u24_e32 v14, 7, v0
	v_cmp_ne_u32_e32 vcc, 0, v0
	ds_write_b16 v7, v13
	s_waitcnt lgkmcnt(0)
	; wave barrier
	s_and_saveexec_b64 s[6:7], vcc
	s_cbranch_execz .LBB236_27
; %bb.26:
	v_add_u32_e32 v1, -2, v7
	s_waitcnt vmcnt(0)
	ds_read_u16 v15, v1
.LBB236_27:
	s_or_b64 exec, exec, s[6:7]
	s_mulk_i32 s4, 0xfe40
	s_add_i32 s4, s4, s14
	v_add_u32_e32 v1, 6, v14
	v_alignbit_b32 v3, s0, v6, 16
	v_alignbit_b32 v2, s0, v6, 16
	v_pk_add_u16 v3, v3, v6
	v_cmp_gt_u32_e32 vcc, s4, v1
	v_cndmask_b32_e32 v10, v2, v3, vcc
	v_alignbit_b32 v3, s0, v5, 16
	v_add_u32_e32 v1, 5, v14
	v_pk_add_u16 v16, v6, v3
	v_lshlrev_b32_e32 v2, 16, v6
	v_lshlrev_b32_e32 v16, 16, v16
	v_cmp_gt_u32_e32 vcc, s4, v1
	v_cndmask_b32_e32 v1, v2, v16, vcc
	v_add_u32_e32 v2, 4, v14
	s_mov_b32 s5, 0xffff
	v_pk_add_u16 v3, v3, v5
	v_bfi_b32 v16, s5, v12, v1
	v_bfi_b32 v1, s5, v3, v1
	v_cmp_gt_u32_e32 vcc, s4, v2
	v_cndmask_b32_e32 v3, v16, v1, vcc
	v_alignbit_b32 v16, s0, v4, 16
	v_add_u32_e32 v1, 3, v14
	v_pk_add_u16 v17, v5, v16
	v_lshlrev_b32_e32 v2, 16, v5
	v_lshlrev_b32_e32 v17, 16, v17
	v_cmp_gt_u32_e32 vcc, s4, v1
	v_cndmask_b32_e32 v1, v2, v17, vcc
	v_add_u32_e32 v2, 2, v14
	v_pk_add_u16 v16, v16, v4
	v_bfi_b32 v17, s5, v11, v1
	v_bfi_b32 v1, s5, v16, v1
	v_cmp_gt_u32_e32 vcc, s4, v2
	v_cndmask_b32_e32 v2, v17, v1, vcc
	v_add_u32_e32 v1, 1, v14
	s_mov_b32 s5, 0x5040100
	v_pk_add_u16 v17, v4, v9
	v_perm_b32 v16, v4, 0, s5
	v_perm_b32 v17, v17, 0, s5
	v_cmp_gt_u32_e32 vcc, s4, v1
	v_cndmask_b32_e32 v1, v16, v17, vcc
	v_cmp_gt_u32_e32 vcc, s4, v14
	s_waitcnt vmcnt(0) lgkmcnt(0)
	v_cndmask_b32_e32 v14, 0, v15, vcc
.LBB236_28:
	s_mov_b64 s[18:19], -1
	s_cbranch_execnz .LBB236_37
.LBB236_29:
	s_cmp_lg_u64 s[2:3], 1
	s_waitcnt vmcnt(0)
	v_pk_add_u16 v15, v4, v9
	v_cmp_ne_u32_e32 vcc, 0, v0
	s_cbranch_scc0 .LBB236_33
; %bb.30:
	v_alignbit_b32 v1, v6, v5, 16
	v_pk_add_u16 v10, v6, v1
	v_alignbit_b32 v1, v5, v4, 16
	v_pk_add_u16 v3, v5, v1
	s_mov_b32 s4, 0x5040100
	ds_write_b16 v7, v13
	s_waitcnt lgkmcnt(0)
	; wave barrier
                                        ; implicit-def: $vgpr14
	s_and_saveexec_b64 s[2:3], vcc
; %bb.31:
	v_add_u32_e32 v1, -2, v7
	ds_read_u16 v14, v1
	s_or_b64 s[18:19], s[18:19], exec
; %bb.32:
	s_or_b64 exec, exec, s[2:3]
	v_perm_b32 v1, v15, v9, s4
	v_alignbit_b32 v2, v3, v15, 16
	v_alignbit_b32 v3, v10, v3, 16
	v_lshrrev_b32_e32 v10, 16, v10
	s_branch .LBB236_37
.LBB236_33:
                                        ; implicit-def: $vgpr10
                                        ; implicit-def: $vgpr3
                                        ; implicit-def: $vgpr14
	s_cbranch_execz .LBB236_37
; %bb.34:
	v_mul_u32_u24_e32 v10, 7, v0
	v_add_u32_e32 v2, 6, v10
	v_cmp_gt_u32_e32 vcc, s14, v2
	v_alignbit_b32 v2, s0, v6, 16
	s_waitcnt lgkmcnt(0)
	v_alignbit_b32 v14, s0, v5, 16
	ds_write_b16 v7, v13
	v_alignbit_b32 v1, s0, v6, 16
	v_pk_add_u16 v2, v2, v6
	v_add_u32_e32 v3, 5, v10
	v_lshlrev_b32_e32 v13, 16, v6
	v_pk_add_u16 v6, v6, v14
	v_lshlrev_b32_e32 v6, 16, v6
	v_cmp_gt_u32_e64 s[2:3], s14, v3
	v_cndmask_b32_e64 v6, v13, v6, s[2:3]
	s_mov_b32 s17, 0xffff
	v_add_u32_e32 v13, 4, v10
	v_bfi_b32 v3, s17, v12, v6
	v_pk_add_u16 v12, v14, v5
	v_alignbit_b32 v14, s0, v4, 16
	v_cmp_gt_u32_e64 s[2:3], s14, v13
	v_bfi_b32 v6, s17, v12, v6
	v_add_u32_e32 v12, 3, v10
	v_lshlrev_b32_e32 v13, 16, v5
	v_pk_add_u16 v5, v5, v14
	v_lshlrev_b32_e32 v5, 16, v5
	v_cmp_gt_u32_e64 s[4:5], s14, v12
	v_cndmask_b32_e64 v12, v13, v5, s[4:5]
	v_bfi_b32 v5, s17, v11, v12
	v_pk_add_u16 v11, v14, v4
	v_add_u32_e32 v13, 2, v10
	v_bfi_b32 v11, s17, v11, v12
	v_add_u32_e32 v12, 1, v10
	s_mov_b32 s6, 0x5040100
	v_cmp_gt_u32_e64 s[4:5], s14, v13
	v_perm_b32 v4, v4, 0, s6
	v_lshlrev_b32_e32 v13, 16, v15
	v_cmp_gt_u32_e64 s[6:7], s14, v12
	v_cndmask_b32_e64 v4, v4, v13, s[6:7]
	v_cmp_ne_u32_e64 s[6:7], 0, v0
	v_cmp_gt_u32_e64 s[8:9], s14, v10
	s_and_b64 s[8:9], s[6:7], s[8:9]
	s_waitcnt lgkmcnt(0)
	; wave barrier
                                        ; implicit-def: $vgpr14
	s_and_saveexec_b64 s[6:7], s[8:9]
; %bb.35:
	v_add_u32_e32 v10, -2, v7
	ds_read_u16 v14, v10
	s_or_b64 s[18:19], s[18:19], exec
; %bb.36:
	s_or_b64 exec, exec, s[6:7]
	v_cndmask_b32_e32 v10, v1, v2, vcc
	v_cndmask_b32_e64 v3, v3, v6, s[2:3]
	v_cndmask_b32_e64 v2, v5, v11, s[4:5]
	v_bfi_b32 v1, s17, v9, v4
.LBB236_37:
	s_and_saveexec_b64 s[2:3], s[18:19]
	s_cbranch_execz .LBB236_39
; %bb.38:
	s_waitcnt lgkmcnt(0)
	v_add_u16_e32 v4, v14, v9
	s_mov_b32 s4, 0xffff
	v_bfi_b32 v1, s4, v4, v1
.LBB236_39:
	s_or_b64 exec, exec, s[2:3]
	s_add_u32 s4, s12, s10
	s_addc_u32 s5, s13, s11
	s_and_b64 vcc, exec, s[0:1]
	v_mul_i32_i24_e32 v6, -12, v0
	s_waitcnt lgkmcnt(0)
	; wave barrier
	s_cbranch_vccz .LBB236_53
; %bb.40:
	v_mad_u32_u24 v4, v0, 14, v6
	ds_write_b96 v8, v[1:3]
	ds_write_b16 v8, v10 offset:12
	s_waitcnt vmcnt(0) lgkmcnt(0)
	; wave barrier
	ds_read_u16 v15, v4 offset:128
	ds_read_u16 v14, v4 offset:256
	;; [unrolled: 1-line block ×6, first 2 shown]
	s_mov_b32 s17, 0
	s_add_i32 s15, s15, s14
	s_lshl_b64 s[0:1], s[16:17], 1
	s_add_u32 s0, s4, s0
	s_addc_u32 s1, s5, s1
	v_mov_b32_e32 v5, s1
	v_add_co_u32_e32 v4, vcc, s0, v7
	v_addc_co_u32_e32 v5, vcc, 0, v5, vcc
	v_cmp_gt_u32_e32 vcc, s15, v0
	s_and_saveexec_b64 s[0:1], vcc
	s_cbranch_execz .LBB236_42
; %bb.41:
	v_add_u32_e32 v16, v8, v6
	ds_read_u16 v16, v16
	s_waitcnt lgkmcnt(0)
	global_store_short v[4:5], v16, off
.LBB236_42:
	s_or_b64 exec, exec, s[0:1]
	v_or_b32_e32 v16, 64, v0
	v_cmp_gt_u32_e32 vcc, s15, v16
	s_and_saveexec_b64 s[0:1], vcc
	s_cbranch_execz .LBB236_44
; %bb.43:
	s_waitcnt lgkmcnt(5)
	global_store_short v[4:5], v15, off offset:128
.LBB236_44:
	s_or_b64 exec, exec, s[0:1]
	s_waitcnt lgkmcnt(5)
	v_or_b32_e32 v15, 0x80, v0
	v_cmp_gt_u32_e32 vcc, s15, v15
	s_and_saveexec_b64 s[0:1], vcc
	s_cbranch_execz .LBB236_46
; %bb.45:
	s_waitcnt lgkmcnt(4)
	global_store_short v[4:5], v14, off offset:256
.LBB236_46:
	s_or_b64 exec, exec, s[0:1]
	s_waitcnt lgkmcnt(4)
	v_or_b32_e32 v14, 0xc0, v0
	v_cmp_gt_u32_e32 vcc, s15, v14
	s_and_saveexec_b64 s[0:1], vcc
	s_cbranch_execz .LBB236_48
; %bb.47:
	s_waitcnt lgkmcnt(3)
	global_store_short v[4:5], v13, off offset:384
.LBB236_48:
	s_or_b64 exec, exec, s[0:1]
	s_waitcnt lgkmcnt(3)
	v_or_b32_e32 v13, 0x100, v0
	v_cmp_gt_u32_e32 vcc, s15, v13
	s_and_saveexec_b64 s[0:1], vcc
	s_cbranch_execz .LBB236_50
; %bb.49:
	s_waitcnt lgkmcnt(2)
	global_store_short v[4:5], v12, off offset:512
.LBB236_50:
	s_or_b64 exec, exec, s[0:1]
	s_waitcnt lgkmcnt(2)
	v_or_b32_e32 v12, 0x140, v0
	v_cmp_gt_u32_e32 vcc, s15, v12
	s_and_saveexec_b64 s[0:1], vcc
	s_cbranch_execz .LBB236_52
; %bb.51:
	s_waitcnt lgkmcnt(1)
	global_store_short v[4:5], v11, off offset:640
.LBB236_52:
	s_or_b64 exec, exec, s[0:1]
	s_waitcnt lgkmcnt(1)
	v_or_b32_e32 v11, 0x180, v0
	v_cmp_gt_u32_e64 s[0:1], s15, v11
	s_branch .LBB236_55
.LBB236_53:
	s_mov_b64 s[0:1], 0
                                        ; implicit-def: $vgpr9
                                        ; implicit-def: $vgpr4_vgpr5
	s_cbranch_execz .LBB236_55
; %bb.54:
	s_mov_b32 s17, 0
	s_lshl_b64 s[2:3], s[16:17], 1
	v_mad_u32_u24 v0, v0, 14, v6
	s_add_u32 s2, s4, s2
	ds_write_b96 v8, v[1:3]
	ds_write_b16 v8, v10 offset:12
	s_waitcnt lgkmcnt(0)
	; wave barrier
	ds_read_u16 v1, v0
	ds_read_u16 v2, v0 offset:128
	ds_read_u16 v3, v0 offset:256
	;; [unrolled: 1-line block ×6, first 2 shown]
	s_addc_u32 s3, s5, s3
	v_mov_b32_e32 v0, s3
	v_add_co_u32_e32 v4, vcc, s2, v7
	v_addc_co_u32_e32 v5, vcc, 0, v0, vcc
	s_or_b64 s[0:1], s[0:1], exec
	s_waitcnt lgkmcnt(6)
	global_store_short v7, v1, s[2:3]
	s_waitcnt lgkmcnt(5)
	global_store_short v7, v2, s[2:3] offset:128
	s_waitcnt lgkmcnt(4)
	global_store_short v7, v3, s[2:3] offset:256
	;; [unrolled: 2-line block ×5, first 2 shown]
.LBB236_55:
	s_and_saveexec_b64 s[2:3], s[0:1]
	s_cbranch_execnz .LBB236_57
; %bb.56:
	s_endpgm
.LBB236_57:
	s_waitcnt lgkmcnt(0)
	global_store_short v[4:5], v9, off offset:768
	s_endpgm
	.section	.rodata,"a",@progbits
	.p2align	6, 0x0
	.amdhsa_kernel _ZN7rocprim17ROCPRIM_400000_NS6detail17trampoline_kernelINS0_14default_configENS1_35adjacent_difference_config_selectorILb0EtEEZNS1_24adjacent_difference_implIS3_Lb0ELb0EPtS7_N6thrust23THRUST_200600_302600_NS4plusItEEEE10hipError_tPvRmT2_T3_mT4_P12ihipStream_tbEUlT_E_NS1_11comp_targetILNS1_3genE2ELNS1_11target_archE906ELNS1_3gpuE6ELNS1_3repE0EEENS1_30default_config_static_selectorELNS0_4arch9wavefront6targetE1EEEvT1_
		.amdhsa_group_segment_fixed_size 896
		.amdhsa_private_segment_fixed_size 0
		.amdhsa_kernarg_size 56
		.amdhsa_user_sgpr_count 6
		.amdhsa_user_sgpr_private_segment_buffer 1
		.amdhsa_user_sgpr_dispatch_ptr 0
		.amdhsa_user_sgpr_queue_ptr 0
		.amdhsa_user_sgpr_kernarg_segment_ptr 1
		.amdhsa_user_sgpr_dispatch_id 0
		.amdhsa_user_sgpr_flat_scratch_init 0
		.amdhsa_user_sgpr_private_segment_size 0
		.amdhsa_uses_dynamic_stack 0
		.amdhsa_system_sgpr_private_segment_wavefront_offset 0
		.amdhsa_system_sgpr_workgroup_id_x 1
		.amdhsa_system_sgpr_workgroup_id_y 0
		.amdhsa_system_sgpr_workgroup_id_z 0
		.amdhsa_system_sgpr_workgroup_info 0
		.amdhsa_system_vgpr_workitem_id 0
		.amdhsa_next_free_vgpr 18
		.amdhsa_next_free_sgpr 23
		.amdhsa_reserve_vcc 1
		.amdhsa_reserve_flat_scratch 0
		.amdhsa_float_round_mode_32 0
		.amdhsa_float_round_mode_16_64 0
		.amdhsa_float_denorm_mode_32 3
		.amdhsa_float_denorm_mode_16_64 3
		.amdhsa_dx10_clamp 1
		.amdhsa_ieee_mode 1
		.amdhsa_fp16_overflow 0
		.amdhsa_exception_fp_ieee_invalid_op 0
		.amdhsa_exception_fp_denorm_src 0
		.amdhsa_exception_fp_ieee_div_zero 0
		.amdhsa_exception_fp_ieee_overflow 0
		.amdhsa_exception_fp_ieee_underflow 0
		.amdhsa_exception_fp_ieee_inexact 0
		.amdhsa_exception_int_div_zero 0
	.end_amdhsa_kernel
	.section	.text._ZN7rocprim17ROCPRIM_400000_NS6detail17trampoline_kernelINS0_14default_configENS1_35adjacent_difference_config_selectorILb0EtEEZNS1_24adjacent_difference_implIS3_Lb0ELb0EPtS7_N6thrust23THRUST_200600_302600_NS4plusItEEEE10hipError_tPvRmT2_T3_mT4_P12ihipStream_tbEUlT_E_NS1_11comp_targetILNS1_3genE2ELNS1_11target_archE906ELNS1_3gpuE6ELNS1_3repE0EEENS1_30default_config_static_selectorELNS0_4arch9wavefront6targetE1EEEvT1_,"axG",@progbits,_ZN7rocprim17ROCPRIM_400000_NS6detail17trampoline_kernelINS0_14default_configENS1_35adjacent_difference_config_selectorILb0EtEEZNS1_24adjacent_difference_implIS3_Lb0ELb0EPtS7_N6thrust23THRUST_200600_302600_NS4plusItEEEE10hipError_tPvRmT2_T3_mT4_P12ihipStream_tbEUlT_E_NS1_11comp_targetILNS1_3genE2ELNS1_11target_archE906ELNS1_3gpuE6ELNS1_3repE0EEENS1_30default_config_static_selectorELNS0_4arch9wavefront6targetE1EEEvT1_,comdat
.Lfunc_end236:
	.size	_ZN7rocprim17ROCPRIM_400000_NS6detail17trampoline_kernelINS0_14default_configENS1_35adjacent_difference_config_selectorILb0EtEEZNS1_24adjacent_difference_implIS3_Lb0ELb0EPtS7_N6thrust23THRUST_200600_302600_NS4plusItEEEE10hipError_tPvRmT2_T3_mT4_P12ihipStream_tbEUlT_E_NS1_11comp_targetILNS1_3genE2ELNS1_11target_archE906ELNS1_3gpuE6ELNS1_3repE0EEENS1_30default_config_static_selectorELNS0_4arch9wavefront6targetE1EEEvT1_, .Lfunc_end236-_ZN7rocprim17ROCPRIM_400000_NS6detail17trampoline_kernelINS0_14default_configENS1_35adjacent_difference_config_selectorILb0EtEEZNS1_24adjacent_difference_implIS3_Lb0ELb0EPtS7_N6thrust23THRUST_200600_302600_NS4plusItEEEE10hipError_tPvRmT2_T3_mT4_P12ihipStream_tbEUlT_E_NS1_11comp_targetILNS1_3genE2ELNS1_11target_archE906ELNS1_3gpuE6ELNS1_3repE0EEENS1_30default_config_static_selectorELNS0_4arch9wavefront6targetE1EEEvT1_
                                        ; -- End function
	.set _ZN7rocprim17ROCPRIM_400000_NS6detail17trampoline_kernelINS0_14default_configENS1_35adjacent_difference_config_selectorILb0EtEEZNS1_24adjacent_difference_implIS3_Lb0ELb0EPtS7_N6thrust23THRUST_200600_302600_NS4plusItEEEE10hipError_tPvRmT2_T3_mT4_P12ihipStream_tbEUlT_E_NS1_11comp_targetILNS1_3genE2ELNS1_11target_archE906ELNS1_3gpuE6ELNS1_3repE0EEENS1_30default_config_static_selectorELNS0_4arch9wavefront6targetE1EEEvT1_.num_vgpr, 18
	.set _ZN7rocprim17ROCPRIM_400000_NS6detail17trampoline_kernelINS0_14default_configENS1_35adjacent_difference_config_selectorILb0EtEEZNS1_24adjacent_difference_implIS3_Lb0ELb0EPtS7_N6thrust23THRUST_200600_302600_NS4plusItEEEE10hipError_tPvRmT2_T3_mT4_P12ihipStream_tbEUlT_E_NS1_11comp_targetILNS1_3genE2ELNS1_11target_archE906ELNS1_3gpuE6ELNS1_3repE0EEENS1_30default_config_static_selectorELNS0_4arch9wavefront6targetE1EEEvT1_.num_agpr, 0
	.set _ZN7rocprim17ROCPRIM_400000_NS6detail17trampoline_kernelINS0_14default_configENS1_35adjacent_difference_config_selectorILb0EtEEZNS1_24adjacent_difference_implIS3_Lb0ELb0EPtS7_N6thrust23THRUST_200600_302600_NS4plusItEEEE10hipError_tPvRmT2_T3_mT4_P12ihipStream_tbEUlT_E_NS1_11comp_targetILNS1_3genE2ELNS1_11target_archE906ELNS1_3gpuE6ELNS1_3repE0EEENS1_30default_config_static_selectorELNS0_4arch9wavefront6targetE1EEEvT1_.numbered_sgpr, 23
	.set _ZN7rocprim17ROCPRIM_400000_NS6detail17trampoline_kernelINS0_14default_configENS1_35adjacent_difference_config_selectorILb0EtEEZNS1_24adjacent_difference_implIS3_Lb0ELb0EPtS7_N6thrust23THRUST_200600_302600_NS4plusItEEEE10hipError_tPvRmT2_T3_mT4_P12ihipStream_tbEUlT_E_NS1_11comp_targetILNS1_3genE2ELNS1_11target_archE906ELNS1_3gpuE6ELNS1_3repE0EEENS1_30default_config_static_selectorELNS0_4arch9wavefront6targetE1EEEvT1_.num_named_barrier, 0
	.set _ZN7rocprim17ROCPRIM_400000_NS6detail17trampoline_kernelINS0_14default_configENS1_35adjacent_difference_config_selectorILb0EtEEZNS1_24adjacent_difference_implIS3_Lb0ELb0EPtS7_N6thrust23THRUST_200600_302600_NS4plusItEEEE10hipError_tPvRmT2_T3_mT4_P12ihipStream_tbEUlT_E_NS1_11comp_targetILNS1_3genE2ELNS1_11target_archE906ELNS1_3gpuE6ELNS1_3repE0EEENS1_30default_config_static_selectorELNS0_4arch9wavefront6targetE1EEEvT1_.private_seg_size, 0
	.set _ZN7rocprim17ROCPRIM_400000_NS6detail17trampoline_kernelINS0_14default_configENS1_35adjacent_difference_config_selectorILb0EtEEZNS1_24adjacent_difference_implIS3_Lb0ELb0EPtS7_N6thrust23THRUST_200600_302600_NS4plusItEEEE10hipError_tPvRmT2_T3_mT4_P12ihipStream_tbEUlT_E_NS1_11comp_targetILNS1_3genE2ELNS1_11target_archE906ELNS1_3gpuE6ELNS1_3repE0EEENS1_30default_config_static_selectorELNS0_4arch9wavefront6targetE1EEEvT1_.uses_vcc, 1
	.set _ZN7rocprim17ROCPRIM_400000_NS6detail17trampoline_kernelINS0_14default_configENS1_35adjacent_difference_config_selectorILb0EtEEZNS1_24adjacent_difference_implIS3_Lb0ELb0EPtS7_N6thrust23THRUST_200600_302600_NS4plusItEEEE10hipError_tPvRmT2_T3_mT4_P12ihipStream_tbEUlT_E_NS1_11comp_targetILNS1_3genE2ELNS1_11target_archE906ELNS1_3gpuE6ELNS1_3repE0EEENS1_30default_config_static_selectorELNS0_4arch9wavefront6targetE1EEEvT1_.uses_flat_scratch, 0
	.set _ZN7rocprim17ROCPRIM_400000_NS6detail17trampoline_kernelINS0_14default_configENS1_35adjacent_difference_config_selectorILb0EtEEZNS1_24adjacent_difference_implIS3_Lb0ELb0EPtS7_N6thrust23THRUST_200600_302600_NS4plusItEEEE10hipError_tPvRmT2_T3_mT4_P12ihipStream_tbEUlT_E_NS1_11comp_targetILNS1_3genE2ELNS1_11target_archE906ELNS1_3gpuE6ELNS1_3repE0EEENS1_30default_config_static_selectorELNS0_4arch9wavefront6targetE1EEEvT1_.has_dyn_sized_stack, 0
	.set _ZN7rocprim17ROCPRIM_400000_NS6detail17trampoline_kernelINS0_14default_configENS1_35adjacent_difference_config_selectorILb0EtEEZNS1_24adjacent_difference_implIS3_Lb0ELb0EPtS7_N6thrust23THRUST_200600_302600_NS4plusItEEEE10hipError_tPvRmT2_T3_mT4_P12ihipStream_tbEUlT_E_NS1_11comp_targetILNS1_3genE2ELNS1_11target_archE906ELNS1_3gpuE6ELNS1_3repE0EEENS1_30default_config_static_selectorELNS0_4arch9wavefront6targetE1EEEvT1_.has_recursion, 0
	.set _ZN7rocprim17ROCPRIM_400000_NS6detail17trampoline_kernelINS0_14default_configENS1_35adjacent_difference_config_selectorILb0EtEEZNS1_24adjacent_difference_implIS3_Lb0ELb0EPtS7_N6thrust23THRUST_200600_302600_NS4plusItEEEE10hipError_tPvRmT2_T3_mT4_P12ihipStream_tbEUlT_E_NS1_11comp_targetILNS1_3genE2ELNS1_11target_archE906ELNS1_3gpuE6ELNS1_3repE0EEENS1_30default_config_static_selectorELNS0_4arch9wavefront6targetE1EEEvT1_.has_indirect_call, 0
	.section	.AMDGPU.csdata,"",@progbits
; Kernel info:
; codeLenInByte = 2560
; TotalNumSgprs: 27
; NumVgprs: 18
; ScratchSize: 0
; MemoryBound: 0
; FloatMode: 240
; IeeeMode: 1
; LDSByteSize: 896 bytes/workgroup (compile time only)
; SGPRBlocks: 3
; VGPRBlocks: 4
; NumSGPRsForWavesPerEU: 27
; NumVGPRsForWavesPerEU: 18
; Occupancy: 10
; WaveLimiterHint : 1
; COMPUTE_PGM_RSRC2:SCRATCH_EN: 0
; COMPUTE_PGM_RSRC2:USER_SGPR: 6
; COMPUTE_PGM_RSRC2:TRAP_HANDLER: 0
; COMPUTE_PGM_RSRC2:TGID_X_EN: 1
; COMPUTE_PGM_RSRC2:TGID_Y_EN: 0
; COMPUTE_PGM_RSRC2:TGID_Z_EN: 0
; COMPUTE_PGM_RSRC2:TIDIG_COMP_CNT: 0
	.section	.text._ZN7rocprim17ROCPRIM_400000_NS6detail17trampoline_kernelINS0_14default_configENS1_35adjacent_difference_config_selectorILb0EtEEZNS1_24adjacent_difference_implIS3_Lb0ELb0EPtS7_N6thrust23THRUST_200600_302600_NS4plusItEEEE10hipError_tPvRmT2_T3_mT4_P12ihipStream_tbEUlT_E_NS1_11comp_targetILNS1_3genE9ELNS1_11target_archE1100ELNS1_3gpuE3ELNS1_3repE0EEENS1_30default_config_static_selectorELNS0_4arch9wavefront6targetE1EEEvT1_,"axG",@progbits,_ZN7rocprim17ROCPRIM_400000_NS6detail17trampoline_kernelINS0_14default_configENS1_35adjacent_difference_config_selectorILb0EtEEZNS1_24adjacent_difference_implIS3_Lb0ELb0EPtS7_N6thrust23THRUST_200600_302600_NS4plusItEEEE10hipError_tPvRmT2_T3_mT4_P12ihipStream_tbEUlT_E_NS1_11comp_targetILNS1_3genE9ELNS1_11target_archE1100ELNS1_3gpuE3ELNS1_3repE0EEENS1_30default_config_static_selectorELNS0_4arch9wavefront6targetE1EEEvT1_,comdat
	.protected	_ZN7rocprim17ROCPRIM_400000_NS6detail17trampoline_kernelINS0_14default_configENS1_35adjacent_difference_config_selectorILb0EtEEZNS1_24adjacent_difference_implIS3_Lb0ELb0EPtS7_N6thrust23THRUST_200600_302600_NS4plusItEEEE10hipError_tPvRmT2_T3_mT4_P12ihipStream_tbEUlT_E_NS1_11comp_targetILNS1_3genE9ELNS1_11target_archE1100ELNS1_3gpuE3ELNS1_3repE0EEENS1_30default_config_static_selectorELNS0_4arch9wavefront6targetE1EEEvT1_ ; -- Begin function _ZN7rocprim17ROCPRIM_400000_NS6detail17trampoline_kernelINS0_14default_configENS1_35adjacent_difference_config_selectorILb0EtEEZNS1_24adjacent_difference_implIS3_Lb0ELb0EPtS7_N6thrust23THRUST_200600_302600_NS4plusItEEEE10hipError_tPvRmT2_T3_mT4_P12ihipStream_tbEUlT_E_NS1_11comp_targetILNS1_3genE9ELNS1_11target_archE1100ELNS1_3gpuE3ELNS1_3repE0EEENS1_30default_config_static_selectorELNS0_4arch9wavefront6targetE1EEEvT1_
	.globl	_ZN7rocprim17ROCPRIM_400000_NS6detail17trampoline_kernelINS0_14default_configENS1_35adjacent_difference_config_selectorILb0EtEEZNS1_24adjacent_difference_implIS3_Lb0ELb0EPtS7_N6thrust23THRUST_200600_302600_NS4plusItEEEE10hipError_tPvRmT2_T3_mT4_P12ihipStream_tbEUlT_E_NS1_11comp_targetILNS1_3genE9ELNS1_11target_archE1100ELNS1_3gpuE3ELNS1_3repE0EEENS1_30default_config_static_selectorELNS0_4arch9wavefront6targetE1EEEvT1_
	.p2align	8
	.type	_ZN7rocprim17ROCPRIM_400000_NS6detail17trampoline_kernelINS0_14default_configENS1_35adjacent_difference_config_selectorILb0EtEEZNS1_24adjacent_difference_implIS3_Lb0ELb0EPtS7_N6thrust23THRUST_200600_302600_NS4plusItEEEE10hipError_tPvRmT2_T3_mT4_P12ihipStream_tbEUlT_E_NS1_11comp_targetILNS1_3genE9ELNS1_11target_archE1100ELNS1_3gpuE3ELNS1_3repE0EEENS1_30default_config_static_selectorELNS0_4arch9wavefront6targetE1EEEvT1_,@function
_ZN7rocprim17ROCPRIM_400000_NS6detail17trampoline_kernelINS0_14default_configENS1_35adjacent_difference_config_selectorILb0EtEEZNS1_24adjacent_difference_implIS3_Lb0ELb0EPtS7_N6thrust23THRUST_200600_302600_NS4plusItEEEE10hipError_tPvRmT2_T3_mT4_P12ihipStream_tbEUlT_E_NS1_11comp_targetILNS1_3genE9ELNS1_11target_archE1100ELNS1_3gpuE3ELNS1_3repE0EEENS1_30default_config_static_selectorELNS0_4arch9wavefront6targetE1EEEvT1_: ; @_ZN7rocprim17ROCPRIM_400000_NS6detail17trampoline_kernelINS0_14default_configENS1_35adjacent_difference_config_selectorILb0EtEEZNS1_24adjacent_difference_implIS3_Lb0ELb0EPtS7_N6thrust23THRUST_200600_302600_NS4plusItEEEE10hipError_tPvRmT2_T3_mT4_P12ihipStream_tbEUlT_E_NS1_11comp_targetILNS1_3genE9ELNS1_11target_archE1100ELNS1_3gpuE3ELNS1_3repE0EEENS1_30default_config_static_selectorELNS0_4arch9wavefront6targetE1EEEvT1_
; %bb.0:
	.section	.rodata,"a",@progbits
	.p2align	6, 0x0
	.amdhsa_kernel _ZN7rocprim17ROCPRIM_400000_NS6detail17trampoline_kernelINS0_14default_configENS1_35adjacent_difference_config_selectorILb0EtEEZNS1_24adjacent_difference_implIS3_Lb0ELb0EPtS7_N6thrust23THRUST_200600_302600_NS4plusItEEEE10hipError_tPvRmT2_T3_mT4_P12ihipStream_tbEUlT_E_NS1_11comp_targetILNS1_3genE9ELNS1_11target_archE1100ELNS1_3gpuE3ELNS1_3repE0EEENS1_30default_config_static_selectorELNS0_4arch9wavefront6targetE1EEEvT1_
		.amdhsa_group_segment_fixed_size 0
		.amdhsa_private_segment_fixed_size 0
		.amdhsa_kernarg_size 56
		.amdhsa_user_sgpr_count 6
		.amdhsa_user_sgpr_private_segment_buffer 1
		.amdhsa_user_sgpr_dispatch_ptr 0
		.amdhsa_user_sgpr_queue_ptr 0
		.amdhsa_user_sgpr_kernarg_segment_ptr 1
		.amdhsa_user_sgpr_dispatch_id 0
		.amdhsa_user_sgpr_flat_scratch_init 0
		.amdhsa_user_sgpr_private_segment_size 0
		.amdhsa_uses_dynamic_stack 0
		.amdhsa_system_sgpr_private_segment_wavefront_offset 0
		.amdhsa_system_sgpr_workgroup_id_x 1
		.amdhsa_system_sgpr_workgroup_id_y 0
		.amdhsa_system_sgpr_workgroup_id_z 0
		.amdhsa_system_sgpr_workgroup_info 0
		.amdhsa_system_vgpr_workitem_id 0
		.amdhsa_next_free_vgpr 1
		.amdhsa_next_free_sgpr 0
		.amdhsa_reserve_vcc 0
		.amdhsa_reserve_flat_scratch 0
		.amdhsa_float_round_mode_32 0
		.amdhsa_float_round_mode_16_64 0
		.amdhsa_float_denorm_mode_32 3
		.amdhsa_float_denorm_mode_16_64 3
		.amdhsa_dx10_clamp 1
		.amdhsa_ieee_mode 1
		.amdhsa_fp16_overflow 0
		.amdhsa_exception_fp_ieee_invalid_op 0
		.amdhsa_exception_fp_denorm_src 0
		.amdhsa_exception_fp_ieee_div_zero 0
		.amdhsa_exception_fp_ieee_overflow 0
		.amdhsa_exception_fp_ieee_underflow 0
		.amdhsa_exception_fp_ieee_inexact 0
		.amdhsa_exception_int_div_zero 0
	.end_amdhsa_kernel
	.section	.text._ZN7rocprim17ROCPRIM_400000_NS6detail17trampoline_kernelINS0_14default_configENS1_35adjacent_difference_config_selectorILb0EtEEZNS1_24adjacent_difference_implIS3_Lb0ELb0EPtS7_N6thrust23THRUST_200600_302600_NS4plusItEEEE10hipError_tPvRmT2_T3_mT4_P12ihipStream_tbEUlT_E_NS1_11comp_targetILNS1_3genE9ELNS1_11target_archE1100ELNS1_3gpuE3ELNS1_3repE0EEENS1_30default_config_static_selectorELNS0_4arch9wavefront6targetE1EEEvT1_,"axG",@progbits,_ZN7rocprim17ROCPRIM_400000_NS6detail17trampoline_kernelINS0_14default_configENS1_35adjacent_difference_config_selectorILb0EtEEZNS1_24adjacent_difference_implIS3_Lb0ELb0EPtS7_N6thrust23THRUST_200600_302600_NS4plusItEEEE10hipError_tPvRmT2_T3_mT4_P12ihipStream_tbEUlT_E_NS1_11comp_targetILNS1_3genE9ELNS1_11target_archE1100ELNS1_3gpuE3ELNS1_3repE0EEENS1_30default_config_static_selectorELNS0_4arch9wavefront6targetE1EEEvT1_,comdat
.Lfunc_end237:
	.size	_ZN7rocprim17ROCPRIM_400000_NS6detail17trampoline_kernelINS0_14default_configENS1_35adjacent_difference_config_selectorILb0EtEEZNS1_24adjacent_difference_implIS3_Lb0ELb0EPtS7_N6thrust23THRUST_200600_302600_NS4plusItEEEE10hipError_tPvRmT2_T3_mT4_P12ihipStream_tbEUlT_E_NS1_11comp_targetILNS1_3genE9ELNS1_11target_archE1100ELNS1_3gpuE3ELNS1_3repE0EEENS1_30default_config_static_selectorELNS0_4arch9wavefront6targetE1EEEvT1_, .Lfunc_end237-_ZN7rocprim17ROCPRIM_400000_NS6detail17trampoline_kernelINS0_14default_configENS1_35adjacent_difference_config_selectorILb0EtEEZNS1_24adjacent_difference_implIS3_Lb0ELb0EPtS7_N6thrust23THRUST_200600_302600_NS4plusItEEEE10hipError_tPvRmT2_T3_mT4_P12ihipStream_tbEUlT_E_NS1_11comp_targetILNS1_3genE9ELNS1_11target_archE1100ELNS1_3gpuE3ELNS1_3repE0EEENS1_30default_config_static_selectorELNS0_4arch9wavefront6targetE1EEEvT1_
                                        ; -- End function
	.set _ZN7rocprim17ROCPRIM_400000_NS6detail17trampoline_kernelINS0_14default_configENS1_35adjacent_difference_config_selectorILb0EtEEZNS1_24adjacent_difference_implIS3_Lb0ELb0EPtS7_N6thrust23THRUST_200600_302600_NS4plusItEEEE10hipError_tPvRmT2_T3_mT4_P12ihipStream_tbEUlT_E_NS1_11comp_targetILNS1_3genE9ELNS1_11target_archE1100ELNS1_3gpuE3ELNS1_3repE0EEENS1_30default_config_static_selectorELNS0_4arch9wavefront6targetE1EEEvT1_.num_vgpr, 0
	.set _ZN7rocprim17ROCPRIM_400000_NS6detail17trampoline_kernelINS0_14default_configENS1_35adjacent_difference_config_selectorILb0EtEEZNS1_24adjacent_difference_implIS3_Lb0ELb0EPtS7_N6thrust23THRUST_200600_302600_NS4plusItEEEE10hipError_tPvRmT2_T3_mT4_P12ihipStream_tbEUlT_E_NS1_11comp_targetILNS1_3genE9ELNS1_11target_archE1100ELNS1_3gpuE3ELNS1_3repE0EEENS1_30default_config_static_selectorELNS0_4arch9wavefront6targetE1EEEvT1_.num_agpr, 0
	.set _ZN7rocprim17ROCPRIM_400000_NS6detail17trampoline_kernelINS0_14default_configENS1_35adjacent_difference_config_selectorILb0EtEEZNS1_24adjacent_difference_implIS3_Lb0ELb0EPtS7_N6thrust23THRUST_200600_302600_NS4plusItEEEE10hipError_tPvRmT2_T3_mT4_P12ihipStream_tbEUlT_E_NS1_11comp_targetILNS1_3genE9ELNS1_11target_archE1100ELNS1_3gpuE3ELNS1_3repE0EEENS1_30default_config_static_selectorELNS0_4arch9wavefront6targetE1EEEvT1_.numbered_sgpr, 0
	.set _ZN7rocprim17ROCPRIM_400000_NS6detail17trampoline_kernelINS0_14default_configENS1_35adjacent_difference_config_selectorILb0EtEEZNS1_24adjacent_difference_implIS3_Lb0ELb0EPtS7_N6thrust23THRUST_200600_302600_NS4plusItEEEE10hipError_tPvRmT2_T3_mT4_P12ihipStream_tbEUlT_E_NS1_11comp_targetILNS1_3genE9ELNS1_11target_archE1100ELNS1_3gpuE3ELNS1_3repE0EEENS1_30default_config_static_selectorELNS0_4arch9wavefront6targetE1EEEvT1_.num_named_barrier, 0
	.set _ZN7rocprim17ROCPRIM_400000_NS6detail17trampoline_kernelINS0_14default_configENS1_35adjacent_difference_config_selectorILb0EtEEZNS1_24adjacent_difference_implIS3_Lb0ELb0EPtS7_N6thrust23THRUST_200600_302600_NS4plusItEEEE10hipError_tPvRmT2_T3_mT4_P12ihipStream_tbEUlT_E_NS1_11comp_targetILNS1_3genE9ELNS1_11target_archE1100ELNS1_3gpuE3ELNS1_3repE0EEENS1_30default_config_static_selectorELNS0_4arch9wavefront6targetE1EEEvT1_.private_seg_size, 0
	.set _ZN7rocprim17ROCPRIM_400000_NS6detail17trampoline_kernelINS0_14default_configENS1_35adjacent_difference_config_selectorILb0EtEEZNS1_24adjacent_difference_implIS3_Lb0ELb0EPtS7_N6thrust23THRUST_200600_302600_NS4plusItEEEE10hipError_tPvRmT2_T3_mT4_P12ihipStream_tbEUlT_E_NS1_11comp_targetILNS1_3genE9ELNS1_11target_archE1100ELNS1_3gpuE3ELNS1_3repE0EEENS1_30default_config_static_selectorELNS0_4arch9wavefront6targetE1EEEvT1_.uses_vcc, 0
	.set _ZN7rocprim17ROCPRIM_400000_NS6detail17trampoline_kernelINS0_14default_configENS1_35adjacent_difference_config_selectorILb0EtEEZNS1_24adjacent_difference_implIS3_Lb0ELb0EPtS7_N6thrust23THRUST_200600_302600_NS4plusItEEEE10hipError_tPvRmT2_T3_mT4_P12ihipStream_tbEUlT_E_NS1_11comp_targetILNS1_3genE9ELNS1_11target_archE1100ELNS1_3gpuE3ELNS1_3repE0EEENS1_30default_config_static_selectorELNS0_4arch9wavefront6targetE1EEEvT1_.uses_flat_scratch, 0
	.set _ZN7rocprim17ROCPRIM_400000_NS6detail17trampoline_kernelINS0_14default_configENS1_35adjacent_difference_config_selectorILb0EtEEZNS1_24adjacent_difference_implIS3_Lb0ELb0EPtS7_N6thrust23THRUST_200600_302600_NS4plusItEEEE10hipError_tPvRmT2_T3_mT4_P12ihipStream_tbEUlT_E_NS1_11comp_targetILNS1_3genE9ELNS1_11target_archE1100ELNS1_3gpuE3ELNS1_3repE0EEENS1_30default_config_static_selectorELNS0_4arch9wavefront6targetE1EEEvT1_.has_dyn_sized_stack, 0
	.set _ZN7rocprim17ROCPRIM_400000_NS6detail17trampoline_kernelINS0_14default_configENS1_35adjacent_difference_config_selectorILb0EtEEZNS1_24adjacent_difference_implIS3_Lb0ELb0EPtS7_N6thrust23THRUST_200600_302600_NS4plusItEEEE10hipError_tPvRmT2_T3_mT4_P12ihipStream_tbEUlT_E_NS1_11comp_targetILNS1_3genE9ELNS1_11target_archE1100ELNS1_3gpuE3ELNS1_3repE0EEENS1_30default_config_static_selectorELNS0_4arch9wavefront6targetE1EEEvT1_.has_recursion, 0
	.set _ZN7rocprim17ROCPRIM_400000_NS6detail17trampoline_kernelINS0_14default_configENS1_35adjacent_difference_config_selectorILb0EtEEZNS1_24adjacent_difference_implIS3_Lb0ELb0EPtS7_N6thrust23THRUST_200600_302600_NS4plusItEEEE10hipError_tPvRmT2_T3_mT4_P12ihipStream_tbEUlT_E_NS1_11comp_targetILNS1_3genE9ELNS1_11target_archE1100ELNS1_3gpuE3ELNS1_3repE0EEENS1_30default_config_static_selectorELNS0_4arch9wavefront6targetE1EEEvT1_.has_indirect_call, 0
	.section	.AMDGPU.csdata,"",@progbits
; Kernel info:
; codeLenInByte = 0
; TotalNumSgprs: 4
; NumVgprs: 0
; ScratchSize: 0
; MemoryBound: 0
; FloatMode: 240
; IeeeMode: 1
; LDSByteSize: 0 bytes/workgroup (compile time only)
; SGPRBlocks: 0
; VGPRBlocks: 0
; NumSGPRsForWavesPerEU: 4
; NumVGPRsForWavesPerEU: 1
; Occupancy: 10
; WaveLimiterHint : 0
; COMPUTE_PGM_RSRC2:SCRATCH_EN: 0
; COMPUTE_PGM_RSRC2:USER_SGPR: 6
; COMPUTE_PGM_RSRC2:TRAP_HANDLER: 0
; COMPUTE_PGM_RSRC2:TGID_X_EN: 1
; COMPUTE_PGM_RSRC2:TGID_Y_EN: 0
; COMPUTE_PGM_RSRC2:TGID_Z_EN: 0
; COMPUTE_PGM_RSRC2:TIDIG_COMP_CNT: 0
	.section	.text._ZN7rocprim17ROCPRIM_400000_NS6detail17trampoline_kernelINS0_14default_configENS1_35adjacent_difference_config_selectorILb0EtEEZNS1_24adjacent_difference_implIS3_Lb0ELb0EPtS7_N6thrust23THRUST_200600_302600_NS4plusItEEEE10hipError_tPvRmT2_T3_mT4_P12ihipStream_tbEUlT_E_NS1_11comp_targetILNS1_3genE8ELNS1_11target_archE1030ELNS1_3gpuE2ELNS1_3repE0EEENS1_30default_config_static_selectorELNS0_4arch9wavefront6targetE1EEEvT1_,"axG",@progbits,_ZN7rocprim17ROCPRIM_400000_NS6detail17trampoline_kernelINS0_14default_configENS1_35adjacent_difference_config_selectorILb0EtEEZNS1_24adjacent_difference_implIS3_Lb0ELb0EPtS7_N6thrust23THRUST_200600_302600_NS4plusItEEEE10hipError_tPvRmT2_T3_mT4_P12ihipStream_tbEUlT_E_NS1_11comp_targetILNS1_3genE8ELNS1_11target_archE1030ELNS1_3gpuE2ELNS1_3repE0EEENS1_30default_config_static_selectorELNS0_4arch9wavefront6targetE1EEEvT1_,comdat
	.protected	_ZN7rocprim17ROCPRIM_400000_NS6detail17trampoline_kernelINS0_14default_configENS1_35adjacent_difference_config_selectorILb0EtEEZNS1_24adjacent_difference_implIS3_Lb0ELb0EPtS7_N6thrust23THRUST_200600_302600_NS4plusItEEEE10hipError_tPvRmT2_T3_mT4_P12ihipStream_tbEUlT_E_NS1_11comp_targetILNS1_3genE8ELNS1_11target_archE1030ELNS1_3gpuE2ELNS1_3repE0EEENS1_30default_config_static_selectorELNS0_4arch9wavefront6targetE1EEEvT1_ ; -- Begin function _ZN7rocprim17ROCPRIM_400000_NS6detail17trampoline_kernelINS0_14default_configENS1_35adjacent_difference_config_selectorILb0EtEEZNS1_24adjacent_difference_implIS3_Lb0ELb0EPtS7_N6thrust23THRUST_200600_302600_NS4plusItEEEE10hipError_tPvRmT2_T3_mT4_P12ihipStream_tbEUlT_E_NS1_11comp_targetILNS1_3genE8ELNS1_11target_archE1030ELNS1_3gpuE2ELNS1_3repE0EEENS1_30default_config_static_selectorELNS0_4arch9wavefront6targetE1EEEvT1_
	.globl	_ZN7rocprim17ROCPRIM_400000_NS6detail17trampoline_kernelINS0_14default_configENS1_35adjacent_difference_config_selectorILb0EtEEZNS1_24adjacent_difference_implIS3_Lb0ELb0EPtS7_N6thrust23THRUST_200600_302600_NS4plusItEEEE10hipError_tPvRmT2_T3_mT4_P12ihipStream_tbEUlT_E_NS1_11comp_targetILNS1_3genE8ELNS1_11target_archE1030ELNS1_3gpuE2ELNS1_3repE0EEENS1_30default_config_static_selectorELNS0_4arch9wavefront6targetE1EEEvT1_
	.p2align	8
	.type	_ZN7rocprim17ROCPRIM_400000_NS6detail17trampoline_kernelINS0_14default_configENS1_35adjacent_difference_config_selectorILb0EtEEZNS1_24adjacent_difference_implIS3_Lb0ELb0EPtS7_N6thrust23THRUST_200600_302600_NS4plusItEEEE10hipError_tPvRmT2_T3_mT4_P12ihipStream_tbEUlT_E_NS1_11comp_targetILNS1_3genE8ELNS1_11target_archE1030ELNS1_3gpuE2ELNS1_3repE0EEENS1_30default_config_static_selectorELNS0_4arch9wavefront6targetE1EEEvT1_,@function
_ZN7rocprim17ROCPRIM_400000_NS6detail17trampoline_kernelINS0_14default_configENS1_35adjacent_difference_config_selectorILb0EtEEZNS1_24adjacent_difference_implIS3_Lb0ELb0EPtS7_N6thrust23THRUST_200600_302600_NS4plusItEEEE10hipError_tPvRmT2_T3_mT4_P12ihipStream_tbEUlT_E_NS1_11comp_targetILNS1_3genE8ELNS1_11target_archE1030ELNS1_3gpuE2ELNS1_3repE0EEENS1_30default_config_static_selectorELNS0_4arch9wavefront6targetE1EEEvT1_: ; @_ZN7rocprim17ROCPRIM_400000_NS6detail17trampoline_kernelINS0_14default_configENS1_35adjacent_difference_config_selectorILb0EtEEZNS1_24adjacent_difference_implIS3_Lb0ELb0EPtS7_N6thrust23THRUST_200600_302600_NS4plusItEEEE10hipError_tPvRmT2_T3_mT4_P12ihipStream_tbEUlT_E_NS1_11comp_targetILNS1_3genE8ELNS1_11target_archE1030ELNS1_3gpuE2ELNS1_3repE0EEENS1_30default_config_static_selectorELNS0_4arch9wavefront6targetE1EEEvT1_
; %bb.0:
	.section	.rodata,"a",@progbits
	.p2align	6, 0x0
	.amdhsa_kernel _ZN7rocprim17ROCPRIM_400000_NS6detail17trampoline_kernelINS0_14default_configENS1_35adjacent_difference_config_selectorILb0EtEEZNS1_24adjacent_difference_implIS3_Lb0ELb0EPtS7_N6thrust23THRUST_200600_302600_NS4plusItEEEE10hipError_tPvRmT2_T3_mT4_P12ihipStream_tbEUlT_E_NS1_11comp_targetILNS1_3genE8ELNS1_11target_archE1030ELNS1_3gpuE2ELNS1_3repE0EEENS1_30default_config_static_selectorELNS0_4arch9wavefront6targetE1EEEvT1_
		.amdhsa_group_segment_fixed_size 0
		.amdhsa_private_segment_fixed_size 0
		.amdhsa_kernarg_size 56
		.amdhsa_user_sgpr_count 6
		.amdhsa_user_sgpr_private_segment_buffer 1
		.amdhsa_user_sgpr_dispatch_ptr 0
		.amdhsa_user_sgpr_queue_ptr 0
		.amdhsa_user_sgpr_kernarg_segment_ptr 1
		.amdhsa_user_sgpr_dispatch_id 0
		.amdhsa_user_sgpr_flat_scratch_init 0
		.amdhsa_user_sgpr_private_segment_size 0
		.amdhsa_uses_dynamic_stack 0
		.amdhsa_system_sgpr_private_segment_wavefront_offset 0
		.amdhsa_system_sgpr_workgroup_id_x 1
		.amdhsa_system_sgpr_workgroup_id_y 0
		.amdhsa_system_sgpr_workgroup_id_z 0
		.amdhsa_system_sgpr_workgroup_info 0
		.amdhsa_system_vgpr_workitem_id 0
		.amdhsa_next_free_vgpr 1
		.amdhsa_next_free_sgpr 0
		.amdhsa_reserve_vcc 0
		.amdhsa_reserve_flat_scratch 0
		.amdhsa_float_round_mode_32 0
		.amdhsa_float_round_mode_16_64 0
		.amdhsa_float_denorm_mode_32 3
		.amdhsa_float_denorm_mode_16_64 3
		.amdhsa_dx10_clamp 1
		.amdhsa_ieee_mode 1
		.amdhsa_fp16_overflow 0
		.amdhsa_exception_fp_ieee_invalid_op 0
		.amdhsa_exception_fp_denorm_src 0
		.amdhsa_exception_fp_ieee_div_zero 0
		.amdhsa_exception_fp_ieee_overflow 0
		.amdhsa_exception_fp_ieee_underflow 0
		.amdhsa_exception_fp_ieee_inexact 0
		.amdhsa_exception_int_div_zero 0
	.end_amdhsa_kernel
	.section	.text._ZN7rocprim17ROCPRIM_400000_NS6detail17trampoline_kernelINS0_14default_configENS1_35adjacent_difference_config_selectorILb0EtEEZNS1_24adjacent_difference_implIS3_Lb0ELb0EPtS7_N6thrust23THRUST_200600_302600_NS4plusItEEEE10hipError_tPvRmT2_T3_mT4_P12ihipStream_tbEUlT_E_NS1_11comp_targetILNS1_3genE8ELNS1_11target_archE1030ELNS1_3gpuE2ELNS1_3repE0EEENS1_30default_config_static_selectorELNS0_4arch9wavefront6targetE1EEEvT1_,"axG",@progbits,_ZN7rocprim17ROCPRIM_400000_NS6detail17trampoline_kernelINS0_14default_configENS1_35adjacent_difference_config_selectorILb0EtEEZNS1_24adjacent_difference_implIS3_Lb0ELb0EPtS7_N6thrust23THRUST_200600_302600_NS4plusItEEEE10hipError_tPvRmT2_T3_mT4_P12ihipStream_tbEUlT_E_NS1_11comp_targetILNS1_3genE8ELNS1_11target_archE1030ELNS1_3gpuE2ELNS1_3repE0EEENS1_30default_config_static_selectorELNS0_4arch9wavefront6targetE1EEEvT1_,comdat
.Lfunc_end238:
	.size	_ZN7rocprim17ROCPRIM_400000_NS6detail17trampoline_kernelINS0_14default_configENS1_35adjacent_difference_config_selectorILb0EtEEZNS1_24adjacent_difference_implIS3_Lb0ELb0EPtS7_N6thrust23THRUST_200600_302600_NS4plusItEEEE10hipError_tPvRmT2_T3_mT4_P12ihipStream_tbEUlT_E_NS1_11comp_targetILNS1_3genE8ELNS1_11target_archE1030ELNS1_3gpuE2ELNS1_3repE0EEENS1_30default_config_static_selectorELNS0_4arch9wavefront6targetE1EEEvT1_, .Lfunc_end238-_ZN7rocprim17ROCPRIM_400000_NS6detail17trampoline_kernelINS0_14default_configENS1_35adjacent_difference_config_selectorILb0EtEEZNS1_24adjacent_difference_implIS3_Lb0ELb0EPtS7_N6thrust23THRUST_200600_302600_NS4plusItEEEE10hipError_tPvRmT2_T3_mT4_P12ihipStream_tbEUlT_E_NS1_11comp_targetILNS1_3genE8ELNS1_11target_archE1030ELNS1_3gpuE2ELNS1_3repE0EEENS1_30default_config_static_selectorELNS0_4arch9wavefront6targetE1EEEvT1_
                                        ; -- End function
	.set _ZN7rocprim17ROCPRIM_400000_NS6detail17trampoline_kernelINS0_14default_configENS1_35adjacent_difference_config_selectorILb0EtEEZNS1_24adjacent_difference_implIS3_Lb0ELb0EPtS7_N6thrust23THRUST_200600_302600_NS4plusItEEEE10hipError_tPvRmT2_T3_mT4_P12ihipStream_tbEUlT_E_NS1_11comp_targetILNS1_3genE8ELNS1_11target_archE1030ELNS1_3gpuE2ELNS1_3repE0EEENS1_30default_config_static_selectorELNS0_4arch9wavefront6targetE1EEEvT1_.num_vgpr, 0
	.set _ZN7rocprim17ROCPRIM_400000_NS6detail17trampoline_kernelINS0_14default_configENS1_35adjacent_difference_config_selectorILb0EtEEZNS1_24adjacent_difference_implIS3_Lb0ELb0EPtS7_N6thrust23THRUST_200600_302600_NS4plusItEEEE10hipError_tPvRmT2_T3_mT4_P12ihipStream_tbEUlT_E_NS1_11comp_targetILNS1_3genE8ELNS1_11target_archE1030ELNS1_3gpuE2ELNS1_3repE0EEENS1_30default_config_static_selectorELNS0_4arch9wavefront6targetE1EEEvT1_.num_agpr, 0
	.set _ZN7rocprim17ROCPRIM_400000_NS6detail17trampoline_kernelINS0_14default_configENS1_35adjacent_difference_config_selectorILb0EtEEZNS1_24adjacent_difference_implIS3_Lb0ELb0EPtS7_N6thrust23THRUST_200600_302600_NS4plusItEEEE10hipError_tPvRmT2_T3_mT4_P12ihipStream_tbEUlT_E_NS1_11comp_targetILNS1_3genE8ELNS1_11target_archE1030ELNS1_3gpuE2ELNS1_3repE0EEENS1_30default_config_static_selectorELNS0_4arch9wavefront6targetE1EEEvT1_.numbered_sgpr, 0
	.set _ZN7rocprim17ROCPRIM_400000_NS6detail17trampoline_kernelINS0_14default_configENS1_35adjacent_difference_config_selectorILb0EtEEZNS1_24adjacent_difference_implIS3_Lb0ELb0EPtS7_N6thrust23THRUST_200600_302600_NS4plusItEEEE10hipError_tPvRmT2_T3_mT4_P12ihipStream_tbEUlT_E_NS1_11comp_targetILNS1_3genE8ELNS1_11target_archE1030ELNS1_3gpuE2ELNS1_3repE0EEENS1_30default_config_static_selectorELNS0_4arch9wavefront6targetE1EEEvT1_.num_named_barrier, 0
	.set _ZN7rocprim17ROCPRIM_400000_NS6detail17trampoline_kernelINS0_14default_configENS1_35adjacent_difference_config_selectorILb0EtEEZNS1_24adjacent_difference_implIS3_Lb0ELb0EPtS7_N6thrust23THRUST_200600_302600_NS4plusItEEEE10hipError_tPvRmT2_T3_mT4_P12ihipStream_tbEUlT_E_NS1_11comp_targetILNS1_3genE8ELNS1_11target_archE1030ELNS1_3gpuE2ELNS1_3repE0EEENS1_30default_config_static_selectorELNS0_4arch9wavefront6targetE1EEEvT1_.private_seg_size, 0
	.set _ZN7rocprim17ROCPRIM_400000_NS6detail17trampoline_kernelINS0_14default_configENS1_35adjacent_difference_config_selectorILb0EtEEZNS1_24adjacent_difference_implIS3_Lb0ELb0EPtS7_N6thrust23THRUST_200600_302600_NS4plusItEEEE10hipError_tPvRmT2_T3_mT4_P12ihipStream_tbEUlT_E_NS1_11comp_targetILNS1_3genE8ELNS1_11target_archE1030ELNS1_3gpuE2ELNS1_3repE0EEENS1_30default_config_static_selectorELNS0_4arch9wavefront6targetE1EEEvT1_.uses_vcc, 0
	.set _ZN7rocprim17ROCPRIM_400000_NS6detail17trampoline_kernelINS0_14default_configENS1_35adjacent_difference_config_selectorILb0EtEEZNS1_24adjacent_difference_implIS3_Lb0ELb0EPtS7_N6thrust23THRUST_200600_302600_NS4plusItEEEE10hipError_tPvRmT2_T3_mT4_P12ihipStream_tbEUlT_E_NS1_11comp_targetILNS1_3genE8ELNS1_11target_archE1030ELNS1_3gpuE2ELNS1_3repE0EEENS1_30default_config_static_selectorELNS0_4arch9wavefront6targetE1EEEvT1_.uses_flat_scratch, 0
	.set _ZN7rocprim17ROCPRIM_400000_NS6detail17trampoline_kernelINS0_14default_configENS1_35adjacent_difference_config_selectorILb0EtEEZNS1_24adjacent_difference_implIS3_Lb0ELb0EPtS7_N6thrust23THRUST_200600_302600_NS4plusItEEEE10hipError_tPvRmT2_T3_mT4_P12ihipStream_tbEUlT_E_NS1_11comp_targetILNS1_3genE8ELNS1_11target_archE1030ELNS1_3gpuE2ELNS1_3repE0EEENS1_30default_config_static_selectorELNS0_4arch9wavefront6targetE1EEEvT1_.has_dyn_sized_stack, 0
	.set _ZN7rocprim17ROCPRIM_400000_NS6detail17trampoline_kernelINS0_14default_configENS1_35adjacent_difference_config_selectorILb0EtEEZNS1_24adjacent_difference_implIS3_Lb0ELb0EPtS7_N6thrust23THRUST_200600_302600_NS4plusItEEEE10hipError_tPvRmT2_T3_mT4_P12ihipStream_tbEUlT_E_NS1_11comp_targetILNS1_3genE8ELNS1_11target_archE1030ELNS1_3gpuE2ELNS1_3repE0EEENS1_30default_config_static_selectorELNS0_4arch9wavefront6targetE1EEEvT1_.has_recursion, 0
	.set _ZN7rocprim17ROCPRIM_400000_NS6detail17trampoline_kernelINS0_14default_configENS1_35adjacent_difference_config_selectorILb0EtEEZNS1_24adjacent_difference_implIS3_Lb0ELb0EPtS7_N6thrust23THRUST_200600_302600_NS4plusItEEEE10hipError_tPvRmT2_T3_mT4_P12ihipStream_tbEUlT_E_NS1_11comp_targetILNS1_3genE8ELNS1_11target_archE1030ELNS1_3gpuE2ELNS1_3repE0EEENS1_30default_config_static_selectorELNS0_4arch9wavefront6targetE1EEEvT1_.has_indirect_call, 0
	.section	.AMDGPU.csdata,"",@progbits
; Kernel info:
; codeLenInByte = 0
; TotalNumSgprs: 4
; NumVgprs: 0
; ScratchSize: 0
; MemoryBound: 0
; FloatMode: 240
; IeeeMode: 1
; LDSByteSize: 0 bytes/workgroup (compile time only)
; SGPRBlocks: 0
; VGPRBlocks: 0
; NumSGPRsForWavesPerEU: 4
; NumVGPRsForWavesPerEU: 1
; Occupancy: 10
; WaveLimiterHint : 0
; COMPUTE_PGM_RSRC2:SCRATCH_EN: 0
; COMPUTE_PGM_RSRC2:USER_SGPR: 6
; COMPUTE_PGM_RSRC2:TRAP_HANDLER: 0
; COMPUTE_PGM_RSRC2:TGID_X_EN: 1
; COMPUTE_PGM_RSRC2:TGID_Y_EN: 0
; COMPUTE_PGM_RSRC2:TGID_Z_EN: 0
; COMPUTE_PGM_RSRC2:TIDIG_COMP_CNT: 0
	.section	.text._ZN7rocprim17ROCPRIM_400000_NS6detail17trampoline_kernelINS0_14default_configENS1_25transform_config_selectorItLb0EEEZNS1_14transform_implILb0ES3_S5_NS0_18transform_iteratorINS0_17counting_iteratorImlEEZNS1_24adjacent_difference_implIS3_Lb1ELb0EPtSB_N6thrust23THRUST_200600_302600_NS4plusItEEEE10hipError_tPvRmT2_T3_mT4_P12ihipStream_tbEUlmE_tEESB_NS0_8identityIvEEEESG_SJ_SK_mSL_SN_bEUlT_E_NS1_11comp_targetILNS1_3genE0ELNS1_11target_archE4294967295ELNS1_3gpuE0ELNS1_3repE0EEENS1_30default_config_static_selectorELNS0_4arch9wavefront6targetE1EEEvT1_,"axG",@progbits,_ZN7rocprim17ROCPRIM_400000_NS6detail17trampoline_kernelINS0_14default_configENS1_25transform_config_selectorItLb0EEEZNS1_14transform_implILb0ES3_S5_NS0_18transform_iteratorINS0_17counting_iteratorImlEEZNS1_24adjacent_difference_implIS3_Lb1ELb0EPtSB_N6thrust23THRUST_200600_302600_NS4plusItEEEE10hipError_tPvRmT2_T3_mT4_P12ihipStream_tbEUlmE_tEESB_NS0_8identityIvEEEESG_SJ_SK_mSL_SN_bEUlT_E_NS1_11comp_targetILNS1_3genE0ELNS1_11target_archE4294967295ELNS1_3gpuE0ELNS1_3repE0EEENS1_30default_config_static_selectorELNS0_4arch9wavefront6targetE1EEEvT1_,comdat
	.protected	_ZN7rocprim17ROCPRIM_400000_NS6detail17trampoline_kernelINS0_14default_configENS1_25transform_config_selectorItLb0EEEZNS1_14transform_implILb0ES3_S5_NS0_18transform_iteratorINS0_17counting_iteratorImlEEZNS1_24adjacent_difference_implIS3_Lb1ELb0EPtSB_N6thrust23THRUST_200600_302600_NS4plusItEEEE10hipError_tPvRmT2_T3_mT4_P12ihipStream_tbEUlmE_tEESB_NS0_8identityIvEEEESG_SJ_SK_mSL_SN_bEUlT_E_NS1_11comp_targetILNS1_3genE0ELNS1_11target_archE4294967295ELNS1_3gpuE0ELNS1_3repE0EEENS1_30default_config_static_selectorELNS0_4arch9wavefront6targetE1EEEvT1_ ; -- Begin function _ZN7rocprim17ROCPRIM_400000_NS6detail17trampoline_kernelINS0_14default_configENS1_25transform_config_selectorItLb0EEEZNS1_14transform_implILb0ES3_S5_NS0_18transform_iteratorINS0_17counting_iteratorImlEEZNS1_24adjacent_difference_implIS3_Lb1ELb0EPtSB_N6thrust23THRUST_200600_302600_NS4plusItEEEE10hipError_tPvRmT2_T3_mT4_P12ihipStream_tbEUlmE_tEESB_NS0_8identityIvEEEESG_SJ_SK_mSL_SN_bEUlT_E_NS1_11comp_targetILNS1_3genE0ELNS1_11target_archE4294967295ELNS1_3gpuE0ELNS1_3repE0EEENS1_30default_config_static_selectorELNS0_4arch9wavefront6targetE1EEEvT1_
	.globl	_ZN7rocprim17ROCPRIM_400000_NS6detail17trampoline_kernelINS0_14default_configENS1_25transform_config_selectorItLb0EEEZNS1_14transform_implILb0ES3_S5_NS0_18transform_iteratorINS0_17counting_iteratorImlEEZNS1_24adjacent_difference_implIS3_Lb1ELb0EPtSB_N6thrust23THRUST_200600_302600_NS4plusItEEEE10hipError_tPvRmT2_T3_mT4_P12ihipStream_tbEUlmE_tEESB_NS0_8identityIvEEEESG_SJ_SK_mSL_SN_bEUlT_E_NS1_11comp_targetILNS1_3genE0ELNS1_11target_archE4294967295ELNS1_3gpuE0ELNS1_3repE0EEENS1_30default_config_static_selectorELNS0_4arch9wavefront6targetE1EEEvT1_
	.p2align	8
	.type	_ZN7rocprim17ROCPRIM_400000_NS6detail17trampoline_kernelINS0_14default_configENS1_25transform_config_selectorItLb0EEEZNS1_14transform_implILb0ES3_S5_NS0_18transform_iteratorINS0_17counting_iteratorImlEEZNS1_24adjacent_difference_implIS3_Lb1ELb0EPtSB_N6thrust23THRUST_200600_302600_NS4plusItEEEE10hipError_tPvRmT2_T3_mT4_P12ihipStream_tbEUlmE_tEESB_NS0_8identityIvEEEESG_SJ_SK_mSL_SN_bEUlT_E_NS1_11comp_targetILNS1_3genE0ELNS1_11target_archE4294967295ELNS1_3gpuE0ELNS1_3repE0EEENS1_30default_config_static_selectorELNS0_4arch9wavefront6targetE1EEEvT1_,@function
_ZN7rocprim17ROCPRIM_400000_NS6detail17trampoline_kernelINS0_14default_configENS1_25transform_config_selectorItLb0EEEZNS1_14transform_implILb0ES3_S5_NS0_18transform_iteratorINS0_17counting_iteratorImlEEZNS1_24adjacent_difference_implIS3_Lb1ELb0EPtSB_N6thrust23THRUST_200600_302600_NS4plusItEEEE10hipError_tPvRmT2_T3_mT4_P12ihipStream_tbEUlmE_tEESB_NS0_8identityIvEEEESG_SJ_SK_mSL_SN_bEUlT_E_NS1_11comp_targetILNS1_3genE0ELNS1_11target_archE4294967295ELNS1_3gpuE0ELNS1_3repE0EEENS1_30default_config_static_selectorELNS0_4arch9wavefront6targetE1EEEvT1_: ; @_ZN7rocprim17ROCPRIM_400000_NS6detail17trampoline_kernelINS0_14default_configENS1_25transform_config_selectorItLb0EEEZNS1_14transform_implILb0ES3_S5_NS0_18transform_iteratorINS0_17counting_iteratorImlEEZNS1_24adjacent_difference_implIS3_Lb1ELb0EPtSB_N6thrust23THRUST_200600_302600_NS4plusItEEEE10hipError_tPvRmT2_T3_mT4_P12ihipStream_tbEUlmE_tEESB_NS0_8identityIvEEEESG_SJ_SK_mSL_SN_bEUlT_E_NS1_11comp_targetILNS1_3genE0ELNS1_11target_archE4294967295ELNS1_3gpuE0ELNS1_3repE0EEENS1_30default_config_static_selectorELNS0_4arch9wavefront6targetE1EEEvT1_
; %bb.0:
	.section	.rodata,"a",@progbits
	.p2align	6, 0x0
	.amdhsa_kernel _ZN7rocprim17ROCPRIM_400000_NS6detail17trampoline_kernelINS0_14default_configENS1_25transform_config_selectorItLb0EEEZNS1_14transform_implILb0ES3_S5_NS0_18transform_iteratorINS0_17counting_iteratorImlEEZNS1_24adjacent_difference_implIS3_Lb1ELb0EPtSB_N6thrust23THRUST_200600_302600_NS4plusItEEEE10hipError_tPvRmT2_T3_mT4_P12ihipStream_tbEUlmE_tEESB_NS0_8identityIvEEEESG_SJ_SK_mSL_SN_bEUlT_E_NS1_11comp_targetILNS1_3genE0ELNS1_11target_archE4294967295ELNS1_3gpuE0ELNS1_3repE0EEENS1_30default_config_static_selectorELNS0_4arch9wavefront6targetE1EEEvT1_
		.amdhsa_group_segment_fixed_size 0
		.amdhsa_private_segment_fixed_size 0
		.amdhsa_kernarg_size 56
		.amdhsa_user_sgpr_count 6
		.amdhsa_user_sgpr_private_segment_buffer 1
		.amdhsa_user_sgpr_dispatch_ptr 0
		.amdhsa_user_sgpr_queue_ptr 0
		.amdhsa_user_sgpr_kernarg_segment_ptr 1
		.amdhsa_user_sgpr_dispatch_id 0
		.amdhsa_user_sgpr_flat_scratch_init 0
		.amdhsa_user_sgpr_private_segment_size 0
		.amdhsa_uses_dynamic_stack 0
		.amdhsa_system_sgpr_private_segment_wavefront_offset 0
		.amdhsa_system_sgpr_workgroup_id_x 1
		.amdhsa_system_sgpr_workgroup_id_y 0
		.amdhsa_system_sgpr_workgroup_id_z 0
		.amdhsa_system_sgpr_workgroup_info 0
		.amdhsa_system_vgpr_workitem_id 0
		.amdhsa_next_free_vgpr 1
		.amdhsa_next_free_sgpr 0
		.amdhsa_reserve_vcc 0
		.amdhsa_reserve_flat_scratch 0
		.amdhsa_float_round_mode_32 0
		.amdhsa_float_round_mode_16_64 0
		.amdhsa_float_denorm_mode_32 3
		.amdhsa_float_denorm_mode_16_64 3
		.amdhsa_dx10_clamp 1
		.amdhsa_ieee_mode 1
		.amdhsa_fp16_overflow 0
		.amdhsa_exception_fp_ieee_invalid_op 0
		.amdhsa_exception_fp_denorm_src 0
		.amdhsa_exception_fp_ieee_div_zero 0
		.amdhsa_exception_fp_ieee_overflow 0
		.amdhsa_exception_fp_ieee_underflow 0
		.amdhsa_exception_fp_ieee_inexact 0
		.amdhsa_exception_int_div_zero 0
	.end_amdhsa_kernel
	.section	.text._ZN7rocprim17ROCPRIM_400000_NS6detail17trampoline_kernelINS0_14default_configENS1_25transform_config_selectorItLb0EEEZNS1_14transform_implILb0ES3_S5_NS0_18transform_iteratorINS0_17counting_iteratorImlEEZNS1_24adjacent_difference_implIS3_Lb1ELb0EPtSB_N6thrust23THRUST_200600_302600_NS4plusItEEEE10hipError_tPvRmT2_T3_mT4_P12ihipStream_tbEUlmE_tEESB_NS0_8identityIvEEEESG_SJ_SK_mSL_SN_bEUlT_E_NS1_11comp_targetILNS1_3genE0ELNS1_11target_archE4294967295ELNS1_3gpuE0ELNS1_3repE0EEENS1_30default_config_static_selectorELNS0_4arch9wavefront6targetE1EEEvT1_,"axG",@progbits,_ZN7rocprim17ROCPRIM_400000_NS6detail17trampoline_kernelINS0_14default_configENS1_25transform_config_selectorItLb0EEEZNS1_14transform_implILb0ES3_S5_NS0_18transform_iteratorINS0_17counting_iteratorImlEEZNS1_24adjacent_difference_implIS3_Lb1ELb0EPtSB_N6thrust23THRUST_200600_302600_NS4plusItEEEE10hipError_tPvRmT2_T3_mT4_P12ihipStream_tbEUlmE_tEESB_NS0_8identityIvEEEESG_SJ_SK_mSL_SN_bEUlT_E_NS1_11comp_targetILNS1_3genE0ELNS1_11target_archE4294967295ELNS1_3gpuE0ELNS1_3repE0EEENS1_30default_config_static_selectorELNS0_4arch9wavefront6targetE1EEEvT1_,comdat
.Lfunc_end239:
	.size	_ZN7rocprim17ROCPRIM_400000_NS6detail17trampoline_kernelINS0_14default_configENS1_25transform_config_selectorItLb0EEEZNS1_14transform_implILb0ES3_S5_NS0_18transform_iteratorINS0_17counting_iteratorImlEEZNS1_24adjacent_difference_implIS3_Lb1ELb0EPtSB_N6thrust23THRUST_200600_302600_NS4plusItEEEE10hipError_tPvRmT2_T3_mT4_P12ihipStream_tbEUlmE_tEESB_NS0_8identityIvEEEESG_SJ_SK_mSL_SN_bEUlT_E_NS1_11comp_targetILNS1_3genE0ELNS1_11target_archE4294967295ELNS1_3gpuE0ELNS1_3repE0EEENS1_30default_config_static_selectorELNS0_4arch9wavefront6targetE1EEEvT1_, .Lfunc_end239-_ZN7rocprim17ROCPRIM_400000_NS6detail17trampoline_kernelINS0_14default_configENS1_25transform_config_selectorItLb0EEEZNS1_14transform_implILb0ES3_S5_NS0_18transform_iteratorINS0_17counting_iteratorImlEEZNS1_24adjacent_difference_implIS3_Lb1ELb0EPtSB_N6thrust23THRUST_200600_302600_NS4plusItEEEE10hipError_tPvRmT2_T3_mT4_P12ihipStream_tbEUlmE_tEESB_NS0_8identityIvEEEESG_SJ_SK_mSL_SN_bEUlT_E_NS1_11comp_targetILNS1_3genE0ELNS1_11target_archE4294967295ELNS1_3gpuE0ELNS1_3repE0EEENS1_30default_config_static_selectorELNS0_4arch9wavefront6targetE1EEEvT1_
                                        ; -- End function
	.set _ZN7rocprim17ROCPRIM_400000_NS6detail17trampoline_kernelINS0_14default_configENS1_25transform_config_selectorItLb0EEEZNS1_14transform_implILb0ES3_S5_NS0_18transform_iteratorINS0_17counting_iteratorImlEEZNS1_24adjacent_difference_implIS3_Lb1ELb0EPtSB_N6thrust23THRUST_200600_302600_NS4plusItEEEE10hipError_tPvRmT2_T3_mT4_P12ihipStream_tbEUlmE_tEESB_NS0_8identityIvEEEESG_SJ_SK_mSL_SN_bEUlT_E_NS1_11comp_targetILNS1_3genE0ELNS1_11target_archE4294967295ELNS1_3gpuE0ELNS1_3repE0EEENS1_30default_config_static_selectorELNS0_4arch9wavefront6targetE1EEEvT1_.num_vgpr, 0
	.set _ZN7rocprim17ROCPRIM_400000_NS6detail17trampoline_kernelINS0_14default_configENS1_25transform_config_selectorItLb0EEEZNS1_14transform_implILb0ES3_S5_NS0_18transform_iteratorINS0_17counting_iteratorImlEEZNS1_24adjacent_difference_implIS3_Lb1ELb0EPtSB_N6thrust23THRUST_200600_302600_NS4plusItEEEE10hipError_tPvRmT2_T3_mT4_P12ihipStream_tbEUlmE_tEESB_NS0_8identityIvEEEESG_SJ_SK_mSL_SN_bEUlT_E_NS1_11comp_targetILNS1_3genE0ELNS1_11target_archE4294967295ELNS1_3gpuE0ELNS1_3repE0EEENS1_30default_config_static_selectorELNS0_4arch9wavefront6targetE1EEEvT1_.num_agpr, 0
	.set _ZN7rocprim17ROCPRIM_400000_NS6detail17trampoline_kernelINS0_14default_configENS1_25transform_config_selectorItLb0EEEZNS1_14transform_implILb0ES3_S5_NS0_18transform_iteratorINS0_17counting_iteratorImlEEZNS1_24adjacent_difference_implIS3_Lb1ELb0EPtSB_N6thrust23THRUST_200600_302600_NS4plusItEEEE10hipError_tPvRmT2_T3_mT4_P12ihipStream_tbEUlmE_tEESB_NS0_8identityIvEEEESG_SJ_SK_mSL_SN_bEUlT_E_NS1_11comp_targetILNS1_3genE0ELNS1_11target_archE4294967295ELNS1_3gpuE0ELNS1_3repE0EEENS1_30default_config_static_selectorELNS0_4arch9wavefront6targetE1EEEvT1_.numbered_sgpr, 0
	.set _ZN7rocprim17ROCPRIM_400000_NS6detail17trampoline_kernelINS0_14default_configENS1_25transform_config_selectorItLb0EEEZNS1_14transform_implILb0ES3_S5_NS0_18transform_iteratorINS0_17counting_iteratorImlEEZNS1_24adjacent_difference_implIS3_Lb1ELb0EPtSB_N6thrust23THRUST_200600_302600_NS4plusItEEEE10hipError_tPvRmT2_T3_mT4_P12ihipStream_tbEUlmE_tEESB_NS0_8identityIvEEEESG_SJ_SK_mSL_SN_bEUlT_E_NS1_11comp_targetILNS1_3genE0ELNS1_11target_archE4294967295ELNS1_3gpuE0ELNS1_3repE0EEENS1_30default_config_static_selectorELNS0_4arch9wavefront6targetE1EEEvT1_.num_named_barrier, 0
	.set _ZN7rocprim17ROCPRIM_400000_NS6detail17trampoline_kernelINS0_14default_configENS1_25transform_config_selectorItLb0EEEZNS1_14transform_implILb0ES3_S5_NS0_18transform_iteratorINS0_17counting_iteratorImlEEZNS1_24adjacent_difference_implIS3_Lb1ELb0EPtSB_N6thrust23THRUST_200600_302600_NS4plusItEEEE10hipError_tPvRmT2_T3_mT4_P12ihipStream_tbEUlmE_tEESB_NS0_8identityIvEEEESG_SJ_SK_mSL_SN_bEUlT_E_NS1_11comp_targetILNS1_3genE0ELNS1_11target_archE4294967295ELNS1_3gpuE0ELNS1_3repE0EEENS1_30default_config_static_selectorELNS0_4arch9wavefront6targetE1EEEvT1_.private_seg_size, 0
	.set _ZN7rocprim17ROCPRIM_400000_NS6detail17trampoline_kernelINS0_14default_configENS1_25transform_config_selectorItLb0EEEZNS1_14transform_implILb0ES3_S5_NS0_18transform_iteratorINS0_17counting_iteratorImlEEZNS1_24adjacent_difference_implIS3_Lb1ELb0EPtSB_N6thrust23THRUST_200600_302600_NS4plusItEEEE10hipError_tPvRmT2_T3_mT4_P12ihipStream_tbEUlmE_tEESB_NS0_8identityIvEEEESG_SJ_SK_mSL_SN_bEUlT_E_NS1_11comp_targetILNS1_3genE0ELNS1_11target_archE4294967295ELNS1_3gpuE0ELNS1_3repE0EEENS1_30default_config_static_selectorELNS0_4arch9wavefront6targetE1EEEvT1_.uses_vcc, 0
	.set _ZN7rocprim17ROCPRIM_400000_NS6detail17trampoline_kernelINS0_14default_configENS1_25transform_config_selectorItLb0EEEZNS1_14transform_implILb0ES3_S5_NS0_18transform_iteratorINS0_17counting_iteratorImlEEZNS1_24adjacent_difference_implIS3_Lb1ELb0EPtSB_N6thrust23THRUST_200600_302600_NS4plusItEEEE10hipError_tPvRmT2_T3_mT4_P12ihipStream_tbEUlmE_tEESB_NS0_8identityIvEEEESG_SJ_SK_mSL_SN_bEUlT_E_NS1_11comp_targetILNS1_3genE0ELNS1_11target_archE4294967295ELNS1_3gpuE0ELNS1_3repE0EEENS1_30default_config_static_selectorELNS0_4arch9wavefront6targetE1EEEvT1_.uses_flat_scratch, 0
	.set _ZN7rocprim17ROCPRIM_400000_NS6detail17trampoline_kernelINS0_14default_configENS1_25transform_config_selectorItLb0EEEZNS1_14transform_implILb0ES3_S5_NS0_18transform_iteratorINS0_17counting_iteratorImlEEZNS1_24adjacent_difference_implIS3_Lb1ELb0EPtSB_N6thrust23THRUST_200600_302600_NS4plusItEEEE10hipError_tPvRmT2_T3_mT4_P12ihipStream_tbEUlmE_tEESB_NS0_8identityIvEEEESG_SJ_SK_mSL_SN_bEUlT_E_NS1_11comp_targetILNS1_3genE0ELNS1_11target_archE4294967295ELNS1_3gpuE0ELNS1_3repE0EEENS1_30default_config_static_selectorELNS0_4arch9wavefront6targetE1EEEvT1_.has_dyn_sized_stack, 0
	.set _ZN7rocprim17ROCPRIM_400000_NS6detail17trampoline_kernelINS0_14default_configENS1_25transform_config_selectorItLb0EEEZNS1_14transform_implILb0ES3_S5_NS0_18transform_iteratorINS0_17counting_iteratorImlEEZNS1_24adjacent_difference_implIS3_Lb1ELb0EPtSB_N6thrust23THRUST_200600_302600_NS4plusItEEEE10hipError_tPvRmT2_T3_mT4_P12ihipStream_tbEUlmE_tEESB_NS0_8identityIvEEEESG_SJ_SK_mSL_SN_bEUlT_E_NS1_11comp_targetILNS1_3genE0ELNS1_11target_archE4294967295ELNS1_3gpuE0ELNS1_3repE0EEENS1_30default_config_static_selectorELNS0_4arch9wavefront6targetE1EEEvT1_.has_recursion, 0
	.set _ZN7rocprim17ROCPRIM_400000_NS6detail17trampoline_kernelINS0_14default_configENS1_25transform_config_selectorItLb0EEEZNS1_14transform_implILb0ES3_S5_NS0_18transform_iteratorINS0_17counting_iteratorImlEEZNS1_24adjacent_difference_implIS3_Lb1ELb0EPtSB_N6thrust23THRUST_200600_302600_NS4plusItEEEE10hipError_tPvRmT2_T3_mT4_P12ihipStream_tbEUlmE_tEESB_NS0_8identityIvEEEESG_SJ_SK_mSL_SN_bEUlT_E_NS1_11comp_targetILNS1_3genE0ELNS1_11target_archE4294967295ELNS1_3gpuE0ELNS1_3repE0EEENS1_30default_config_static_selectorELNS0_4arch9wavefront6targetE1EEEvT1_.has_indirect_call, 0
	.section	.AMDGPU.csdata,"",@progbits
; Kernel info:
; codeLenInByte = 0
; TotalNumSgprs: 4
; NumVgprs: 0
; ScratchSize: 0
; MemoryBound: 0
; FloatMode: 240
; IeeeMode: 1
; LDSByteSize: 0 bytes/workgroup (compile time only)
; SGPRBlocks: 0
; VGPRBlocks: 0
; NumSGPRsForWavesPerEU: 4
; NumVGPRsForWavesPerEU: 1
; Occupancy: 10
; WaveLimiterHint : 0
; COMPUTE_PGM_RSRC2:SCRATCH_EN: 0
; COMPUTE_PGM_RSRC2:USER_SGPR: 6
; COMPUTE_PGM_RSRC2:TRAP_HANDLER: 0
; COMPUTE_PGM_RSRC2:TGID_X_EN: 1
; COMPUTE_PGM_RSRC2:TGID_Y_EN: 0
; COMPUTE_PGM_RSRC2:TGID_Z_EN: 0
; COMPUTE_PGM_RSRC2:TIDIG_COMP_CNT: 0
	.section	.text._ZN7rocprim17ROCPRIM_400000_NS6detail17trampoline_kernelINS0_14default_configENS1_25transform_config_selectorItLb0EEEZNS1_14transform_implILb0ES3_S5_NS0_18transform_iteratorINS0_17counting_iteratorImlEEZNS1_24adjacent_difference_implIS3_Lb1ELb0EPtSB_N6thrust23THRUST_200600_302600_NS4plusItEEEE10hipError_tPvRmT2_T3_mT4_P12ihipStream_tbEUlmE_tEESB_NS0_8identityIvEEEESG_SJ_SK_mSL_SN_bEUlT_E_NS1_11comp_targetILNS1_3genE5ELNS1_11target_archE942ELNS1_3gpuE9ELNS1_3repE0EEENS1_30default_config_static_selectorELNS0_4arch9wavefront6targetE1EEEvT1_,"axG",@progbits,_ZN7rocprim17ROCPRIM_400000_NS6detail17trampoline_kernelINS0_14default_configENS1_25transform_config_selectorItLb0EEEZNS1_14transform_implILb0ES3_S5_NS0_18transform_iteratorINS0_17counting_iteratorImlEEZNS1_24adjacent_difference_implIS3_Lb1ELb0EPtSB_N6thrust23THRUST_200600_302600_NS4plusItEEEE10hipError_tPvRmT2_T3_mT4_P12ihipStream_tbEUlmE_tEESB_NS0_8identityIvEEEESG_SJ_SK_mSL_SN_bEUlT_E_NS1_11comp_targetILNS1_3genE5ELNS1_11target_archE942ELNS1_3gpuE9ELNS1_3repE0EEENS1_30default_config_static_selectorELNS0_4arch9wavefront6targetE1EEEvT1_,comdat
	.protected	_ZN7rocprim17ROCPRIM_400000_NS6detail17trampoline_kernelINS0_14default_configENS1_25transform_config_selectorItLb0EEEZNS1_14transform_implILb0ES3_S5_NS0_18transform_iteratorINS0_17counting_iteratorImlEEZNS1_24adjacent_difference_implIS3_Lb1ELb0EPtSB_N6thrust23THRUST_200600_302600_NS4plusItEEEE10hipError_tPvRmT2_T3_mT4_P12ihipStream_tbEUlmE_tEESB_NS0_8identityIvEEEESG_SJ_SK_mSL_SN_bEUlT_E_NS1_11comp_targetILNS1_3genE5ELNS1_11target_archE942ELNS1_3gpuE9ELNS1_3repE0EEENS1_30default_config_static_selectorELNS0_4arch9wavefront6targetE1EEEvT1_ ; -- Begin function _ZN7rocprim17ROCPRIM_400000_NS6detail17trampoline_kernelINS0_14default_configENS1_25transform_config_selectorItLb0EEEZNS1_14transform_implILb0ES3_S5_NS0_18transform_iteratorINS0_17counting_iteratorImlEEZNS1_24adjacent_difference_implIS3_Lb1ELb0EPtSB_N6thrust23THRUST_200600_302600_NS4plusItEEEE10hipError_tPvRmT2_T3_mT4_P12ihipStream_tbEUlmE_tEESB_NS0_8identityIvEEEESG_SJ_SK_mSL_SN_bEUlT_E_NS1_11comp_targetILNS1_3genE5ELNS1_11target_archE942ELNS1_3gpuE9ELNS1_3repE0EEENS1_30default_config_static_selectorELNS0_4arch9wavefront6targetE1EEEvT1_
	.globl	_ZN7rocprim17ROCPRIM_400000_NS6detail17trampoline_kernelINS0_14default_configENS1_25transform_config_selectorItLb0EEEZNS1_14transform_implILb0ES3_S5_NS0_18transform_iteratorINS0_17counting_iteratorImlEEZNS1_24adjacent_difference_implIS3_Lb1ELb0EPtSB_N6thrust23THRUST_200600_302600_NS4plusItEEEE10hipError_tPvRmT2_T3_mT4_P12ihipStream_tbEUlmE_tEESB_NS0_8identityIvEEEESG_SJ_SK_mSL_SN_bEUlT_E_NS1_11comp_targetILNS1_3genE5ELNS1_11target_archE942ELNS1_3gpuE9ELNS1_3repE0EEENS1_30default_config_static_selectorELNS0_4arch9wavefront6targetE1EEEvT1_
	.p2align	8
	.type	_ZN7rocprim17ROCPRIM_400000_NS6detail17trampoline_kernelINS0_14default_configENS1_25transform_config_selectorItLb0EEEZNS1_14transform_implILb0ES3_S5_NS0_18transform_iteratorINS0_17counting_iteratorImlEEZNS1_24adjacent_difference_implIS3_Lb1ELb0EPtSB_N6thrust23THRUST_200600_302600_NS4plusItEEEE10hipError_tPvRmT2_T3_mT4_P12ihipStream_tbEUlmE_tEESB_NS0_8identityIvEEEESG_SJ_SK_mSL_SN_bEUlT_E_NS1_11comp_targetILNS1_3genE5ELNS1_11target_archE942ELNS1_3gpuE9ELNS1_3repE0EEENS1_30default_config_static_selectorELNS0_4arch9wavefront6targetE1EEEvT1_,@function
_ZN7rocprim17ROCPRIM_400000_NS6detail17trampoline_kernelINS0_14default_configENS1_25transform_config_selectorItLb0EEEZNS1_14transform_implILb0ES3_S5_NS0_18transform_iteratorINS0_17counting_iteratorImlEEZNS1_24adjacent_difference_implIS3_Lb1ELb0EPtSB_N6thrust23THRUST_200600_302600_NS4plusItEEEE10hipError_tPvRmT2_T3_mT4_P12ihipStream_tbEUlmE_tEESB_NS0_8identityIvEEEESG_SJ_SK_mSL_SN_bEUlT_E_NS1_11comp_targetILNS1_3genE5ELNS1_11target_archE942ELNS1_3gpuE9ELNS1_3repE0EEENS1_30default_config_static_selectorELNS0_4arch9wavefront6targetE1EEEvT1_: ; @_ZN7rocprim17ROCPRIM_400000_NS6detail17trampoline_kernelINS0_14default_configENS1_25transform_config_selectorItLb0EEEZNS1_14transform_implILb0ES3_S5_NS0_18transform_iteratorINS0_17counting_iteratorImlEEZNS1_24adjacent_difference_implIS3_Lb1ELb0EPtSB_N6thrust23THRUST_200600_302600_NS4plusItEEEE10hipError_tPvRmT2_T3_mT4_P12ihipStream_tbEUlmE_tEESB_NS0_8identityIvEEEESG_SJ_SK_mSL_SN_bEUlT_E_NS1_11comp_targetILNS1_3genE5ELNS1_11target_archE942ELNS1_3gpuE9ELNS1_3repE0EEENS1_30default_config_static_selectorELNS0_4arch9wavefront6targetE1EEEvT1_
; %bb.0:
	.section	.rodata,"a",@progbits
	.p2align	6, 0x0
	.amdhsa_kernel _ZN7rocprim17ROCPRIM_400000_NS6detail17trampoline_kernelINS0_14default_configENS1_25transform_config_selectorItLb0EEEZNS1_14transform_implILb0ES3_S5_NS0_18transform_iteratorINS0_17counting_iteratorImlEEZNS1_24adjacent_difference_implIS3_Lb1ELb0EPtSB_N6thrust23THRUST_200600_302600_NS4plusItEEEE10hipError_tPvRmT2_T3_mT4_P12ihipStream_tbEUlmE_tEESB_NS0_8identityIvEEEESG_SJ_SK_mSL_SN_bEUlT_E_NS1_11comp_targetILNS1_3genE5ELNS1_11target_archE942ELNS1_3gpuE9ELNS1_3repE0EEENS1_30default_config_static_selectorELNS0_4arch9wavefront6targetE1EEEvT1_
		.amdhsa_group_segment_fixed_size 0
		.amdhsa_private_segment_fixed_size 0
		.amdhsa_kernarg_size 56
		.amdhsa_user_sgpr_count 6
		.amdhsa_user_sgpr_private_segment_buffer 1
		.amdhsa_user_sgpr_dispatch_ptr 0
		.amdhsa_user_sgpr_queue_ptr 0
		.amdhsa_user_sgpr_kernarg_segment_ptr 1
		.amdhsa_user_sgpr_dispatch_id 0
		.amdhsa_user_sgpr_flat_scratch_init 0
		.amdhsa_user_sgpr_private_segment_size 0
		.amdhsa_uses_dynamic_stack 0
		.amdhsa_system_sgpr_private_segment_wavefront_offset 0
		.amdhsa_system_sgpr_workgroup_id_x 1
		.amdhsa_system_sgpr_workgroup_id_y 0
		.amdhsa_system_sgpr_workgroup_id_z 0
		.amdhsa_system_sgpr_workgroup_info 0
		.amdhsa_system_vgpr_workitem_id 0
		.amdhsa_next_free_vgpr 1
		.amdhsa_next_free_sgpr 0
		.amdhsa_reserve_vcc 0
		.amdhsa_reserve_flat_scratch 0
		.amdhsa_float_round_mode_32 0
		.amdhsa_float_round_mode_16_64 0
		.amdhsa_float_denorm_mode_32 3
		.amdhsa_float_denorm_mode_16_64 3
		.amdhsa_dx10_clamp 1
		.amdhsa_ieee_mode 1
		.amdhsa_fp16_overflow 0
		.amdhsa_exception_fp_ieee_invalid_op 0
		.amdhsa_exception_fp_denorm_src 0
		.amdhsa_exception_fp_ieee_div_zero 0
		.amdhsa_exception_fp_ieee_overflow 0
		.amdhsa_exception_fp_ieee_underflow 0
		.amdhsa_exception_fp_ieee_inexact 0
		.amdhsa_exception_int_div_zero 0
	.end_amdhsa_kernel
	.section	.text._ZN7rocprim17ROCPRIM_400000_NS6detail17trampoline_kernelINS0_14default_configENS1_25transform_config_selectorItLb0EEEZNS1_14transform_implILb0ES3_S5_NS0_18transform_iteratorINS0_17counting_iteratorImlEEZNS1_24adjacent_difference_implIS3_Lb1ELb0EPtSB_N6thrust23THRUST_200600_302600_NS4plusItEEEE10hipError_tPvRmT2_T3_mT4_P12ihipStream_tbEUlmE_tEESB_NS0_8identityIvEEEESG_SJ_SK_mSL_SN_bEUlT_E_NS1_11comp_targetILNS1_3genE5ELNS1_11target_archE942ELNS1_3gpuE9ELNS1_3repE0EEENS1_30default_config_static_selectorELNS0_4arch9wavefront6targetE1EEEvT1_,"axG",@progbits,_ZN7rocprim17ROCPRIM_400000_NS6detail17trampoline_kernelINS0_14default_configENS1_25transform_config_selectorItLb0EEEZNS1_14transform_implILb0ES3_S5_NS0_18transform_iteratorINS0_17counting_iteratorImlEEZNS1_24adjacent_difference_implIS3_Lb1ELb0EPtSB_N6thrust23THRUST_200600_302600_NS4plusItEEEE10hipError_tPvRmT2_T3_mT4_P12ihipStream_tbEUlmE_tEESB_NS0_8identityIvEEEESG_SJ_SK_mSL_SN_bEUlT_E_NS1_11comp_targetILNS1_3genE5ELNS1_11target_archE942ELNS1_3gpuE9ELNS1_3repE0EEENS1_30default_config_static_selectorELNS0_4arch9wavefront6targetE1EEEvT1_,comdat
.Lfunc_end240:
	.size	_ZN7rocprim17ROCPRIM_400000_NS6detail17trampoline_kernelINS0_14default_configENS1_25transform_config_selectorItLb0EEEZNS1_14transform_implILb0ES3_S5_NS0_18transform_iteratorINS0_17counting_iteratorImlEEZNS1_24adjacent_difference_implIS3_Lb1ELb0EPtSB_N6thrust23THRUST_200600_302600_NS4plusItEEEE10hipError_tPvRmT2_T3_mT4_P12ihipStream_tbEUlmE_tEESB_NS0_8identityIvEEEESG_SJ_SK_mSL_SN_bEUlT_E_NS1_11comp_targetILNS1_3genE5ELNS1_11target_archE942ELNS1_3gpuE9ELNS1_3repE0EEENS1_30default_config_static_selectorELNS0_4arch9wavefront6targetE1EEEvT1_, .Lfunc_end240-_ZN7rocprim17ROCPRIM_400000_NS6detail17trampoline_kernelINS0_14default_configENS1_25transform_config_selectorItLb0EEEZNS1_14transform_implILb0ES3_S5_NS0_18transform_iteratorINS0_17counting_iteratorImlEEZNS1_24adjacent_difference_implIS3_Lb1ELb0EPtSB_N6thrust23THRUST_200600_302600_NS4plusItEEEE10hipError_tPvRmT2_T3_mT4_P12ihipStream_tbEUlmE_tEESB_NS0_8identityIvEEEESG_SJ_SK_mSL_SN_bEUlT_E_NS1_11comp_targetILNS1_3genE5ELNS1_11target_archE942ELNS1_3gpuE9ELNS1_3repE0EEENS1_30default_config_static_selectorELNS0_4arch9wavefront6targetE1EEEvT1_
                                        ; -- End function
	.set _ZN7rocprim17ROCPRIM_400000_NS6detail17trampoline_kernelINS0_14default_configENS1_25transform_config_selectorItLb0EEEZNS1_14transform_implILb0ES3_S5_NS0_18transform_iteratorINS0_17counting_iteratorImlEEZNS1_24adjacent_difference_implIS3_Lb1ELb0EPtSB_N6thrust23THRUST_200600_302600_NS4plusItEEEE10hipError_tPvRmT2_T3_mT4_P12ihipStream_tbEUlmE_tEESB_NS0_8identityIvEEEESG_SJ_SK_mSL_SN_bEUlT_E_NS1_11comp_targetILNS1_3genE5ELNS1_11target_archE942ELNS1_3gpuE9ELNS1_3repE0EEENS1_30default_config_static_selectorELNS0_4arch9wavefront6targetE1EEEvT1_.num_vgpr, 0
	.set _ZN7rocprim17ROCPRIM_400000_NS6detail17trampoline_kernelINS0_14default_configENS1_25transform_config_selectorItLb0EEEZNS1_14transform_implILb0ES3_S5_NS0_18transform_iteratorINS0_17counting_iteratorImlEEZNS1_24adjacent_difference_implIS3_Lb1ELb0EPtSB_N6thrust23THRUST_200600_302600_NS4plusItEEEE10hipError_tPvRmT2_T3_mT4_P12ihipStream_tbEUlmE_tEESB_NS0_8identityIvEEEESG_SJ_SK_mSL_SN_bEUlT_E_NS1_11comp_targetILNS1_3genE5ELNS1_11target_archE942ELNS1_3gpuE9ELNS1_3repE0EEENS1_30default_config_static_selectorELNS0_4arch9wavefront6targetE1EEEvT1_.num_agpr, 0
	.set _ZN7rocprim17ROCPRIM_400000_NS6detail17trampoline_kernelINS0_14default_configENS1_25transform_config_selectorItLb0EEEZNS1_14transform_implILb0ES3_S5_NS0_18transform_iteratorINS0_17counting_iteratorImlEEZNS1_24adjacent_difference_implIS3_Lb1ELb0EPtSB_N6thrust23THRUST_200600_302600_NS4plusItEEEE10hipError_tPvRmT2_T3_mT4_P12ihipStream_tbEUlmE_tEESB_NS0_8identityIvEEEESG_SJ_SK_mSL_SN_bEUlT_E_NS1_11comp_targetILNS1_3genE5ELNS1_11target_archE942ELNS1_3gpuE9ELNS1_3repE0EEENS1_30default_config_static_selectorELNS0_4arch9wavefront6targetE1EEEvT1_.numbered_sgpr, 0
	.set _ZN7rocprim17ROCPRIM_400000_NS6detail17trampoline_kernelINS0_14default_configENS1_25transform_config_selectorItLb0EEEZNS1_14transform_implILb0ES3_S5_NS0_18transform_iteratorINS0_17counting_iteratorImlEEZNS1_24adjacent_difference_implIS3_Lb1ELb0EPtSB_N6thrust23THRUST_200600_302600_NS4plusItEEEE10hipError_tPvRmT2_T3_mT4_P12ihipStream_tbEUlmE_tEESB_NS0_8identityIvEEEESG_SJ_SK_mSL_SN_bEUlT_E_NS1_11comp_targetILNS1_3genE5ELNS1_11target_archE942ELNS1_3gpuE9ELNS1_3repE0EEENS1_30default_config_static_selectorELNS0_4arch9wavefront6targetE1EEEvT1_.num_named_barrier, 0
	.set _ZN7rocprim17ROCPRIM_400000_NS6detail17trampoline_kernelINS0_14default_configENS1_25transform_config_selectorItLb0EEEZNS1_14transform_implILb0ES3_S5_NS0_18transform_iteratorINS0_17counting_iteratorImlEEZNS1_24adjacent_difference_implIS3_Lb1ELb0EPtSB_N6thrust23THRUST_200600_302600_NS4plusItEEEE10hipError_tPvRmT2_T3_mT4_P12ihipStream_tbEUlmE_tEESB_NS0_8identityIvEEEESG_SJ_SK_mSL_SN_bEUlT_E_NS1_11comp_targetILNS1_3genE5ELNS1_11target_archE942ELNS1_3gpuE9ELNS1_3repE0EEENS1_30default_config_static_selectorELNS0_4arch9wavefront6targetE1EEEvT1_.private_seg_size, 0
	.set _ZN7rocprim17ROCPRIM_400000_NS6detail17trampoline_kernelINS0_14default_configENS1_25transform_config_selectorItLb0EEEZNS1_14transform_implILb0ES3_S5_NS0_18transform_iteratorINS0_17counting_iteratorImlEEZNS1_24adjacent_difference_implIS3_Lb1ELb0EPtSB_N6thrust23THRUST_200600_302600_NS4plusItEEEE10hipError_tPvRmT2_T3_mT4_P12ihipStream_tbEUlmE_tEESB_NS0_8identityIvEEEESG_SJ_SK_mSL_SN_bEUlT_E_NS1_11comp_targetILNS1_3genE5ELNS1_11target_archE942ELNS1_3gpuE9ELNS1_3repE0EEENS1_30default_config_static_selectorELNS0_4arch9wavefront6targetE1EEEvT1_.uses_vcc, 0
	.set _ZN7rocprim17ROCPRIM_400000_NS6detail17trampoline_kernelINS0_14default_configENS1_25transform_config_selectorItLb0EEEZNS1_14transform_implILb0ES3_S5_NS0_18transform_iteratorINS0_17counting_iteratorImlEEZNS1_24adjacent_difference_implIS3_Lb1ELb0EPtSB_N6thrust23THRUST_200600_302600_NS4plusItEEEE10hipError_tPvRmT2_T3_mT4_P12ihipStream_tbEUlmE_tEESB_NS0_8identityIvEEEESG_SJ_SK_mSL_SN_bEUlT_E_NS1_11comp_targetILNS1_3genE5ELNS1_11target_archE942ELNS1_3gpuE9ELNS1_3repE0EEENS1_30default_config_static_selectorELNS0_4arch9wavefront6targetE1EEEvT1_.uses_flat_scratch, 0
	.set _ZN7rocprim17ROCPRIM_400000_NS6detail17trampoline_kernelINS0_14default_configENS1_25transform_config_selectorItLb0EEEZNS1_14transform_implILb0ES3_S5_NS0_18transform_iteratorINS0_17counting_iteratorImlEEZNS1_24adjacent_difference_implIS3_Lb1ELb0EPtSB_N6thrust23THRUST_200600_302600_NS4plusItEEEE10hipError_tPvRmT2_T3_mT4_P12ihipStream_tbEUlmE_tEESB_NS0_8identityIvEEEESG_SJ_SK_mSL_SN_bEUlT_E_NS1_11comp_targetILNS1_3genE5ELNS1_11target_archE942ELNS1_3gpuE9ELNS1_3repE0EEENS1_30default_config_static_selectorELNS0_4arch9wavefront6targetE1EEEvT1_.has_dyn_sized_stack, 0
	.set _ZN7rocprim17ROCPRIM_400000_NS6detail17trampoline_kernelINS0_14default_configENS1_25transform_config_selectorItLb0EEEZNS1_14transform_implILb0ES3_S5_NS0_18transform_iteratorINS0_17counting_iteratorImlEEZNS1_24adjacent_difference_implIS3_Lb1ELb0EPtSB_N6thrust23THRUST_200600_302600_NS4plusItEEEE10hipError_tPvRmT2_T3_mT4_P12ihipStream_tbEUlmE_tEESB_NS0_8identityIvEEEESG_SJ_SK_mSL_SN_bEUlT_E_NS1_11comp_targetILNS1_3genE5ELNS1_11target_archE942ELNS1_3gpuE9ELNS1_3repE0EEENS1_30default_config_static_selectorELNS0_4arch9wavefront6targetE1EEEvT1_.has_recursion, 0
	.set _ZN7rocprim17ROCPRIM_400000_NS6detail17trampoline_kernelINS0_14default_configENS1_25transform_config_selectorItLb0EEEZNS1_14transform_implILb0ES3_S5_NS0_18transform_iteratorINS0_17counting_iteratorImlEEZNS1_24adjacent_difference_implIS3_Lb1ELb0EPtSB_N6thrust23THRUST_200600_302600_NS4plusItEEEE10hipError_tPvRmT2_T3_mT4_P12ihipStream_tbEUlmE_tEESB_NS0_8identityIvEEEESG_SJ_SK_mSL_SN_bEUlT_E_NS1_11comp_targetILNS1_3genE5ELNS1_11target_archE942ELNS1_3gpuE9ELNS1_3repE0EEENS1_30default_config_static_selectorELNS0_4arch9wavefront6targetE1EEEvT1_.has_indirect_call, 0
	.section	.AMDGPU.csdata,"",@progbits
; Kernel info:
; codeLenInByte = 0
; TotalNumSgprs: 4
; NumVgprs: 0
; ScratchSize: 0
; MemoryBound: 0
; FloatMode: 240
; IeeeMode: 1
; LDSByteSize: 0 bytes/workgroup (compile time only)
; SGPRBlocks: 0
; VGPRBlocks: 0
; NumSGPRsForWavesPerEU: 4
; NumVGPRsForWavesPerEU: 1
; Occupancy: 10
; WaveLimiterHint : 0
; COMPUTE_PGM_RSRC2:SCRATCH_EN: 0
; COMPUTE_PGM_RSRC2:USER_SGPR: 6
; COMPUTE_PGM_RSRC2:TRAP_HANDLER: 0
; COMPUTE_PGM_RSRC2:TGID_X_EN: 1
; COMPUTE_PGM_RSRC2:TGID_Y_EN: 0
; COMPUTE_PGM_RSRC2:TGID_Z_EN: 0
; COMPUTE_PGM_RSRC2:TIDIG_COMP_CNT: 0
	.section	.text._ZN7rocprim17ROCPRIM_400000_NS6detail17trampoline_kernelINS0_14default_configENS1_25transform_config_selectorItLb0EEEZNS1_14transform_implILb0ES3_S5_NS0_18transform_iteratorINS0_17counting_iteratorImlEEZNS1_24adjacent_difference_implIS3_Lb1ELb0EPtSB_N6thrust23THRUST_200600_302600_NS4plusItEEEE10hipError_tPvRmT2_T3_mT4_P12ihipStream_tbEUlmE_tEESB_NS0_8identityIvEEEESG_SJ_SK_mSL_SN_bEUlT_E_NS1_11comp_targetILNS1_3genE4ELNS1_11target_archE910ELNS1_3gpuE8ELNS1_3repE0EEENS1_30default_config_static_selectorELNS0_4arch9wavefront6targetE1EEEvT1_,"axG",@progbits,_ZN7rocprim17ROCPRIM_400000_NS6detail17trampoline_kernelINS0_14default_configENS1_25transform_config_selectorItLb0EEEZNS1_14transform_implILb0ES3_S5_NS0_18transform_iteratorINS0_17counting_iteratorImlEEZNS1_24adjacent_difference_implIS3_Lb1ELb0EPtSB_N6thrust23THRUST_200600_302600_NS4plusItEEEE10hipError_tPvRmT2_T3_mT4_P12ihipStream_tbEUlmE_tEESB_NS0_8identityIvEEEESG_SJ_SK_mSL_SN_bEUlT_E_NS1_11comp_targetILNS1_3genE4ELNS1_11target_archE910ELNS1_3gpuE8ELNS1_3repE0EEENS1_30default_config_static_selectorELNS0_4arch9wavefront6targetE1EEEvT1_,comdat
	.protected	_ZN7rocprim17ROCPRIM_400000_NS6detail17trampoline_kernelINS0_14default_configENS1_25transform_config_selectorItLb0EEEZNS1_14transform_implILb0ES3_S5_NS0_18transform_iteratorINS0_17counting_iteratorImlEEZNS1_24adjacent_difference_implIS3_Lb1ELb0EPtSB_N6thrust23THRUST_200600_302600_NS4plusItEEEE10hipError_tPvRmT2_T3_mT4_P12ihipStream_tbEUlmE_tEESB_NS0_8identityIvEEEESG_SJ_SK_mSL_SN_bEUlT_E_NS1_11comp_targetILNS1_3genE4ELNS1_11target_archE910ELNS1_3gpuE8ELNS1_3repE0EEENS1_30default_config_static_selectorELNS0_4arch9wavefront6targetE1EEEvT1_ ; -- Begin function _ZN7rocprim17ROCPRIM_400000_NS6detail17trampoline_kernelINS0_14default_configENS1_25transform_config_selectorItLb0EEEZNS1_14transform_implILb0ES3_S5_NS0_18transform_iteratorINS0_17counting_iteratorImlEEZNS1_24adjacent_difference_implIS3_Lb1ELb0EPtSB_N6thrust23THRUST_200600_302600_NS4plusItEEEE10hipError_tPvRmT2_T3_mT4_P12ihipStream_tbEUlmE_tEESB_NS0_8identityIvEEEESG_SJ_SK_mSL_SN_bEUlT_E_NS1_11comp_targetILNS1_3genE4ELNS1_11target_archE910ELNS1_3gpuE8ELNS1_3repE0EEENS1_30default_config_static_selectorELNS0_4arch9wavefront6targetE1EEEvT1_
	.globl	_ZN7rocprim17ROCPRIM_400000_NS6detail17trampoline_kernelINS0_14default_configENS1_25transform_config_selectorItLb0EEEZNS1_14transform_implILb0ES3_S5_NS0_18transform_iteratorINS0_17counting_iteratorImlEEZNS1_24adjacent_difference_implIS3_Lb1ELb0EPtSB_N6thrust23THRUST_200600_302600_NS4plusItEEEE10hipError_tPvRmT2_T3_mT4_P12ihipStream_tbEUlmE_tEESB_NS0_8identityIvEEEESG_SJ_SK_mSL_SN_bEUlT_E_NS1_11comp_targetILNS1_3genE4ELNS1_11target_archE910ELNS1_3gpuE8ELNS1_3repE0EEENS1_30default_config_static_selectorELNS0_4arch9wavefront6targetE1EEEvT1_
	.p2align	8
	.type	_ZN7rocprim17ROCPRIM_400000_NS6detail17trampoline_kernelINS0_14default_configENS1_25transform_config_selectorItLb0EEEZNS1_14transform_implILb0ES3_S5_NS0_18transform_iteratorINS0_17counting_iteratorImlEEZNS1_24adjacent_difference_implIS3_Lb1ELb0EPtSB_N6thrust23THRUST_200600_302600_NS4plusItEEEE10hipError_tPvRmT2_T3_mT4_P12ihipStream_tbEUlmE_tEESB_NS0_8identityIvEEEESG_SJ_SK_mSL_SN_bEUlT_E_NS1_11comp_targetILNS1_3genE4ELNS1_11target_archE910ELNS1_3gpuE8ELNS1_3repE0EEENS1_30default_config_static_selectorELNS0_4arch9wavefront6targetE1EEEvT1_,@function
_ZN7rocprim17ROCPRIM_400000_NS6detail17trampoline_kernelINS0_14default_configENS1_25transform_config_selectorItLb0EEEZNS1_14transform_implILb0ES3_S5_NS0_18transform_iteratorINS0_17counting_iteratorImlEEZNS1_24adjacent_difference_implIS3_Lb1ELb0EPtSB_N6thrust23THRUST_200600_302600_NS4plusItEEEE10hipError_tPvRmT2_T3_mT4_P12ihipStream_tbEUlmE_tEESB_NS0_8identityIvEEEESG_SJ_SK_mSL_SN_bEUlT_E_NS1_11comp_targetILNS1_3genE4ELNS1_11target_archE910ELNS1_3gpuE8ELNS1_3repE0EEENS1_30default_config_static_selectorELNS0_4arch9wavefront6targetE1EEEvT1_: ; @_ZN7rocprim17ROCPRIM_400000_NS6detail17trampoline_kernelINS0_14default_configENS1_25transform_config_selectorItLb0EEEZNS1_14transform_implILb0ES3_S5_NS0_18transform_iteratorINS0_17counting_iteratorImlEEZNS1_24adjacent_difference_implIS3_Lb1ELb0EPtSB_N6thrust23THRUST_200600_302600_NS4plusItEEEE10hipError_tPvRmT2_T3_mT4_P12ihipStream_tbEUlmE_tEESB_NS0_8identityIvEEEESG_SJ_SK_mSL_SN_bEUlT_E_NS1_11comp_targetILNS1_3genE4ELNS1_11target_archE910ELNS1_3gpuE8ELNS1_3repE0EEENS1_30default_config_static_selectorELNS0_4arch9wavefront6targetE1EEEvT1_
; %bb.0:
	.section	.rodata,"a",@progbits
	.p2align	6, 0x0
	.amdhsa_kernel _ZN7rocprim17ROCPRIM_400000_NS6detail17trampoline_kernelINS0_14default_configENS1_25transform_config_selectorItLb0EEEZNS1_14transform_implILb0ES3_S5_NS0_18transform_iteratorINS0_17counting_iteratorImlEEZNS1_24adjacent_difference_implIS3_Lb1ELb0EPtSB_N6thrust23THRUST_200600_302600_NS4plusItEEEE10hipError_tPvRmT2_T3_mT4_P12ihipStream_tbEUlmE_tEESB_NS0_8identityIvEEEESG_SJ_SK_mSL_SN_bEUlT_E_NS1_11comp_targetILNS1_3genE4ELNS1_11target_archE910ELNS1_3gpuE8ELNS1_3repE0EEENS1_30default_config_static_selectorELNS0_4arch9wavefront6targetE1EEEvT1_
		.amdhsa_group_segment_fixed_size 0
		.amdhsa_private_segment_fixed_size 0
		.amdhsa_kernarg_size 56
		.amdhsa_user_sgpr_count 6
		.amdhsa_user_sgpr_private_segment_buffer 1
		.amdhsa_user_sgpr_dispatch_ptr 0
		.amdhsa_user_sgpr_queue_ptr 0
		.amdhsa_user_sgpr_kernarg_segment_ptr 1
		.amdhsa_user_sgpr_dispatch_id 0
		.amdhsa_user_sgpr_flat_scratch_init 0
		.amdhsa_user_sgpr_private_segment_size 0
		.amdhsa_uses_dynamic_stack 0
		.amdhsa_system_sgpr_private_segment_wavefront_offset 0
		.amdhsa_system_sgpr_workgroup_id_x 1
		.amdhsa_system_sgpr_workgroup_id_y 0
		.amdhsa_system_sgpr_workgroup_id_z 0
		.amdhsa_system_sgpr_workgroup_info 0
		.amdhsa_system_vgpr_workitem_id 0
		.amdhsa_next_free_vgpr 1
		.amdhsa_next_free_sgpr 0
		.amdhsa_reserve_vcc 0
		.amdhsa_reserve_flat_scratch 0
		.amdhsa_float_round_mode_32 0
		.amdhsa_float_round_mode_16_64 0
		.amdhsa_float_denorm_mode_32 3
		.amdhsa_float_denorm_mode_16_64 3
		.amdhsa_dx10_clamp 1
		.amdhsa_ieee_mode 1
		.amdhsa_fp16_overflow 0
		.amdhsa_exception_fp_ieee_invalid_op 0
		.amdhsa_exception_fp_denorm_src 0
		.amdhsa_exception_fp_ieee_div_zero 0
		.amdhsa_exception_fp_ieee_overflow 0
		.amdhsa_exception_fp_ieee_underflow 0
		.amdhsa_exception_fp_ieee_inexact 0
		.amdhsa_exception_int_div_zero 0
	.end_amdhsa_kernel
	.section	.text._ZN7rocprim17ROCPRIM_400000_NS6detail17trampoline_kernelINS0_14default_configENS1_25transform_config_selectorItLb0EEEZNS1_14transform_implILb0ES3_S5_NS0_18transform_iteratorINS0_17counting_iteratorImlEEZNS1_24adjacent_difference_implIS3_Lb1ELb0EPtSB_N6thrust23THRUST_200600_302600_NS4plusItEEEE10hipError_tPvRmT2_T3_mT4_P12ihipStream_tbEUlmE_tEESB_NS0_8identityIvEEEESG_SJ_SK_mSL_SN_bEUlT_E_NS1_11comp_targetILNS1_3genE4ELNS1_11target_archE910ELNS1_3gpuE8ELNS1_3repE0EEENS1_30default_config_static_selectorELNS0_4arch9wavefront6targetE1EEEvT1_,"axG",@progbits,_ZN7rocprim17ROCPRIM_400000_NS6detail17trampoline_kernelINS0_14default_configENS1_25transform_config_selectorItLb0EEEZNS1_14transform_implILb0ES3_S5_NS0_18transform_iteratorINS0_17counting_iteratorImlEEZNS1_24adjacent_difference_implIS3_Lb1ELb0EPtSB_N6thrust23THRUST_200600_302600_NS4plusItEEEE10hipError_tPvRmT2_T3_mT4_P12ihipStream_tbEUlmE_tEESB_NS0_8identityIvEEEESG_SJ_SK_mSL_SN_bEUlT_E_NS1_11comp_targetILNS1_3genE4ELNS1_11target_archE910ELNS1_3gpuE8ELNS1_3repE0EEENS1_30default_config_static_selectorELNS0_4arch9wavefront6targetE1EEEvT1_,comdat
.Lfunc_end241:
	.size	_ZN7rocprim17ROCPRIM_400000_NS6detail17trampoline_kernelINS0_14default_configENS1_25transform_config_selectorItLb0EEEZNS1_14transform_implILb0ES3_S5_NS0_18transform_iteratorINS0_17counting_iteratorImlEEZNS1_24adjacent_difference_implIS3_Lb1ELb0EPtSB_N6thrust23THRUST_200600_302600_NS4plusItEEEE10hipError_tPvRmT2_T3_mT4_P12ihipStream_tbEUlmE_tEESB_NS0_8identityIvEEEESG_SJ_SK_mSL_SN_bEUlT_E_NS1_11comp_targetILNS1_3genE4ELNS1_11target_archE910ELNS1_3gpuE8ELNS1_3repE0EEENS1_30default_config_static_selectorELNS0_4arch9wavefront6targetE1EEEvT1_, .Lfunc_end241-_ZN7rocprim17ROCPRIM_400000_NS6detail17trampoline_kernelINS0_14default_configENS1_25transform_config_selectorItLb0EEEZNS1_14transform_implILb0ES3_S5_NS0_18transform_iteratorINS0_17counting_iteratorImlEEZNS1_24adjacent_difference_implIS3_Lb1ELb0EPtSB_N6thrust23THRUST_200600_302600_NS4plusItEEEE10hipError_tPvRmT2_T3_mT4_P12ihipStream_tbEUlmE_tEESB_NS0_8identityIvEEEESG_SJ_SK_mSL_SN_bEUlT_E_NS1_11comp_targetILNS1_3genE4ELNS1_11target_archE910ELNS1_3gpuE8ELNS1_3repE0EEENS1_30default_config_static_selectorELNS0_4arch9wavefront6targetE1EEEvT1_
                                        ; -- End function
	.set _ZN7rocprim17ROCPRIM_400000_NS6detail17trampoline_kernelINS0_14default_configENS1_25transform_config_selectorItLb0EEEZNS1_14transform_implILb0ES3_S5_NS0_18transform_iteratorINS0_17counting_iteratorImlEEZNS1_24adjacent_difference_implIS3_Lb1ELb0EPtSB_N6thrust23THRUST_200600_302600_NS4plusItEEEE10hipError_tPvRmT2_T3_mT4_P12ihipStream_tbEUlmE_tEESB_NS0_8identityIvEEEESG_SJ_SK_mSL_SN_bEUlT_E_NS1_11comp_targetILNS1_3genE4ELNS1_11target_archE910ELNS1_3gpuE8ELNS1_3repE0EEENS1_30default_config_static_selectorELNS0_4arch9wavefront6targetE1EEEvT1_.num_vgpr, 0
	.set _ZN7rocprim17ROCPRIM_400000_NS6detail17trampoline_kernelINS0_14default_configENS1_25transform_config_selectorItLb0EEEZNS1_14transform_implILb0ES3_S5_NS0_18transform_iteratorINS0_17counting_iteratorImlEEZNS1_24adjacent_difference_implIS3_Lb1ELb0EPtSB_N6thrust23THRUST_200600_302600_NS4plusItEEEE10hipError_tPvRmT2_T3_mT4_P12ihipStream_tbEUlmE_tEESB_NS0_8identityIvEEEESG_SJ_SK_mSL_SN_bEUlT_E_NS1_11comp_targetILNS1_3genE4ELNS1_11target_archE910ELNS1_3gpuE8ELNS1_3repE0EEENS1_30default_config_static_selectorELNS0_4arch9wavefront6targetE1EEEvT1_.num_agpr, 0
	.set _ZN7rocprim17ROCPRIM_400000_NS6detail17trampoline_kernelINS0_14default_configENS1_25transform_config_selectorItLb0EEEZNS1_14transform_implILb0ES3_S5_NS0_18transform_iteratorINS0_17counting_iteratorImlEEZNS1_24adjacent_difference_implIS3_Lb1ELb0EPtSB_N6thrust23THRUST_200600_302600_NS4plusItEEEE10hipError_tPvRmT2_T3_mT4_P12ihipStream_tbEUlmE_tEESB_NS0_8identityIvEEEESG_SJ_SK_mSL_SN_bEUlT_E_NS1_11comp_targetILNS1_3genE4ELNS1_11target_archE910ELNS1_3gpuE8ELNS1_3repE0EEENS1_30default_config_static_selectorELNS0_4arch9wavefront6targetE1EEEvT1_.numbered_sgpr, 0
	.set _ZN7rocprim17ROCPRIM_400000_NS6detail17trampoline_kernelINS0_14default_configENS1_25transform_config_selectorItLb0EEEZNS1_14transform_implILb0ES3_S5_NS0_18transform_iteratorINS0_17counting_iteratorImlEEZNS1_24adjacent_difference_implIS3_Lb1ELb0EPtSB_N6thrust23THRUST_200600_302600_NS4plusItEEEE10hipError_tPvRmT2_T3_mT4_P12ihipStream_tbEUlmE_tEESB_NS0_8identityIvEEEESG_SJ_SK_mSL_SN_bEUlT_E_NS1_11comp_targetILNS1_3genE4ELNS1_11target_archE910ELNS1_3gpuE8ELNS1_3repE0EEENS1_30default_config_static_selectorELNS0_4arch9wavefront6targetE1EEEvT1_.num_named_barrier, 0
	.set _ZN7rocprim17ROCPRIM_400000_NS6detail17trampoline_kernelINS0_14default_configENS1_25transform_config_selectorItLb0EEEZNS1_14transform_implILb0ES3_S5_NS0_18transform_iteratorINS0_17counting_iteratorImlEEZNS1_24adjacent_difference_implIS3_Lb1ELb0EPtSB_N6thrust23THRUST_200600_302600_NS4plusItEEEE10hipError_tPvRmT2_T3_mT4_P12ihipStream_tbEUlmE_tEESB_NS0_8identityIvEEEESG_SJ_SK_mSL_SN_bEUlT_E_NS1_11comp_targetILNS1_3genE4ELNS1_11target_archE910ELNS1_3gpuE8ELNS1_3repE0EEENS1_30default_config_static_selectorELNS0_4arch9wavefront6targetE1EEEvT1_.private_seg_size, 0
	.set _ZN7rocprim17ROCPRIM_400000_NS6detail17trampoline_kernelINS0_14default_configENS1_25transform_config_selectorItLb0EEEZNS1_14transform_implILb0ES3_S5_NS0_18transform_iteratorINS0_17counting_iteratorImlEEZNS1_24adjacent_difference_implIS3_Lb1ELb0EPtSB_N6thrust23THRUST_200600_302600_NS4plusItEEEE10hipError_tPvRmT2_T3_mT4_P12ihipStream_tbEUlmE_tEESB_NS0_8identityIvEEEESG_SJ_SK_mSL_SN_bEUlT_E_NS1_11comp_targetILNS1_3genE4ELNS1_11target_archE910ELNS1_3gpuE8ELNS1_3repE0EEENS1_30default_config_static_selectorELNS0_4arch9wavefront6targetE1EEEvT1_.uses_vcc, 0
	.set _ZN7rocprim17ROCPRIM_400000_NS6detail17trampoline_kernelINS0_14default_configENS1_25transform_config_selectorItLb0EEEZNS1_14transform_implILb0ES3_S5_NS0_18transform_iteratorINS0_17counting_iteratorImlEEZNS1_24adjacent_difference_implIS3_Lb1ELb0EPtSB_N6thrust23THRUST_200600_302600_NS4plusItEEEE10hipError_tPvRmT2_T3_mT4_P12ihipStream_tbEUlmE_tEESB_NS0_8identityIvEEEESG_SJ_SK_mSL_SN_bEUlT_E_NS1_11comp_targetILNS1_3genE4ELNS1_11target_archE910ELNS1_3gpuE8ELNS1_3repE0EEENS1_30default_config_static_selectorELNS0_4arch9wavefront6targetE1EEEvT1_.uses_flat_scratch, 0
	.set _ZN7rocprim17ROCPRIM_400000_NS6detail17trampoline_kernelINS0_14default_configENS1_25transform_config_selectorItLb0EEEZNS1_14transform_implILb0ES3_S5_NS0_18transform_iteratorINS0_17counting_iteratorImlEEZNS1_24adjacent_difference_implIS3_Lb1ELb0EPtSB_N6thrust23THRUST_200600_302600_NS4plusItEEEE10hipError_tPvRmT2_T3_mT4_P12ihipStream_tbEUlmE_tEESB_NS0_8identityIvEEEESG_SJ_SK_mSL_SN_bEUlT_E_NS1_11comp_targetILNS1_3genE4ELNS1_11target_archE910ELNS1_3gpuE8ELNS1_3repE0EEENS1_30default_config_static_selectorELNS0_4arch9wavefront6targetE1EEEvT1_.has_dyn_sized_stack, 0
	.set _ZN7rocprim17ROCPRIM_400000_NS6detail17trampoline_kernelINS0_14default_configENS1_25transform_config_selectorItLb0EEEZNS1_14transform_implILb0ES3_S5_NS0_18transform_iteratorINS0_17counting_iteratorImlEEZNS1_24adjacent_difference_implIS3_Lb1ELb0EPtSB_N6thrust23THRUST_200600_302600_NS4plusItEEEE10hipError_tPvRmT2_T3_mT4_P12ihipStream_tbEUlmE_tEESB_NS0_8identityIvEEEESG_SJ_SK_mSL_SN_bEUlT_E_NS1_11comp_targetILNS1_3genE4ELNS1_11target_archE910ELNS1_3gpuE8ELNS1_3repE0EEENS1_30default_config_static_selectorELNS0_4arch9wavefront6targetE1EEEvT1_.has_recursion, 0
	.set _ZN7rocprim17ROCPRIM_400000_NS6detail17trampoline_kernelINS0_14default_configENS1_25transform_config_selectorItLb0EEEZNS1_14transform_implILb0ES3_S5_NS0_18transform_iteratorINS0_17counting_iteratorImlEEZNS1_24adjacent_difference_implIS3_Lb1ELb0EPtSB_N6thrust23THRUST_200600_302600_NS4plusItEEEE10hipError_tPvRmT2_T3_mT4_P12ihipStream_tbEUlmE_tEESB_NS0_8identityIvEEEESG_SJ_SK_mSL_SN_bEUlT_E_NS1_11comp_targetILNS1_3genE4ELNS1_11target_archE910ELNS1_3gpuE8ELNS1_3repE0EEENS1_30default_config_static_selectorELNS0_4arch9wavefront6targetE1EEEvT1_.has_indirect_call, 0
	.section	.AMDGPU.csdata,"",@progbits
; Kernel info:
; codeLenInByte = 0
; TotalNumSgprs: 4
; NumVgprs: 0
; ScratchSize: 0
; MemoryBound: 0
; FloatMode: 240
; IeeeMode: 1
; LDSByteSize: 0 bytes/workgroup (compile time only)
; SGPRBlocks: 0
; VGPRBlocks: 0
; NumSGPRsForWavesPerEU: 4
; NumVGPRsForWavesPerEU: 1
; Occupancy: 10
; WaveLimiterHint : 0
; COMPUTE_PGM_RSRC2:SCRATCH_EN: 0
; COMPUTE_PGM_RSRC2:USER_SGPR: 6
; COMPUTE_PGM_RSRC2:TRAP_HANDLER: 0
; COMPUTE_PGM_RSRC2:TGID_X_EN: 1
; COMPUTE_PGM_RSRC2:TGID_Y_EN: 0
; COMPUTE_PGM_RSRC2:TGID_Z_EN: 0
; COMPUTE_PGM_RSRC2:TIDIG_COMP_CNT: 0
	.section	.text._ZN7rocprim17ROCPRIM_400000_NS6detail17trampoline_kernelINS0_14default_configENS1_25transform_config_selectorItLb0EEEZNS1_14transform_implILb0ES3_S5_NS0_18transform_iteratorINS0_17counting_iteratorImlEEZNS1_24adjacent_difference_implIS3_Lb1ELb0EPtSB_N6thrust23THRUST_200600_302600_NS4plusItEEEE10hipError_tPvRmT2_T3_mT4_P12ihipStream_tbEUlmE_tEESB_NS0_8identityIvEEEESG_SJ_SK_mSL_SN_bEUlT_E_NS1_11comp_targetILNS1_3genE3ELNS1_11target_archE908ELNS1_3gpuE7ELNS1_3repE0EEENS1_30default_config_static_selectorELNS0_4arch9wavefront6targetE1EEEvT1_,"axG",@progbits,_ZN7rocprim17ROCPRIM_400000_NS6detail17trampoline_kernelINS0_14default_configENS1_25transform_config_selectorItLb0EEEZNS1_14transform_implILb0ES3_S5_NS0_18transform_iteratorINS0_17counting_iteratorImlEEZNS1_24adjacent_difference_implIS3_Lb1ELb0EPtSB_N6thrust23THRUST_200600_302600_NS4plusItEEEE10hipError_tPvRmT2_T3_mT4_P12ihipStream_tbEUlmE_tEESB_NS0_8identityIvEEEESG_SJ_SK_mSL_SN_bEUlT_E_NS1_11comp_targetILNS1_3genE3ELNS1_11target_archE908ELNS1_3gpuE7ELNS1_3repE0EEENS1_30default_config_static_selectorELNS0_4arch9wavefront6targetE1EEEvT1_,comdat
	.protected	_ZN7rocprim17ROCPRIM_400000_NS6detail17trampoline_kernelINS0_14default_configENS1_25transform_config_selectorItLb0EEEZNS1_14transform_implILb0ES3_S5_NS0_18transform_iteratorINS0_17counting_iteratorImlEEZNS1_24adjacent_difference_implIS3_Lb1ELb0EPtSB_N6thrust23THRUST_200600_302600_NS4plusItEEEE10hipError_tPvRmT2_T3_mT4_P12ihipStream_tbEUlmE_tEESB_NS0_8identityIvEEEESG_SJ_SK_mSL_SN_bEUlT_E_NS1_11comp_targetILNS1_3genE3ELNS1_11target_archE908ELNS1_3gpuE7ELNS1_3repE0EEENS1_30default_config_static_selectorELNS0_4arch9wavefront6targetE1EEEvT1_ ; -- Begin function _ZN7rocprim17ROCPRIM_400000_NS6detail17trampoline_kernelINS0_14default_configENS1_25transform_config_selectorItLb0EEEZNS1_14transform_implILb0ES3_S5_NS0_18transform_iteratorINS0_17counting_iteratorImlEEZNS1_24adjacent_difference_implIS3_Lb1ELb0EPtSB_N6thrust23THRUST_200600_302600_NS4plusItEEEE10hipError_tPvRmT2_T3_mT4_P12ihipStream_tbEUlmE_tEESB_NS0_8identityIvEEEESG_SJ_SK_mSL_SN_bEUlT_E_NS1_11comp_targetILNS1_3genE3ELNS1_11target_archE908ELNS1_3gpuE7ELNS1_3repE0EEENS1_30default_config_static_selectorELNS0_4arch9wavefront6targetE1EEEvT1_
	.globl	_ZN7rocprim17ROCPRIM_400000_NS6detail17trampoline_kernelINS0_14default_configENS1_25transform_config_selectorItLb0EEEZNS1_14transform_implILb0ES3_S5_NS0_18transform_iteratorINS0_17counting_iteratorImlEEZNS1_24adjacent_difference_implIS3_Lb1ELb0EPtSB_N6thrust23THRUST_200600_302600_NS4plusItEEEE10hipError_tPvRmT2_T3_mT4_P12ihipStream_tbEUlmE_tEESB_NS0_8identityIvEEEESG_SJ_SK_mSL_SN_bEUlT_E_NS1_11comp_targetILNS1_3genE3ELNS1_11target_archE908ELNS1_3gpuE7ELNS1_3repE0EEENS1_30default_config_static_selectorELNS0_4arch9wavefront6targetE1EEEvT1_
	.p2align	8
	.type	_ZN7rocprim17ROCPRIM_400000_NS6detail17trampoline_kernelINS0_14default_configENS1_25transform_config_selectorItLb0EEEZNS1_14transform_implILb0ES3_S5_NS0_18transform_iteratorINS0_17counting_iteratorImlEEZNS1_24adjacent_difference_implIS3_Lb1ELb0EPtSB_N6thrust23THRUST_200600_302600_NS4plusItEEEE10hipError_tPvRmT2_T3_mT4_P12ihipStream_tbEUlmE_tEESB_NS0_8identityIvEEEESG_SJ_SK_mSL_SN_bEUlT_E_NS1_11comp_targetILNS1_3genE3ELNS1_11target_archE908ELNS1_3gpuE7ELNS1_3repE0EEENS1_30default_config_static_selectorELNS0_4arch9wavefront6targetE1EEEvT1_,@function
_ZN7rocprim17ROCPRIM_400000_NS6detail17trampoline_kernelINS0_14default_configENS1_25transform_config_selectorItLb0EEEZNS1_14transform_implILb0ES3_S5_NS0_18transform_iteratorINS0_17counting_iteratorImlEEZNS1_24adjacent_difference_implIS3_Lb1ELb0EPtSB_N6thrust23THRUST_200600_302600_NS4plusItEEEE10hipError_tPvRmT2_T3_mT4_P12ihipStream_tbEUlmE_tEESB_NS0_8identityIvEEEESG_SJ_SK_mSL_SN_bEUlT_E_NS1_11comp_targetILNS1_3genE3ELNS1_11target_archE908ELNS1_3gpuE7ELNS1_3repE0EEENS1_30default_config_static_selectorELNS0_4arch9wavefront6targetE1EEEvT1_: ; @_ZN7rocprim17ROCPRIM_400000_NS6detail17trampoline_kernelINS0_14default_configENS1_25transform_config_selectorItLb0EEEZNS1_14transform_implILb0ES3_S5_NS0_18transform_iteratorINS0_17counting_iteratorImlEEZNS1_24adjacent_difference_implIS3_Lb1ELb0EPtSB_N6thrust23THRUST_200600_302600_NS4plusItEEEE10hipError_tPvRmT2_T3_mT4_P12ihipStream_tbEUlmE_tEESB_NS0_8identityIvEEEESG_SJ_SK_mSL_SN_bEUlT_E_NS1_11comp_targetILNS1_3genE3ELNS1_11target_archE908ELNS1_3gpuE7ELNS1_3repE0EEENS1_30default_config_static_selectorELNS0_4arch9wavefront6targetE1EEEvT1_
; %bb.0:
	.section	.rodata,"a",@progbits
	.p2align	6, 0x0
	.amdhsa_kernel _ZN7rocprim17ROCPRIM_400000_NS6detail17trampoline_kernelINS0_14default_configENS1_25transform_config_selectorItLb0EEEZNS1_14transform_implILb0ES3_S5_NS0_18transform_iteratorINS0_17counting_iteratorImlEEZNS1_24adjacent_difference_implIS3_Lb1ELb0EPtSB_N6thrust23THRUST_200600_302600_NS4plusItEEEE10hipError_tPvRmT2_T3_mT4_P12ihipStream_tbEUlmE_tEESB_NS0_8identityIvEEEESG_SJ_SK_mSL_SN_bEUlT_E_NS1_11comp_targetILNS1_3genE3ELNS1_11target_archE908ELNS1_3gpuE7ELNS1_3repE0EEENS1_30default_config_static_selectorELNS0_4arch9wavefront6targetE1EEEvT1_
		.amdhsa_group_segment_fixed_size 0
		.amdhsa_private_segment_fixed_size 0
		.amdhsa_kernarg_size 56
		.amdhsa_user_sgpr_count 6
		.amdhsa_user_sgpr_private_segment_buffer 1
		.amdhsa_user_sgpr_dispatch_ptr 0
		.amdhsa_user_sgpr_queue_ptr 0
		.amdhsa_user_sgpr_kernarg_segment_ptr 1
		.amdhsa_user_sgpr_dispatch_id 0
		.amdhsa_user_sgpr_flat_scratch_init 0
		.amdhsa_user_sgpr_private_segment_size 0
		.amdhsa_uses_dynamic_stack 0
		.amdhsa_system_sgpr_private_segment_wavefront_offset 0
		.amdhsa_system_sgpr_workgroup_id_x 1
		.amdhsa_system_sgpr_workgroup_id_y 0
		.amdhsa_system_sgpr_workgroup_id_z 0
		.amdhsa_system_sgpr_workgroup_info 0
		.amdhsa_system_vgpr_workitem_id 0
		.amdhsa_next_free_vgpr 1
		.amdhsa_next_free_sgpr 0
		.amdhsa_reserve_vcc 0
		.amdhsa_reserve_flat_scratch 0
		.amdhsa_float_round_mode_32 0
		.amdhsa_float_round_mode_16_64 0
		.amdhsa_float_denorm_mode_32 3
		.amdhsa_float_denorm_mode_16_64 3
		.amdhsa_dx10_clamp 1
		.amdhsa_ieee_mode 1
		.amdhsa_fp16_overflow 0
		.amdhsa_exception_fp_ieee_invalid_op 0
		.amdhsa_exception_fp_denorm_src 0
		.amdhsa_exception_fp_ieee_div_zero 0
		.amdhsa_exception_fp_ieee_overflow 0
		.amdhsa_exception_fp_ieee_underflow 0
		.amdhsa_exception_fp_ieee_inexact 0
		.amdhsa_exception_int_div_zero 0
	.end_amdhsa_kernel
	.section	.text._ZN7rocprim17ROCPRIM_400000_NS6detail17trampoline_kernelINS0_14default_configENS1_25transform_config_selectorItLb0EEEZNS1_14transform_implILb0ES3_S5_NS0_18transform_iteratorINS0_17counting_iteratorImlEEZNS1_24adjacent_difference_implIS3_Lb1ELb0EPtSB_N6thrust23THRUST_200600_302600_NS4plusItEEEE10hipError_tPvRmT2_T3_mT4_P12ihipStream_tbEUlmE_tEESB_NS0_8identityIvEEEESG_SJ_SK_mSL_SN_bEUlT_E_NS1_11comp_targetILNS1_3genE3ELNS1_11target_archE908ELNS1_3gpuE7ELNS1_3repE0EEENS1_30default_config_static_selectorELNS0_4arch9wavefront6targetE1EEEvT1_,"axG",@progbits,_ZN7rocprim17ROCPRIM_400000_NS6detail17trampoline_kernelINS0_14default_configENS1_25transform_config_selectorItLb0EEEZNS1_14transform_implILb0ES3_S5_NS0_18transform_iteratorINS0_17counting_iteratorImlEEZNS1_24adjacent_difference_implIS3_Lb1ELb0EPtSB_N6thrust23THRUST_200600_302600_NS4plusItEEEE10hipError_tPvRmT2_T3_mT4_P12ihipStream_tbEUlmE_tEESB_NS0_8identityIvEEEESG_SJ_SK_mSL_SN_bEUlT_E_NS1_11comp_targetILNS1_3genE3ELNS1_11target_archE908ELNS1_3gpuE7ELNS1_3repE0EEENS1_30default_config_static_selectorELNS0_4arch9wavefront6targetE1EEEvT1_,comdat
.Lfunc_end242:
	.size	_ZN7rocprim17ROCPRIM_400000_NS6detail17trampoline_kernelINS0_14default_configENS1_25transform_config_selectorItLb0EEEZNS1_14transform_implILb0ES3_S5_NS0_18transform_iteratorINS0_17counting_iteratorImlEEZNS1_24adjacent_difference_implIS3_Lb1ELb0EPtSB_N6thrust23THRUST_200600_302600_NS4plusItEEEE10hipError_tPvRmT2_T3_mT4_P12ihipStream_tbEUlmE_tEESB_NS0_8identityIvEEEESG_SJ_SK_mSL_SN_bEUlT_E_NS1_11comp_targetILNS1_3genE3ELNS1_11target_archE908ELNS1_3gpuE7ELNS1_3repE0EEENS1_30default_config_static_selectorELNS0_4arch9wavefront6targetE1EEEvT1_, .Lfunc_end242-_ZN7rocprim17ROCPRIM_400000_NS6detail17trampoline_kernelINS0_14default_configENS1_25transform_config_selectorItLb0EEEZNS1_14transform_implILb0ES3_S5_NS0_18transform_iteratorINS0_17counting_iteratorImlEEZNS1_24adjacent_difference_implIS3_Lb1ELb0EPtSB_N6thrust23THRUST_200600_302600_NS4plusItEEEE10hipError_tPvRmT2_T3_mT4_P12ihipStream_tbEUlmE_tEESB_NS0_8identityIvEEEESG_SJ_SK_mSL_SN_bEUlT_E_NS1_11comp_targetILNS1_3genE3ELNS1_11target_archE908ELNS1_3gpuE7ELNS1_3repE0EEENS1_30default_config_static_selectorELNS0_4arch9wavefront6targetE1EEEvT1_
                                        ; -- End function
	.set _ZN7rocprim17ROCPRIM_400000_NS6detail17trampoline_kernelINS0_14default_configENS1_25transform_config_selectorItLb0EEEZNS1_14transform_implILb0ES3_S5_NS0_18transform_iteratorINS0_17counting_iteratorImlEEZNS1_24adjacent_difference_implIS3_Lb1ELb0EPtSB_N6thrust23THRUST_200600_302600_NS4plusItEEEE10hipError_tPvRmT2_T3_mT4_P12ihipStream_tbEUlmE_tEESB_NS0_8identityIvEEEESG_SJ_SK_mSL_SN_bEUlT_E_NS1_11comp_targetILNS1_3genE3ELNS1_11target_archE908ELNS1_3gpuE7ELNS1_3repE0EEENS1_30default_config_static_selectorELNS0_4arch9wavefront6targetE1EEEvT1_.num_vgpr, 0
	.set _ZN7rocprim17ROCPRIM_400000_NS6detail17trampoline_kernelINS0_14default_configENS1_25transform_config_selectorItLb0EEEZNS1_14transform_implILb0ES3_S5_NS0_18transform_iteratorINS0_17counting_iteratorImlEEZNS1_24adjacent_difference_implIS3_Lb1ELb0EPtSB_N6thrust23THRUST_200600_302600_NS4plusItEEEE10hipError_tPvRmT2_T3_mT4_P12ihipStream_tbEUlmE_tEESB_NS0_8identityIvEEEESG_SJ_SK_mSL_SN_bEUlT_E_NS1_11comp_targetILNS1_3genE3ELNS1_11target_archE908ELNS1_3gpuE7ELNS1_3repE0EEENS1_30default_config_static_selectorELNS0_4arch9wavefront6targetE1EEEvT1_.num_agpr, 0
	.set _ZN7rocprim17ROCPRIM_400000_NS6detail17trampoline_kernelINS0_14default_configENS1_25transform_config_selectorItLb0EEEZNS1_14transform_implILb0ES3_S5_NS0_18transform_iteratorINS0_17counting_iteratorImlEEZNS1_24adjacent_difference_implIS3_Lb1ELb0EPtSB_N6thrust23THRUST_200600_302600_NS4plusItEEEE10hipError_tPvRmT2_T3_mT4_P12ihipStream_tbEUlmE_tEESB_NS0_8identityIvEEEESG_SJ_SK_mSL_SN_bEUlT_E_NS1_11comp_targetILNS1_3genE3ELNS1_11target_archE908ELNS1_3gpuE7ELNS1_3repE0EEENS1_30default_config_static_selectorELNS0_4arch9wavefront6targetE1EEEvT1_.numbered_sgpr, 0
	.set _ZN7rocprim17ROCPRIM_400000_NS6detail17trampoline_kernelINS0_14default_configENS1_25transform_config_selectorItLb0EEEZNS1_14transform_implILb0ES3_S5_NS0_18transform_iteratorINS0_17counting_iteratorImlEEZNS1_24adjacent_difference_implIS3_Lb1ELb0EPtSB_N6thrust23THRUST_200600_302600_NS4plusItEEEE10hipError_tPvRmT2_T3_mT4_P12ihipStream_tbEUlmE_tEESB_NS0_8identityIvEEEESG_SJ_SK_mSL_SN_bEUlT_E_NS1_11comp_targetILNS1_3genE3ELNS1_11target_archE908ELNS1_3gpuE7ELNS1_3repE0EEENS1_30default_config_static_selectorELNS0_4arch9wavefront6targetE1EEEvT1_.num_named_barrier, 0
	.set _ZN7rocprim17ROCPRIM_400000_NS6detail17trampoline_kernelINS0_14default_configENS1_25transform_config_selectorItLb0EEEZNS1_14transform_implILb0ES3_S5_NS0_18transform_iteratorINS0_17counting_iteratorImlEEZNS1_24adjacent_difference_implIS3_Lb1ELb0EPtSB_N6thrust23THRUST_200600_302600_NS4plusItEEEE10hipError_tPvRmT2_T3_mT4_P12ihipStream_tbEUlmE_tEESB_NS0_8identityIvEEEESG_SJ_SK_mSL_SN_bEUlT_E_NS1_11comp_targetILNS1_3genE3ELNS1_11target_archE908ELNS1_3gpuE7ELNS1_3repE0EEENS1_30default_config_static_selectorELNS0_4arch9wavefront6targetE1EEEvT1_.private_seg_size, 0
	.set _ZN7rocprim17ROCPRIM_400000_NS6detail17trampoline_kernelINS0_14default_configENS1_25transform_config_selectorItLb0EEEZNS1_14transform_implILb0ES3_S5_NS0_18transform_iteratorINS0_17counting_iteratorImlEEZNS1_24adjacent_difference_implIS3_Lb1ELb0EPtSB_N6thrust23THRUST_200600_302600_NS4plusItEEEE10hipError_tPvRmT2_T3_mT4_P12ihipStream_tbEUlmE_tEESB_NS0_8identityIvEEEESG_SJ_SK_mSL_SN_bEUlT_E_NS1_11comp_targetILNS1_3genE3ELNS1_11target_archE908ELNS1_3gpuE7ELNS1_3repE0EEENS1_30default_config_static_selectorELNS0_4arch9wavefront6targetE1EEEvT1_.uses_vcc, 0
	.set _ZN7rocprim17ROCPRIM_400000_NS6detail17trampoline_kernelINS0_14default_configENS1_25transform_config_selectorItLb0EEEZNS1_14transform_implILb0ES3_S5_NS0_18transform_iteratorINS0_17counting_iteratorImlEEZNS1_24adjacent_difference_implIS3_Lb1ELb0EPtSB_N6thrust23THRUST_200600_302600_NS4plusItEEEE10hipError_tPvRmT2_T3_mT4_P12ihipStream_tbEUlmE_tEESB_NS0_8identityIvEEEESG_SJ_SK_mSL_SN_bEUlT_E_NS1_11comp_targetILNS1_3genE3ELNS1_11target_archE908ELNS1_3gpuE7ELNS1_3repE0EEENS1_30default_config_static_selectorELNS0_4arch9wavefront6targetE1EEEvT1_.uses_flat_scratch, 0
	.set _ZN7rocprim17ROCPRIM_400000_NS6detail17trampoline_kernelINS0_14default_configENS1_25transform_config_selectorItLb0EEEZNS1_14transform_implILb0ES3_S5_NS0_18transform_iteratorINS0_17counting_iteratorImlEEZNS1_24adjacent_difference_implIS3_Lb1ELb0EPtSB_N6thrust23THRUST_200600_302600_NS4plusItEEEE10hipError_tPvRmT2_T3_mT4_P12ihipStream_tbEUlmE_tEESB_NS0_8identityIvEEEESG_SJ_SK_mSL_SN_bEUlT_E_NS1_11comp_targetILNS1_3genE3ELNS1_11target_archE908ELNS1_3gpuE7ELNS1_3repE0EEENS1_30default_config_static_selectorELNS0_4arch9wavefront6targetE1EEEvT1_.has_dyn_sized_stack, 0
	.set _ZN7rocprim17ROCPRIM_400000_NS6detail17trampoline_kernelINS0_14default_configENS1_25transform_config_selectorItLb0EEEZNS1_14transform_implILb0ES3_S5_NS0_18transform_iteratorINS0_17counting_iteratorImlEEZNS1_24adjacent_difference_implIS3_Lb1ELb0EPtSB_N6thrust23THRUST_200600_302600_NS4plusItEEEE10hipError_tPvRmT2_T3_mT4_P12ihipStream_tbEUlmE_tEESB_NS0_8identityIvEEEESG_SJ_SK_mSL_SN_bEUlT_E_NS1_11comp_targetILNS1_3genE3ELNS1_11target_archE908ELNS1_3gpuE7ELNS1_3repE0EEENS1_30default_config_static_selectorELNS0_4arch9wavefront6targetE1EEEvT1_.has_recursion, 0
	.set _ZN7rocprim17ROCPRIM_400000_NS6detail17trampoline_kernelINS0_14default_configENS1_25transform_config_selectorItLb0EEEZNS1_14transform_implILb0ES3_S5_NS0_18transform_iteratorINS0_17counting_iteratorImlEEZNS1_24adjacent_difference_implIS3_Lb1ELb0EPtSB_N6thrust23THRUST_200600_302600_NS4plusItEEEE10hipError_tPvRmT2_T3_mT4_P12ihipStream_tbEUlmE_tEESB_NS0_8identityIvEEEESG_SJ_SK_mSL_SN_bEUlT_E_NS1_11comp_targetILNS1_3genE3ELNS1_11target_archE908ELNS1_3gpuE7ELNS1_3repE0EEENS1_30default_config_static_selectorELNS0_4arch9wavefront6targetE1EEEvT1_.has_indirect_call, 0
	.section	.AMDGPU.csdata,"",@progbits
; Kernel info:
; codeLenInByte = 0
; TotalNumSgprs: 4
; NumVgprs: 0
; ScratchSize: 0
; MemoryBound: 0
; FloatMode: 240
; IeeeMode: 1
; LDSByteSize: 0 bytes/workgroup (compile time only)
; SGPRBlocks: 0
; VGPRBlocks: 0
; NumSGPRsForWavesPerEU: 4
; NumVGPRsForWavesPerEU: 1
; Occupancy: 10
; WaveLimiterHint : 0
; COMPUTE_PGM_RSRC2:SCRATCH_EN: 0
; COMPUTE_PGM_RSRC2:USER_SGPR: 6
; COMPUTE_PGM_RSRC2:TRAP_HANDLER: 0
; COMPUTE_PGM_RSRC2:TGID_X_EN: 1
; COMPUTE_PGM_RSRC2:TGID_Y_EN: 0
; COMPUTE_PGM_RSRC2:TGID_Z_EN: 0
; COMPUTE_PGM_RSRC2:TIDIG_COMP_CNT: 0
	.section	.text._ZN7rocprim17ROCPRIM_400000_NS6detail17trampoline_kernelINS0_14default_configENS1_25transform_config_selectorItLb0EEEZNS1_14transform_implILb0ES3_S5_NS0_18transform_iteratorINS0_17counting_iteratorImlEEZNS1_24adjacent_difference_implIS3_Lb1ELb0EPtSB_N6thrust23THRUST_200600_302600_NS4plusItEEEE10hipError_tPvRmT2_T3_mT4_P12ihipStream_tbEUlmE_tEESB_NS0_8identityIvEEEESG_SJ_SK_mSL_SN_bEUlT_E_NS1_11comp_targetILNS1_3genE2ELNS1_11target_archE906ELNS1_3gpuE6ELNS1_3repE0EEENS1_30default_config_static_selectorELNS0_4arch9wavefront6targetE1EEEvT1_,"axG",@progbits,_ZN7rocprim17ROCPRIM_400000_NS6detail17trampoline_kernelINS0_14default_configENS1_25transform_config_selectorItLb0EEEZNS1_14transform_implILb0ES3_S5_NS0_18transform_iteratorINS0_17counting_iteratorImlEEZNS1_24adjacent_difference_implIS3_Lb1ELb0EPtSB_N6thrust23THRUST_200600_302600_NS4plusItEEEE10hipError_tPvRmT2_T3_mT4_P12ihipStream_tbEUlmE_tEESB_NS0_8identityIvEEEESG_SJ_SK_mSL_SN_bEUlT_E_NS1_11comp_targetILNS1_3genE2ELNS1_11target_archE906ELNS1_3gpuE6ELNS1_3repE0EEENS1_30default_config_static_selectorELNS0_4arch9wavefront6targetE1EEEvT1_,comdat
	.protected	_ZN7rocprim17ROCPRIM_400000_NS6detail17trampoline_kernelINS0_14default_configENS1_25transform_config_selectorItLb0EEEZNS1_14transform_implILb0ES3_S5_NS0_18transform_iteratorINS0_17counting_iteratorImlEEZNS1_24adjacent_difference_implIS3_Lb1ELb0EPtSB_N6thrust23THRUST_200600_302600_NS4plusItEEEE10hipError_tPvRmT2_T3_mT4_P12ihipStream_tbEUlmE_tEESB_NS0_8identityIvEEEESG_SJ_SK_mSL_SN_bEUlT_E_NS1_11comp_targetILNS1_3genE2ELNS1_11target_archE906ELNS1_3gpuE6ELNS1_3repE0EEENS1_30default_config_static_selectorELNS0_4arch9wavefront6targetE1EEEvT1_ ; -- Begin function _ZN7rocprim17ROCPRIM_400000_NS6detail17trampoline_kernelINS0_14default_configENS1_25transform_config_selectorItLb0EEEZNS1_14transform_implILb0ES3_S5_NS0_18transform_iteratorINS0_17counting_iteratorImlEEZNS1_24adjacent_difference_implIS3_Lb1ELb0EPtSB_N6thrust23THRUST_200600_302600_NS4plusItEEEE10hipError_tPvRmT2_T3_mT4_P12ihipStream_tbEUlmE_tEESB_NS0_8identityIvEEEESG_SJ_SK_mSL_SN_bEUlT_E_NS1_11comp_targetILNS1_3genE2ELNS1_11target_archE906ELNS1_3gpuE6ELNS1_3repE0EEENS1_30default_config_static_selectorELNS0_4arch9wavefront6targetE1EEEvT1_
	.globl	_ZN7rocprim17ROCPRIM_400000_NS6detail17trampoline_kernelINS0_14default_configENS1_25transform_config_selectorItLb0EEEZNS1_14transform_implILb0ES3_S5_NS0_18transform_iteratorINS0_17counting_iteratorImlEEZNS1_24adjacent_difference_implIS3_Lb1ELb0EPtSB_N6thrust23THRUST_200600_302600_NS4plusItEEEE10hipError_tPvRmT2_T3_mT4_P12ihipStream_tbEUlmE_tEESB_NS0_8identityIvEEEESG_SJ_SK_mSL_SN_bEUlT_E_NS1_11comp_targetILNS1_3genE2ELNS1_11target_archE906ELNS1_3gpuE6ELNS1_3repE0EEENS1_30default_config_static_selectorELNS0_4arch9wavefront6targetE1EEEvT1_
	.p2align	8
	.type	_ZN7rocprim17ROCPRIM_400000_NS6detail17trampoline_kernelINS0_14default_configENS1_25transform_config_selectorItLb0EEEZNS1_14transform_implILb0ES3_S5_NS0_18transform_iteratorINS0_17counting_iteratorImlEEZNS1_24adjacent_difference_implIS3_Lb1ELb0EPtSB_N6thrust23THRUST_200600_302600_NS4plusItEEEE10hipError_tPvRmT2_T3_mT4_P12ihipStream_tbEUlmE_tEESB_NS0_8identityIvEEEESG_SJ_SK_mSL_SN_bEUlT_E_NS1_11comp_targetILNS1_3genE2ELNS1_11target_archE906ELNS1_3gpuE6ELNS1_3repE0EEENS1_30default_config_static_selectorELNS0_4arch9wavefront6targetE1EEEvT1_,@function
_ZN7rocprim17ROCPRIM_400000_NS6detail17trampoline_kernelINS0_14default_configENS1_25transform_config_selectorItLb0EEEZNS1_14transform_implILb0ES3_S5_NS0_18transform_iteratorINS0_17counting_iteratorImlEEZNS1_24adjacent_difference_implIS3_Lb1ELb0EPtSB_N6thrust23THRUST_200600_302600_NS4plusItEEEE10hipError_tPvRmT2_T3_mT4_P12ihipStream_tbEUlmE_tEESB_NS0_8identityIvEEEESG_SJ_SK_mSL_SN_bEUlT_E_NS1_11comp_targetILNS1_3genE2ELNS1_11target_archE906ELNS1_3gpuE6ELNS1_3repE0EEENS1_30default_config_static_selectorELNS0_4arch9wavefront6targetE1EEEvT1_: ; @_ZN7rocprim17ROCPRIM_400000_NS6detail17trampoline_kernelINS0_14default_configENS1_25transform_config_selectorItLb0EEEZNS1_14transform_implILb0ES3_S5_NS0_18transform_iteratorINS0_17counting_iteratorImlEEZNS1_24adjacent_difference_implIS3_Lb1ELb0EPtSB_N6thrust23THRUST_200600_302600_NS4plusItEEEE10hipError_tPvRmT2_T3_mT4_P12ihipStream_tbEUlmE_tEESB_NS0_8identityIvEEEESG_SJ_SK_mSL_SN_bEUlT_E_NS1_11comp_targetILNS1_3genE2ELNS1_11target_archE906ELNS1_3gpuE6ELNS1_3repE0EEENS1_30default_config_static_selectorELNS0_4arch9wavefront6targetE1EEEvT1_
; %bb.0:
	s_load_dwordx4 s[0:3], s[4:5], 0x18
	s_load_dwordx2 s[12:13], s[4:5], 0x28
	s_load_dwordx4 s[8:11], s[4:5], 0x0
	s_load_dword s14, s[4:5], 0x10
	s_waitcnt lgkmcnt(0)
	s_load_dword s3, s[4:5], 0x38
                                        ; kill: killed $sgpr4_sgpr5
	s_lshl_b64 s[4:5], s[0:1], 1
	s_add_u32 s18, s12, s4
	s_addc_u32 s19, s13, s5
	s_lshl_b32 s12, s6, 11
	s_waitcnt lgkmcnt(0)
	s_add_i32 s3, s3, -1
	s_add_u32 s4, s8, s12
	s_addc_u32 s5, s9, 0
	s_add_u32 s20, s4, s0
	s_addc_u32 s21, s5, s1
	s_mov_b32 s13, 0
	s_cmp_lg_u32 s6, s3
	v_lshlrev_b32_e32 v5, 1, v0
	s_cbranch_scc0 .LBB243_2
; %bb.1:
	v_mov_b32_e32 v1, s21
	v_add_co_u32_e32 v2, vcc, s20, v0
	v_addc_co_u32_e32 v3, vcc, 0, v1, vcc
	v_mad_u64_u32 v[1:2], s[0:1], v2, s14, 0
	s_mov_b32 s15, s13
	s_lshl_b64 s[4:5], s[12:13], 1
	v_mad_u64_u32 v[2:3], s[0:1], v3, s14, v[2:3]
	v_mov_b32_e32 v3, s11
	s_lshl_b64 s[0:1], s[14:15], 10
	v_lshlrev_b64 v[1:2], 1, v[1:2]
	v_mov_b32_e32 v8, s1
	v_add_co_u32_e32 v1, vcc, s10, v1
	v_addc_co_u32_e32 v2, vcc, v3, v2, vcc
	v_add_co_u32_e32 v3, vcc, s0, v1
	v_addc_co_u32_e32 v4, vcc, v2, v8, vcc
	;; [unrolled: 2-line block ×3, first 2 shown]
	global_load_ushort v9, v[1:2], off
	global_load_ushort v10, v[3:4], off
	;; [unrolled: 1-line block ×3, first 2 shown]
	v_add_co_u32_e32 v1, vcc, s0, v6
	v_addc_co_u32_e32 v2, vcc, v7, v8, vcc
	global_load_ushort v1, v[1:2], off
	s_add_u32 s4, s18, s4
	s_addc_u32 s5, s19, s5
	v_mov_b32_e32 v2, s5
	v_add_co_u32_e32 v3, vcc, s4, v5
	v_addc_co_u32_e32 v4, vcc, 0, v2, vcc
	s_mov_b64 s[8:9], -1
	s_waitcnt vmcnt(3)
	global_store_short v5, v9, s[4:5]
	s_waitcnt vmcnt(3)
	global_store_short v5, v10, s[4:5] offset:1024
	s_waitcnt vmcnt(3)
	global_store_short v5, v11, s[4:5] offset:2048
	s_cbranch_execz .LBB243_3
	s_branch .LBB243_17
.LBB243_2:
	s_mov_b64 s[8:9], 0
                                        ; implicit-def: $vgpr1
                                        ; implicit-def: $vgpr3_vgpr4
.LBB243_3:
	s_sub_i32 s15, s2, s12
	s_waitcnt vmcnt(3)
	v_mov_b32_e32 v1, 0
	v_cmp_gt_u32_e32 vcc, s15, v0
	v_mov_b32_e32 v2, v1
	s_and_saveexec_b64 s[2:3], vcc
	s_cbranch_execz .LBB243_5
; %bb.4:
	v_mov_b32_e32 v2, s21
	v_add_co_u32_e64 v3, s[0:1], s20, v0
	v_addc_co_u32_e64 v4, s[0:1], 0, v2, s[0:1]
	v_mad_u64_u32 v[2:3], s[0:1], v3, s14, 0
	v_mad_u64_u32 v[3:4], s[0:1], v4, s14, v[3:4]
	v_mov_b32_e32 v4, s11
	v_lshlrev_b64 v[2:3], 1, v[2:3]
	v_add_co_u32_e64 v2, s[0:1], s10, v2
	v_addc_co_u32_e64 v3, s[0:1], v4, v3, s[0:1]
	global_load_ushort v2, v[2:3], off
	v_mov_b32_e32 v3, v1
	s_waitcnt vmcnt(0)
	v_and_b32_e32 v2, 0xffff, v2
	v_mov_b32_e32 v1, v2
	v_mov_b32_e32 v2, v3
.LBB243_5:
	s_or_b64 exec, exec, s[2:3]
	v_or_b32_e32 v3, 0x200, v0
	v_cmp_gt_u32_e64 s[0:1], s15, v3
	s_and_saveexec_b64 s[4:5], s[0:1]
	s_cbranch_execz .LBB243_7
; %bb.6:
	v_mov_b32_e32 v4, s21
	v_add_co_u32_e64 v3, s[2:3], s20, v3
	v_addc_co_u32_e64 v6, s[2:3], 0, v4, s[2:3]
	v_mad_u64_u32 v[3:4], s[2:3], v3, s14, 0
	v_mad_u64_u32 v[6:7], s[2:3], v6, s14, v[4:5]
	v_mov_b32_e32 v4, v6
	v_lshlrev_b64 v[3:4], 1, v[3:4]
	v_mov_b32_e32 v6, s11
	v_add_co_u32_e64 v3, s[2:3], s10, v3
	v_addc_co_u32_e64 v4, s[2:3], v6, v4, s[2:3]
	global_load_ushort v3, v[3:4], off
	s_mov_b32 s2, 0x5040100
	s_waitcnt vmcnt(0)
	v_perm_b32 v1, v3, v1, s2
.LBB243_7:
	s_or_b64 exec, exec, s[4:5]
	v_or_b32_e32 v3, 0x400, v0
	v_cmp_gt_u32_e64 s[2:3], s15, v3
	s_and_saveexec_b64 s[6:7], s[2:3]
	s_cbranch_execz .LBB243_9
; %bb.8:
	v_mov_b32_e32 v4, s21
	v_add_co_u32_e64 v3, s[4:5], s20, v3
	v_addc_co_u32_e64 v6, s[4:5], 0, v4, s[4:5]
	v_mad_u64_u32 v[3:4], s[4:5], v3, s14, 0
	v_mad_u64_u32 v[6:7], s[4:5], v6, s14, v[4:5]
	v_mov_b32_e32 v4, v6
	v_lshlrev_b64 v[3:4], 1, v[3:4]
	v_mov_b32_e32 v6, s11
	v_add_co_u32_e64 v3, s[4:5], s10, v3
	v_addc_co_u32_e64 v4, s[4:5], v6, v4, s[4:5]
	global_load_ushort v3, v[3:4], off
	s_mov_b32 s4, 0xffff
	s_waitcnt vmcnt(0)
	v_bfi_b32 v2, s4, v3, v2
.LBB243_9:
	s_or_b64 exec, exec, s[6:7]
	v_or_b32_e32 v0, 0x600, v0
	v_cmp_gt_u32_e64 s[4:5], s15, v0
	s_and_saveexec_b64 s[16:17], s[4:5]
	s_cbranch_execz .LBB243_11
; %bb.10:
	v_mov_b32_e32 v3, s21
	v_add_co_u32_e64 v0, s[6:7], s20, v0
	v_addc_co_u32_e64 v6, s[6:7], 0, v3, s[6:7]
	v_mad_u64_u32 v[3:4], s[6:7], v0, s14, 0
	v_mov_b32_e32 v0, v4
	v_mad_u64_u32 v[6:7], s[6:7], v6, s14, v[0:1]
	v_mov_b32_e32 v0, s11
	v_mov_b32_e32 v4, v6
	v_lshlrev_b64 v[3:4], 1, v[3:4]
	v_add_co_u32_e64 v3, s[6:7], s10, v3
	v_addc_co_u32_e64 v4, s[6:7], v0, v4, s[6:7]
	global_load_ushort v0, v[3:4], off
	s_mov_b32 s6, 0x5040100
	s_waitcnt vmcnt(0)
	v_perm_b32 v2, v0, v2, s6
.LBB243_11:
	s_or_b64 exec, exec, s[16:17]
	s_lshl_b64 s[6:7], s[12:13], 1
	s_add_u32 s6, s18, s6
	s_addc_u32 s7, s19, s7
	v_mov_b32_e32 v0, 0
	v_mov_b32_e32 v4, s7
	v_add_co_u32_e64 v3, s[6:7], s6, v5
	v_cndmask_b32_sdwa v0, v0, v1, vcc dst_sel:DWORD dst_unused:UNUSED_PAD src0_sel:DWORD src1_sel:WORD_0
	v_addc_co_u32_e64 v4, s[6:7], 0, v4, s[6:7]
	s_and_saveexec_b64 s[6:7], vcc
	s_cbranch_execnz .LBB243_20
; %bb.12:
	s_or_b64 exec, exec, s[6:7]
	v_cndmask_b32_e64 v0, v0, v1, s[0:1]
	s_and_saveexec_b64 s[6:7], s[0:1]
	s_cbranch_execnz .LBB243_21
.LBB243_13:
	s_or_b64 exec, exec, s[6:7]
	s_and_saveexec_b64 s[0:1], s[2:3]
	s_cbranch_execnz .LBB243_22
.LBB243_14:
	s_or_b64 exec, exec, s[0:1]
                                        ; implicit-def: $vgpr1
	s_and_saveexec_b64 s[0:1], s[4:5]
.LBB243_15:
	v_cndmask_b32_e64 v0, 0, v2, s[4:5]
	v_lshrrev_b32_e32 v1, 16, v0
	s_or_b64 s[8:9], s[8:9], exec
.LBB243_16:
	s_or_b64 exec, exec, s[0:1]
.LBB243_17:
	s_and_saveexec_b64 s[0:1], s[8:9]
	s_cbranch_execnz .LBB243_19
; %bb.18:
	s_endpgm
.LBB243_19:
	s_waitcnt vmcnt(3)
	global_store_short v[3:4], v1, off offset:3072
	s_endpgm
.LBB243_20:
	global_store_short v[3:4], v0, off
	s_or_b64 exec, exec, s[6:7]
	v_cndmask_b32_e64 v0, v0, v1, s[0:1]
	s_and_saveexec_b64 s[6:7], s[0:1]
	s_cbranch_execz .LBB243_13
.LBB243_21:
	global_store_short_d16_hi v[3:4], v0, off offset:1024
	s_or_b64 exec, exec, s[6:7]
	s_and_saveexec_b64 s[0:1], s[2:3]
	s_cbranch_execz .LBB243_14
.LBB243_22:
	v_cndmask_b32_e64 v0, 0, v2, s[2:3]
	global_store_short v[3:4], v0, off offset:2048
	s_or_b64 exec, exec, s[0:1]
                                        ; implicit-def: $vgpr1
	s_and_saveexec_b64 s[0:1], s[4:5]
	s_cbranch_execnz .LBB243_15
	s_branch .LBB243_16
	.section	.rodata,"a",@progbits
	.p2align	6, 0x0
	.amdhsa_kernel _ZN7rocprim17ROCPRIM_400000_NS6detail17trampoline_kernelINS0_14default_configENS1_25transform_config_selectorItLb0EEEZNS1_14transform_implILb0ES3_S5_NS0_18transform_iteratorINS0_17counting_iteratorImlEEZNS1_24adjacent_difference_implIS3_Lb1ELb0EPtSB_N6thrust23THRUST_200600_302600_NS4plusItEEEE10hipError_tPvRmT2_T3_mT4_P12ihipStream_tbEUlmE_tEESB_NS0_8identityIvEEEESG_SJ_SK_mSL_SN_bEUlT_E_NS1_11comp_targetILNS1_3genE2ELNS1_11target_archE906ELNS1_3gpuE6ELNS1_3repE0EEENS1_30default_config_static_selectorELNS0_4arch9wavefront6targetE1EEEvT1_
		.amdhsa_group_segment_fixed_size 0
		.amdhsa_private_segment_fixed_size 0
		.amdhsa_kernarg_size 312
		.amdhsa_user_sgpr_count 6
		.amdhsa_user_sgpr_private_segment_buffer 1
		.amdhsa_user_sgpr_dispatch_ptr 0
		.amdhsa_user_sgpr_queue_ptr 0
		.amdhsa_user_sgpr_kernarg_segment_ptr 1
		.amdhsa_user_sgpr_dispatch_id 0
		.amdhsa_user_sgpr_flat_scratch_init 0
		.amdhsa_user_sgpr_private_segment_size 0
		.amdhsa_uses_dynamic_stack 0
		.amdhsa_system_sgpr_private_segment_wavefront_offset 0
		.amdhsa_system_sgpr_workgroup_id_x 1
		.amdhsa_system_sgpr_workgroup_id_y 0
		.amdhsa_system_sgpr_workgroup_id_z 0
		.amdhsa_system_sgpr_workgroup_info 0
		.amdhsa_system_vgpr_workitem_id 0
		.amdhsa_next_free_vgpr 12
		.amdhsa_next_free_sgpr 22
		.amdhsa_reserve_vcc 1
		.amdhsa_reserve_flat_scratch 0
		.amdhsa_float_round_mode_32 0
		.amdhsa_float_round_mode_16_64 0
		.amdhsa_float_denorm_mode_32 3
		.amdhsa_float_denorm_mode_16_64 3
		.amdhsa_dx10_clamp 1
		.amdhsa_ieee_mode 1
		.amdhsa_fp16_overflow 0
		.amdhsa_exception_fp_ieee_invalid_op 0
		.amdhsa_exception_fp_denorm_src 0
		.amdhsa_exception_fp_ieee_div_zero 0
		.amdhsa_exception_fp_ieee_overflow 0
		.amdhsa_exception_fp_ieee_underflow 0
		.amdhsa_exception_fp_ieee_inexact 0
		.amdhsa_exception_int_div_zero 0
	.end_amdhsa_kernel
	.section	.text._ZN7rocprim17ROCPRIM_400000_NS6detail17trampoline_kernelINS0_14default_configENS1_25transform_config_selectorItLb0EEEZNS1_14transform_implILb0ES3_S5_NS0_18transform_iteratorINS0_17counting_iteratorImlEEZNS1_24adjacent_difference_implIS3_Lb1ELb0EPtSB_N6thrust23THRUST_200600_302600_NS4plusItEEEE10hipError_tPvRmT2_T3_mT4_P12ihipStream_tbEUlmE_tEESB_NS0_8identityIvEEEESG_SJ_SK_mSL_SN_bEUlT_E_NS1_11comp_targetILNS1_3genE2ELNS1_11target_archE906ELNS1_3gpuE6ELNS1_3repE0EEENS1_30default_config_static_selectorELNS0_4arch9wavefront6targetE1EEEvT1_,"axG",@progbits,_ZN7rocprim17ROCPRIM_400000_NS6detail17trampoline_kernelINS0_14default_configENS1_25transform_config_selectorItLb0EEEZNS1_14transform_implILb0ES3_S5_NS0_18transform_iteratorINS0_17counting_iteratorImlEEZNS1_24adjacent_difference_implIS3_Lb1ELb0EPtSB_N6thrust23THRUST_200600_302600_NS4plusItEEEE10hipError_tPvRmT2_T3_mT4_P12ihipStream_tbEUlmE_tEESB_NS0_8identityIvEEEESG_SJ_SK_mSL_SN_bEUlT_E_NS1_11comp_targetILNS1_3genE2ELNS1_11target_archE906ELNS1_3gpuE6ELNS1_3repE0EEENS1_30default_config_static_selectorELNS0_4arch9wavefront6targetE1EEEvT1_,comdat
.Lfunc_end243:
	.size	_ZN7rocprim17ROCPRIM_400000_NS6detail17trampoline_kernelINS0_14default_configENS1_25transform_config_selectorItLb0EEEZNS1_14transform_implILb0ES3_S5_NS0_18transform_iteratorINS0_17counting_iteratorImlEEZNS1_24adjacent_difference_implIS3_Lb1ELb0EPtSB_N6thrust23THRUST_200600_302600_NS4plusItEEEE10hipError_tPvRmT2_T3_mT4_P12ihipStream_tbEUlmE_tEESB_NS0_8identityIvEEEESG_SJ_SK_mSL_SN_bEUlT_E_NS1_11comp_targetILNS1_3genE2ELNS1_11target_archE906ELNS1_3gpuE6ELNS1_3repE0EEENS1_30default_config_static_selectorELNS0_4arch9wavefront6targetE1EEEvT1_, .Lfunc_end243-_ZN7rocprim17ROCPRIM_400000_NS6detail17trampoline_kernelINS0_14default_configENS1_25transform_config_selectorItLb0EEEZNS1_14transform_implILb0ES3_S5_NS0_18transform_iteratorINS0_17counting_iteratorImlEEZNS1_24adjacent_difference_implIS3_Lb1ELb0EPtSB_N6thrust23THRUST_200600_302600_NS4plusItEEEE10hipError_tPvRmT2_T3_mT4_P12ihipStream_tbEUlmE_tEESB_NS0_8identityIvEEEESG_SJ_SK_mSL_SN_bEUlT_E_NS1_11comp_targetILNS1_3genE2ELNS1_11target_archE906ELNS1_3gpuE6ELNS1_3repE0EEENS1_30default_config_static_selectorELNS0_4arch9wavefront6targetE1EEEvT1_
                                        ; -- End function
	.set _ZN7rocprim17ROCPRIM_400000_NS6detail17trampoline_kernelINS0_14default_configENS1_25transform_config_selectorItLb0EEEZNS1_14transform_implILb0ES3_S5_NS0_18transform_iteratorINS0_17counting_iteratorImlEEZNS1_24adjacent_difference_implIS3_Lb1ELb0EPtSB_N6thrust23THRUST_200600_302600_NS4plusItEEEE10hipError_tPvRmT2_T3_mT4_P12ihipStream_tbEUlmE_tEESB_NS0_8identityIvEEEESG_SJ_SK_mSL_SN_bEUlT_E_NS1_11comp_targetILNS1_3genE2ELNS1_11target_archE906ELNS1_3gpuE6ELNS1_3repE0EEENS1_30default_config_static_selectorELNS0_4arch9wavefront6targetE1EEEvT1_.num_vgpr, 12
	.set _ZN7rocprim17ROCPRIM_400000_NS6detail17trampoline_kernelINS0_14default_configENS1_25transform_config_selectorItLb0EEEZNS1_14transform_implILb0ES3_S5_NS0_18transform_iteratorINS0_17counting_iteratorImlEEZNS1_24adjacent_difference_implIS3_Lb1ELb0EPtSB_N6thrust23THRUST_200600_302600_NS4plusItEEEE10hipError_tPvRmT2_T3_mT4_P12ihipStream_tbEUlmE_tEESB_NS0_8identityIvEEEESG_SJ_SK_mSL_SN_bEUlT_E_NS1_11comp_targetILNS1_3genE2ELNS1_11target_archE906ELNS1_3gpuE6ELNS1_3repE0EEENS1_30default_config_static_selectorELNS0_4arch9wavefront6targetE1EEEvT1_.num_agpr, 0
	.set _ZN7rocprim17ROCPRIM_400000_NS6detail17trampoline_kernelINS0_14default_configENS1_25transform_config_selectorItLb0EEEZNS1_14transform_implILb0ES3_S5_NS0_18transform_iteratorINS0_17counting_iteratorImlEEZNS1_24adjacent_difference_implIS3_Lb1ELb0EPtSB_N6thrust23THRUST_200600_302600_NS4plusItEEEE10hipError_tPvRmT2_T3_mT4_P12ihipStream_tbEUlmE_tEESB_NS0_8identityIvEEEESG_SJ_SK_mSL_SN_bEUlT_E_NS1_11comp_targetILNS1_3genE2ELNS1_11target_archE906ELNS1_3gpuE6ELNS1_3repE0EEENS1_30default_config_static_selectorELNS0_4arch9wavefront6targetE1EEEvT1_.numbered_sgpr, 22
	.set _ZN7rocprim17ROCPRIM_400000_NS6detail17trampoline_kernelINS0_14default_configENS1_25transform_config_selectorItLb0EEEZNS1_14transform_implILb0ES3_S5_NS0_18transform_iteratorINS0_17counting_iteratorImlEEZNS1_24adjacent_difference_implIS3_Lb1ELb0EPtSB_N6thrust23THRUST_200600_302600_NS4plusItEEEE10hipError_tPvRmT2_T3_mT4_P12ihipStream_tbEUlmE_tEESB_NS0_8identityIvEEEESG_SJ_SK_mSL_SN_bEUlT_E_NS1_11comp_targetILNS1_3genE2ELNS1_11target_archE906ELNS1_3gpuE6ELNS1_3repE0EEENS1_30default_config_static_selectorELNS0_4arch9wavefront6targetE1EEEvT1_.num_named_barrier, 0
	.set _ZN7rocprim17ROCPRIM_400000_NS6detail17trampoline_kernelINS0_14default_configENS1_25transform_config_selectorItLb0EEEZNS1_14transform_implILb0ES3_S5_NS0_18transform_iteratorINS0_17counting_iteratorImlEEZNS1_24adjacent_difference_implIS3_Lb1ELb0EPtSB_N6thrust23THRUST_200600_302600_NS4plusItEEEE10hipError_tPvRmT2_T3_mT4_P12ihipStream_tbEUlmE_tEESB_NS0_8identityIvEEEESG_SJ_SK_mSL_SN_bEUlT_E_NS1_11comp_targetILNS1_3genE2ELNS1_11target_archE906ELNS1_3gpuE6ELNS1_3repE0EEENS1_30default_config_static_selectorELNS0_4arch9wavefront6targetE1EEEvT1_.private_seg_size, 0
	.set _ZN7rocprim17ROCPRIM_400000_NS6detail17trampoline_kernelINS0_14default_configENS1_25transform_config_selectorItLb0EEEZNS1_14transform_implILb0ES3_S5_NS0_18transform_iteratorINS0_17counting_iteratorImlEEZNS1_24adjacent_difference_implIS3_Lb1ELb0EPtSB_N6thrust23THRUST_200600_302600_NS4plusItEEEE10hipError_tPvRmT2_T3_mT4_P12ihipStream_tbEUlmE_tEESB_NS0_8identityIvEEEESG_SJ_SK_mSL_SN_bEUlT_E_NS1_11comp_targetILNS1_3genE2ELNS1_11target_archE906ELNS1_3gpuE6ELNS1_3repE0EEENS1_30default_config_static_selectorELNS0_4arch9wavefront6targetE1EEEvT1_.uses_vcc, 1
	.set _ZN7rocprim17ROCPRIM_400000_NS6detail17trampoline_kernelINS0_14default_configENS1_25transform_config_selectorItLb0EEEZNS1_14transform_implILb0ES3_S5_NS0_18transform_iteratorINS0_17counting_iteratorImlEEZNS1_24adjacent_difference_implIS3_Lb1ELb0EPtSB_N6thrust23THRUST_200600_302600_NS4plusItEEEE10hipError_tPvRmT2_T3_mT4_P12ihipStream_tbEUlmE_tEESB_NS0_8identityIvEEEESG_SJ_SK_mSL_SN_bEUlT_E_NS1_11comp_targetILNS1_3genE2ELNS1_11target_archE906ELNS1_3gpuE6ELNS1_3repE0EEENS1_30default_config_static_selectorELNS0_4arch9wavefront6targetE1EEEvT1_.uses_flat_scratch, 0
	.set _ZN7rocprim17ROCPRIM_400000_NS6detail17trampoline_kernelINS0_14default_configENS1_25transform_config_selectorItLb0EEEZNS1_14transform_implILb0ES3_S5_NS0_18transform_iteratorINS0_17counting_iteratorImlEEZNS1_24adjacent_difference_implIS3_Lb1ELb0EPtSB_N6thrust23THRUST_200600_302600_NS4plusItEEEE10hipError_tPvRmT2_T3_mT4_P12ihipStream_tbEUlmE_tEESB_NS0_8identityIvEEEESG_SJ_SK_mSL_SN_bEUlT_E_NS1_11comp_targetILNS1_3genE2ELNS1_11target_archE906ELNS1_3gpuE6ELNS1_3repE0EEENS1_30default_config_static_selectorELNS0_4arch9wavefront6targetE1EEEvT1_.has_dyn_sized_stack, 0
	.set _ZN7rocprim17ROCPRIM_400000_NS6detail17trampoline_kernelINS0_14default_configENS1_25transform_config_selectorItLb0EEEZNS1_14transform_implILb0ES3_S5_NS0_18transform_iteratorINS0_17counting_iteratorImlEEZNS1_24adjacent_difference_implIS3_Lb1ELb0EPtSB_N6thrust23THRUST_200600_302600_NS4plusItEEEE10hipError_tPvRmT2_T3_mT4_P12ihipStream_tbEUlmE_tEESB_NS0_8identityIvEEEESG_SJ_SK_mSL_SN_bEUlT_E_NS1_11comp_targetILNS1_3genE2ELNS1_11target_archE906ELNS1_3gpuE6ELNS1_3repE0EEENS1_30default_config_static_selectorELNS0_4arch9wavefront6targetE1EEEvT1_.has_recursion, 0
	.set _ZN7rocprim17ROCPRIM_400000_NS6detail17trampoline_kernelINS0_14default_configENS1_25transform_config_selectorItLb0EEEZNS1_14transform_implILb0ES3_S5_NS0_18transform_iteratorINS0_17counting_iteratorImlEEZNS1_24adjacent_difference_implIS3_Lb1ELb0EPtSB_N6thrust23THRUST_200600_302600_NS4plusItEEEE10hipError_tPvRmT2_T3_mT4_P12ihipStream_tbEUlmE_tEESB_NS0_8identityIvEEEESG_SJ_SK_mSL_SN_bEUlT_E_NS1_11comp_targetILNS1_3genE2ELNS1_11target_archE906ELNS1_3gpuE6ELNS1_3repE0EEENS1_30default_config_static_selectorELNS0_4arch9wavefront6targetE1EEEvT1_.has_indirect_call, 0
	.section	.AMDGPU.csdata,"",@progbits
; Kernel info:
; codeLenInByte = 1016
; TotalNumSgprs: 26
; NumVgprs: 12
; ScratchSize: 0
; MemoryBound: 0
; FloatMode: 240
; IeeeMode: 1
; LDSByteSize: 0 bytes/workgroup (compile time only)
; SGPRBlocks: 3
; VGPRBlocks: 2
; NumSGPRsForWavesPerEU: 26
; NumVGPRsForWavesPerEU: 12
; Occupancy: 10
; WaveLimiterHint : 1
; COMPUTE_PGM_RSRC2:SCRATCH_EN: 0
; COMPUTE_PGM_RSRC2:USER_SGPR: 6
; COMPUTE_PGM_RSRC2:TRAP_HANDLER: 0
; COMPUTE_PGM_RSRC2:TGID_X_EN: 1
; COMPUTE_PGM_RSRC2:TGID_Y_EN: 0
; COMPUTE_PGM_RSRC2:TGID_Z_EN: 0
; COMPUTE_PGM_RSRC2:TIDIG_COMP_CNT: 0
	.section	.text._ZN7rocprim17ROCPRIM_400000_NS6detail17trampoline_kernelINS0_14default_configENS1_25transform_config_selectorItLb0EEEZNS1_14transform_implILb0ES3_S5_NS0_18transform_iteratorINS0_17counting_iteratorImlEEZNS1_24adjacent_difference_implIS3_Lb1ELb0EPtSB_N6thrust23THRUST_200600_302600_NS4plusItEEEE10hipError_tPvRmT2_T3_mT4_P12ihipStream_tbEUlmE_tEESB_NS0_8identityIvEEEESG_SJ_SK_mSL_SN_bEUlT_E_NS1_11comp_targetILNS1_3genE10ELNS1_11target_archE1201ELNS1_3gpuE5ELNS1_3repE0EEENS1_30default_config_static_selectorELNS0_4arch9wavefront6targetE1EEEvT1_,"axG",@progbits,_ZN7rocprim17ROCPRIM_400000_NS6detail17trampoline_kernelINS0_14default_configENS1_25transform_config_selectorItLb0EEEZNS1_14transform_implILb0ES3_S5_NS0_18transform_iteratorINS0_17counting_iteratorImlEEZNS1_24adjacent_difference_implIS3_Lb1ELb0EPtSB_N6thrust23THRUST_200600_302600_NS4plusItEEEE10hipError_tPvRmT2_T3_mT4_P12ihipStream_tbEUlmE_tEESB_NS0_8identityIvEEEESG_SJ_SK_mSL_SN_bEUlT_E_NS1_11comp_targetILNS1_3genE10ELNS1_11target_archE1201ELNS1_3gpuE5ELNS1_3repE0EEENS1_30default_config_static_selectorELNS0_4arch9wavefront6targetE1EEEvT1_,comdat
	.protected	_ZN7rocprim17ROCPRIM_400000_NS6detail17trampoline_kernelINS0_14default_configENS1_25transform_config_selectorItLb0EEEZNS1_14transform_implILb0ES3_S5_NS0_18transform_iteratorINS0_17counting_iteratorImlEEZNS1_24adjacent_difference_implIS3_Lb1ELb0EPtSB_N6thrust23THRUST_200600_302600_NS4plusItEEEE10hipError_tPvRmT2_T3_mT4_P12ihipStream_tbEUlmE_tEESB_NS0_8identityIvEEEESG_SJ_SK_mSL_SN_bEUlT_E_NS1_11comp_targetILNS1_3genE10ELNS1_11target_archE1201ELNS1_3gpuE5ELNS1_3repE0EEENS1_30default_config_static_selectorELNS0_4arch9wavefront6targetE1EEEvT1_ ; -- Begin function _ZN7rocprim17ROCPRIM_400000_NS6detail17trampoline_kernelINS0_14default_configENS1_25transform_config_selectorItLb0EEEZNS1_14transform_implILb0ES3_S5_NS0_18transform_iteratorINS0_17counting_iteratorImlEEZNS1_24adjacent_difference_implIS3_Lb1ELb0EPtSB_N6thrust23THRUST_200600_302600_NS4plusItEEEE10hipError_tPvRmT2_T3_mT4_P12ihipStream_tbEUlmE_tEESB_NS0_8identityIvEEEESG_SJ_SK_mSL_SN_bEUlT_E_NS1_11comp_targetILNS1_3genE10ELNS1_11target_archE1201ELNS1_3gpuE5ELNS1_3repE0EEENS1_30default_config_static_selectorELNS0_4arch9wavefront6targetE1EEEvT1_
	.globl	_ZN7rocprim17ROCPRIM_400000_NS6detail17trampoline_kernelINS0_14default_configENS1_25transform_config_selectorItLb0EEEZNS1_14transform_implILb0ES3_S5_NS0_18transform_iteratorINS0_17counting_iteratorImlEEZNS1_24adjacent_difference_implIS3_Lb1ELb0EPtSB_N6thrust23THRUST_200600_302600_NS4plusItEEEE10hipError_tPvRmT2_T3_mT4_P12ihipStream_tbEUlmE_tEESB_NS0_8identityIvEEEESG_SJ_SK_mSL_SN_bEUlT_E_NS1_11comp_targetILNS1_3genE10ELNS1_11target_archE1201ELNS1_3gpuE5ELNS1_3repE0EEENS1_30default_config_static_selectorELNS0_4arch9wavefront6targetE1EEEvT1_
	.p2align	8
	.type	_ZN7rocprim17ROCPRIM_400000_NS6detail17trampoline_kernelINS0_14default_configENS1_25transform_config_selectorItLb0EEEZNS1_14transform_implILb0ES3_S5_NS0_18transform_iteratorINS0_17counting_iteratorImlEEZNS1_24adjacent_difference_implIS3_Lb1ELb0EPtSB_N6thrust23THRUST_200600_302600_NS4plusItEEEE10hipError_tPvRmT2_T3_mT4_P12ihipStream_tbEUlmE_tEESB_NS0_8identityIvEEEESG_SJ_SK_mSL_SN_bEUlT_E_NS1_11comp_targetILNS1_3genE10ELNS1_11target_archE1201ELNS1_3gpuE5ELNS1_3repE0EEENS1_30default_config_static_selectorELNS0_4arch9wavefront6targetE1EEEvT1_,@function
_ZN7rocprim17ROCPRIM_400000_NS6detail17trampoline_kernelINS0_14default_configENS1_25transform_config_selectorItLb0EEEZNS1_14transform_implILb0ES3_S5_NS0_18transform_iteratorINS0_17counting_iteratorImlEEZNS1_24adjacent_difference_implIS3_Lb1ELb0EPtSB_N6thrust23THRUST_200600_302600_NS4plusItEEEE10hipError_tPvRmT2_T3_mT4_P12ihipStream_tbEUlmE_tEESB_NS0_8identityIvEEEESG_SJ_SK_mSL_SN_bEUlT_E_NS1_11comp_targetILNS1_3genE10ELNS1_11target_archE1201ELNS1_3gpuE5ELNS1_3repE0EEENS1_30default_config_static_selectorELNS0_4arch9wavefront6targetE1EEEvT1_: ; @_ZN7rocprim17ROCPRIM_400000_NS6detail17trampoline_kernelINS0_14default_configENS1_25transform_config_selectorItLb0EEEZNS1_14transform_implILb0ES3_S5_NS0_18transform_iteratorINS0_17counting_iteratorImlEEZNS1_24adjacent_difference_implIS3_Lb1ELb0EPtSB_N6thrust23THRUST_200600_302600_NS4plusItEEEE10hipError_tPvRmT2_T3_mT4_P12ihipStream_tbEUlmE_tEESB_NS0_8identityIvEEEESG_SJ_SK_mSL_SN_bEUlT_E_NS1_11comp_targetILNS1_3genE10ELNS1_11target_archE1201ELNS1_3gpuE5ELNS1_3repE0EEENS1_30default_config_static_selectorELNS0_4arch9wavefront6targetE1EEEvT1_
; %bb.0:
	.section	.rodata,"a",@progbits
	.p2align	6, 0x0
	.amdhsa_kernel _ZN7rocprim17ROCPRIM_400000_NS6detail17trampoline_kernelINS0_14default_configENS1_25transform_config_selectorItLb0EEEZNS1_14transform_implILb0ES3_S5_NS0_18transform_iteratorINS0_17counting_iteratorImlEEZNS1_24adjacent_difference_implIS3_Lb1ELb0EPtSB_N6thrust23THRUST_200600_302600_NS4plusItEEEE10hipError_tPvRmT2_T3_mT4_P12ihipStream_tbEUlmE_tEESB_NS0_8identityIvEEEESG_SJ_SK_mSL_SN_bEUlT_E_NS1_11comp_targetILNS1_3genE10ELNS1_11target_archE1201ELNS1_3gpuE5ELNS1_3repE0EEENS1_30default_config_static_selectorELNS0_4arch9wavefront6targetE1EEEvT1_
		.amdhsa_group_segment_fixed_size 0
		.amdhsa_private_segment_fixed_size 0
		.amdhsa_kernarg_size 56
		.amdhsa_user_sgpr_count 6
		.amdhsa_user_sgpr_private_segment_buffer 1
		.amdhsa_user_sgpr_dispatch_ptr 0
		.amdhsa_user_sgpr_queue_ptr 0
		.amdhsa_user_sgpr_kernarg_segment_ptr 1
		.amdhsa_user_sgpr_dispatch_id 0
		.amdhsa_user_sgpr_flat_scratch_init 0
		.amdhsa_user_sgpr_private_segment_size 0
		.amdhsa_uses_dynamic_stack 0
		.amdhsa_system_sgpr_private_segment_wavefront_offset 0
		.amdhsa_system_sgpr_workgroup_id_x 1
		.amdhsa_system_sgpr_workgroup_id_y 0
		.amdhsa_system_sgpr_workgroup_id_z 0
		.amdhsa_system_sgpr_workgroup_info 0
		.amdhsa_system_vgpr_workitem_id 0
		.amdhsa_next_free_vgpr 1
		.amdhsa_next_free_sgpr 0
		.amdhsa_reserve_vcc 0
		.amdhsa_reserve_flat_scratch 0
		.amdhsa_float_round_mode_32 0
		.amdhsa_float_round_mode_16_64 0
		.amdhsa_float_denorm_mode_32 3
		.amdhsa_float_denorm_mode_16_64 3
		.amdhsa_dx10_clamp 1
		.amdhsa_ieee_mode 1
		.amdhsa_fp16_overflow 0
		.amdhsa_exception_fp_ieee_invalid_op 0
		.amdhsa_exception_fp_denorm_src 0
		.amdhsa_exception_fp_ieee_div_zero 0
		.amdhsa_exception_fp_ieee_overflow 0
		.amdhsa_exception_fp_ieee_underflow 0
		.amdhsa_exception_fp_ieee_inexact 0
		.amdhsa_exception_int_div_zero 0
	.end_amdhsa_kernel
	.section	.text._ZN7rocprim17ROCPRIM_400000_NS6detail17trampoline_kernelINS0_14default_configENS1_25transform_config_selectorItLb0EEEZNS1_14transform_implILb0ES3_S5_NS0_18transform_iteratorINS0_17counting_iteratorImlEEZNS1_24adjacent_difference_implIS3_Lb1ELb0EPtSB_N6thrust23THRUST_200600_302600_NS4plusItEEEE10hipError_tPvRmT2_T3_mT4_P12ihipStream_tbEUlmE_tEESB_NS0_8identityIvEEEESG_SJ_SK_mSL_SN_bEUlT_E_NS1_11comp_targetILNS1_3genE10ELNS1_11target_archE1201ELNS1_3gpuE5ELNS1_3repE0EEENS1_30default_config_static_selectorELNS0_4arch9wavefront6targetE1EEEvT1_,"axG",@progbits,_ZN7rocprim17ROCPRIM_400000_NS6detail17trampoline_kernelINS0_14default_configENS1_25transform_config_selectorItLb0EEEZNS1_14transform_implILb0ES3_S5_NS0_18transform_iteratorINS0_17counting_iteratorImlEEZNS1_24adjacent_difference_implIS3_Lb1ELb0EPtSB_N6thrust23THRUST_200600_302600_NS4plusItEEEE10hipError_tPvRmT2_T3_mT4_P12ihipStream_tbEUlmE_tEESB_NS0_8identityIvEEEESG_SJ_SK_mSL_SN_bEUlT_E_NS1_11comp_targetILNS1_3genE10ELNS1_11target_archE1201ELNS1_3gpuE5ELNS1_3repE0EEENS1_30default_config_static_selectorELNS0_4arch9wavefront6targetE1EEEvT1_,comdat
.Lfunc_end244:
	.size	_ZN7rocprim17ROCPRIM_400000_NS6detail17trampoline_kernelINS0_14default_configENS1_25transform_config_selectorItLb0EEEZNS1_14transform_implILb0ES3_S5_NS0_18transform_iteratorINS0_17counting_iteratorImlEEZNS1_24adjacent_difference_implIS3_Lb1ELb0EPtSB_N6thrust23THRUST_200600_302600_NS4plusItEEEE10hipError_tPvRmT2_T3_mT4_P12ihipStream_tbEUlmE_tEESB_NS0_8identityIvEEEESG_SJ_SK_mSL_SN_bEUlT_E_NS1_11comp_targetILNS1_3genE10ELNS1_11target_archE1201ELNS1_3gpuE5ELNS1_3repE0EEENS1_30default_config_static_selectorELNS0_4arch9wavefront6targetE1EEEvT1_, .Lfunc_end244-_ZN7rocprim17ROCPRIM_400000_NS6detail17trampoline_kernelINS0_14default_configENS1_25transform_config_selectorItLb0EEEZNS1_14transform_implILb0ES3_S5_NS0_18transform_iteratorINS0_17counting_iteratorImlEEZNS1_24adjacent_difference_implIS3_Lb1ELb0EPtSB_N6thrust23THRUST_200600_302600_NS4plusItEEEE10hipError_tPvRmT2_T3_mT4_P12ihipStream_tbEUlmE_tEESB_NS0_8identityIvEEEESG_SJ_SK_mSL_SN_bEUlT_E_NS1_11comp_targetILNS1_3genE10ELNS1_11target_archE1201ELNS1_3gpuE5ELNS1_3repE0EEENS1_30default_config_static_selectorELNS0_4arch9wavefront6targetE1EEEvT1_
                                        ; -- End function
	.set _ZN7rocprim17ROCPRIM_400000_NS6detail17trampoline_kernelINS0_14default_configENS1_25transform_config_selectorItLb0EEEZNS1_14transform_implILb0ES3_S5_NS0_18transform_iteratorINS0_17counting_iteratorImlEEZNS1_24adjacent_difference_implIS3_Lb1ELb0EPtSB_N6thrust23THRUST_200600_302600_NS4plusItEEEE10hipError_tPvRmT2_T3_mT4_P12ihipStream_tbEUlmE_tEESB_NS0_8identityIvEEEESG_SJ_SK_mSL_SN_bEUlT_E_NS1_11comp_targetILNS1_3genE10ELNS1_11target_archE1201ELNS1_3gpuE5ELNS1_3repE0EEENS1_30default_config_static_selectorELNS0_4arch9wavefront6targetE1EEEvT1_.num_vgpr, 0
	.set _ZN7rocprim17ROCPRIM_400000_NS6detail17trampoline_kernelINS0_14default_configENS1_25transform_config_selectorItLb0EEEZNS1_14transform_implILb0ES3_S5_NS0_18transform_iteratorINS0_17counting_iteratorImlEEZNS1_24adjacent_difference_implIS3_Lb1ELb0EPtSB_N6thrust23THRUST_200600_302600_NS4plusItEEEE10hipError_tPvRmT2_T3_mT4_P12ihipStream_tbEUlmE_tEESB_NS0_8identityIvEEEESG_SJ_SK_mSL_SN_bEUlT_E_NS1_11comp_targetILNS1_3genE10ELNS1_11target_archE1201ELNS1_3gpuE5ELNS1_3repE0EEENS1_30default_config_static_selectorELNS0_4arch9wavefront6targetE1EEEvT1_.num_agpr, 0
	.set _ZN7rocprim17ROCPRIM_400000_NS6detail17trampoline_kernelINS0_14default_configENS1_25transform_config_selectorItLb0EEEZNS1_14transform_implILb0ES3_S5_NS0_18transform_iteratorINS0_17counting_iteratorImlEEZNS1_24adjacent_difference_implIS3_Lb1ELb0EPtSB_N6thrust23THRUST_200600_302600_NS4plusItEEEE10hipError_tPvRmT2_T3_mT4_P12ihipStream_tbEUlmE_tEESB_NS0_8identityIvEEEESG_SJ_SK_mSL_SN_bEUlT_E_NS1_11comp_targetILNS1_3genE10ELNS1_11target_archE1201ELNS1_3gpuE5ELNS1_3repE0EEENS1_30default_config_static_selectorELNS0_4arch9wavefront6targetE1EEEvT1_.numbered_sgpr, 0
	.set _ZN7rocprim17ROCPRIM_400000_NS6detail17trampoline_kernelINS0_14default_configENS1_25transform_config_selectorItLb0EEEZNS1_14transform_implILb0ES3_S5_NS0_18transform_iteratorINS0_17counting_iteratorImlEEZNS1_24adjacent_difference_implIS3_Lb1ELb0EPtSB_N6thrust23THRUST_200600_302600_NS4plusItEEEE10hipError_tPvRmT2_T3_mT4_P12ihipStream_tbEUlmE_tEESB_NS0_8identityIvEEEESG_SJ_SK_mSL_SN_bEUlT_E_NS1_11comp_targetILNS1_3genE10ELNS1_11target_archE1201ELNS1_3gpuE5ELNS1_3repE0EEENS1_30default_config_static_selectorELNS0_4arch9wavefront6targetE1EEEvT1_.num_named_barrier, 0
	.set _ZN7rocprim17ROCPRIM_400000_NS6detail17trampoline_kernelINS0_14default_configENS1_25transform_config_selectorItLb0EEEZNS1_14transform_implILb0ES3_S5_NS0_18transform_iteratorINS0_17counting_iteratorImlEEZNS1_24adjacent_difference_implIS3_Lb1ELb0EPtSB_N6thrust23THRUST_200600_302600_NS4plusItEEEE10hipError_tPvRmT2_T3_mT4_P12ihipStream_tbEUlmE_tEESB_NS0_8identityIvEEEESG_SJ_SK_mSL_SN_bEUlT_E_NS1_11comp_targetILNS1_3genE10ELNS1_11target_archE1201ELNS1_3gpuE5ELNS1_3repE0EEENS1_30default_config_static_selectorELNS0_4arch9wavefront6targetE1EEEvT1_.private_seg_size, 0
	.set _ZN7rocprim17ROCPRIM_400000_NS6detail17trampoline_kernelINS0_14default_configENS1_25transform_config_selectorItLb0EEEZNS1_14transform_implILb0ES3_S5_NS0_18transform_iteratorINS0_17counting_iteratorImlEEZNS1_24adjacent_difference_implIS3_Lb1ELb0EPtSB_N6thrust23THRUST_200600_302600_NS4plusItEEEE10hipError_tPvRmT2_T3_mT4_P12ihipStream_tbEUlmE_tEESB_NS0_8identityIvEEEESG_SJ_SK_mSL_SN_bEUlT_E_NS1_11comp_targetILNS1_3genE10ELNS1_11target_archE1201ELNS1_3gpuE5ELNS1_3repE0EEENS1_30default_config_static_selectorELNS0_4arch9wavefront6targetE1EEEvT1_.uses_vcc, 0
	.set _ZN7rocprim17ROCPRIM_400000_NS6detail17trampoline_kernelINS0_14default_configENS1_25transform_config_selectorItLb0EEEZNS1_14transform_implILb0ES3_S5_NS0_18transform_iteratorINS0_17counting_iteratorImlEEZNS1_24adjacent_difference_implIS3_Lb1ELb0EPtSB_N6thrust23THRUST_200600_302600_NS4plusItEEEE10hipError_tPvRmT2_T3_mT4_P12ihipStream_tbEUlmE_tEESB_NS0_8identityIvEEEESG_SJ_SK_mSL_SN_bEUlT_E_NS1_11comp_targetILNS1_3genE10ELNS1_11target_archE1201ELNS1_3gpuE5ELNS1_3repE0EEENS1_30default_config_static_selectorELNS0_4arch9wavefront6targetE1EEEvT1_.uses_flat_scratch, 0
	.set _ZN7rocprim17ROCPRIM_400000_NS6detail17trampoline_kernelINS0_14default_configENS1_25transform_config_selectorItLb0EEEZNS1_14transform_implILb0ES3_S5_NS0_18transform_iteratorINS0_17counting_iteratorImlEEZNS1_24adjacent_difference_implIS3_Lb1ELb0EPtSB_N6thrust23THRUST_200600_302600_NS4plusItEEEE10hipError_tPvRmT2_T3_mT4_P12ihipStream_tbEUlmE_tEESB_NS0_8identityIvEEEESG_SJ_SK_mSL_SN_bEUlT_E_NS1_11comp_targetILNS1_3genE10ELNS1_11target_archE1201ELNS1_3gpuE5ELNS1_3repE0EEENS1_30default_config_static_selectorELNS0_4arch9wavefront6targetE1EEEvT1_.has_dyn_sized_stack, 0
	.set _ZN7rocprim17ROCPRIM_400000_NS6detail17trampoline_kernelINS0_14default_configENS1_25transform_config_selectorItLb0EEEZNS1_14transform_implILb0ES3_S5_NS0_18transform_iteratorINS0_17counting_iteratorImlEEZNS1_24adjacent_difference_implIS3_Lb1ELb0EPtSB_N6thrust23THRUST_200600_302600_NS4plusItEEEE10hipError_tPvRmT2_T3_mT4_P12ihipStream_tbEUlmE_tEESB_NS0_8identityIvEEEESG_SJ_SK_mSL_SN_bEUlT_E_NS1_11comp_targetILNS1_3genE10ELNS1_11target_archE1201ELNS1_3gpuE5ELNS1_3repE0EEENS1_30default_config_static_selectorELNS0_4arch9wavefront6targetE1EEEvT1_.has_recursion, 0
	.set _ZN7rocprim17ROCPRIM_400000_NS6detail17trampoline_kernelINS0_14default_configENS1_25transform_config_selectorItLb0EEEZNS1_14transform_implILb0ES3_S5_NS0_18transform_iteratorINS0_17counting_iteratorImlEEZNS1_24adjacent_difference_implIS3_Lb1ELb0EPtSB_N6thrust23THRUST_200600_302600_NS4plusItEEEE10hipError_tPvRmT2_T3_mT4_P12ihipStream_tbEUlmE_tEESB_NS0_8identityIvEEEESG_SJ_SK_mSL_SN_bEUlT_E_NS1_11comp_targetILNS1_3genE10ELNS1_11target_archE1201ELNS1_3gpuE5ELNS1_3repE0EEENS1_30default_config_static_selectorELNS0_4arch9wavefront6targetE1EEEvT1_.has_indirect_call, 0
	.section	.AMDGPU.csdata,"",@progbits
; Kernel info:
; codeLenInByte = 0
; TotalNumSgprs: 4
; NumVgprs: 0
; ScratchSize: 0
; MemoryBound: 0
; FloatMode: 240
; IeeeMode: 1
; LDSByteSize: 0 bytes/workgroup (compile time only)
; SGPRBlocks: 0
; VGPRBlocks: 0
; NumSGPRsForWavesPerEU: 4
; NumVGPRsForWavesPerEU: 1
; Occupancy: 10
; WaveLimiterHint : 0
; COMPUTE_PGM_RSRC2:SCRATCH_EN: 0
; COMPUTE_PGM_RSRC2:USER_SGPR: 6
; COMPUTE_PGM_RSRC2:TRAP_HANDLER: 0
; COMPUTE_PGM_RSRC2:TGID_X_EN: 1
; COMPUTE_PGM_RSRC2:TGID_Y_EN: 0
; COMPUTE_PGM_RSRC2:TGID_Z_EN: 0
; COMPUTE_PGM_RSRC2:TIDIG_COMP_CNT: 0
	.section	.text._ZN7rocprim17ROCPRIM_400000_NS6detail17trampoline_kernelINS0_14default_configENS1_25transform_config_selectorItLb0EEEZNS1_14transform_implILb0ES3_S5_NS0_18transform_iteratorINS0_17counting_iteratorImlEEZNS1_24adjacent_difference_implIS3_Lb1ELb0EPtSB_N6thrust23THRUST_200600_302600_NS4plusItEEEE10hipError_tPvRmT2_T3_mT4_P12ihipStream_tbEUlmE_tEESB_NS0_8identityIvEEEESG_SJ_SK_mSL_SN_bEUlT_E_NS1_11comp_targetILNS1_3genE10ELNS1_11target_archE1200ELNS1_3gpuE4ELNS1_3repE0EEENS1_30default_config_static_selectorELNS0_4arch9wavefront6targetE1EEEvT1_,"axG",@progbits,_ZN7rocprim17ROCPRIM_400000_NS6detail17trampoline_kernelINS0_14default_configENS1_25transform_config_selectorItLb0EEEZNS1_14transform_implILb0ES3_S5_NS0_18transform_iteratorINS0_17counting_iteratorImlEEZNS1_24adjacent_difference_implIS3_Lb1ELb0EPtSB_N6thrust23THRUST_200600_302600_NS4plusItEEEE10hipError_tPvRmT2_T3_mT4_P12ihipStream_tbEUlmE_tEESB_NS0_8identityIvEEEESG_SJ_SK_mSL_SN_bEUlT_E_NS1_11comp_targetILNS1_3genE10ELNS1_11target_archE1200ELNS1_3gpuE4ELNS1_3repE0EEENS1_30default_config_static_selectorELNS0_4arch9wavefront6targetE1EEEvT1_,comdat
	.protected	_ZN7rocprim17ROCPRIM_400000_NS6detail17trampoline_kernelINS0_14default_configENS1_25transform_config_selectorItLb0EEEZNS1_14transform_implILb0ES3_S5_NS0_18transform_iteratorINS0_17counting_iteratorImlEEZNS1_24adjacent_difference_implIS3_Lb1ELb0EPtSB_N6thrust23THRUST_200600_302600_NS4plusItEEEE10hipError_tPvRmT2_T3_mT4_P12ihipStream_tbEUlmE_tEESB_NS0_8identityIvEEEESG_SJ_SK_mSL_SN_bEUlT_E_NS1_11comp_targetILNS1_3genE10ELNS1_11target_archE1200ELNS1_3gpuE4ELNS1_3repE0EEENS1_30default_config_static_selectorELNS0_4arch9wavefront6targetE1EEEvT1_ ; -- Begin function _ZN7rocprim17ROCPRIM_400000_NS6detail17trampoline_kernelINS0_14default_configENS1_25transform_config_selectorItLb0EEEZNS1_14transform_implILb0ES3_S5_NS0_18transform_iteratorINS0_17counting_iteratorImlEEZNS1_24adjacent_difference_implIS3_Lb1ELb0EPtSB_N6thrust23THRUST_200600_302600_NS4plusItEEEE10hipError_tPvRmT2_T3_mT4_P12ihipStream_tbEUlmE_tEESB_NS0_8identityIvEEEESG_SJ_SK_mSL_SN_bEUlT_E_NS1_11comp_targetILNS1_3genE10ELNS1_11target_archE1200ELNS1_3gpuE4ELNS1_3repE0EEENS1_30default_config_static_selectorELNS0_4arch9wavefront6targetE1EEEvT1_
	.globl	_ZN7rocprim17ROCPRIM_400000_NS6detail17trampoline_kernelINS0_14default_configENS1_25transform_config_selectorItLb0EEEZNS1_14transform_implILb0ES3_S5_NS0_18transform_iteratorINS0_17counting_iteratorImlEEZNS1_24adjacent_difference_implIS3_Lb1ELb0EPtSB_N6thrust23THRUST_200600_302600_NS4plusItEEEE10hipError_tPvRmT2_T3_mT4_P12ihipStream_tbEUlmE_tEESB_NS0_8identityIvEEEESG_SJ_SK_mSL_SN_bEUlT_E_NS1_11comp_targetILNS1_3genE10ELNS1_11target_archE1200ELNS1_3gpuE4ELNS1_3repE0EEENS1_30default_config_static_selectorELNS0_4arch9wavefront6targetE1EEEvT1_
	.p2align	8
	.type	_ZN7rocprim17ROCPRIM_400000_NS6detail17trampoline_kernelINS0_14default_configENS1_25transform_config_selectorItLb0EEEZNS1_14transform_implILb0ES3_S5_NS0_18transform_iteratorINS0_17counting_iteratorImlEEZNS1_24adjacent_difference_implIS3_Lb1ELb0EPtSB_N6thrust23THRUST_200600_302600_NS4plusItEEEE10hipError_tPvRmT2_T3_mT4_P12ihipStream_tbEUlmE_tEESB_NS0_8identityIvEEEESG_SJ_SK_mSL_SN_bEUlT_E_NS1_11comp_targetILNS1_3genE10ELNS1_11target_archE1200ELNS1_3gpuE4ELNS1_3repE0EEENS1_30default_config_static_selectorELNS0_4arch9wavefront6targetE1EEEvT1_,@function
_ZN7rocprim17ROCPRIM_400000_NS6detail17trampoline_kernelINS0_14default_configENS1_25transform_config_selectorItLb0EEEZNS1_14transform_implILb0ES3_S5_NS0_18transform_iteratorINS0_17counting_iteratorImlEEZNS1_24adjacent_difference_implIS3_Lb1ELb0EPtSB_N6thrust23THRUST_200600_302600_NS4plusItEEEE10hipError_tPvRmT2_T3_mT4_P12ihipStream_tbEUlmE_tEESB_NS0_8identityIvEEEESG_SJ_SK_mSL_SN_bEUlT_E_NS1_11comp_targetILNS1_3genE10ELNS1_11target_archE1200ELNS1_3gpuE4ELNS1_3repE0EEENS1_30default_config_static_selectorELNS0_4arch9wavefront6targetE1EEEvT1_: ; @_ZN7rocprim17ROCPRIM_400000_NS6detail17trampoline_kernelINS0_14default_configENS1_25transform_config_selectorItLb0EEEZNS1_14transform_implILb0ES3_S5_NS0_18transform_iteratorINS0_17counting_iteratorImlEEZNS1_24adjacent_difference_implIS3_Lb1ELb0EPtSB_N6thrust23THRUST_200600_302600_NS4plusItEEEE10hipError_tPvRmT2_T3_mT4_P12ihipStream_tbEUlmE_tEESB_NS0_8identityIvEEEESG_SJ_SK_mSL_SN_bEUlT_E_NS1_11comp_targetILNS1_3genE10ELNS1_11target_archE1200ELNS1_3gpuE4ELNS1_3repE0EEENS1_30default_config_static_selectorELNS0_4arch9wavefront6targetE1EEEvT1_
; %bb.0:
	.section	.rodata,"a",@progbits
	.p2align	6, 0x0
	.amdhsa_kernel _ZN7rocprim17ROCPRIM_400000_NS6detail17trampoline_kernelINS0_14default_configENS1_25transform_config_selectorItLb0EEEZNS1_14transform_implILb0ES3_S5_NS0_18transform_iteratorINS0_17counting_iteratorImlEEZNS1_24adjacent_difference_implIS3_Lb1ELb0EPtSB_N6thrust23THRUST_200600_302600_NS4plusItEEEE10hipError_tPvRmT2_T3_mT4_P12ihipStream_tbEUlmE_tEESB_NS0_8identityIvEEEESG_SJ_SK_mSL_SN_bEUlT_E_NS1_11comp_targetILNS1_3genE10ELNS1_11target_archE1200ELNS1_3gpuE4ELNS1_3repE0EEENS1_30default_config_static_selectorELNS0_4arch9wavefront6targetE1EEEvT1_
		.amdhsa_group_segment_fixed_size 0
		.amdhsa_private_segment_fixed_size 0
		.amdhsa_kernarg_size 56
		.amdhsa_user_sgpr_count 6
		.amdhsa_user_sgpr_private_segment_buffer 1
		.amdhsa_user_sgpr_dispatch_ptr 0
		.amdhsa_user_sgpr_queue_ptr 0
		.amdhsa_user_sgpr_kernarg_segment_ptr 1
		.amdhsa_user_sgpr_dispatch_id 0
		.amdhsa_user_sgpr_flat_scratch_init 0
		.amdhsa_user_sgpr_private_segment_size 0
		.amdhsa_uses_dynamic_stack 0
		.amdhsa_system_sgpr_private_segment_wavefront_offset 0
		.amdhsa_system_sgpr_workgroup_id_x 1
		.amdhsa_system_sgpr_workgroup_id_y 0
		.amdhsa_system_sgpr_workgroup_id_z 0
		.amdhsa_system_sgpr_workgroup_info 0
		.amdhsa_system_vgpr_workitem_id 0
		.amdhsa_next_free_vgpr 1
		.amdhsa_next_free_sgpr 0
		.amdhsa_reserve_vcc 0
		.amdhsa_reserve_flat_scratch 0
		.amdhsa_float_round_mode_32 0
		.amdhsa_float_round_mode_16_64 0
		.amdhsa_float_denorm_mode_32 3
		.amdhsa_float_denorm_mode_16_64 3
		.amdhsa_dx10_clamp 1
		.amdhsa_ieee_mode 1
		.amdhsa_fp16_overflow 0
		.amdhsa_exception_fp_ieee_invalid_op 0
		.amdhsa_exception_fp_denorm_src 0
		.amdhsa_exception_fp_ieee_div_zero 0
		.amdhsa_exception_fp_ieee_overflow 0
		.amdhsa_exception_fp_ieee_underflow 0
		.amdhsa_exception_fp_ieee_inexact 0
		.amdhsa_exception_int_div_zero 0
	.end_amdhsa_kernel
	.section	.text._ZN7rocprim17ROCPRIM_400000_NS6detail17trampoline_kernelINS0_14default_configENS1_25transform_config_selectorItLb0EEEZNS1_14transform_implILb0ES3_S5_NS0_18transform_iteratorINS0_17counting_iteratorImlEEZNS1_24adjacent_difference_implIS3_Lb1ELb0EPtSB_N6thrust23THRUST_200600_302600_NS4plusItEEEE10hipError_tPvRmT2_T3_mT4_P12ihipStream_tbEUlmE_tEESB_NS0_8identityIvEEEESG_SJ_SK_mSL_SN_bEUlT_E_NS1_11comp_targetILNS1_3genE10ELNS1_11target_archE1200ELNS1_3gpuE4ELNS1_3repE0EEENS1_30default_config_static_selectorELNS0_4arch9wavefront6targetE1EEEvT1_,"axG",@progbits,_ZN7rocprim17ROCPRIM_400000_NS6detail17trampoline_kernelINS0_14default_configENS1_25transform_config_selectorItLb0EEEZNS1_14transform_implILb0ES3_S5_NS0_18transform_iteratorINS0_17counting_iteratorImlEEZNS1_24adjacent_difference_implIS3_Lb1ELb0EPtSB_N6thrust23THRUST_200600_302600_NS4plusItEEEE10hipError_tPvRmT2_T3_mT4_P12ihipStream_tbEUlmE_tEESB_NS0_8identityIvEEEESG_SJ_SK_mSL_SN_bEUlT_E_NS1_11comp_targetILNS1_3genE10ELNS1_11target_archE1200ELNS1_3gpuE4ELNS1_3repE0EEENS1_30default_config_static_selectorELNS0_4arch9wavefront6targetE1EEEvT1_,comdat
.Lfunc_end245:
	.size	_ZN7rocprim17ROCPRIM_400000_NS6detail17trampoline_kernelINS0_14default_configENS1_25transform_config_selectorItLb0EEEZNS1_14transform_implILb0ES3_S5_NS0_18transform_iteratorINS0_17counting_iteratorImlEEZNS1_24adjacent_difference_implIS3_Lb1ELb0EPtSB_N6thrust23THRUST_200600_302600_NS4plusItEEEE10hipError_tPvRmT2_T3_mT4_P12ihipStream_tbEUlmE_tEESB_NS0_8identityIvEEEESG_SJ_SK_mSL_SN_bEUlT_E_NS1_11comp_targetILNS1_3genE10ELNS1_11target_archE1200ELNS1_3gpuE4ELNS1_3repE0EEENS1_30default_config_static_selectorELNS0_4arch9wavefront6targetE1EEEvT1_, .Lfunc_end245-_ZN7rocprim17ROCPRIM_400000_NS6detail17trampoline_kernelINS0_14default_configENS1_25transform_config_selectorItLb0EEEZNS1_14transform_implILb0ES3_S5_NS0_18transform_iteratorINS0_17counting_iteratorImlEEZNS1_24adjacent_difference_implIS3_Lb1ELb0EPtSB_N6thrust23THRUST_200600_302600_NS4plusItEEEE10hipError_tPvRmT2_T3_mT4_P12ihipStream_tbEUlmE_tEESB_NS0_8identityIvEEEESG_SJ_SK_mSL_SN_bEUlT_E_NS1_11comp_targetILNS1_3genE10ELNS1_11target_archE1200ELNS1_3gpuE4ELNS1_3repE0EEENS1_30default_config_static_selectorELNS0_4arch9wavefront6targetE1EEEvT1_
                                        ; -- End function
	.set _ZN7rocprim17ROCPRIM_400000_NS6detail17trampoline_kernelINS0_14default_configENS1_25transform_config_selectorItLb0EEEZNS1_14transform_implILb0ES3_S5_NS0_18transform_iteratorINS0_17counting_iteratorImlEEZNS1_24adjacent_difference_implIS3_Lb1ELb0EPtSB_N6thrust23THRUST_200600_302600_NS4plusItEEEE10hipError_tPvRmT2_T3_mT4_P12ihipStream_tbEUlmE_tEESB_NS0_8identityIvEEEESG_SJ_SK_mSL_SN_bEUlT_E_NS1_11comp_targetILNS1_3genE10ELNS1_11target_archE1200ELNS1_3gpuE4ELNS1_3repE0EEENS1_30default_config_static_selectorELNS0_4arch9wavefront6targetE1EEEvT1_.num_vgpr, 0
	.set _ZN7rocprim17ROCPRIM_400000_NS6detail17trampoline_kernelINS0_14default_configENS1_25transform_config_selectorItLb0EEEZNS1_14transform_implILb0ES3_S5_NS0_18transform_iteratorINS0_17counting_iteratorImlEEZNS1_24adjacent_difference_implIS3_Lb1ELb0EPtSB_N6thrust23THRUST_200600_302600_NS4plusItEEEE10hipError_tPvRmT2_T3_mT4_P12ihipStream_tbEUlmE_tEESB_NS0_8identityIvEEEESG_SJ_SK_mSL_SN_bEUlT_E_NS1_11comp_targetILNS1_3genE10ELNS1_11target_archE1200ELNS1_3gpuE4ELNS1_3repE0EEENS1_30default_config_static_selectorELNS0_4arch9wavefront6targetE1EEEvT1_.num_agpr, 0
	.set _ZN7rocprim17ROCPRIM_400000_NS6detail17trampoline_kernelINS0_14default_configENS1_25transform_config_selectorItLb0EEEZNS1_14transform_implILb0ES3_S5_NS0_18transform_iteratorINS0_17counting_iteratorImlEEZNS1_24adjacent_difference_implIS3_Lb1ELb0EPtSB_N6thrust23THRUST_200600_302600_NS4plusItEEEE10hipError_tPvRmT2_T3_mT4_P12ihipStream_tbEUlmE_tEESB_NS0_8identityIvEEEESG_SJ_SK_mSL_SN_bEUlT_E_NS1_11comp_targetILNS1_3genE10ELNS1_11target_archE1200ELNS1_3gpuE4ELNS1_3repE0EEENS1_30default_config_static_selectorELNS0_4arch9wavefront6targetE1EEEvT1_.numbered_sgpr, 0
	.set _ZN7rocprim17ROCPRIM_400000_NS6detail17trampoline_kernelINS0_14default_configENS1_25transform_config_selectorItLb0EEEZNS1_14transform_implILb0ES3_S5_NS0_18transform_iteratorINS0_17counting_iteratorImlEEZNS1_24adjacent_difference_implIS3_Lb1ELb0EPtSB_N6thrust23THRUST_200600_302600_NS4plusItEEEE10hipError_tPvRmT2_T3_mT4_P12ihipStream_tbEUlmE_tEESB_NS0_8identityIvEEEESG_SJ_SK_mSL_SN_bEUlT_E_NS1_11comp_targetILNS1_3genE10ELNS1_11target_archE1200ELNS1_3gpuE4ELNS1_3repE0EEENS1_30default_config_static_selectorELNS0_4arch9wavefront6targetE1EEEvT1_.num_named_barrier, 0
	.set _ZN7rocprim17ROCPRIM_400000_NS6detail17trampoline_kernelINS0_14default_configENS1_25transform_config_selectorItLb0EEEZNS1_14transform_implILb0ES3_S5_NS0_18transform_iteratorINS0_17counting_iteratorImlEEZNS1_24adjacent_difference_implIS3_Lb1ELb0EPtSB_N6thrust23THRUST_200600_302600_NS4plusItEEEE10hipError_tPvRmT2_T3_mT4_P12ihipStream_tbEUlmE_tEESB_NS0_8identityIvEEEESG_SJ_SK_mSL_SN_bEUlT_E_NS1_11comp_targetILNS1_3genE10ELNS1_11target_archE1200ELNS1_3gpuE4ELNS1_3repE0EEENS1_30default_config_static_selectorELNS0_4arch9wavefront6targetE1EEEvT1_.private_seg_size, 0
	.set _ZN7rocprim17ROCPRIM_400000_NS6detail17trampoline_kernelINS0_14default_configENS1_25transform_config_selectorItLb0EEEZNS1_14transform_implILb0ES3_S5_NS0_18transform_iteratorINS0_17counting_iteratorImlEEZNS1_24adjacent_difference_implIS3_Lb1ELb0EPtSB_N6thrust23THRUST_200600_302600_NS4plusItEEEE10hipError_tPvRmT2_T3_mT4_P12ihipStream_tbEUlmE_tEESB_NS0_8identityIvEEEESG_SJ_SK_mSL_SN_bEUlT_E_NS1_11comp_targetILNS1_3genE10ELNS1_11target_archE1200ELNS1_3gpuE4ELNS1_3repE0EEENS1_30default_config_static_selectorELNS0_4arch9wavefront6targetE1EEEvT1_.uses_vcc, 0
	.set _ZN7rocprim17ROCPRIM_400000_NS6detail17trampoline_kernelINS0_14default_configENS1_25transform_config_selectorItLb0EEEZNS1_14transform_implILb0ES3_S5_NS0_18transform_iteratorINS0_17counting_iteratorImlEEZNS1_24adjacent_difference_implIS3_Lb1ELb0EPtSB_N6thrust23THRUST_200600_302600_NS4plusItEEEE10hipError_tPvRmT2_T3_mT4_P12ihipStream_tbEUlmE_tEESB_NS0_8identityIvEEEESG_SJ_SK_mSL_SN_bEUlT_E_NS1_11comp_targetILNS1_3genE10ELNS1_11target_archE1200ELNS1_3gpuE4ELNS1_3repE0EEENS1_30default_config_static_selectorELNS0_4arch9wavefront6targetE1EEEvT1_.uses_flat_scratch, 0
	.set _ZN7rocprim17ROCPRIM_400000_NS6detail17trampoline_kernelINS0_14default_configENS1_25transform_config_selectorItLb0EEEZNS1_14transform_implILb0ES3_S5_NS0_18transform_iteratorINS0_17counting_iteratorImlEEZNS1_24adjacent_difference_implIS3_Lb1ELb0EPtSB_N6thrust23THRUST_200600_302600_NS4plusItEEEE10hipError_tPvRmT2_T3_mT4_P12ihipStream_tbEUlmE_tEESB_NS0_8identityIvEEEESG_SJ_SK_mSL_SN_bEUlT_E_NS1_11comp_targetILNS1_3genE10ELNS1_11target_archE1200ELNS1_3gpuE4ELNS1_3repE0EEENS1_30default_config_static_selectorELNS0_4arch9wavefront6targetE1EEEvT1_.has_dyn_sized_stack, 0
	.set _ZN7rocprim17ROCPRIM_400000_NS6detail17trampoline_kernelINS0_14default_configENS1_25transform_config_selectorItLb0EEEZNS1_14transform_implILb0ES3_S5_NS0_18transform_iteratorINS0_17counting_iteratorImlEEZNS1_24adjacent_difference_implIS3_Lb1ELb0EPtSB_N6thrust23THRUST_200600_302600_NS4plusItEEEE10hipError_tPvRmT2_T3_mT4_P12ihipStream_tbEUlmE_tEESB_NS0_8identityIvEEEESG_SJ_SK_mSL_SN_bEUlT_E_NS1_11comp_targetILNS1_3genE10ELNS1_11target_archE1200ELNS1_3gpuE4ELNS1_3repE0EEENS1_30default_config_static_selectorELNS0_4arch9wavefront6targetE1EEEvT1_.has_recursion, 0
	.set _ZN7rocprim17ROCPRIM_400000_NS6detail17trampoline_kernelINS0_14default_configENS1_25transform_config_selectorItLb0EEEZNS1_14transform_implILb0ES3_S5_NS0_18transform_iteratorINS0_17counting_iteratorImlEEZNS1_24adjacent_difference_implIS3_Lb1ELb0EPtSB_N6thrust23THRUST_200600_302600_NS4plusItEEEE10hipError_tPvRmT2_T3_mT4_P12ihipStream_tbEUlmE_tEESB_NS0_8identityIvEEEESG_SJ_SK_mSL_SN_bEUlT_E_NS1_11comp_targetILNS1_3genE10ELNS1_11target_archE1200ELNS1_3gpuE4ELNS1_3repE0EEENS1_30default_config_static_selectorELNS0_4arch9wavefront6targetE1EEEvT1_.has_indirect_call, 0
	.section	.AMDGPU.csdata,"",@progbits
; Kernel info:
; codeLenInByte = 0
; TotalNumSgprs: 4
; NumVgprs: 0
; ScratchSize: 0
; MemoryBound: 0
; FloatMode: 240
; IeeeMode: 1
; LDSByteSize: 0 bytes/workgroup (compile time only)
; SGPRBlocks: 0
; VGPRBlocks: 0
; NumSGPRsForWavesPerEU: 4
; NumVGPRsForWavesPerEU: 1
; Occupancy: 10
; WaveLimiterHint : 0
; COMPUTE_PGM_RSRC2:SCRATCH_EN: 0
; COMPUTE_PGM_RSRC2:USER_SGPR: 6
; COMPUTE_PGM_RSRC2:TRAP_HANDLER: 0
; COMPUTE_PGM_RSRC2:TGID_X_EN: 1
; COMPUTE_PGM_RSRC2:TGID_Y_EN: 0
; COMPUTE_PGM_RSRC2:TGID_Z_EN: 0
; COMPUTE_PGM_RSRC2:TIDIG_COMP_CNT: 0
	.section	.text._ZN7rocprim17ROCPRIM_400000_NS6detail17trampoline_kernelINS0_14default_configENS1_25transform_config_selectorItLb0EEEZNS1_14transform_implILb0ES3_S5_NS0_18transform_iteratorINS0_17counting_iteratorImlEEZNS1_24adjacent_difference_implIS3_Lb1ELb0EPtSB_N6thrust23THRUST_200600_302600_NS4plusItEEEE10hipError_tPvRmT2_T3_mT4_P12ihipStream_tbEUlmE_tEESB_NS0_8identityIvEEEESG_SJ_SK_mSL_SN_bEUlT_E_NS1_11comp_targetILNS1_3genE9ELNS1_11target_archE1100ELNS1_3gpuE3ELNS1_3repE0EEENS1_30default_config_static_selectorELNS0_4arch9wavefront6targetE1EEEvT1_,"axG",@progbits,_ZN7rocprim17ROCPRIM_400000_NS6detail17trampoline_kernelINS0_14default_configENS1_25transform_config_selectorItLb0EEEZNS1_14transform_implILb0ES3_S5_NS0_18transform_iteratorINS0_17counting_iteratorImlEEZNS1_24adjacent_difference_implIS3_Lb1ELb0EPtSB_N6thrust23THRUST_200600_302600_NS4plusItEEEE10hipError_tPvRmT2_T3_mT4_P12ihipStream_tbEUlmE_tEESB_NS0_8identityIvEEEESG_SJ_SK_mSL_SN_bEUlT_E_NS1_11comp_targetILNS1_3genE9ELNS1_11target_archE1100ELNS1_3gpuE3ELNS1_3repE0EEENS1_30default_config_static_selectorELNS0_4arch9wavefront6targetE1EEEvT1_,comdat
	.protected	_ZN7rocprim17ROCPRIM_400000_NS6detail17trampoline_kernelINS0_14default_configENS1_25transform_config_selectorItLb0EEEZNS1_14transform_implILb0ES3_S5_NS0_18transform_iteratorINS0_17counting_iteratorImlEEZNS1_24adjacent_difference_implIS3_Lb1ELb0EPtSB_N6thrust23THRUST_200600_302600_NS4plusItEEEE10hipError_tPvRmT2_T3_mT4_P12ihipStream_tbEUlmE_tEESB_NS0_8identityIvEEEESG_SJ_SK_mSL_SN_bEUlT_E_NS1_11comp_targetILNS1_3genE9ELNS1_11target_archE1100ELNS1_3gpuE3ELNS1_3repE0EEENS1_30default_config_static_selectorELNS0_4arch9wavefront6targetE1EEEvT1_ ; -- Begin function _ZN7rocprim17ROCPRIM_400000_NS6detail17trampoline_kernelINS0_14default_configENS1_25transform_config_selectorItLb0EEEZNS1_14transform_implILb0ES3_S5_NS0_18transform_iteratorINS0_17counting_iteratorImlEEZNS1_24adjacent_difference_implIS3_Lb1ELb0EPtSB_N6thrust23THRUST_200600_302600_NS4plusItEEEE10hipError_tPvRmT2_T3_mT4_P12ihipStream_tbEUlmE_tEESB_NS0_8identityIvEEEESG_SJ_SK_mSL_SN_bEUlT_E_NS1_11comp_targetILNS1_3genE9ELNS1_11target_archE1100ELNS1_3gpuE3ELNS1_3repE0EEENS1_30default_config_static_selectorELNS0_4arch9wavefront6targetE1EEEvT1_
	.globl	_ZN7rocprim17ROCPRIM_400000_NS6detail17trampoline_kernelINS0_14default_configENS1_25transform_config_selectorItLb0EEEZNS1_14transform_implILb0ES3_S5_NS0_18transform_iteratorINS0_17counting_iteratorImlEEZNS1_24adjacent_difference_implIS3_Lb1ELb0EPtSB_N6thrust23THRUST_200600_302600_NS4plusItEEEE10hipError_tPvRmT2_T3_mT4_P12ihipStream_tbEUlmE_tEESB_NS0_8identityIvEEEESG_SJ_SK_mSL_SN_bEUlT_E_NS1_11comp_targetILNS1_3genE9ELNS1_11target_archE1100ELNS1_3gpuE3ELNS1_3repE0EEENS1_30default_config_static_selectorELNS0_4arch9wavefront6targetE1EEEvT1_
	.p2align	8
	.type	_ZN7rocprim17ROCPRIM_400000_NS6detail17trampoline_kernelINS0_14default_configENS1_25transform_config_selectorItLb0EEEZNS1_14transform_implILb0ES3_S5_NS0_18transform_iteratorINS0_17counting_iteratorImlEEZNS1_24adjacent_difference_implIS3_Lb1ELb0EPtSB_N6thrust23THRUST_200600_302600_NS4plusItEEEE10hipError_tPvRmT2_T3_mT4_P12ihipStream_tbEUlmE_tEESB_NS0_8identityIvEEEESG_SJ_SK_mSL_SN_bEUlT_E_NS1_11comp_targetILNS1_3genE9ELNS1_11target_archE1100ELNS1_3gpuE3ELNS1_3repE0EEENS1_30default_config_static_selectorELNS0_4arch9wavefront6targetE1EEEvT1_,@function
_ZN7rocprim17ROCPRIM_400000_NS6detail17trampoline_kernelINS0_14default_configENS1_25transform_config_selectorItLb0EEEZNS1_14transform_implILb0ES3_S5_NS0_18transform_iteratorINS0_17counting_iteratorImlEEZNS1_24adjacent_difference_implIS3_Lb1ELb0EPtSB_N6thrust23THRUST_200600_302600_NS4plusItEEEE10hipError_tPvRmT2_T3_mT4_P12ihipStream_tbEUlmE_tEESB_NS0_8identityIvEEEESG_SJ_SK_mSL_SN_bEUlT_E_NS1_11comp_targetILNS1_3genE9ELNS1_11target_archE1100ELNS1_3gpuE3ELNS1_3repE0EEENS1_30default_config_static_selectorELNS0_4arch9wavefront6targetE1EEEvT1_: ; @_ZN7rocprim17ROCPRIM_400000_NS6detail17trampoline_kernelINS0_14default_configENS1_25transform_config_selectorItLb0EEEZNS1_14transform_implILb0ES3_S5_NS0_18transform_iteratorINS0_17counting_iteratorImlEEZNS1_24adjacent_difference_implIS3_Lb1ELb0EPtSB_N6thrust23THRUST_200600_302600_NS4plusItEEEE10hipError_tPvRmT2_T3_mT4_P12ihipStream_tbEUlmE_tEESB_NS0_8identityIvEEEESG_SJ_SK_mSL_SN_bEUlT_E_NS1_11comp_targetILNS1_3genE9ELNS1_11target_archE1100ELNS1_3gpuE3ELNS1_3repE0EEENS1_30default_config_static_selectorELNS0_4arch9wavefront6targetE1EEEvT1_
; %bb.0:
	.section	.rodata,"a",@progbits
	.p2align	6, 0x0
	.amdhsa_kernel _ZN7rocprim17ROCPRIM_400000_NS6detail17trampoline_kernelINS0_14default_configENS1_25transform_config_selectorItLb0EEEZNS1_14transform_implILb0ES3_S5_NS0_18transform_iteratorINS0_17counting_iteratorImlEEZNS1_24adjacent_difference_implIS3_Lb1ELb0EPtSB_N6thrust23THRUST_200600_302600_NS4plusItEEEE10hipError_tPvRmT2_T3_mT4_P12ihipStream_tbEUlmE_tEESB_NS0_8identityIvEEEESG_SJ_SK_mSL_SN_bEUlT_E_NS1_11comp_targetILNS1_3genE9ELNS1_11target_archE1100ELNS1_3gpuE3ELNS1_3repE0EEENS1_30default_config_static_selectorELNS0_4arch9wavefront6targetE1EEEvT1_
		.amdhsa_group_segment_fixed_size 0
		.amdhsa_private_segment_fixed_size 0
		.amdhsa_kernarg_size 56
		.amdhsa_user_sgpr_count 6
		.amdhsa_user_sgpr_private_segment_buffer 1
		.amdhsa_user_sgpr_dispatch_ptr 0
		.amdhsa_user_sgpr_queue_ptr 0
		.amdhsa_user_sgpr_kernarg_segment_ptr 1
		.amdhsa_user_sgpr_dispatch_id 0
		.amdhsa_user_sgpr_flat_scratch_init 0
		.amdhsa_user_sgpr_private_segment_size 0
		.amdhsa_uses_dynamic_stack 0
		.amdhsa_system_sgpr_private_segment_wavefront_offset 0
		.amdhsa_system_sgpr_workgroup_id_x 1
		.amdhsa_system_sgpr_workgroup_id_y 0
		.amdhsa_system_sgpr_workgroup_id_z 0
		.amdhsa_system_sgpr_workgroup_info 0
		.amdhsa_system_vgpr_workitem_id 0
		.amdhsa_next_free_vgpr 1
		.amdhsa_next_free_sgpr 0
		.amdhsa_reserve_vcc 0
		.amdhsa_reserve_flat_scratch 0
		.amdhsa_float_round_mode_32 0
		.amdhsa_float_round_mode_16_64 0
		.amdhsa_float_denorm_mode_32 3
		.amdhsa_float_denorm_mode_16_64 3
		.amdhsa_dx10_clamp 1
		.amdhsa_ieee_mode 1
		.amdhsa_fp16_overflow 0
		.amdhsa_exception_fp_ieee_invalid_op 0
		.amdhsa_exception_fp_denorm_src 0
		.amdhsa_exception_fp_ieee_div_zero 0
		.amdhsa_exception_fp_ieee_overflow 0
		.amdhsa_exception_fp_ieee_underflow 0
		.amdhsa_exception_fp_ieee_inexact 0
		.amdhsa_exception_int_div_zero 0
	.end_amdhsa_kernel
	.section	.text._ZN7rocprim17ROCPRIM_400000_NS6detail17trampoline_kernelINS0_14default_configENS1_25transform_config_selectorItLb0EEEZNS1_14transform_implILb0ES3_S5_NS0_18transform_iteratorINS0_17counting_iteratorImlEEZNS1_24adjacent_difference_implIS3_Lb1ELb0EPtSB_N6thrust23THRUST_200600_302600_NS4plusItEEEE10hipError_tPvRmT2_T3_mT4_P12ihipStream_tbEUlmE_tEESB_NS0_8identityIvEEEESG_SJ_SK_mSL_SN_bEUlT_E_NS1_11comp_targetILNS1_3genE9ELNS1_11target_archE1100ELNS1_3gpuE3ELNS1_3repE0EEENS1_30default_config_static_selectorELNS0_4arch9wavefront6targetE1EEEvT1_,"axG",@progbits,_ZN7rocprim17ROCPRIM_400000_NS6detail17trampoline_kernelINS0_14default_configENS1_25transform_config_selectorItLb0EEEZNS1_14transform_implILb0ES3_S5_NS0_18transform_iteratorINS0_17counting_iteratorImlEEZNS1_24adjacent_difference_implIS3_Lb1ELb0EPtSB_N6thrust23THRUST_200600_302600_NS4plusItEEEE10hipError_tPvRmT2_T3_mT4_P12ihipStream_tbEUlmE_tEESB_NS0_8identityIvEEEESG_SJ_SK_mSL_SN_bEUlT_E_NS1_11comp_targetILNS1_3genE9ELNS1_11target_archE1100ELNS1_3gpuE3ELNS1_3repE0EEENS1_30default_config_static_selectorELNS0_4arch9wavefront6targetE1EEEvT1_,comdat
.Lfunc_end246:
	.size	_ZN7rocprim17ROCPRIM_400000_NS6detail17trampoline_kernelINS0_14default_configENS1_25transform_config_selectorItLb0EEEZNS1_14transform_implILb0ES3_S5_NS0_18transform_iteratorINS0_17counting_iteratorImlEEZNS1_24adjacent_difference_implIS3_Lb1ELb0EPtSB_N6thrust23THRUST_200600_302600_NS4plusItEEEE10hipError_tPvRmT2_T3_mT4_P12ihipStream_tbEUlmE_tEESB_NS0_8identityIvEEEESG_SJ_SK_mSL_SN_bEUlT_E_NS1_11comp_targetILNS1_3genE9ELNS1_11target_archE1100ELNS1_3gpuE3ELNS1_3repE0EEENS1_30default_config_static_selectorELNS0_4arch9wavefront6targetE1EEEvT1_, .Lfunc_end246-_ZN7rocprim17ROCPRIM_400000_NS6detail17trampoline_kernelINS0_14default_configENS1_25transform_config_selectorItLb0EEEZNS1_14transform_implILb0ES3_S5_NS0_18transform_iteratorINS0_17counting_iteratorImlEEZNS1_24adjacent_difference_implIS3_Lb1ELb0EPtSB_N6thrust23THRUST_200600_302600_NS4plusItEEEE10hipError_tPvRmT2_T3_mT4_P12ihipStream_tbEUlmE_tEESB_NS0_8identityIvEEEESG_SJ_SK_mSL_SN_bEUlT_E_NS1_11comp_targetILNS1_3genE9ELNS1_11target_archE1100ELNS1_3gpuE3ELNS1_3repE0EEENS1_30default_config_static_selectorELNS0_4arch9wavefront6targetE1EEEvT1_
                                        ; -- End function
	.set _ZN7rocprim17ROCPRIM_400000_NS6detail17trampoline_kernelINS0_14default_configENS1_25transform_config_selectorItLb0EEEZNS1_14transform_implILb0ES3_S5_NS0_18transform_iteratorINS0_17counting_iteratorImlEEZNS1_24adjacent_difference_implIS3_Lb1ELb0EPtSB_N6thrust23THRUST_200600_302600_NS4plusItEEEE10hipError_tPvRmT2_T3_mT4_P12ihipStream_tbEUlmE_tEESB_NS0_8identityIvEEEESG_SJ_SK_mSL_SN_bEUlT_E_NS1_11comp_targetILNS1_3genE9ELNS1_11target_archE1100ELNS1_3gpuE3ELNS1_3repE0EEENS1_30default_config_static_selectorELNS0_4arch9wavefront6targetE1EEEvT1_.num_vgpr, 0
	.set _ZN7rocprim17ROCPRIM_400000_NS6detail17trampoline_kernelINS0_14default_configENS1_25transform_config_selectorItLb0EEEZNS1_14transform_implILb0ES3_S5_NS0_18transform_iteratorINS0_17counting_iteratorImlEEZNS1_24adjacent_difference_implIS3_Lb1ELb0EPtSB_N6thrust23THRUST_200600_302600_NS4plusItEEEE10hipError_tPvRmT2_T3_mT4_P12ihipStream_tbEUlmE_tEESB_NS0_8identityIvEEEESG_SJ_SK_mSL_SN_bEUlT_E_NS1_11comp_targetILNS1_3genE9ELNS1_11target_archE1100ELNS1_3gpuE3ELNS1_3repE0EEENS1_30default_config_static_selectorELNS0_4arch9wavefront6targetE1EEEvT1_.num_agpr, 0
	.set _ZN7rocprim17ROCPRIM_400000_NS6detail17trampoline_kernelINS0_14default_configENS1_25transform_config_selectorItLb0EEEZNS1_14transform_implILb0ES3_S5_NS0_18transform_iteratorINS0_17counting_iteratorImlEEZNS1_24adjacent_difference_implIS3_Lb1ELb0EPtSB_N6thrust23THRUST_200600_302600_NS4plusItEEEE10hipError_tPvRmT2_T3_mT4_P12ihipStream_tbEUlmE_tEESB_NS0_8identityIvEEEESG_SJ_SK_mSL_SN_bEUlT_E_NS1_11comp_targetILNS1_3genE9ELNS1_11target_archE1100ELNS1_3gpuE3ELNS1_3repE0EEENS1_30default_config_static_selectorELNS0_4arch9wavefront6targetE1EEEvT1_.numbered_sgpr, 0
	.set _ZN7rocprim17ROCPRIM_400000_NS6detail17trampoline_kernelINS0_14default_configENS1_25transform_config_selectorItLb0EEEZNS1_14transform_implILb0ES3_S5_NS0_18transform_iteratorINS0_17counting_iteratorImlEEZNS1_24adjacent_difference_implIS3_Lb1ELb0EPtSB_N6thrust23THRUST_200600_302600_NS4plusItEEEE10hipError_tPvRmT2_T3_mT4_P12ihipStream_tbEUlmE_tEESB_NS0_8identityIvEEEESG_SJ_SK_mSL_SN_bEUlT_E_NS1_11comp_targetILNS1_3genE9ELNS1_11target_archE1100ELNS1_3gpuE3ELNS1_3repE0EEENS1_30default_config_static_selectorELNS0_4arch9wavefront6targetE1EEEvT1_.num_named_barrier, 0
	.set _ZN7rocprim17ROCPRIM_400000_NS6detail17trampoline_kernelINS0_14default_configENS1_25transform_config_selectorItLb0EEEZNS1_14transform_implILb0ES3_S5_NS0_18transform_iteratorINS0_17counting_iteratorImlEEZNS1_24adjacent_difference_implIS3_Lb1ELb0EPtSB_N6thrust23THRUST_200600_302600_NS4plusItEEEE10hipError_tPvRmT2_T3_mT4_P12ihipStream_tbEUlmE_tEESB_NS0_8identityIvEEEESG_SJ_SK_mSL_SN_bEUlT_E_NS1_11comp_targetILNS1_3genE9ELNS1_11target_archE1100ELNS1_3gpuE3ELNS1_3repE0EEENS1_30default_config_static_selectorELNS0_4arch9wavefront6targetE1EEEvT1_.private_seg_size, 0
	.set _ZN7rocprim17ROCPRIM_400000_NS6detail17trampoline_kernelINS0_14default_configENS1_25transform_config_selectorItLb0EEEZNS1_14transform_implILb0ES3_S5_NS0_18transform_iteratorINS0_17counting_iteratorImlEEZNS1_24adjacent_difference_implIS3_Lb1ELb0EPtSB_N6thrust23THRUST_200600_302600_NS4plusItEEEE10hipError_tPvRmT2_T3_mT4_P12ihipStream_tbEUlmE_tEESB_NS0_8identityIvEEEESG_SJ_SK_mSL_SN_bEUlT_E_NS1_11comp_targetILNS1_3genE9ELNS1_11target_archE1100ELNS1_3gpuE3ELNS1_3repE0EEENS1_30default_config_static_selectorELNS0_4arch9wavefront6targetE1EEEvT1_.uses_vcc, 0
	.set _ZN7rocprim17ROCPRIM_400000_NS6detail17trampoline_kernelINS0_14default_configENS1_25transform_config_selectorItLb0EEEZNS1_14transform_implILb0ES3_S5_NS0_18transform_iteratorINS0_17counting_iteratorImlEEZNS1_24adjacent_difference_implIS3_Lb1ELb0EPtSB_N6thrust23THRUST_200600_302600_NS4plusItEEEE10hipError_tPvRmT2_T3_mT4_P12ihipStream_tbEUlmE_tEESB_NS0_8identityIvEEEESG_SJ_SK_mSL_SN_bEUlT_E_NS1_11comp_targetILNS1_3genE9ELNS1_11target_archE1100ELNS1_3gpuE3ELNS1_3repE0EEENS1_30default_config_static_selectorELNS0_4arch9wavefront6targetE1EEEvT1_.uses_flat_scratch, 0
	.set _ZN7rocprim17ROCPRIM_400000_NS6detail17trampoline_kernelINS0_14default_configENS1_25transform_config_selectorItLb0EEEZNS1_14transform_implILb0ES3_S5_NS0_18transform_iteratorINS0_17counting_iteratorImlEEZNS1_24adjacent_difference_implIS3_Lb1ELb0EPtSB_N6thrust23THRUST_200600_302600_NS4plusItEEEE10hipError_tPvRmT2_T3_mT4_P12ihipStream_tbEUlmE_tEESB_NS0_8identityIvEEEESG_SJ_SK_mSL_SN_bEUlT_E_NS1_11comp_targetILNS1_3genE9ELNS1_11target_archE1100ELNS1_3gpuE3ELNS1_3repE0EEENS1_30default_config_static_selectorELNS0_4arch9wavefront6targetE1EEEvT1_.has_dyn_sized_stack, 0
	.set _ZN7rocprim17ROCPRIM_400000_NS6detail17trampoline_kernelINS0_14default_configENS1_25transform_config_selectorItLb0EEEZNS1_14transform_implILb0ES3_S5_NS0_18transform_iteratorINS0_17counting_iteratorImlEEZNS1_24adjacent_difference_implIS3_Lb1ELb0EPtSB_N6thrust23THRUST_200600_302600_NS4plusItEEEE10hipError_tPvRmT2_T3_mT4_P12ihipStream_tbEUlmE_tEESB_NS0_8identityIvEEEESG_SJ_SK_mSL_SN_bEUlT_E_NS1_11comp_targetILNS1_3genE9ELNS1_11target_archE1100ELNS1_3gpuE3ELNS1_3repE0EEENS1_30default_config_static_selectorELNS0_4arch9wavefront6targetE1EEEvT1_.has_recursion, 0
	.set _ZN7rocprim17ROCPRIM_400000_NS6detail17trampoline_kernelINS0_14default_configENS1_25transform_config_selectorItLb0EEEZNS1_14transform_implILb0ES3_S5_NS0_18transform_iteratorINS0_17counting_iteratorImlEEZNS1_24adjacent_difference_implIS3_Lb1ELb0EPtSB_N6thrust23THRUST_200600_302600_NS4plusItEEEE10hipError_tPvRmT2_T3_mT4_P12ihipStream_tbEUlmE_tEESB_NS0_8identityIvEEEESG_SJ_SK_mSL_SN_bEUlT_E_NS1_11comp_targetILNS1_3genE9ELNS1_11target_archE1100ELNS1_3gpuE3ELNS1_3repE0EEENS1_30default_config_static_selectorELNS0_4arch9wavefront6targetE1EEEvT1_.has_indirect_call, 0
	.section	.AMDGPU.csdata,"",@progbits
; Kernel info:
; codeLenInByte = 0
; TotalNumSgprs: 4
; NumVgprs: 0
; ScratchSize: 0
; MemoryBound: 0
; FloatMode: 240
; IeeeMode: 1
; LDSByteSize: 0 bytes/workgroup (compile time only)
; SGPRBlocks: 0
; VGPRBlocks: 0
; NumSGPRsForWavesPerEU: 4
; NumVGPRsForWavesPerEU: 1
; Occupancy: 10
; WaveLimiterHint : 0
; COMPUTE_PGM_RSRC2:SCRATCH_EN: 0
; COMPUTE_PGM_RSRC2:USER_SGPR: 6
; COMPUTE_PGM_RSRC2:TRAP_HANDLER: 0
; COMPUTE_PGM_RSRC2:TGID_X_EN: 1
; COMPUTE_PGM_RSRC2:TGID_Y_EN: 0
; COMPUTE_PGM_RSRC2:TGID_Z_EN: 0
; COMPUTE_PGM_RSRC2:TIDIG_COMP_CNT: 0
	.section	.text._ZN7rocprim17ROCPRIM_400000_NS6detail17trampoline_kernelINS0_14default_configENS1_25transform_config_selectorItLb0EEEZNS1_14transform_implILb0ES3_S5_NS0_18transform_iteratorINS0_17counting_iteratorImlEEZNS1_24adjacent_difference_implIS3_Lb1ELb0EPtSB_N6thrust23THRUST_200600_302600_NS4plusItEEEE10hipError_tPvRmT2_T3_mT4_P12ihipStream_tbEUlmE_tEESB_NS0_8identityIvEEEESG_SJ_SK_mSL_SN_bEUlT_E_NS1_11comp_targetILNS1_3genE8ELNS1_11target_archE1030ELNS1_3gpuE2ELNS1_3repE0EEENS1_30default_config_static_selectorELNS0_4arch9wavefront6targetE1EEEvT1_,"axG",@progbits,_ZN7rocprim17ROCPRIM_400000_NS6detail17trampoline_kernelINS0_14default_configENS1_25transform_config_selectorItLb0EEEZNS1_14transform_implILb0ES3_S5_NS0_18transform_iteratorINS0_17counting_iteratorImlEEZNS1_24adjacent_difference_implIS3_Lb1ELb0EPtSB_N6thrust23THRUST_200600_302600_NS4plusItEEEE10hipError_tPvRmT2_T3_mT4_P12ihipStream_tbEUlmE_tEESB_NS0_8identityIvEEEESG_SJ_SK_mSL_SN_bEUlT_E_NS1_11comp_targetILNS1_3genE8ELNS1_11target_archE1030ELNS1_3gpuE2ELNS1_3repE0EEENS1_30default_config_static_selectorELNS0_4arch9wavefront6targetE1EEEvT1_,comdat
	.protected	_ZN7rocprim17ROCPRIM_400000_NS6detail17trampoline_kernelINS0_14default_configENS1_25transform_config_selectorItLb0EEEZNS1_14transform_implILb0ES3_S5_NS0_18transform_iteratorINS0_17counting_iteratorImlEEZNS1_24adjacent_difference_implIS3_Lb1ELb0EPtSB_N6thrust23THRUST_200600_302600_NS4plusItEEEE10hipError_tPvRmT2_T3_mT4_P12ihipStream_tbEUlmE_tEESB_NS0_8identityIvEEEESG_SJ_SK_mSL_SN_bEUlT_E_NS1_11comp_targetILNS1_3genE8ELNS1_11target_archE1030ELNS1_3gpuE2ELNS1_3repE0EEENS1_30default_config_static_selectorELNS0_4arch9wavefront6targetE1EEEvT1_ ; -- Begin function _ZN7rocprim17ROCPRIM_400000_NS6detail17trampoline_kernelINS0_14default_configENS1_25transform_config_selectorItLb0EEEZNS1_14transform_implILb0ES3_S5_NS0_18transform_iteratorINS0_17counting_iteratorImlEEZNS1_24adjacent_difference_implIS3_Lb1ELb0EPtSB_N6thrust23THRUST_200600_302600_NS4plusItEEEE10hipError_tPvRmT2_T3_mT4_P12ihipStream_tbEUlmE_tEESB_NS0_8identityIvEEEESG_SJ_SK_mSL_SN_bEUlT_E_NS1_11comp_targetILNS1_3genE8ELNS1_11target_archE1030ELNS1_3gpuE2ELNS1_3repE0EEENS1_30default_config_static_selectorELNS0_4arch9wavefront6targetE1EEEvT1_
	.globl	_ZN7rocprim17ROCPRIM_400000_NS6detail17trampoline_kernelINS0_14default_configENS1_25transform_config_selectorItLb0EEEZNS1_14transform_implILb0ES3_S5_NS0_18transform_iteratorINS0_17counting_iteratorImlEEZNS1_24adjacent_difference_implIS3_Lb1ELb0EPtSB_N6thrust23THRUST_200600_302600_NS4plusItEEEE10hipError_tPvRmT2_T3_mT4_P12ihipStream_tbEUlmE_tEESB_NS0_8identityIvEEEESG_SJ_SK_mSL_SN_bEUlT_E_NS1_11comp_targetILNS1_3genE8ELNS1_11target_archE1030ELNS1_3gpuE2ELNS1_3repE0EEENS1_30default_config_static_selectorELNS0_4arch9wavefront6targetE1EEEvT1_
	.p2align	8
	.type	_ZN7rocprim17ROCPRIM_400000_NS6detail17trampoline_kernelINS0_14default_configENS1_25transform_config_selectorItLb0EEEZNS1_14transform_implILb0ES3_S5_NS0_18transform_iteratorINS0_17counting_iteratorImlEEZNS1_24adjacent_difference_implIS3_Lb1ELb0EPtSB_N6thrust23THRUST_200600_302600_NS4plusItEEEE10hipError_tPvRmT2_T3_mT4_P12ihipStream_tbEUlmE_tEESB_NS0_8identityIvEEEESG_SJ_SK_mSL_SN_bEUlT_E_NS1_11comp_targetILNS1_3genE8ELNS1_11target_archE1030ELNS1_3gpuE2ELNS1_3repE0EEENS1_30default_config_static_selectorELNS0_4arch9wavefront6targetE1EEEvT1_,@function
_ZN7rocprim17ROCPRIM_400000_NS6detail17trampoline_kernelINS0_14default_configENS1_25transform_config_selectorItLb0EEEZNS1_14transform_implILb0ES3_S5_NS0_18transform_iteratorINS0_17counting_iteratorImlEEZNS1_24adjacent_difference_implIS3_Lb1ELb0EPtSB_N6thrust23THRUST_200600_302600_NS4plusItEEEE10hipError_tPvRmT2_T3_mT4_P12ihipStream_tbEUlmE_tEESB_NS0_8identityIvEEEESG_SJ_SK_mSL_SN_bEUlT_E_NS1_11comp_targetILNS1_3genE8ELNS1_11target_archE1030ELNS1_3gpuE2ELNS1_3repE0EEENS1_30default_config_static_selectorELNS0_4arch9wavefront6targetE1EEEvT1_: ; @_ZN7rocprim17ROCPRIM_400000_NS6detail17trampoline_kernelINS0_14default_configENS1_25transform_config_selectorItLb0EEEZNS1_14transform_implILb0ES3_S5_NS0_18transform_iteratorINS0_17counting_iteratorImlEEZNS1_24adjacent_difference_implIS3_Lb1ELb0EPtSB_N6thrust23THRUST_200600_302600_NS4plusItEEEE10hipError_tPvRmT2_T3_mT4_P12ihipStream_tbEUlmE_tEESB_NS0_8identityIvEEEESG_SJ_SK_mSL_SN_bEUlT_E_NS1_11comp_targetILNS1_3genE8ELNS1_11target_archE1030ELNS1_3gpuE2ELNS1_3repE0EEENS1_30default_config_static_selectorELNS0_4arch9wavefront6targetE1EEEvT1_
; %bb.0:
	.section	.rodata,"a",@progbits
	.p2align	6, 0x0
	.amdhsa_kernel _ZN7rocprim17ROCPRIM_400000_NS6detail17trampoline_kernelINS0_14default_configENS1_25transform_config_selectorItLb0EEEZNS1_14transform_implILb0ES3_S5_NS0_18transform_iteratorINS0_17counting_iteratorImlEEZNS1_24adjacent_difference_implIS3_Lb1ELb0EPtSB_N6thrust23THRUST_200600_302600_NS4plusItEEEE10hipError_tPvRmT2_T3_mT4_P12ihipStream_tbEUlmE_tEESB_NS0_8identityIvEEEESG_SJ_SK_mSL_SN_bEUlT_E_NS1_11comp_targetILNS1_3genE8ELNS1_11target_archE1030ELNS1_3gpuE2ELNS1_3repE0EEENS1_30default_config_static_selectorELNS0_4arch9wavefront6targetE1EEEvT1_
		.amdhsa_group_segment_fixed_size 0
		.amdhsa_private_segment_fixed_size 0
		.amdhsa_kernarg_size 56
		.amdhsa_user_sgpr_count 6
		.amdhsa_user_sgpr_private_segment_buffer 1
		.amdhsa_user_sgpr_dispatch_ptr 0
		.amdhsa_user_sgpr_queue_ptr 0
		.amdhsa_user_sgpr_kernarg_segment_ptr 1
		.amdhsa_user_sgpr_dispatch_id 0
		.amdhsa_user_sgpr_flat_scratch_init 0
		.amdhsa_user_sgpr_private_segment_size 0
		.amdhsa_uses_dynamic_stack 0
		.amdhsa_system_sgpr_private_segment_wavefront_offset 0
		.amdhsa_system_sgpr_workgroup_id_x 1
		.amdhsa_system_sgpr_workgroup_id_y 0
		.amdhsa_system_sgpr_workgroup_id_z 0
		.amdhsa_system_sgpr_workgroup_info 0
		.amdhsa_system_vgpr_workitem_id 0
		.amdhsa_next_free_vgpr 1
		.amdhsa_next_free_sgpr 0
		.amdhsa_reserve_vcc 0
		.amdhsa_reserve_flat_scratch 0
		.amdhsa_float_round_mode_32 0
		.amdhsa_float_round_mode_16_64 0
		.amdhsa_float_denorm_mode_32 3
		.amdhsa_float_denorm_mode_16_64 3
		.amdhsa_dx10_clamp 1
		.amdhsa_ieee_mode 1
		.amdhsa_fp16_overflow 0
		.amdhsa_exception_fp_ieee_invalid_op 0
		.amdhsa_exception_fp_denorm_src 0
		.amdhsa_exception_fp_ieee_div_zero 0
		.amdhsa_exception_fp_ieee_overflow 0
		.amdhsa_exception_fp_ieee_underflow 0
		.amdhsa_exception_fp_ieee_inexact 0
		.amdhsa_exception_int_div_zero 0
	.end_amdhsa_kernel
	.section	.text._ZN7rocprim17ROCPRIM_400000_NS6detail17trampoline_kernelINS0_14default_configENS1_25transform_config_selectorItLb0EEEZNS1_14transform_implILb0ES3_S5_NS0_18transform_iteratorINS0_17counting_iteratorImlEEZNS1_24adjacent_difference_implIS3_Lb1ELb0EPtSB_N6thrust23THRUST_200600_302600_NS4plusItEEEE10hipError_tPvRmT2_T3_mT4_P12ihipStream_tbEUlmE_tEESB_NS0_8identityIvEEEESG_SJ_SK_mSL_SN_bEUlT_E_NS1_11comp_targetILNS1_3genE8ELNS1_11target_archE1030ELNS1_3gpuE2ELNS1_3repE0EEENS1_30default_config_static_selectorELNS0_4arch9wavefront6targetE1EEEvT1_,"axG",@progbits,_ZN7rocprim17ROCPRIM_400000_NS6detail17trampoline_kernelINS0_14default_configENS1_25transform_config_selectorItLb0EEEZNS1_14transform_implILb0ES3_S5_NS0_18transform_iteratorINS0_17counting_iteratorImlEEZNS1_24adjacent_difference_implIS3_Lb1ELb0EPtSB_N6thrust23THRUST_200600_302600_NS4plusItEEEE10hipError_tPvRmT2_T3_mT4_P12ihipStream_tbEUlmE_tEESB_NS0_8identityIvEEEESG_SJ_SK_mSL_SN_bEUlT_E_NS1_11comp_targetILNS1_3genE8ELNS1_11target_archE1030ELNS1_3gpuE2ELNS1_3repE0EEENS1_30default_config_static_selectorELNS0_4arch9wavefront6targetE1EEEvT1_,comdat
.Lfunc_end247:
	.size	_ZN7rocprim17ROCPRIM_400000_NS6detail17trampoline_kernelINS0_14default_configENS1_25transform_config_selectorItLb0EEEZNS1_14transform_implILb0ES3_S5_NS0_18transform_iteratorINS0_17counting_iteratorImlEEZNS1_24adjacent_difference_implIS3_Lb1ELb0EPtSB_N6thrust23THRUST_200600_302600_NS4plusItEEEE10hipError_tPvRmT2_T3_mT4_P12ihipStream_tbEUlmE_tEESB_NS0_8identityIvEEEESG_SJ_SK_mSL_SN_bEUlT_E_NS1_11comp_targetILNS1_3genE8ELNS1_11target_archE1030ELNS1_3gpuE2ELNS1_3repE0EEENS1_30default_config_static_selectorELNS0_4arch9wavefront6targetE1EEEvT1_, .Lfunc_end247-_ZN7rocprim17ROCPRIM_400000_NS6detail17trampoline_kernelINS0_14default_configENS1_25transform_config_selectorItLb0EEEZNS1_14transform_implILb0ES3_S5_NS0_18transform_iteratorINS0_17counting_iteratorImlEEZNS1_24adjacent_difference_implIS3_Lb1ELb0EPtSB_N6thrust23THRUST_200600_302600_NS4plusItEEEE10hipError_tPvRmT2_T3_mT4_P12ihipStream_tbEUlmE_tEESB_NS0_8identityIvEEEESG_SJ_SK_mSL_SN_bEUlT_E_NS1_11comp_targetILNS1_3genE8ELNS1_11target_archE1030ELNS1_3gpuE2ELNS1_3repE0EEENS1_30default_config_static_selectorELNS0_4arch9wavefront6targetE1EEEvT1_
                                        ; -- End function
	.set _ZN7rocprim17ROCPRIM_400000_NS6detail17trampoline_kernelINS0_14default_configENS1_25transform_config_selectorItLb0EEEZNS1_14transform_implILb0ES3_S5_NS0_18transform_iteratorINS0_17counting_iteratorImlEEZNS1_24adjacent_difference_implIS3_Lb1ELb0EPtSB_N6thrust23THRUST_200600_302600_NS4plusItEEEE10hipError_tPvRmT2_T3_mT4_P12ihipStream_tbEUlmE_tEESB_NS0_8identityIvEEEESG_SJ_SK_mSL_SN_bEUlT_E_NS1_11comp_targetILNS1_3genE8ELNS1_11target_archE1030ELNS1_3gpuE2ELNS1_3repE0EEENS1_30default_config_static_selectorELNS0_4arch9wavefront6targetE1EEEvT1_.num_vgpr, 0
	.set _ZN7rocprim17ROCPRIM_400000_NS6detail17trampoline_kernelINS0_14default_configENS1_25transform_config_selectorItLb0EEEZNS1_14transform_implILb0ES3_S5_NS0_18transform_iteratorINS0_17counting_iteratorImlEEZNS1_24adjacent_difference_implIS3_Lb1ELb0EPtSB_N6thrust23THRUST_200600_302600_NS4plusItEEEE10hipError_tPvRmT2_T3_mT4_P12ihipStream_tbEUlmE_tEESB_NS0_8identityIvEEEESG_SJ_SK_mSL_SN_bEUlT_E_NS1_11comp_targetILNS1_3genE8ELNS1_11target_archE1030ELNS1_3gpuE2ELNS1_3repE0EEENS1_30default_config_static_selectorELNS0_4arch9wavefront6targetE1EEEvT1_.num_agpr, 0
	.set _ZN7rocprim17ROCPRIM_400000_NS6detail17trampoline_kernelINS0_14default_configENS1_25transform_config_selectorItLb0EEEZNS1_14transform_implILb0ES3_S5_NS0_18transform_iteratorINS0_17counting_iteratorImlEEZNS1_24adjacent_difference_implIS3_Lb1ELb0EPtSB_N6thrust23THRUST_200600_302600_NS4plusItEEEE10hipError_tPvRmT2_T3_mT4_P12ihipStream_tbEUlmE_tEESB_NS0_8identityIvEEEESG_SJ_SK_mSL_SN_bEUlT_E_NS1_11comp_targetILNS1_3genE8ELNS1_11target_archE1030ELNS1_3gpuE2ELNS1_3repE0EEENS1_30default_config_static_selectorELNS0_4arch9wavefront6targetE1EEEvT1_.numbered_sgpr, 0
	.set _ZN7rocprim17ROCPRIM_400000_NS6detail17trampoline_kernelINS0_14default_configENS1_25transform_config_selectorItLb0EEEZNS1_14transform_implILb0ES3_S5_NS0_18transform_iteratorINS0_17counting_iteratorImlEEZNS1_24adjacent_difference_implIS3_Lb1ELb0EPtSB_N6thrust23THRUST_200600_302600_NS4plusItEEEE10hipError_tPvRmT2_T3_mT4_P12ihipStream_tbEUlmE_tEESB_NS0_8identityIvEEEESG_SJ_SK_mSL_SN_bEUlT_E_NS1_11comp_targetILNS1_3genE8ELNS1_11target_archE1030ELNS1_3gpuE2ELNS1_3repE0EEENS1_30default_config_static_selectorELNS0_4arch9wavefront6targetE1EEEvT1_.num_named_barrier, 0
	.set _ZN7rocprim17ROCPRIM_400000_NS6detail17trampoline_kernelINS0_14default_configENS1_25transform_config_selectorItLb0EEEZNS1_14transform_implILb0ES3_S5_NS0_18transform_iteratorINS0_17counting_iteratorImlEEZNS1_24adjacent_difference_implIS3_Lb1ELb0EPtSB_N6thrust23THRUST_200600_302600_NS4plusItEEEE10hipError_tPvRmT2_T3_mT4_P12ihipStream_tbEUlmE_tEESB_NS0_8identityIvEEEESG_SJ_SK_mSL_SN_bEUlT_E_NS1_11comp_targetILNS1_3genE8ELNS1_11target_archE1030ELNS1_3gpuE2ELNS1_3repE0EEENS1_30default_config_static_selectorELNS0_4arch9wavefront6targetE1EEEvT1_.private_seg_size, 0
	.set _ZN7rocprim17ROCPRIM_400000_NS6detail17trampoline_kernelINS0_14default_configENS1_25transform_config_selectorItLb0EEEZNS1_14transform_implILb0ES3_S5_NS0_18transform_iteratorINS0_17counting_iteratorImlEEZNS1_24adjacent_difference_implIS3_Lb1ELb0EPtSB_N6thrust23THRUST_200600_302600_NS4plusItEEEE10hipError_tPvRmT2_T3_mT4_P12ihipStream_tbEUlmE_tEESB_NS0_8identityIvEEEESG_SJ_SK_mSL_SN_bEUlT_E_NS1_11comp_targetILNS1_3genE8ELNS1_11target_archE1030ELNS1_3gpuE2ELNS1_3repE0EEENS1_30default_config_static_selectorELNS0_4arch9wavefront6targetE1EEEvT1_.uses_vcc, 0
	.set _ZN7rocprim17ROCPRIM_400000_NS6detail17trampoline_kernelINS0_14default_configENS1_25transform_config_selectorItLb0EEEZNS1_14transform_implILb0ES3_S5_NS0_18transform_iteratorINS0_17counting_iteratorImlEEZNS1_24adjacent_difference_implIS3_Lb1ELb0EPtSB_N6thrust23THRUST_200600_302600_NS4plusItEEEE10hipError_tPvRmT2_T3_mT4_P12ihipStream_tbEUlmE_tEESB_NS0_8identityIvEEEESG_SJ_SK_mSL_SN_bEUlT_E_NS1_11comp_targetILNS1_3genE8ELNS1_11target_archE1030ELNS1_3gpuE2ELNS1_3repE0EEENS1_30default_config_static_selectorELNS0_4arch9wavefront6targetE1EEEvT1_.uses_flat_scratch, 0
	.set _ZN7rocprim17ROCPRIM_400000_NS6detail17trampoline_kernelINS0_14default_configENS1_25transform_config_selectorItLb0EEEZNS1_14transform_implILb0ES3_S5_NS0_18transform_iteratorINS0_17counting_iteratorImlEEZNS1_24adjacent_difference_implIS3_Lb1ELb0EPtSB_N6thrust23THRUST_200600_302600_NS4plusItEEEE10hipError_tPvRmT2_T3_mT4_P12ihipStream_tbEUlmE_tEESB_NS0_8identityIvEEEESG_SJ_SK_mSL_SN_bEUlT_E_NS1_11comp_targetILNS1_3genE8ELNS1_11target_archE1030ELNS1_3gpuE2ELNS1_3repE0EEENS1_30default_config_static_selectorELNS0_4arch9wavefront6targetE1EEEvT1_.has_dyn_sized_stack, 0
	.set _ZN7rocprim17ROCPRIM_400000_NS6detail17trampoline_kernelINS0_14default_configENS1_25transform_config_selectorItLb0EEEZNS1_14transform_implILb0ES3_S5_NS0_18transform_iteratorINS0_17counting_iteratorImlEEZNS1_24adjacent_difference_implIS3_Lb1ELb0EPtSB_N6thrust23THRUST_200600_302600_NS4plusItEEEE10hipError_tPvRmT2_T3_mT4_P12ihipStream_tbEUlmE_tEESB_NS0_8identityIvEEEESG_SJ_SK_mSL_SN_bEUlT_E_NS1_11comp_targetILNS1_3genE8ELNS1_11target_archE1030ELNS1_3gpuE2ELNS1_3repE0EEENS1_30default_config_static_selectorELNS0_4arch9wavefront6targetE1EEEvT1_.has_recursion, 0
	.set _ZN7rocprim17ROCPRIM_400000_NS6detail17trampoline_kernelINS0_14default_configENS1_25transform_config_selectorItLb0EEEZNS1_14transform_implILb0ES3_S5_NS0_18transform_iteratorINS0_17counting_iteratorImlEEZNS1_24adjacent_difference_implIS3_Lb1ELb0EPtSB_N6thrust23THRUST_200600_302600_NS4plusItEEEE10hipError_tPvRmT2_T3_mT4_P12ihipStream_tbEUlmE_tEESB_NS0_8identityIvEEEESG_SJ_SK_mSL_SN_bEUlT_E_NS1_11comp_targetILNS1_3genE8ELNS1_11target_archE1030ELNS1_3gpuE2ELNS1_3repE0EEENS1_30default_config_static_selectorELNS0_4arch9wavefront6targetE1EEEvT1_.has_indirect_call, 0
	.section	.AMDGPU.csdata,"",@progbits
; Kernel info:
; codeLenInByte = 0
; TotalNumSgprs: 4
; NumVgprs: 0
; ScratchSize: 0
; MemoryBound: 0
; FloatMode: 240
; IeeeMode: 1
; LDSByteSize: 0 bytes/workgroup (compile time only)
; SGPRBlocks: 0
; VGPRBlocks: 0
; NumSGPRsForWavesPerEU: 4
; NumVGPRsForWavesPerEU: 1
; Occupancy: 10
; WaveLimiterHint : 0
; COMPUTE_PGM_RSRC2:SCRATCH_EN: 0
; COMPUTE_PGM_RSRC2:USER_SGPR: 6
; COMPUTE_PGM_RSRC2:TRAP_HANDLER: 0
; COMPUTE_PGM_RSRC2:TGID_X_EN: 1
; COMPUTE_PGM_RSRC2:TGID_Y_EN: 0
; COMPUTE_PGM_RSRC2:TGID_Z_EN: 0
; COMPUTE_PGM_RSRC2:TIDIG_COMP_CNT: 0
	.section	.text._ZN7rocprim17ROCPRIM_400000_NS6detail17trampoline_kernelINS0_14default_configENS1_35adjacent_difference_config_selectorILb1EtEEZNS1_24adjacent_difference_implIS3_Lb1ELb0EPtS7_N6thrust23THRUST_200600_302600_NS4plusItEEEE10hipError_tPvRmT2_T3_mT4_P12ihipStream_tbEUlT_E_NS1_11comp_targetILNS1_3genE0ELNS1_11target_archE4294967295ELNS1_3gpuE0ELNS1_3repE0EEENS1_30default_config_static_selectorELNS0_4arch9wavefront6targetE1EEEvT1_,"axG",@progbits,_ZN7rocprim17ROCPRIM_400000_NS6detail17trampoline_kernelINS0_14default_configENS1_35adjacent_difference_config_selectorILb1EtEEZNS1_24adjacent_difference_implIS3_Lb1ELb0EPtS7_N6thrust23THRUST_200600_302600_NS4plusItEEEE10hipError_tPvRmT2_T3_mT4_P12ihipStream_tbEUlT_E_NS1_11comp_targetILNS1_3genE0ELNS1_11target_archE4294967295ELNS1_3gpuE0ELNS1_3repE0EEENS1_30default_config_static_selectorELNS0_4arch9wavefront6targetE1EEEvT1_,comdat
	.protected	_ZN7rocprim17ROCPRIM_400000_NS6detail17trampoline_kernelINS0_14default_configENS1_35adjacent_difference_config_selectorILb1EtEEZNS1_24adjacent_difference_implIS3_Lb1ELb0EPtS7_N6thrust23THRUST_200600_302600_NS4plusItEEEE10hipError_tPvRmT2_T3_mT4_P12ihipStream_tbEUlT_E_NS1_11comp_targetILNS1_3genE0ELNS1_11target_archE4294967295ELNS1_3gpuE0ELNS1_3repE0EEENS1_30default_config_static_selectorELNS0_4arch9wavefront6targetE1EEEvT1_ ; -- Begin function _ZN7rocprim17ROCPRIM_400000_NS6detail17trampoline_kernelINS0_14default_configENS1_35adjacent_difference_config_selectorILb1EtEEZNS1_24adjacent_difference_implIS3_Lb1ELb0EPtS7_N6thrust23THRUST_200600_302600_NS4plusItEEEE10hipError_tPvRmT2_T3_mT4_P12ihipStream_tbEUlT_E_NS1_11comp_targetILNS1_3genE0ELNS1_11target_archE4294967295ELNS1_3gpuE0ELNS1_3repE0EEENS1_30default_config_static_selectorELNS0_4arch9wavefront6targetE1EEEvT1_
	.globl	_ZN7rocprim17ROCPRIM_400000_NS6detail17trampoline_kernelINS0_14default_configENS1_35adjacent_difference_config_selectorILb1EtEEZNS1_24adjacent_difference_implIS3_Lb1ELb0EPtS7_N6thrust23THRUST_200600_302600_NS4plusItEEEE10hipError_tPvRmT2_T3_mT4_P12ihipStream_tbEUlT_E_NS1_11comp_targetILNS1_3genE0ELNS1_11target_archE4294967295ELNS1_3gpuE0ELNS1_3repE0EEENS1_30default_config_static_selectorELNS0_4arch9wavefront6targetE1EEEvT1_
	.p2align	8
	.type	_ZN7rocprim17ROCPRIM_400000_NS6detail17trampoline_kernelINS0_14default_configENS1_35adjacent_difference_config_selectorILb1EtEEZNS1_24adjacent_difference_implIS3_Lb1ELb0EPtS7_N6thrust23THRUST_200600_302600_NS4plusItEEEE10hipError_tPvRmT2_T3_mT4_P12ihipStream_tbEUlT_E_NS1_11comp_targetILNS1_3genE0ELNS1_11target_archE4294967295ELNS1_3gpuE0ELNS1_3repE0EEENS1_30default_config_static_selectorELNS0_4arch9wavefront6targetE1EEEvT1_,@function
_ZN7rocprim17ROCPRIM_400000_NS6detail17trampoline_kernelINS0_14default_configENS1_35adjacent_difference_config_selectorILb1EtEEZNS1_24adjacent_difference_implIS3_Lb1ELb0EPtS7_N6thrust23THRUST_200600_302600_NS4plusItEEEE10hipError_tPvRmT2_T3_mT4_P12ihipStream_tbEUlT_E_NS1_11comp_targetILNS1_3genE0ELNS1_11target_archE4294967295ELNS1_3gpuE0ELNS1_3repE0EEENS1_30default_config_static_selectorELNS0_4arch9wavefront6targetE1EEEvT1_: ; @_ZN7rocprim17ROCPRIM_400000_NS6detail17trampoline_kernelINS0_14default_configENS1_35adjacent_difference_config_selectorILb1EtEEZNS1_24adjacent_difference_implIS3_Lb1ELb0EPtS7_N6thrust23THRUST_200600_302600_NS4plusItEEEE10hipError_tPvRmT2_T3_mT4_P12ihipStream_tbEUlT_E_NS1_11comp_targetILNS1_3genE0ELNS1_11target_archE4294967295ELNS1_3gpuE0ELNS1_3repE0EEENS1_30default_config_static_selectorELNS0_4arch9wavefront6targetE1EEEvT1_
; %bb.0:
	.section	.rodata,"a",@progbits
	.p2align	6, 0x0
	.amdhsa_kernel _ZN7rocprim17ROCPRIM_400000_NS6detail17trampoline_kernelINS0_14default_configENS1_35adjacent_difference_config_selectorILb1EtEEZNS1_24adjacent_difference_implIS3_Lb1ELb0EPtS7_N6thrust23THRUST_200600_302600_NS4plusItEEEE10hipError_tPvRmT2_T3_mT4_P12ihipStream_tbEUlT_E_NS1_11comp_targetILNS1_3genE0ELNS1_11target_archE4294967295ELNS1_3gpuE0ELNS1_3repE0EEENS1_30default_config_static_selectorELNS0_4arch9wavefront6targetE1EEEvT1_
		.amdhsa_group_segment_fixed_size 0
		.amdhsa_private_segment_fixed_size 0
		.amdhsa_kernarg_size 56
		.amdhsa_user_sgpr_count 6
		.amdhsa_user_sgpr_private_segment_buffer 1
		.amdhsa_user_sgpr_dispatch_ptr 0
		.amdhsa_user_sgpr_queue_ptr 0
		.amdhsa_user_sgpr_kernarg_segment_ptr 1
		.amdhsa_user_sgpr_dispatch_id 0
		.amdhsa_user_sgpr_flat_scratch_init 0
		.amdhsa_user_sgpr_private_segment_size 0
		.amdhsa_uses_dynamic_stack 0
		.amdhsa_system_sgpr_private_segment_wavefront_offset 0
		.amdhsa_system_sgpr_workgroup_id_x 1
		.amdhsa_system_sgpr_workgroup_id_y 0
		.amdhsa_system_sgpr_workgroup_id_z 0
		.amdhsa_system_sgpr_workgroup_info 0
		.amdhsa_system_vgpr_workitem_id 0
		.amdhsa_next_free_vgpr 1
		.amdhsa_next_free_sgpr 0
		.amdhsa_reserve_vcc 0
		.amdhsa_reserve_flat_scratch 0
		.amdhsa_float_round_mode_32 0
		.amdhsa_float_round_mode_16_64 0
		.amdhsa_float_denorm_mode_32 3
		.amdhsa_float_denorm_mode_16_64 3
		.amdhsa_dx10_clamp 1
		.amdhsa_ieee_mode 1
		.amdhsa_fp16_overflow 0
		.amdhsa_exception_fp_ieee_invalid_op 0
		.amdhsa_exception_fp_denorm_src 0
		.amdhsa_exception_fp_ieee_div_zero 0
		.amdhsa_exception_fp_ieee_overflow 0
		.amdhsa_exception_fp_ieee_underflow 0
		.amdhsa_exception_fp_ieee_inexact 0
		.amdhsa_exception_int_div_zero 0
	.end_amdhsa_kernel
	.section	.text._ZN7rocprim17ROCPRIM_400000_NS6detail17trampoline_kernelINS0_14default_configENS1_35adjacent_difference_config_selectorILb1EtEEZNS1_24adjacent_difference_implIS3_Lb1ELb0EPtS7_N6thrust23THRUST_200600_302600_NS4plusItEEEE10hipError_tPvRmT2_T3_mT4_P12ihipStream_tbEUlT_E_NS1_11comp_targetILNS1_3genE0ELNS1_11target_archE4294967295ELNS1_3gpuE0ELNS1_3repE0EEENS1_30default_config_static_selectorELNS0_4arch9wavefront6targetE1EEEvT1_,"axG",@progbits,_ZN7rocprim17ROCPRIM_400000_NS6detail17trampoline_kernelINS0_14default_configENS1_35adjacent_difference_config_selectorILb1EtEEZNS1_24adjacent_difference_implIS3_Lb1ELb0EPtS7_N6thrust23THRUST_200600_302600_NS4plusItEEEE10hipError_tPvRmT2_T3_mT4_P12ihipStream_tbEUlT_E_NS1_11comp_targetILNS1_3genE0ELNS1_11target_archE4294967295ELNS1_3gpuE0ELNS1_3repE0EEENS1_30default_config_static_selectorELNS0_4arch9wavefront6targetE1EEEvT1_,comdat
.Lfunc_end248:
	.size	_ZN7rocprim17ROCPRIM_400000_NS6detail17trampoline_kernelINS0_14default_configENS1_35adjacent_difference_config_selectorILb1EtEEZNS1_24adjacent_difference_implIS3_Lb1ELb0EPtS7_N6thrust23THRUST_200600_302600_NS4plusItEEEE10hipError_tPvRmT2_T3_mT4_P12ihipStream_tbEUlT_E_NS1_11comp_targetILNS1_3genE0ELNS1_11target_archE4294967295ELNS1_3gpuE0ELNS1_3repE0EEENS1_30default_config_static_selectorELNS0_4arch9wavefront6targetE1EEEvT1_, .Lfunc_end248-_ZN7rocprim17ROCPRIM_400000_NS6detail17trampoline_kernelINS0_14default_configENS1_35adjacent_difference_config_selectorILb1EtEEZNS1_24adjacent_difference_implIS3_Lb1ELb0EPtS7_N6thrust23THRUST_200600_302600_NS4plusItEEEE10hipError_tPvRmT2_T3_mT4_P12ihipStream_tbEUlT_E_NS1_11comp_targetILNS1_3genE0ELNS1_11target_archE4294967295ELNS1_3gpuE0ELNS1_3repE0EEENS1_30default_config_static_selectorELNS0_4arch9wavefront6targetE1EEEvT1_
                                        ; -- End function
	.set _ZN7rocprim17ROCPRIM_400000_NS6detail17trampoline_kernelINS0_14default_configENS1_35adjacent_difference_config_selectorILb1EtEEZNS1_24adjacent_difference_implIS3_Lb1ELb0EPtS7_N6thrust23THRUST_200600_302600_NS4plusItEEEE10hipError_tPvRmT2_T3_mT4_P12ihipStream_tbEUlT_E_NS1_11comp_targetILNS1_3genE0ELNS1_11target_archE4294967295ELNS1_3gpuE0ELNS1_3repE0EEENS1_30default_config_static_selectorELNS0_4arch9wavefront6targetE1EEEvT1_.num_vgpr, 0
	.set _ZN7rocprim17ROCPRIM_400000_NS6detail17trampoline_kernelINS0_14default_configENS1_35adjacent_difference_config_selectorILb1EtEEZNS1_24adjacent_difference_implIS3_Lb1ELb0EPtS7_N6thrust23THRUST_200600_302600_NS4plusItEEEE10hipError_tPvRmT2_T3_mT4_P12ihipStream_tbEUlT_E_NS1_11comp_targetILNS1_3genE0ELNS1_11target_archE4294967295ELNS1_3gpuE0ELNS1_3repE0EEENS1_30default_config_static_selectorELNS0_4arch9wavefront6targetE1EEEvT1_.num_agpr, 0
	.set _ZN7rocprim17ROCPRIM_400000_NS6detail17trampoline_kernelINS0_14default_configENS1_35adjacent_difference_config_selectorILb1EtEEZNS1_24adjacent_difference_implIS3_Lb1ELb0EPtS7_N6thrust23THRUST_200600_302600_NS4plusItEEEE10hipError_tPvRmT2_T3_mT4_P12ihipStream_tbEUlT_E_NS1_11comp_targetILNS1_3genE0ELNS1_11target_archE4294967295ELNS1_3gpuE0ELNS1_3repE0EEENS1_30default_config_static_selectorELNS0_4arch9wavefront6targetE1EEEvT1_.numbered_sgpr, 0
	.set _ZN7rocprim17ROCPRIM_400000_NS6detail17trampoline_kernelINS0_14default_configENS1_35adjacent_difference_config_selectorILb1EtEEZNS1_24adjacent_difference_implIS3_Lb1ELb0EPtS7_N6thrust23THRUST_200600_302600_NS4plusItEEEE10hipError_tPvRmT2_T3_mT4_P12ihipStream_tbEUlT_E_NS1_11comp_targetILNS1_3genE0ELNS1_11target_archE4294967295ELNS1_3gpuE0ELNS1_3repE0EEENS1_30default_config_static_selectorELNS0_4arch9wavefront6targetE1EEEvT1_.num_named_barrier, 0
	.set _ZN7rocprim17ROCPRIM_400000_NS6detail17trampoline_kernelINS0_14default_configENS1_35adjacent_difference_config_selectorILb1EtEEZNS1_24adjacent_difference_implIS3_Lb1ELb0EPtS7_N6thrust23THRUST_200600_302600_NS4plusItEEEE10hipError_tPvRmT2_T3_mT4_P12ihipStream_tbEUlT_E_NS1_11comp_targetILNS1_3genE0ELNS1_11target_archE4294967295ELNS1_3gpuE0ELNS1_3repE0EEENS1_30default_config_static_selectorELNS0_4arch9wavefront6targetE1EEEvT1_.private_seg_size, 0
	.set _ZN7rocprim17ROCPRIM_400000_NS6detail17trampoline_kernelINS0_14default_configENS1_35adjacent_difference_config_selectorILb1EtEEZNS1_24adjacent_difference_implIS3_Lb1ELb0EPtS7_N6thrust23THRUST_200600_302600_NS4plusItEEEE10hipError_tPvRmT2_T3_mT4_P12ihipStream_tbEUlT_E_NS1_11comp_targetILNS1_3genE0ELNS1_11target_archE4294967295ELNS1_3gpuE0ELNS1_3repE0EEENS1_30default_config_static_selectorELNS0_4arch9wavefront6targetE1EEEvT1_.uses_vcc, 0
	.set _ZN7rocprim17ROCPRIM_400000_NS6detail17trampoline_kernelINS0_14default_configENS1_35adjacent_difference_config_selectorILb1EtEEZNS1_24adjacent_difference_implIS3_Lb1ELb0EPtS7_N6thrust23THRUST_200600_302600_NS4plusItEEEE10hipError_tPvRmT2_T3_mT4_P12ihipStream_tbEUlT_E_NS1_11comp_targetILNS1_3genE0ELNS1_11target_archE4294967295ELNS1_3gpuE0ELNS1_3repE0EEENS1_30default_config_static_selectorELNS0_4arch9wavefront6targetE1EEEvT1_.uses_flat_scratch, 0
	.set _ZN7rocprim17ROCPRIM_400000_NS6detail17trampoline_kernelINS0_14default_configENS1_35adjacent_difference_config_selectorILb1EtEEZNS1_24adjacent_difference_implIS3_Lb1ELb0EPtS7_N6thrust23THRUST_200600_302600_NS4plusItEEEE10hipError_tPvRmT2_T3_mT4_P12ihipStream_tbEUlT_E_NS1_11comp_targetILNS1_3genE0ELNS1_11target_archE4294967295ELNS1_3gpuE0ELNS1_3repE0EEENS1_30default_config_static_selectorELNS0_4arch9wavefront6targetE1EEEvT1_.has_dyn_sized_stack, 0
	.set _ZN7rocprim17ROCPRIM_400000_NS6detail17trampoline_kernelINS0_14default_configENS1_35adjacent_difference_config_selectorILb1EtEEZNS1_24adjacent_difference_implIS3_Lb1ELb0EPtS7_N6thrust23THRUST_200600_302600_NS4plusItEEEE10hipError_tPvRmT2_T3_mT4_P12ihipStream_tbEUlT_E_NS1_11comp_targetILNS1_3genE0ELNS1_11target_archE4294967295ELNS1_3gpuE0ELNS1_3repE0EEENS1_30default_config_static_selectorELNS0_4arch9wavefront6targetE1EEEvT1_.has_recursion, 0
	.set _ZN7rocprim17ROCPRIM_400000_NS6detail17trampoline_kernelINS0_14default_configENS1_35adjacent_difference_config_selectorILb1EtEEZNS1_24adjacent_difference_implIS3_Lb1ELb0EPtS7_N6thrust23THRUST_200600_302600_NS4plusItEEEE10hipError_tPvRmT2_T3_mT4_P12ihipStream_tbEUlT_E_NS1_11comp_targetILNS1_3genE0ELNS1_11target_archE4294967295ELNS1_3gpuE0ELNS1_3repE0EEENS1_30default_config_static_selectorELNS0_4arch9wavefront6targetE1EEEvT1_.has_indirect_call, 0
	.section	.AMDGPU.csdata,"",@progbits
; Kernel info:
; codeLenInByte = 0
; TotalNumSgprs: 4
; NumVgprs: 0
; ScratchSize: 0
; MemoryBound: 0
; FloatMode: 240
; IeeeMode: 1
; LDSByteSize: 0 bytes/workgroup (compile time only)
; SGPRBlocks: 0
; VGPRBlocks: 0
; NumSGPRsForWavesPerEU: 4
; NumVGPRsForWavesPerEU: 1
; Occupancy: 10
; WaveLimiterHint : 0
; COMPUTE_PGM_RSRC2:SCRATCH_EN: 0
; COMPUTE_PGM_RSRC2:USER_SGPR: 6
; COMPUTE_PGM_RSRC2:TRAP_HANDLER: 0
; COMPUTE_PGM_RSRC2:TGID_X_EN: 1
; COMPUTE_PGM_RSRC2:TGID_Y_EN: 0
; COMPUTE_PGM_RSRC2:TGID_Z_EN: 0
; COMPUTE_PGM_RSRC2:TIDIG_COMP_CNT: 0
	.section	.text._ZN7rocprim17ROCPRIM_400000_NS6detail17trampoline_kernelINS0_14default_configENS1_35adjacent_difference_config_selectorILb1EtEEZNS1_24adjacent_difference_implIS3_Lb1ELb0EPtS7_N6thrust23THRUST_200600_302600_NS4plusItEEEE10hipError_tPvRmT2_T3_mT4_P12ihipStream_tbEUlT_E_NS1_11comp_targetILNS1_3genE10ELNS1_11target_archE1201ELNS1_3gpuE5ELNS1_3repE0EEENS1_30default_config_static_selectorELNS0_4arch9wavefront6targetE1EEEvT1_,"axG",@progbits,_ZN7rocprim17ROCPRIM_400000_NS6detail17trampoline_kernelINS0_14default_configENS1_35adjacent_difference_config_selectorILb1EtEEZNS1_24adjacent_difference_implIS3_Lb1ELb0EPtS7_N6thrust23THRUST_200600_302600_NS4plusItEEEE10hipError_tPvRmT2_T3_mT4_P12ihipStream_tbEUlT_E_NS1_11comp_targetILNS1_3genE10ELNS1_11target_archE1201ELNS1_3gpuE5ELNS1_3repE0EEENS1_30default_config_static_selectorELNS0_4arch9wavefront6targetE1EEEvT1_,comdat
	.protected	_ZN7rocprim17ROCPRIM_400000_NS6detail17trampoline_kernelINS0_14default_configENS1_35adjacent_difference_config_selectorILb1EtEEZNS1_24adjacent_difference_implIS3_Lb1ELb0EPtS7_N6thrust23THRUST_200600_302600_NS4plusItEEEE10hipError_tPvRmT2_T3_mT4_P12ihipStream_tbEUlT_E_NS1_11comp_targetILNS1_3genE10ELNS1_11target_archE1201ELNS1_3gpuE5ELNS1_3repE0EEENS1_30default_config_static_selectorELNS0_4arch9wavefront6targetE1EEEvT1_ ; -- Begin function _ZN7rocprim17ROCPRIM_400000_NS6detail17trampoline_kernelINS0_14default_configENS1_35adjacent_difference_config_selectorILb1EtEEZNS1_24adjacent_difference_implIS3_Lb1ELb0EPtS7_N6thrust23THRUST_200600_302600_NS4plusItEEEE10hipError_tPvRmT2_T3_mT4_P12ihipStream_tbEUlT_E_NS1_11comp_targetILNS1_3genE10ELNS1_11target_archE1201ELNS1_3gpuE5ELNS1_3repE0EEENS1_30default_config_static_selectorELNS0_4arch9wavefront6targetE1EEEvT1_
	.globl	_ZN7rocprim17ROCPRIM_400000_NS6detail17trampoline_kernelINS0_14default_configENS1_35adjacent_difference_config_selectorILb1EtEEZNS1_24adjacent_difference_implIS3_Lb1ELb0EPtS7_N6thrust23THRUST_200600_302600_NS4plusItEEEE10hipError_tPvRmT2_T3_mT4_P12ihipStream_tbEUlT_E_NS1_11comp_targetILNS1_3genE10ELNS1_11target_archE1201ELNS1_3gpuE5ELNS1_3repE0EEENS1_30default_config_static_selectorELNS0_4arch9wavefront6targetE1EEEvT1_
	.p2align	8
	.type	_ZN7rocprim17ROCPRIM_400000_NS6detail17trampoline_kernelINS0_14default_configENS1_35adjacent_difference_config_selectorILb1EtEEZNS1_24adjacent_difference_implIS3_Lb1ELb0EPtS7_N6thrust23THRUST_200600_302600_NS4plusItEEEE10hipError_tPvRmT2_T3_mT4_P12ihipStream_tbEUlT_E_NS1_11comp_targetILNS1_3genE10ELNS1_11target_archE1201ELNS1_3gpuE5ELNS1_3repE0EEENS1_30default_config_static_selectorELNS0_4arch9wavefront6targetE1EEEvT1_,@function
_ZN7rocprim17ROCPRIM_400000_NS6detail17trampoline_kernelINS0_14default_configENS1_35adjacent_difference_config_selectorILb1EtEEZNS1_24adjacent_difference_implIS3_Lb1ELb0EPtS7_N6thrust23THRUST_200600_302600_NS4plusItEEEE10hipError_tPvRmT2_T3_mT4_P12ihipStream_tbEUlT_E_NS1_11comp_targetILNS1_3genE10ELNS1_11target_archE1201ELNS1_3gpuE5ELNS1_3repE0EEENS1_30default_config_static_selectorELNS0_4arch9wavefront6targetE1EEEvT1_: ; @_ZN7rocprim17ROCPRIM_400000_NS6detail17trampoline_kernelINS0_14default_configENS1_35adjacent_difference_config_selectorILb1EtEEZNS1_24adjacent_difference_implIS3_Lb1ELb0EPtS7_N6thrust23THRUST_200600_302600_NS4plusItEEEE10hipError_tPvRmT2_T3_mT4_P12ihipStream_tbEUlT_E_NS1_11comp_targetILNS1_3genE10ELNS1_11target_archE1201ELNS1_3gpuE5ELNS1_3repE0EEENS1_30default_config_static_selectorELNS0_4arch9wavefront6targetE1EEEvT1_
; %bb.0:
	.section	.rodata,"a",@progbits
	.p2align	6, 0x0
	.amdhsa_kernel _ZN7rocprim17ROCPRIM_400000_NS6detail17trampoline_kernelINS0_14default_configENS1_35adjacent_difference_config_selectorILb1EtEEZNS1_24adjacent_difference_implIS3_Lb1ELb0EPtS7_N6thrust23THRUST_200600_302600_NS4plusItEEEE10hipError_tPvRmT2_T3_mT4_P12ihipStream_tbEUlT_E_NS1_11comp_targetILNS1_3genE10ELNS1_11target_archE1201ELNS1_3gpuE5ELNS1_3repE0EEENS1_30default_config_static_selectorELNS0_4arch9wavefront6targetE1EEEvT1_
		.amdhsa_group_segment_fixed_size 0
		.amdhsa_private_segment_fixed_size 0
		.amdhsa_kernarg_size 56
		.amdhsa_user_sgpr_count 6
		.amdhsa_user_sgpr_private_segment_buffer 1
		.amdhsa_user_sgpr_dispatch_ptr 0
		.amdhsa_user_sgpr_queue_ptr 0
		.amdhsa_user_sgpr_kernarg_segment_ptr 1
		.amdhsa_user_sgpr_dispatch_id 0
		.amdhsa_user_sgpr_flat_scratch_init 0
		.amdhsa_user_sgpr_private_segment_size 0
		.amdhsa_uses_dynamic_stack 0
		.amdhsa_system_sgpr_private_segment_wavefront_offset 0
		.amdhsa_system_sgpr_workgroup_id_x 1
		.amdhsa_system_sgpr_workgroup_id_y 0
		.amdhsa_system_sgpr_workgroup_id_z 0
		.amdhsa_system_sgpr_workgroup_info 0
		.amdhsa_system_vgpr_workitem_id 0
		.amdhsa_next_free_vgpr 1
		.amdhsa_next_free_sgpr 0
		.amdhsa_reserve_vcc 0
		.amdhsa_reserve_flat_scratch 0
		.amdhsa_float_round_mode_32 0
		.amdhsa_float_round_mode_16_64 0
		.amdhsa_float_denorm_mode_32 3
		.amdhsa_float_denorm_mode_16_64 3
		.amdhsa_dx10_clamp 1
		.amdhsa_ieee_mode 1
		.amdhsa_fp16_overflow 0
		.amdhsa_exception_fp_ieee_invalid_op 0
		.amdhsa_exception_fp_denorm_src 0
		.amdhsa_exception_fp_ieee_div_zero 0
		.amdhsa_exception_fp_ieee_overflow 0
		.amdhsa_exception_fp_ieee_underflow 0
		.amdhsa_exception_fp_ieee_inexact 0
		.amdhsa_exception_int_div_zero 0
	.end_amdhsa_kernel
	.section	.text._ZN7rocprim17ROCPRIM_400000_NS6detail17trampoline_kernelINS0_14default_configENS1_35adjacent_difference_config_selectorILb1EtEEZNS1_24adjacent_difference_implIS3_Lb1ELb0EPtS7_N6thrust23THRUST_200600_302600_NS4plusItEEEE10hipError_tPvRmT2_T3_mT4_P12ihipStream_tbEUlT_E_NS1_11comp_targetILNS1_3genE10ELNS1_11target_archE1201ELNS1_3gpuE5ELNS1_3repE0EEENS1_30default_config_static_selectorELNS0_4arch9wavefront6targetE1EEEvT1_,"axG",@progbits,_ZN7rocprim17ROCPRIM_400000_NS6detail17trampoline_kernelINS0_14default_configENS1_35adjacent_difference_config_selectorILb1EtEEZNS1_24adjacent_difference_implIS3_Lb1ELb0EPtS7_N6thrust23THRUST_200600_302600_NS4plusItEEEE10hipError_tPvRmT2_T3_mT4_P12ihipStream_tbEUlT_E_NS1_11comp_targetILNS1_3genE10ELNS1_11target_archE1201ELNS1_3gpuE5ELNS1_3repE0EEENS1_30default_config_static_selectorELNS0_4arch9wavefront6targetE1EEEvT1_,comdat
.Lfunc_end249:
	.size	_ZN7rocprim17ROCPRIM_400000_NS6detail17trampoline_kernelINS0_14default_configENS1_35adjacent_difference_config_selectorILb1EtEEZNS1_24adjacent_difference_implIS3_Lb1ELb0EPtS7_N6thrust23THRUST_200600_302600_NS4plusItEEEE10hipError_tPvRmT2_T3_mT4_P12ihipStream_tbEUlT_E_NS1_11comp_targetILNS1_3genE10ELNS1_11target_archE1201ELNS1_3gpuE5ELNS1_3repE0EEENS1_30default_config_static_selectorELNS0_4arch9wavefront6targetE1EEEvT1_, .Lfunc_end249-_ZN7rocprim17ROCPRIM_400000_NS6detail17trampoline_kernelINS0_14default_configENS1_35adjacent_difference_config_selectorILb1EtEEZNS1_24adjacent_difference_implIS3_Lb1ELb0EPtS7_N6thrust23THRUST_200600_302600_NS4plusItEEEE10hipError_tPvRmT2_T3_mT4_P12ihipStream_tbEUlT_E_NS1_11comp_targetILNS1_3genE10ELNS1_11target_archE1201ELNS1_3gpuE5ELNS1_3repE0EEENS1_30default_config_static_selectorELNS0_4arch9wavefront6targetE1EEEvT1_
                                        ; -- End function
	.set _ZN7rocprim17ROCPRIM_400000_NS6detail17trampoline_kernelINS0_14default_configENS1_35adjacent_difference_config_selectorILb1EtEEZNS1_24adjacent_difference_implIS3_Lb1ELb0EPtS7_N6thrust23THRUST_200600_302600_NS4plusItEEEE10hipError_tPvRmT2_T3_mT4_P12ihipStream_tbEUlT_E_NS1_11comp_targetILNS1_3genE10ELNS1_11target_archE1201ELNS1_3gpuE5ELNS1_3repE0EEENS1_30default_config_static_selectorELNS0_4arch9wavefront6targetE1EEEvT1_.num_vgpr, 0
	.set _ZN7rocprim17ROCPRIM_400000_NS6detail17trampoline_kernelINS0_14default_configENS1_35adjacent_difference_config_selectorILb1EtEEZNS1_24adjacent_difference_implIS3_Lb1ELb0EPtS7_N6thrust23THRUST_200600_302600_NS4plusItEEEE10hipError_tPvRmT2_T3_mT4_P12ihipStream_tbEUlT_E_NS1_11comp_targetILNS1_3genE10ELNS1_11target_archE1201ELNS1_3gpuE5ELNS1_3repE0EEENS1_30default_config_static_selectorELNS0_4arch9wavefront6targetE1EEEvT1_.num_agpr, 0
	.set _ZN7rocprim17ROCPRIM_400000_NS6detail17trampoline_kernelINS0_14default_configENS1_35adjacent_difference_config_selectorILb1EtEEZNS1_24adjacent_difference_implIS3_Lb1ELb0EPtS7_N6thrust23THRUST_200600_302600_NS4plusItEEEE10hipError_tPvRmT2_T3_mT4_P12ihipStream_tbEUlT_E_NS1_11comp_targetILNS1_3genE10ELNS1_11target_archE1201ELNS1_3gpuE5ELNS1_3repE0EEENS1_30default_config_static_selectorELNS0_4arch9wavefront6targetE1EEEvT1_.numbered_sgpr, 0
	.set _ZN7rocprim17ROCPRIM_400000_NS6detail17trampoline_kernelINS0_14default_configENS1_35adjacent_difference_config_selectorILb1EtEEZNS1_24adjacent_difference_implIS3_Lb1ELb0EPtS7_N6thrust23THRUST_200600_302600_NS4plusItEEEE10hipError_tPvRmT2_T3_mT4_P12ihipStream_tbEUlT_E_NS1_11comp_targetILNS1_3genE10ELNS1_11target_archE1201ELNS1_3gpuE5ELNS1_3repE0EEENS1_30default_config_static_selectorELNS0_4arch9wavefront6targetE1EEEvT1_.num_named_barrier, 0
	.set _ZN7rocprim17ROCPRIM_400000_NS6detail17trampoline_kernelINS0_14default_configENS1_35adjacent_difference_config_selectorILb1EtEEZNS1_24adjacent_difference_implIS3_Lb1ELb0EPtS7_N6thrust23THRUST_200600_302600_NS4plusItEEEE10hipError_tPvRmT2_T3_mT4_P12ihipStream_tbEUlT_E_NS1_11comp_targetILNS1_3genE10ELNS1_11target_archE1201ELNS1_3gpuE5ELNS1_3repE0EEENS1_30default_config_static_selectorELNS0_4arch9wavefront6targetE1EEEvT1_.private_seg_size, 0
	.set _ZN7rocprim17ROCPRIM_400000_NS6detail17trampoline_kernelINS0_14default_configENS1_35adjacent_difference_config_selectorILb1EtEEZNS1_24adjacent_difference_implIS3_Lb1ELb0EPtS7_N6thrust23THRUST_200600_302600_NS4plusItEEEE10hipError_tPvRmT2_T3_mT4_P12ihipStream_tbEUlT_E_NS1_11comp_targetILNS1_3genE10ELNS1_11target_archE1201ELNS1_3gpuE5ELNS1_3repE0EEENS1_30default_config_static_selectorELNS0_4arch9wavefront6targetE1EEEvT1_.uses_vcc, 0
	.set _ZN7rocprim17ROCPRIM_400000_NS6detail17trampoline_kernelINS0_14default_configENS1_35adjacent_difference_config_selectorILb1EtEEZNS1_24adjacent_difference_implIS3_Lb1ELb0EPtS7_N6thrust23THRUST_200600_302600_NS4plusItEEEE10hipError_tPvRmT2_T3_mT4_P12ihipStream_tbEUlT_E_NS1_11comp_targetILNS1_3genE10ELNS1_11target_archE1201ELNS1_3gpuE5ELNS1_3repE0EEENS1_30default_config_static_selectorELNS0_4arch9wavefront6targetE1EEEvT1_.uses_flat_scratch, 0
	.set _ZN7rocprim17ROCPRIM_400000_NS6detail17trampoline_kernelINS0_14default_configENS1_35adjacent_difference_config_selectorILb1EtEEZNS1_24adjacent_difference_implIS3_Lb1ELb0EPtS7_N6thrust23THRUST_200600_302600_NS4plusItEEEE10hipError_tPvRmT2_T3_mT4_P12ihipStream_tbEUlT_E_NS1_11comp_targetILNS1_3genE10ELNS1_11target_archE1201ELNS1_3gpuE5ELNS1_3repE0EEENS1_30default_config_static_selectorELNS0_4arch9wavefront6targetE1EEEvT1_.has_dyn_sized_stack, 0
	.set _ZN7rocprim17ROCPRIM_400000_NS6detail17trampoline_kernelINS0_14default_configENS1_35adjacent_difference_config_selectorILb1EtEEZNS1_24adjacent_difference_implIS3_Lb1ELb0EPtS7_N6thrust23THRUST_200600_302600_NS4plusItEEEE10hipError_tPvRmT2_T3_mT4_P12ihipStream_tbEUlT_E_NS1_11comp_targetILNS1_3genE10ELNS1_11target_archE1201ELNS1_3gpuE5ELNS1_3repE0EEENS1_30default_config_static_selectorELNS0_4arch9wavefront6targetE1EEEvT1_.has_recursion, 0
	.set _ZN7rocprim17ROCPRIM_400000_NS6detail17trampoline_kernelINS0_14default_configENS1_35adjacent_difference_config_selectorILb1EtEEZNS1_24adjacent_difference_implIS3_Lb1ELb0EPtS7_N6thrust23THRUST_200600_302600_NS4plusItEEEE10hipError_tPvRmT2_T3_mT4_P12ihipStream_tbEUlT_E_NS1_11comp_targetILNS1_3genE10ELNS1_11target_archE1201ELNS1_3gpuE5ELNS1_3repE0EEENS1_30default_config_static_selectorELNS0_4arch9wavefront6targetE1EEEvT1_.has_indirect_call, 0
	.section	.AMDGPU.csdata,"",@progbits
; Kernel info:
; codeLenInByte = 0
; TotalNumSgprs: 4
; NumVgprs: 0
; ScratchSize: 0
; MemoryBound: 0
; FloatMode: 240
; IeeeMode: 1
; LDSByteSize: 0 bytes/workgroup (compile time only)
; SGPRBlocks: 0
; VGPRBlocks: 0
; NumSGPRsForWavesPerEU: 4
; NumVGPRsForWavesPerEU: 1
; Occupancy: 10
; WaveLimiterHint : 0
; COMPUTE_PGM_RSRC2:SCRATCH_EN: 0
; COMPUTE_PGM_RSRC2:USER_SGPR: 6
; COMPUTE_PGM_RSRC2:TRAP_HANDLER: 0
; COMPUTE_PGM_RSRC2:TGID_X_EN: 1
; COMPUTE_PGM_RSRC2:TGID_Y_EN: 0
; COMPUTE_PGM_RSRC2:TGID_Z_EN: 0
; COMPUTE_PGM_RSRC2:TIDIG_COMP_CNT: 0
	.section	.text._ZN7rocprim17ROCPRIM_400000_NS6detail17trampoline_kernelINS0_14default_configENS1_35adjacent_difference_config_selectorILb1EtEEZNS1_24adjacent_difference_implIS3_Lb1ELb0EPtS7_N6thrust23THRUST_200600_302600_NS4plusItEEEE10hipError_tPvRmT2_T3_mT4_P12ihipStream_tbEUlT_E_NS1_11comp_targetILNS1_3genE5ELNS1_11target_archE942ELNS1_3gpuE9ELNS1_3repE0EEENS1_30default_config_static_selectorELNS0_4arch9wavefront6targetE1EEEvT1_,"axG",@progbits,_ZN7rocprim17ROCPRIM_400000_NS6detail17trampoline_kernelINS0_14default_configENS1_35adjacent_difference_config_selectorILb1EtEEZNS1_24adjacent_difference_implIS3_Lb1ELb0EPtS7_N6thrust23THRUST_200600_302600_NS4plusItEEEE10hipError_tPvRmT2_T3_mT4_P12ihipStream_tbEUlT_E_NS1_11comp_targetILNS1_3genE5ELNS1_11target_archE942ELNS1_3gpuE9ELNS1_3repE0EEENS1_30default_config_static_selectorELNS0_4arch9wavefront6targetE1EEEvT1_,comdat
	.protected	_ZN7rocprim17ROCPRIM_400000_NS6detail17trampoline_kernelINS0_14default_configENS1_35adjacent_difference_config_selectorILb1EtEEZNS1_24adjacent_difference_implIS3_Lb1ELb0EPtS7_N6thrust23THRUST_200600_302600_NS4plusItEEEE10hipError_tPvRmT2_T3_mT4_P12ihipStream_tbEUlT_E_NS1_11comp_targetILNS1_3genE5ELNS1_11target_archE942ELNS1_3gpuE9ELNS1_3repE0EEENS1_30default_config_static_selectorELNS0_4arch9wavefront6targetE1EEEvT1_ ; -- Begin function _ZN7rocprim17ROCPRIM_400000_NS6detail17trampoline_kernelINS0_14default_configENS1_35adjacent_difference_config_selectorILb1EtEEZNS1_24adjacent_difference_implIS3_Lb1ELb0EPtS7_N6thrust23THRUST_200600_302600_NS4plusItEEEE10hipError_tPvRmT2_T3_mT4_P12ihipStream_tbEUlT_E_NS1_11comp_targetILNS1_3genE5ELNS1_11target_archE942ELNS1_3gpuE9ELNS1_3repE0EEENS1_30default_config_static_selectorELNS0_4arch9wavefront6targetE1EEEvT1_
	.globl	_ZN7rocprim17ROCPRIM_400000_NS6detail17trampoline_kernelINS0_14default_configENS1_35adjacent_difference_config_selectorILb1EtEEZNS1_24adjacent_difference_implIS3_Lb1ELb0EPtS7_N6thrust23THRUST_200600_302600_NS4plusItEEEE10hipError_tPvRmT2_T3_mT4_P12ihipStream_tbEUlT_E_NS1_11comp_targetILNS1_3genE5ELNS1_11target_archE942ELNS1_3gpuE9ELNS1_3repE0EEENS1_30default_config_static_selectorELNS0_4arch9wavefront6targetE1EEEvT1_
	.p2align	8
	.type	_ZN7rocprim17ROCPRIM_400000_NS6detail17trampoline_kernelINS0_14default_configENS1_35adjacent_difference_config_selectorILb1EtEEZNS1_24adjacent_difference_implIS3_Lb1ELb0EPtS7_N6thrust23THRUST_200600_302600_NS4plusItEEEE10hipError_tPvRmT2_T3_mT4_P12ihipStream_tbEUlT_E_NS1_11comp_targetILNS1_3genE5ELNS1_11target_archE942ELNS1_3gpuE9ELNS1_3repE0EEENS1_30default_config_static_selectorELNS0_4arch9wavefront6targetE1EEEvT1_,@function
_ZN7rocprim17ROCPRIM_400000_NS6detail17trampoline_kernelINS0_14default_configENS1_35adjacent_difference_config_selectorILb1EtEEZNS1_24adjacent_difference_implIS3_Lb1ELb0EPtS7_N6thrust23THRUST_200600_302600_NS4plusItEEEE10hipError_tPvRmT2_T3_mT4_P12ihipStream_tbEUlT_E_NS1_11comp_targetILNS1_3genE5ELNS1_11target_archE942ELNS1_3gpuE9ELNS1_3repE0EEENS1_30default_config_static_selectorELNS0_4arch9wavefront6targetE1EEEvT1_: ; @_ZN7rocprim17ROCPRIM_400000_NS6detail17trampoline_kernelINS0_14default_configENS1_35adjacent_difference_config_selectorILb1EtEEZNS1_24adjacent_difference_implIS3_Lb1ELb0EPtS7_N6thrust23THRUST_200600_302600_NS4plusItEEEE10hipError_tPvRmT2_T3_mT4_P12ihipStream_tbEUlT_E_NS1_11comp_targetILNS1_3genE5ELNS1_11target_archE942ELNS1_3gpuE9ELNS1_3repE0EEENS1_30default_config_static_selectorELNS0_4arch9wavefront6targetE1EEEvT1_
; %bb.0:
	.section	.rodata,"a",@progbits
	.p2align	6, 0x0
	.amdhsa_kernel _ZN7rocprim17ROCPRIM_400000_NS6detail17trampoline_kernelINS0_14default_configENS1_35adjacent_difference_config_selectorILb1EtEEZNS1_24adjacent_difference_implIS3_Lb1ELb0EPtS7_N6thrust23THRUST_200600_302600_NS4plusItEEEE10hipError_tPvRmT2_T3_mT4_P12ihipStream_tbEUlT_E_NS1_11comp_targetILNS1_3genE5ELNS1_11target_archE942ELNS1_3gpuE9ELNS1_3repE0EEENS1_30default_config_static_selectorELNS0_4arch9wavefront6targetE1EEEvT1_
		.amdhsa_group_segment_fixed_size 0
		.amdhsa_private_segment_fixed_size 0
		.amdhsa_kernarg_size 56
		.amdhsa_user_sgpr_count 6
		.amdhsa_user_sgpr_private_segment_buffer 1
		.amdhsa_user_sgpr_dispatch_ptr 0
		.amdhsa_user_sgpr_queue_ptr 0
		.amdhsa_user_sgpr_kernarg_segment_ptr 1
		.amdhsa_user_sgpr_dispatch_id 0
		.amdhsa_user_sgpr_flat_scratch_init 0
		.amdhsa_user_sgpr_private_segment_size 0
		.amdhsa_uses_dynamic_stack 0
		.amdhsa_system_sgpr_private_segment_wavefront_offset 0
		.amdhsa_system_sgpr_workgroup_id_x 1
		.amdhsa_system_sgpr_workgroup_id_y 0
		.amdhsa_system_sgpr_workgroup_id_z 0
		.amdhsa_system_sgpr_workgroup_info 0
		.amdhsa_system_vgpr_workitem_id 0
		.amdhsa_next_free_vgpr 1
		.amdhsa_next_free_sgpr 0
		.amdhsa_reserve_vcc 0
		.amdhsa_reserve_flat_scratch 0
		.amdhsa_float_round_mode_32 0
		.amdhsa_float_round_mode_16_64 0
		.amdhsa_float_denorm_mode_32 3
		.amdhsa_float_denorm_mode_16_64 3
		.amdhsa_dx10_clamp 1
		.amdhsa_ieee_mode 1
		.amdhsa_fp16_overflow 0
		.amdhsa_exception_fp_ieee_invalid_op 0
		.amdhsa_exception_fp_denorm_src 0
		.amdhsa_exception_fp_ieee_div_zero 0
		.amdhsa_exception_fp_ieee_overflow 0
		.amdhsa_exception_fp_ieee_underflow 0
		.amdhsa_exception_fp_ieee_inexact 0
		.amdhsa_exception_int_div_zero 0
	.end_amdhsa_kernel
	.section	.text._ZN7rocprim17ROCPRIM_400000_NS6detail17trampoline_kernelINS0_14default_configENS1_35adjacent_difference_config_selectorILb1EtEEZNS1_24adjacent_difference_implIS3_Lb1ELb0EPtS7_N6thrust23THRUST_200600_302600_NS4plusItEEEE10hipError_tPvRmT2_T3_mT4_P12ihipStream_tbEUlT_E_NS1_11comp_targetILNS1_3genE5ELNS1_11target_archE942ELNS1_3gpuE9ELNS1_3repE0EEENS1_30default_config_static_selectorELNS0_4arch9wavefront6targetE1EEEvT1_,"axG",@progbits,_ZN7rocprim17ROCPRIM_400000_NS6detail17trampoline_kernelINS0_14default_configENS1_35adjacent_difference_config_selectorILb1EtEEZNS1_24adjacent_difference_implIS3_Lb1ELb0EPtS7_N6thrust23THRUST_200600_302600_NS4plusItEEEE10hipError_tPvRmT2_T3_mT4_P12ihipStream_tbEUlT_E_NS1_11comp_targetILNS1_3genE5ELNS1_11target_archE942ELNS1_3gpuE9ELNS1_3repE0EEENS1_30default_config_static_selectorELNS0_4arch9wavefront6targetE1EEEvT1_,comdat
.Lfunc_end250:
	.size	_ZN7rocprim17ROCPRIM_400000_NS6detail17trampoline_kernelINS0_14default_configENS1_35adjacent_difference_config_selectorILb1EtEEZNS1_24adjacent_difference_implIS3_Lb1ELb0EPtS7_N6thrust23THRUST_200600_302600_NS4plusItEEEE10hipError_tPvRmT2_T3_mT4_P12ihipStream_tbEUlT_E_NS1_11comp_targetILNS1_3genE5ELNS1_11target_archE942ELNS1_3gpuE9ELNS1_3repE0EEENS1_30default_config_static_selectorELNS0_4arch9wavefront6targetE1EEEvT1_, .Lfunc_end250-_ZN7rocprim17ROCPRIM_400000_NS6detail17trampoline_kernelINS0_14default_configENS1_35adjacent_difference_config_selectorILb1EtEEZNS1_24adjacent_difference_implIS3_Lb1ELb0EPtS7_N6thrust23THRUST_200600_302600_NS4plusItEEEE10hipError_tPvRmT2_T3_mT4_P12ihipStream_tbEUlT_E_NS1_11comp_targetILNS1_3genE5ELNS1_11target_archE942ELNS1_3gpuE9ELNS1_3repE0EEENS1_30default_config_static_selectorELNS0_4arch9wavefront6targetE1EEEvT1_
                                        ; -- End function
	.set _ZN7rocprim17ROCPRIM_400000_NS6detail17trampoline_kernelINS0_14default_configENS1_35adjacent_difference_config_selectorILb1EtEEZNS1_24adjacent_difference_implIS3_Lb1ELb0EPtS7_N6thrust23THRUST_200600_302600_NS4plusItEEEE10hipError_tPvRmT2_T3_mT4_P12ihipStream_tbEUlT_E_NS1_11comp_targetILNS1_3genE5ELNS1_11target_archE942ELNS1_3gpuE9ELNS1_3repE0EEENS1_30default_config_static_selectorELNS0_4arch9wavefront6targetE1EEEvT1_.num_vgpr, 0
	.set _ZN7rocprim17ROCPRIM_400000_NS6detail17trampoline_kernelINS0_14default_configENS1_35adjacent_difference_config_selectorILb1EtEEZNS1_24adjacent_difference_implIS3_Lb1ELb0EPtS7_N6thrust23THRUST_200600_302600_NS4plusItEEEE10hipError_tPvRmT2_T3_mT4_P12ihipStream_tbEUlT_E_NS1_11comp_targetILNS1_3genE5ELNS1_11target_archE942ELNS1_3gpuE9ELNS1_3repE0EEENS1_30default_config_static_selectorELNS0_4arch9wavefront6targetE1EEEvT1_.num_agpr, 0
	.set _ZN7rocprim17ROCPRIM_400000_NS6detail17trampoline_kernelINS0_14default_configENS1_35adjacent_difference_config_selectorILb1EtEEZNS1_24adjacent_difference_implIS3_Lb1ELb0EPtS7_N6thrust23THRUST_200600_302600_NS4plusItEEEE10hipError_tPvRmT2_T3_mT4_P12ihipStream_tbEUlT_E_NS1_11comp_targetILNS1_3genE5ELNS1_11target_archE942ELNS1_3gpuE9ELNS1_3repE0EEENS1_30default_config_static_selectorELNS0_4arch9wavefront6targetE1EEEvT1_.numbered_sgpr, 0
	.set _ZN7rocprim17ROCPRIM_400000_NS6detail17trampoline_kernelINS0_14default_configENS1_35adjacent_difference_config_selectorILb1EtEEZNS1_24adjacent_difference_implIS3_Lb1ELb0EPtS7_N6thrust23THRUST_200600_302600_NS4plusItEEEE10hipError_tPvRmT2_T3_mT4_P12ihipStream_tbEUlT_E_NS1_11comp_targetILNS1_3genE5ELNS1_11target_archE942ELNS1_3gpuE9ELNS1_3repE0EEENS1_30default_config_static_selectorELNS0_4arch9wavefront6targetE1EEEvT1_.num_named_barrier, 0
	.set _ZN7rocprim17ROCPRIM_400000_NS6detail17trampoline_kernelINS0_14default_configENS1_35adjacent_difference_config_selectorILb1EtEEZNS1_24adjacent_difference_implIS3_Lb1ELb0EPtS7_N6thrust23THRUST_200600_302600_NS4plusItEEEE10hipError_tPvRmT2_T3_mT4_P12ihipStream_tbEUlT_E_NS1_11comp_targetILNS1_3genE5ELNS1_11target_archE942ELNS1_3gpuE9ELNS1_3repE0EEENS1_30default_config_static_selectorELNS0_4arch9wavefront6targetE1EEEvT1_.private_seg_size, 0
	.set _ZN7rocprim17ROCPRIM_400000_NS6detail17trampoline_kernelINS0_14default_configENS1_35adjacent_difference_config_selectorILb1EtEEZNS1_24adjacent_difference_implIS3_Lb1ELb0EPtS7_N6thrust23THRUST_200600_302600_NS4plusItEEEE10hipError_tPvRmT2_T3_mT4_P12ihipStream_tbEUlT_E_NS1_11comp_targetILNS1_3genE5ELNS1_11target_archE942ELNS1_3gpuE9ELNS1_3repE0EEENS1_30default_config_static_selectorELNS0_4arch9wavefront6targetE1EEEvT1_.uses_vcc, 0
	.set _ZN7rocprim17ROCPRIM_400000_NS6detail17trampoline_kernelINS0_14default_configENS1_35adjacent_difference_config_selectorILb1EtEEZNS1_24adjacent_difference_implIS3_Lb1ELb0EPtS7_N6thrust23THRUST_200600_302600_NS4plusItEEEE10hipError_tPvRmT2_T3_mT4_P12ihipStream_tbEUlT_E_NS1_11comp_targetILNS1_3genE5ELNS1_11target_archE942ELNS1_3gpuE9ELNS1_3repE0EEENS1_30default_config_static_selectorELNS0_4arch9wavefront6targetE1EEEvT1_.uses_flat_scratch, 0
	.set _ZN7rocprim17ROCPRIM_400000_NS6detail17trampoline_kernelINS0_14default_configENS1_35adjacent_difference_config_selectorILb1EtEEZNS1_24adjacent_difference_implIS3_Lb1ELb0EPtS7_N6thrust23THRUST_200600_302600_NS4plusItEEEE10hipError_tPvRmT2_T3_mT4_P12ihipStream_tbEUlT_E_NS1_11comp_targetILNS1_3genE5ELNS1_11target_archE942ELNS1_3gpuE9ELNS1_3repE0EEENS1_30default_config_static_selectorELNS0_4arch9wavefront6targetE1EEEvT1_.has_dyn_sized_stack, 0
	.set _ZN7rocprim17ROCPRIM_400000_NS6detail17trampoline_kernelINS0_14default_configENS1_35adjacent_difference_config_selectorILb1EtEEZNS1_24adjacent_difference_implIS3_Lb1ELb0EPtS7_N6thrust23THRUST_200600_302600_NS4plusItEEEE10hipError_tPvRmT2_T3_mT4_P12ihipStream_tbEUlT_E_NS1_11comp_targetILNS1_3genE5ELNS1_11target_archE942ELNS1_3gpuE9ELNS1_3repE0EEENS1_30default_config_static_selectorELNS0_4arch9wavefront6targetE1EEEvT1_.has_recursion, 0
	.set _ZN7rocprim17ROCPRIM_400000_NS6detail17trampoline_kernelINS0_14default_configENS1_35adjacent_difference_config_selectorILb1EtEEZNS1_24adjacent_difference_implIS3_Lb1ELb0EPtS7_N6thrust23THRUST_200600_302600_NS4plusItEEEE10hipError_tPvRmT2_T3_mT4_P12ihipStream_tbEUlT_E_NS1_11comp_targetILNS1_3genE5ELNS1_11target_archE942ELNS1_3gpuE9ELNS1_3repE0EEENS1_30default_config_static_selectorELNS0_4arch9wavefront6targetE1EEEvT1_.has_indirect_call, 0
	.section	.AMDGPU.csdata,"",@progbits
; Kernel info:
; codeLenInByte = 0
; TotalNumSgprs: 4
; NumVgprs: 0
; ScratchSize: 0
; MemoryBound: 0
; FloatMode: 240
; IeeeMode: 1
; LDSByteSize: 0 bytes/workgroup (compile time only)
; SGPRBlocks: 0
; VGPRBlocks: 0
; NumSGPRsForWavesPerEU: 4
; NumVGPRsForWavesPerEU: 1
; Occupancy: 10
; WaveLimiterHint : 0
; COMPUTE_PGM_RSRC2:SCRATCH_EN: 0
; COMPUTE_PGM_RSRC2:USER_SGPR: 6
; COMPUTE_PGM_RSRC2:TRAP_HANDLER: 0
; COMPUTE_PGM_RSRC2:TGID_X_EN: 1
; COMPUTE_PGM_RSRC2:TGID_Y_EN: 0
; COMPUTE_PGM_RSRC2:TGID_Z_EN: 0
; COMPUTE_PGM_RSRC2:TIDIG_COMP_CNT: 0
	.section	.text._ZN7rocprim17ROCPRIM_400000_NS6detail17trampoline_kernelINS0_14default_configENS1_35adjacent_difference_config_selectorILb1EtEEZNS1_24adjacent_difference_implIS3_Lb1ELb0EPtS7_N6thrust23THRUST_200600_302600_NS4plusItEEEE10hipError_tPvRmT2_T3_mT4_P12ihipStream_tbEUlT_E_NS1_11comp_targetILNS1_3genE4ELNS1_11target_archE910ELNS1_3gpuE8ELNS1_3repE0EEENS1_30default_config_static_selectorELNS0_4arch9wavefront6targetE1EEEvT1_,"axG",@progbits,_ZN7rocprim17ROCPRIM_400000_NS6detail17trampoline_kernelINS0_14default_configENS1_35adjacent_difference_config_selectorILb1EtEEZNS1_24adjacent_difference_implIS3_Lb1ELb0EPtS7_N6thrust23THRUST_200600_302600_NS4plusItEEEE10hipError_tPvRmT2_T3_mT4_P12ihipStream_tbEUlT_E_NS1_11comp_targetILNS1_3genE4ELNS1_11target_archE910ELNS1_3gpuE8ELNS1_3repE0EEENS1_30default_config_static_selectorELNS0_4arch9wavefront6targetE1EEEvT1_,comdat
	.protected	_ZN7rocprim17ROCPRIM_400000_NS6detail17trampoline_kernelINS0_14default_configENS1_35adjacent_difference_config_selectorILb1EtEEZNS1_24adjacent_difference_implIS3_Lb1ELb0EPtS7_N6thrust23THRUST_200600_302600_NS4plusItEEEE10hipError_tPvRmT2_T3_mT4_P12ihipStream_tbEUlT_E_NS1_11comp_targetILNS1_3genE4ELNS1_11target_archE910ELNS1_3gpuE8ELNS1_3repE0EEENS1_30default_config_static_selectorELNS0_4arch9wavefront6targetE1EEEvT1_ ; -- Begin function _ZN7rocprim17ROCPRIM_400000_NS6detail17trampoline_kernelINS0_14default_configENS1_35adjacent_difference_config_selectorILb1EtEEZNS1_24adjacent_difference_implIS3_Lb1ELb0EPtS7_N6thrust23THRUST_200600_302600_NS4plusItEEEE10hipError_tPvRmT2_T3_mT4_P12ihipStream_tbEUlT_E_NS1_11comp_targetILNS1_3genE4ELNS1_11target_archE910ELNS1_3gpuE8ELNS1_3repE0EEENS1_30default_config_static_selectorELNS0_4arch9wavefront6targetE1EEEvT1_
	.globl	_ZN7rocprim17ROCPRIM_400000_NS6detail17trampoline_kernelINS0_14default_configENS1_35adjacent_difference_config_selectorILb1EtEEZNS1_24adjacent_difference_implIS3_Lb1ELb0EPtS7_N6thrust23THRUST_200600_302600_NS4plusItEEEE10hipError_tPvRmT2_T3_mT4_P12ihipStream_tbEUlT_E_NS1_11comp_targetILNS1_3genE4ELNS1_11target_archE910ELNS1_3gpuE8ELNS1_3repE0EEENS1_30default_config_static_selectorELNS0_4arch9wavefront6targetE1EEEvT1_
	.p2align	8
	.type	_ZN7rocprim17ROCPRIM_400000_NS6detail17trampoline_kernelINS0_14default_configENS1_35adjacent_difference_config_selectorILb1EtEEZNS1_24adjacent_difference_implIS3_Lb1ELb0EPtS7_N6thrust23THRUST_200600_302600_NS4plusItEEEE10hipError_tPvRmT2_T3_mT4_P12ihipStream_tbEUlT_E_NS1_11comp_targetILNS1_3genE4ELNS1_11target_archE910ELNS1_3gpuE8ELNS1_3repE0EEENS1_30default_config_static_selectorELNS0_4arch9wavefront6targetE1EEEvT1_,@function
_ZN7rocprim17ROCPRIM_400000_NS6detail17trampoline_kernelINS0_14default_configENS1_35adjacent_difference_config_selectorILb1EtEEZNS1_24adjacent_difference_implIS3_Lb1ELb0EPtS7_N6thrust23THRUST_200600_302600_NS4plusItEEEE10hipError_tPvRmT2_T3_mT4_P12ihipStream_tbEUlT_E_NS1_11comp_targetILNS1_3genE4ELNS1_11target_archE910ELNS1_3gpuE8ELNS1_3repE0EEENS1_30default_config_static_selectorELNS0_4arch9wavefront6targetE1EEEvT1_: ; @_ZN7rocprim17ROCPRIM_400000_NS6detail17trampoline_kernelINS0_14default_configENS1_35adjacent_difference_config_selectorILb1EtEEZNS1_24adjacent_difference_implIS3_Lb1ELb0EPtS7_N6thrust23THRUST_200600_302600_NS4plusItEEEE10hipError_tPvRmT2_T3_mT4_P12ihipStream_tbEUlT_E_NS1_11comp_targetILNS1_3genE4ELNS1_11target_archE910ELNS1_3gpuE8ELNS1_3repE0EEENS1_30default_config_static_selectorELNS0_4arch9wavefront6targetE1EEEvT1_
; %bb.0:
	.section	.rodata,"a",@progbits
	.p2align	6, 0x0
	.amdhsa_kernel _ZN7rocprim17ROCPRIM_400000_NS6detail17trampoline_kernelINS0_14default_configENS1_35adjacent_difference_config_selectorILb1EtEEZNS1_24adjacent_difference_implIS3_Lb1ELb0EPtS7_N6thrust23THRUST_200600_302600_NS4plusItEEEE10hipError_tPvRmT2_T3_mT4_P12ihipStream_tbEUlT_E_NS1_11comp_targetILNS1_3genE4ELNS1_11target_archE910ELNS1_3gpuE8ELNS1_3repE0EEENS1_30default_config_static_selectorELNS0_4arch9wavefront6targetE1EEEvT1_
		.amdhsa_group_segment_fixed_size 0
		.amdhsa_private_segment_fixed_size 0
		.amdhsa_kernarg_size 56
		.amdhsa_user_sgpr_count 6
		.amdhsa_user_sgpr_private_segment_buffer 1
		.amdhsa_user_sgpr_dispatch_ptr 0
		.amdhsa_user_sgpr_queue_ptr 0
		.amdhsa_user_sgpr_kernarg_segment_ptr 1
		.amdhsa_user_sgpr_dispatch_id 0
		.amdhsa_user_sgpr_flat_scratch_init 0
		.amdhsa_user_sgpr_private_segment_size 0
		.amdhsa_uses_dynamic_stack 0
		.amdhsa_system_sgpr_private_segment_wavefront_offset 0
		.amdhsa_system_sgpr_workgroup_id_x 1
		.amdhsa_system_sgpr_workgroup_id_y 0
		.amdhsa_system_sgpr_workgroup_id_z 0
		.amdhsa_system_sgpr_workgroup_info 0
		.amdhsa_system_vgpr_workitem_id 0
		.amdhsa_next_free_vgpr 1
		.amdhsa_next_free_sgpr 0
		.amdhsa_reserve_vcc 0
		.amdhsa_reserve_flat_scratch 0
		.amdhsa_float_round_mode_32 0
		.amdhsa_float_round_mode_16_64 0
		.amdhsa_float_denorm_mode_32 3
		.amdhsa_float_denorm_mode_16_64 3
		.amdhsa_dx10_clamp 1
		.amdhsa_ieee_mode 1
		.amdhsa_fp16_overflow 0
		.amdhsa_exception_fp_ieee_invalid_op 0
		.amdhsa_exception_fp_denorm_src 0
		.amdhsa_exception_fp_ieee_div_zero 0
		.amdhsa_exception_fp_ieee_overflow 0
		.amdhsa_exception_fp_ieee_underflow 0
		.amdhsa_exception_fp_ieee_inexact 0
		.amdhsa_exception_int_div_zero 0
	.end_amdhsa_kernel
	.section	.text._ZN7rocprim17ROCPRIM_400000_NS6detail17trampoline_kernelINS0_14default_configENS1_35adjacent_difference_config_selectorILb1EtEEZNS1_24adjacent_difference_implIS3_Lb1ELb0EPtS7_N6thrust23THRUST_200600_302600_NS4plusItEEEE10hipError_tPvRmT2_T3_mT4_P12ihipStream_tbEUlT_E_NS1_11comp_targetILNS1_3genE4ELNS1_11target_archE910ELNS1_3gpuE8ELNS1_3repE0EEENS1_30default_config_static_selectorELNS0_4arch9wavefront6targetE1EEEvT1_,"axG",@progbits,_ZN7rocprim17ROCPRIM_400000_NS6detail17trampoline_kernelINS0_14default_configENS1_35adjacent_difference_config_selectorILb1EtEEZNS1_24adjacent_difference_implIS3_Lb1ELb0EPtS7_N6thrust23THRUST_200600_302600_NS4plusItEEEE10hipError_tPvRmT2_T3_mT4_P12ihipStream_tbEUlT_E_NS1_11comp_targetILNS1_3genE4ELNS1_11target_archE910ELNS1_3gpuE8ELNS1_3repE0EEENS1_30default_config_static_selectorELNS0_4arch9wavefront6targetE1EEEvT1_,comdat
.Lfunc_end251:
	.size	_ZN7rocprim17ROCPRIM_400000_NS6detail17trampoline_kernelINS0_14default_configENS1_35adjacent_difference_config_selectorILb1EtEEZNS1_24adjacent_difference_implIS3_Lb1ELb0EPtS7_N6thrust23THRUST_200600_302600_NS4plusItEEEE10hipError_tPvRmT2_T3_mT4_P12ihipStream_tbEUlT_E_NS1_11comp_targetILNS1_3genE4ELNS1_11target_archE910ELNS1_3gpuE8ELNS1_3repE0EEENS1_30default_config_static_selectorELNS0_4arch9wavefront6targetE1EEEvT1_, .Lfunc_end251-_ZN7rocprim17ROCPRIM_400000_NS6detail17trampoline_kernelINS0_14default_configENS1_35adjacent_difference_config_selectorILb1EtEEZNS1_24adjacent_difference_implIS3_Lb1ELb0EPtS7_N6thrust23THRUST_200600_302600_NS4plusItEEEE10hipError_tPvRmT2_T3_mT4_P12ihipStream_tbEUlT_E_NS1_11comp_targetILNS1_3genE4ELNS1_11target_archE910ELNS1_3gpuE8ELNS1_3repE0EEENS1_30default_config_static_selectorELNS0_4arch9wavefront6targetE1EEEvT1_
                                        ; -- End function
	.set _ZN7rocprim17ROCPRIM_400000_NS6detail17trampoline_kernelINS0_14default_configENS1_35adjacent_difference_config_selectorILb1EtEEZNS1_24adjacent_difference_implIS3_Lb1ELb0EPtS7_N6thrust23THRUST_200600_302600_NS4plusItEEEE10hipError_tPvRmT2_T3_mT4_P12ihipStream_tbEUlT_E_NS1_11comp_targetILNS1_3genE4ELNS1_11target_archE910ELNS1_3gpuE8ELNS1_3repE0EEENS1_30default_config_static_selectorELNS0_4arch9wavefront6targetE1EEEvT1_.num_vgpr, 0
	.set _ZN7rocprim17ROCPRIM_400000_NS6detail17trampoline_kernelINS0_14default_configENS1_35adjacent_difference_config_selectorILb1EtEEZNS1_24adjacent_difference_implIS3_Lb1ELb0EPtS7_N6thrust23THRUST_200600_302600_NS4plusItEEEE10hipError_tPvRmT2_T3_mT4_P12ihipStream_tbEUlT_E_NS1_11comp_targetILNS1_3genE4ELNS1_11target_archE910ELNS1_3gpuE8ELNS1_3repE0EEENS1_30default_config_static_selectorELNS0_4arch9wavefront6targetE1EEEvT1_.num_agpr, 0
	.set _ZN7rocprim17ROCPRIM_400000_NS6detail17trampoline_kernelINS0_14default_configENS1_35adjacent_difference_config_selectorILb1EtEEZNS1_24adjacent_difference_implIS3_Lb1ELb0EPtS7_N6thrust23THRUST_200600_302600_NS4plusItEEEE10hipError_tPvRmT2_T3_mT4_P12ihipStream_tbEUlT_E_NS1_11comp_targetILNS1_3genE4ELNS1_11target_archE910ELNS1_3gpuE8ELNS1_3repE0EEENS1_30default_config_static_selectorELNS0_4arch9wavefront6targetE1EEEvT1_.numbered_sgpr, 0
	.set _ZN7rocprim17ROCPRIM_400000_NS6detail17trampoline_kernelINS0_14default_configENS1_35adjacent_difference_config_selectorILb1EtEEZNS1_24adjacent_difference_implIS3_Lb1ELb0EPtS7_N6thrust23THRUST_200600_302600_NS4plusItEEEE10hipError_tPvRmT2_T3_mT4_P12ihipStream_tbEUlT_E_NS1_11comp_targetILNS1_3genE4ELNS1_11target_archE910ELNS1_3gpuE8ELNS1_3repE0EEENS1_30default_config_static_selectorELNS0_4arch9wavefront6targetE1EEEvT1_.num_named_barrier, 0
	.set _ZN7rocprim17ROCPRIM_400000_NS6detail17trampoline_kernelINS0_14default_configENS1_35adjacent_difference_config_selectorILb1EtEEZNS1_24adjacent_difference_implIS3_Lb1ELb0EPtS7_N6thrust23THRUST_200600_302600_NS4plusItEEEE10hipError_tPvRmT2_T3_mT4_P12ihipStream_tbEUlT_E_NS1_11comp_targetILNS1_3genE4ELNS1_11target_archE910ELNS1_3gpuE8ELNS1_3repE0EEENS1_30default_config_static_selectorELNS0_4arch9wavefront6targetE1EEEvT1_.private_seg_size, 0
	.set _ZN7rocprim17ROCPRIM_400000_NS6detail17trampoline_kernelINS0_14default_configENS1_35adjacent_difference_config_selectorILb1EtEEZNS1_24adjacent_difference_implIS3_Lb1ELb0EPtS7_N6thrust23THRUST_200600_302600_NS4plusItEEEE10hipError_tPvRmT2_T3_mT4_P12ihipStream_tbEUlT_E_NS1_11comp_targetILNS1_3genE4ELNS1_11target_archE910ELNS1_3gpuE8ELNS1_3repE0EEENS1_30default_config_static_selectorELNS0_4arch9wavefront6targetE1EEEvT1_.uses_vcc, 0
	.set _ZN7rocprim17ROCPRIM_400000_NS6detail17trampoline_kernelINS0_14default_configENS1_35adjacent_difference_config_selectorILb1EtEEZNS1_24adjacent_difference_implIS3_Lb1ELb0EPtS7_N6thrust23THRUST_200600_302600_NS4plusItEEEE10hipError_tPvRmT2_T3_mT4_P12ihipStream_tbEUlT_E_NS1_11comp_targetILNS1_3genE4ELNS1_11target_archE910ELNS1_3gpuE8ELNS1_3repE0EEENS1_30default_config_static_selectorELNS0_4arch9wavefront6targetE1EEEvT1_.uses_flat_scratch, 0
	.set _ZN7rocprim17ROCPRIM_400000_NS6detail17trampoline_kernelINS0_14default_configENS1_35adjacent_difference_config_selectorILb1EtEEZNS1_24adjacent_difference_implIS3_Lb1ELb0EPtS7_N6thrust23THRUST_200600_302600_NS4plusItEEEE10hipError_tPvRmT2_T3_mT4_P12ihipStream_tbEUlT_E_NS1_11comp_targetILNS1_3genE4ELNS1_11target_archE910ELNS1_3gpuE8ELNS1_3repE0EEENS1_30default_config_static_selectorELNS0_4arch9wavefront6targetE1EEEvT1_.has_dyn_sized_stack, 0
	.set _ZN7rocprim17ROCPRIM_400000_NS6detail17trampoline_kernelINS0_14default_configENS1_35adjacent_difference_config_selectorILb1EtEEZNS1_24adjacent_difference_implIS3_Lb1ELb0EPtS7_N6thrust23THRUST_200600_302600_NS4plusItEEEE10hipError_tPvRmT2_T3_mT4_P12ihipStream_tbEUlT_E_NS1_11comp_targetILNS1_3genE4ELNS1_11target_archE910ELNS1_3gpuE8ELNS1_3repE0EEENS1_30default_config_static_selectorELNS0_4arch9wavefront6targetE1EEEvT1_.has_recursion, 0
	.set _ZN7rocprim17ROCPRIM_400000_NS6detail17trampoline_kernelINS0_14default_configENS1_35adjacent_difference_config_selectorILb1EtEEZNS1_24adjacent_difference_implIS3_Lb1ELb0EPtS7_N6thrust23THRUST_200600_302600_NS4plusItEEEE10hipError_tPvRmT2_T3_mT4_P12ihipStream_tbEUlT_E_NS1_11comp_targetILNS1_3genE4ELNS1_11target_archE910ELNS1_3gpuE8ELNS1_3repE0EEENS1_30default_config_static_selectorELNS0_4arch9wavefront6targetE1EEEvT1_.has_indirect_call, 0
	.section	.AMDGPU.csdata,"",@progbits
; Kernel info:
; codeLenInByte = 0
; TotalNumSgprs: 4
; NumVgprs: 0
; ScratchSize: 0
; MemoryBound: 0
; FloatMode: 240
; IeeeMode: 1
; LDSByteSize: 0 bytes/workgroup (compile time only)
; SGPRBlocks: 0
; VGPRBlocks: 0
; NumSGPRsForWavesPerEU: 4
; NumVGPRsForWavesPerEU: 1
; Occupancy: 10
; WaveLimiterHint : 0
; COMPUTE_PGM_RSRC2:SCRATCH_EN: 0
; COMPUTE_PGM_RSRC2:USER_SGPR: 6
; COMPUTE_PGM_RSRC2:TRAP_HANDLER: 0
; COMPUTE_PGM_RSRC2:TGID_X_EN: 1
; COMPUTE_PGM_RSRC2:TGID_Y_EN: 0
; COMPUTE_PGM_RSRC2:TGID_Z_EN: 0
; COMPUTE_PGM_RSRC2:TIDIG_COMP_CNT: 0
	.section	.text._ZN7rocprim17ROCPRIM_400000_NS6detail17trampoline_kernelINS0_14default_configENS1_35adjacent_difference_config_selectorILb1EtEEZNS1_24adjacent_difference_implIS3_Lb1ELb0EPtS7_N6thrust23THRUST_200600_302600_NS4plusItEEEE10hipError_tPvRmT2_T3_mT4_P12ihipStream_tbEUlT_E_NS1_11comp_targetILNS1_3genE3ELNS1_11target_archE908ELNS1_3gpuE7ELNS1_3repE0EEENS1_30default_config_static_selectorELNS0_4arch9wavefront6targetE1EEEvT1_,"axG",@progbits,_ZN7rocprim17ROCPRIM_400000_NS6detail17trampoline_kernelINS0_14default_configENS1_35adjacent_difference_config_selectorILb1EtEEZNS1_24adjacent_difference_implIS3_Lb1ELb0EPtS7_N6thrust23THRUST_200600_302600_NS4plusItEEEE10hipError_tPvRmT2_T3_mT4_P12ihipStream_tbEUlT_E_NS1_11comp_targetILNS1_3genE3ELNS1_11target_archE908ELNS1_3gpuE7ELNS1_3repE0EEENS1_30default_config_static_selectorELNS0_4arch9wavefront6targetE1EEEvT1_,comdat
	.protected	_ZN7rocprim17ROCPRIM_400000_NS6detail17trampoline_kernelINS0_14default_configENS1_35adjacent_difference_config_selectorILb1EtEEZNS1_24adjacent_difference_implIS3_Lb1ELb0EPtS7_N6thrust23THRUST_200600_302600_NS4plusItEEEE10hipError_tPvRmT2_T3_mT4_P12ihipStream_tbEUlT_E_NS1_11comp_targetILNS1_3genE3ELNS1_11target_archE908ELNS1_3gpuE7ELNS1_3repE0EEENS1_30default_config_static_selectorELNS0_4arch9wavefront6targetE1EEEvT1_ ; -- Begin function _ZN7rocprim17ROCPRIM_400000_NS6detail17trampoline_kernelINS0_14default_configENS1_35adjacent_difference_config_selectorILb1EtEEZNS1_24adjacent_difference_implIS3_Lb1ELb0EPtS7_N6thrust23THRUST_200600_302600_NS4plusItEEEE10hipError_tPvRmT2_T3_mT4_P12ihipStream_tbEUlT_E_NS1_11comp_targetILNS1_3genE3ELNS1_11target_archE908ELNS1_3gpuE7ELNS1_3repE0EEENS1_30default_config_static_selectorELNS0_4arch9wavefront6targetE1EEEvT1_
	.globl	_ZN7rocprim17ROCPRIM_400000_NS6detail17trampoline_kernelINS0_14default_configENS1_35adjacent_difference_config_selectorILb1EtEEZNS1_24adjacent_difference_implIS3_Lb1ELb0EPtS7_N6thrust23THRUST_200600_302600_NS4plusItEEEE10hipError_tPvRmT2_T3_mT4_P12ihipStream_tbEUlT_E_NS1_11comp_targetILNS1_3genE3ELNS1_11target_archE908ELNS1_3gpuE7ELNS1_3repE0EEENS1_30default_config_static_selectorELNS0_4arch9wavefront6targetE1EEEvT1_
	.p2align	8
	.type	_ZN7rocprim17ROCPRIM_400000_NS6detail17trampoline_kernelINS0_14default_configENS1_35adjacent_difference_config_selectorILb1EtEEZNS1_24adjacent_difference_implIS3_Lb1ELb0EPtS7_N6thrust23THRUST_200600_302600_NS4plusItEEEE10hipError_tPvRmT2_T3_mT4_P12ihipStream_tbEUlT_E_NS1_11comp_targetILNS1_3genE3ELNS1_11target_archE908ELNS1_3gpuE7ELNS1_3repE0EEENS1_30default_config_static_selectorELNS0_4arch9wavefront6targetE1EEEvT1_,@function
_ZN7rocprim17ROCPRIM_400000_NS6detail17trampoline_kernelINS0_14default_configENS1_35adjacent_difference_config_selectorILb1EtEEZNS1_24adjacent_difference_implIS3_Lb1ELb0EPtS7_N6thrust23THRUST_200600_302600_NS4plusItEEEE10hipError_tPvRmT2_T3_mT4_P12ihipStream_tbEUlT_E_NS1_11comp_targetILNS1_3genE3ELNS1_11target_archE908ELNS1_3gpuE7ELNS1_3repE0EEENS1_30default_config_static_selectorELNS0_4arch9wavefront6targetE1EEEvT1_: ; @_ZN7rocprim17ROCPRIM_400000_NS6detail17trampoline_kernelINS0_14default_configENS1_35adjacent_difference_config_selectorILb1EtEEZNS1_24adjacent_difference_implIS3_Lb1ELb0EPtS7_N6thrust23THRUST_200600_302600_NS4plusItEEEE10hipError_tPvRmT2_T3_mT4_P12ihipStream_tbEUlT_E_NS1_11comp_targetILNS1_3genE3ELNS1_11target_archE908ELNS1_3gpuE7ELNS1_3repE0EEENS1_30default_config_static_selectorELNS0_4arch9wavefront6targetE1EEEvT1_
; %bb.0:
	.section	.rodata,"a",@progbits
	.p2align	6, 0x0
	.amdhsa_kernel _ZN7rocprim17ROCPRIM_400000_NS6detail17trampoline_kernelINS0_14default_configENS1_35adjacent_difference_config_selectorILb1EtEEZNS1_24adjacent_difference_implIS3_Lb1ELb0EPtS7_N6thrust23THRUST_200600_302600_NS4plusItEEEE10hipError_tPvRmT2_T3_mT4_P12ihipStream_tbEUlT_E_NS1_11comp_targetILNS1_3genE3ELNS1_11target_archE908ELNS1_3gpuE7ELNS1_3repE0EEENS1_30default_config_static_selectorELNS0_4arch9wavefront6targetE1EEEvT1_
		.amdhsa_group_segment_fixed_size 0
		.amdhsa_private_segment_fixed_size 0
		.amdhsa_kernarg_size 56
		.amdhsa_user_sgpr_count 6
		.amdhsa_user_sgpr_private_segment_buffer 1
		.amdhsa_user_sgpr_dispatch_ptr 0
		.amdhsa_user_sgpr_queue_ptr 0
		.amdhsa_user_sgpr_kernarg_segment_ptr 1
		.amdhsa_user_sgpr_dispatch_id 0
		.amdhsa_user_sgpr_flat_scratch_init 0
		.amdhsa_user_sgpr_private_segment_size 0
		.amdhsa_uses_dynamic_stack 0
		.amdhsa_system_sgpr_private_segment_wavefront_offset 0
		.amdhsa_system_sgpr_workgroup_id_x 1
		.amdhsa_system_sgpr_workgroup_id_y 0
		.amdhsa_system_sgpr_workgroup_id_z 0
		.amdhsa_system_sgpr_workgroup_info 0
		.amdhsa_system_vgpr_workitem_id 0
		.amdhsa_next_free_vgpr 1
		.amdhsa_next_free_sgpr 0
		.amdhsa_reserve_vcc 0
		.amdhsa_reserve_flat_scratch 0
		.amdhsa_float_round_mode_32 0
		.amdhsa_float_round_mode_16_64 0
		.amdhsa_float_denorm_mode_32 3
		.amdhsa_float_denorm_mode_16_64 3
		.amdhsa_dx10_clamp 1
		.amdhsa_ieee_mode 1
		.amdhsa_fp16_overflow 0
		.amdhsa_exception_fp_ieee_invalid_op 0
		.amdhsa_exception_fp_denorm_src 0
		.amdhsa_exception_fp_ieee_div_zero 0
		.amdhsa_exception_fp_ieee_overflow 0
		.amdhsa_exception_fp_ieee_underflow 0
		.amdhsa_exception_fp_ieee_inexact 0
		.amdhsa_exception_int_div_zero 0
	.end_amdhsa_kernel
	.section	.text._ZN7rocprim17ROCPRIM_400000_NS6detail17trampoline_kernelINS0_14default_configENS1_35adjacent_difference_config_selectorILb1EtEEZNS1_24adjacent_difference_implIS3_Lb1ELb0EPtS7_N6thrust23THRUST_200600_302600_NS4plusItEEEE10hipError_tPvRmT2_T3_mT4_P12ihipStream_tbEUlT_E_NS1_11comp_targetILNS1_3genE3ELNS1_11target_archE908ELNS1_3gpuE7ELNS1_3repE0EEENS1_30default_config_static_selectorELNS0_4arch9wavefront6targetE1EEEvT1_,"axG",@progbits,_ZN7rocprim17ROCPRIM_400000_NS6detail17trampoline_kernelINS0_14default_configENS1_35adjacent_difference_config_selectorILb1EtEEZNS1_24adjacent_difference_implIS3_Lb1ELb0EPtS7_N6thrust23THRUST_200600_302600_NS4plusItEEEE10hipError_tPvRmT2_T3_mT4_P12ihipStream_tbEUlT_E_NS1_11comp_targetILNS1_3genE3ELNS1_11target_archE908ELNS1_3gpuE7ELNS1_3repE0EEENS1_30default_config_static_selectorELNS0_4arch9wavefront6targetE1EEEvT1_,comdat
.Lfunc_end252:
	.size	_ZN7rocprim17ROCPRIM_400000_NS6detail17trampoline_kernelINS0_14default_configENS1_35adjacent_difference_config_selectorILb1EtEEZNS1_24adjacent_difference_implIS3_Lb1ELb0EPtS7_N6thrust23THRUST_200600_302600_NS4plusItEEEE10hipError_tPvRmT2_T3_mT4_P12ihipStream_tbEUlT_E_NS1_11comp_targetILNS1_3genE3ELNS1_11target_archE908ELNS1_3gpuE7ELNS1_3repE0EEENS1_30default_config_static_selectorELNS0_4arch9wavefront6targetE1EEEvT1_, .Lfunc_end252-_ZN7rocprim17ROCPRIM_400000_NS6detail17trampoline_kernelINS0_14default_configENS1_35adjacent_difference_config_selectorILb1EtEEZNS1_24adjacent_difference_implIS3_Lb1ELb0EPtS7_N6thrust23THRUST_200600_302600_NS4plusItEEEE10hipError_tPvRmT2_T3_mT4_P12ihipStream_tbEUlT_E_NS1_11comp_targetILNS1_3genE3ELNS1_11target_archE908ELNS1_3gpuE7ELNS1_3repE0EEENS1_30default_config_static_selectorELNS0_4arch9wavefront6targetE1EEEvT1_
                                        ; -- End function
	.set _ZN7rocprim17ROCPRIM_400000_NS6detail17trampoline_kernelINS0_14default_configENS1_35adjacent_difference_config_selectorILb1EtEEZNS1_24adjacent_difference_implIS3_Lb1ELb0EPtS7_N6thrust23THRUST_200600_302600_NS4plusItEEEE10hipError_tPvRmT2_T3_mT4_P12ihipStream_tbEUlT_E_NS1_11comp_targetILNS1_3genE3ELNS1_11target_archE908ELNS1_3gpuE7ELNS1_3repE0EEENS1_30default_config_static_selectorELNS0_4arch9wavefront6targetE1EEEvT1_.num_vgpr, 0
	.set _ZN7rocprim17ROCPRIM_400000_NS6detail17trampoline_kernelINS0_14default_configENS1_35adjacent_difference_config_selectorILb1EtEEZNS1_24adjacent_difference_implIS3_Lb1ELb0EPtS7_N6thrust23THRUST_200600_302600_NS4plusItEEEE10hipError_tPvRmT2_T3_mT4_P12ihipStream_tbEUlT_E_NS1_11comp_targetILNS1_3genE3ELNS1_11target_archE908ELNS1_3gpuE7ELNS1_3repE0EEENS1_30default_config_static_selectorELNS0_4arch9wavefront6targetE1EEEvT1_.num_agpr, 0
	.set _ZN7rocprim17ROCPRIM_400000_NS6detail17trampoline_kernelINS0_14default_configENS1_35adjacent_difference_config_selectorILb1EtEEZNS1_24adjacent_difference_implIS3_Lb1ELb0EPtS7_N6thrust23THRUST_200600_302600_NS4plusItEEEE10hipError_tPvRmT2_T3_mT4_P12ihipStream_tbEUlT_E_NS1_11comp_targetILNS1_3genE3ELNS1_11target_archE908ELNS1_3gpuE7ELNS1_3repE0EEENS1_30default_config_static_selectorELNS0_4arch9wavefront6targetE1EEEvT1_.numbered_sgpr, 0
	.set _ZN7rocprim17ROCPRIM_400000_NS6detail17trampoline_kernelINS0_14default_configENS1_35adjacent_difference_config_selectorILb1EtEEZNS1_24adjacent_difference_implIS3_Lb1ELb0EPtS7_N6thrust23THRUST_200600_302600_NS4plusItEEEE10hipError_tPvRmT2_T3_mT4_P12ihipStream_tbEUlT_E_NS1_11comp_targetILNS1_3genE3ELNS1_11target_archE908ELNS1_3gpuE7ELNS1_3repE0EEENS1_30default_config_static_selectorELNS0_4arch9wavefront6targetE1EEEvT1_.num_named_barrier, 0
	.set _ZN7rocprim17ROCPRIM_400000_NS6detail17trampoline_kernelINS0_14default_configENS1_35adjacent_difference_config_selectorILb1EtEEZNS1_24adjacent_difference_implIS3_Lb1ELb0EPtS7_N6thrust23THRUST_200600_302600_NS4plusItEEEE10hipError_tPvRmT2_T3_mT4_P12ihipStream_tbEUlT_E_NS1_11comp_targetILNS1_3genE3ELNS1_11target_archE908ELNS1_3gpuE7ELNS1_3repE0EEENS1_30default_config_static_selectorELNS0_4arch9wavefront6targetE1EEEvT1_.private_seg_size, 0
	.set _ZN7rocprim17ROCPRIM_400000_NS6detail17trampoline_kernelINS0_14default_configENS1_35adjacent_difference_config_selectorILb1EtEEZNS1_24adjacent_difference_implIS3_Lb1ELb0EPtS7_N6thrust23THRUST_200600_302600_NS4plusItEEEE10hipError_tPvRmT2_T3_mT4_P12ihipStream_tbEUlT_E_NS1_11comp_targetILNS1_3genE3ELNS1_11target_archE908ELNS1_3gpuE7ELNS1_3repE0EEENS1_30default_config_static_selectorELNS0_4arch9wavefront6targetE1EEEvT1_.uses_vcc, 0
	.set _ZN7rocprim17ROCPRIM_400000_NS6detail17trampoline_kernelINS0_14default_configENS1_35adjacent_difference_config_selectorILb1EtEEZNS1_24adjacent_difference_implIS3_Lb1ELb0EPtS7_N6thrust23THRUST_200600_302600_NS4plusItEEEE10hipError_tPvRmT2_T3_mT4_P12ihipStream_tbEUlT_E_NS1_11comp_targetILNS1_3genE3ELNS1_11target_archE908ELNS1_3gpuE7ELNS1_3repE0EEENS1_30default_config_static_selectorELNS0_4arch9wavefront6targetE1EEEvT1_.uses_flat_scratch, 0
	.set _ZN7rocprim17ROCPRIM_400000_NS6detail17trampoline_kernelINS0_14default_configENS1_35adjacent_difference_config_selectorILb1EtEEZNS1_24adjacent_difference_implIS3_Lb1ELb0EPtS7_N6thrust23THRUST_200600_302600_NS4plusItEEEE10hipError_tPvRmT2_T3_mT4_P12ihipStream_tbEUlT_E_NS1_11comp_targetILNS1_3genE3ELNS1_11target_archE908ELNS1_3gpuE7ELNS1_3repE0EEENS1_30default_config_static_selectorELNS0_4arch9wavefront6targetE1EEEvT1_.has_dyn_sized_stack, 0
	.set _ZN7rocprim17ROCPRIM_400000_NS6detail17trampoline_kernelINS0_14default_configENS1_35adjacent_difference_config_selectorILb1EtEEZNS1_24adjacent_difference_implIS3_Lb1ELb0EPtS7_N6thrust23THRUST_200600_302600_NS4plusItEEEE10hipError_tPvRmT2_T3_mT4_P12ihipStream_tbEUlT_E_NS1_11comp_targetILNS1_3genE3ELNS1_11target_archE908ELNS1_3gpuE7ELNS1_3repE0EEENS1_30default_config_static_selectorELNS0_4arch9wavefront6targetE1EEEvT1_.has_recursion, 0
	.set _ZN7rocprim17ROCPRIM_400000_NS6detail17trampoline_kernelINS0_14default_configENS1_35adjacent_difference_config_selectorILb1EtEEZNS1_24adjacent_difference_implIS3_Lb1ELb0EPtS7_N6thrust23THRUST_200600_302600_NS4plusItEEEE10hipError_tPvRmT2_T3_mT4_P12ihipStream_tbEUlT_E_NS1_11comp_targetILNS1_3genE3ELNS1_11target_archE908ELNS1_3gpuE7ELNS1_3repE0EEENS1_30default_config_static_selectorELNS0_4arch9wavefront6targetE1EEEvT1_.has_indirect_call, 0
	.section	.AMDGPU.csdata,"",@progbits
; Kernel info:
; codeLenInByte = 0
; TotalNumSgprs: 4
; NumVgprs: 0
; ScratchSize: 0
; MemoryBound: 0
; FloatMode: 240
; IeeeMode: 1
; LDSByteSize: 0 bytes/workgroup (compile time only)
; SGPRBlocks: 0
; VGPRBlocks: 0
; NumSGPRsForWavesPerEU: 4
; NumVGPRsForWavesPerEU: 1
; Occupancy: 10
; WaveLimiterHint : 0
; COMPUTE_PGM_RSRC2:SCRATCH_EN: 0
; COMPUTE_PGM_RSRC2:USER_SGPR: 6
; COMPUTE_PGM_RSRC2:TRAP_HANDLER: 0
; COMPUTE_PGM_RSRC2:TGID_X_EN: 1
; COMPUTE_PGM_RSRC2:TGID_Y_EN: 0
; COMPUTE_PGM_RSRC2:TGID_Z_EN: 0
; COMPUTE_PGM_RSRC2:TIDIG_COMP_CNT: 0
	.section	.text._ZN7rocprim17ROCPRIM_400000_NS6detail17trampoline_kernelINS0_14default_configENS1_35adjacent_difference_config_selectorILb1EtEEZNS1_24adjacent_difference_implIS3_Lb1ELb0EPtS7_N6thrust23THRUST_200600_302600_NS4plusItEEEE10hipError_tPvRmT2_T3_mT4_P12ihipStream_tbEUlT_E_NS1_11comp_targetILNS1_3genE2ELNS1_11target_archE906ELNS1_3gpuE6ELNS1_3repE0EEENS1_30default_config_static_selectorELNS0_4arch9wavefront6targetE1EEEvT1_,"axG",@progbits,_ZN7rocprim17ROCPRIM_400000_NS6detail17trampoline_kernelINS0_14default_configENS1_35adjacent_difference_config_selectorILb1EtEEZNS1_24adjacent_difference_implIS3_Lb1ELb0EPtS7_N6thrust23THRUST_200600_302600_NS4plusItEEEE10hipError_tPvRmT2_T3_mT4_P12ihipStream_tbEUlT_E_NS1_11comp_targetILNS1_3genE2ELNS1_11target_archE906ELNS1_3gpuE6ELNS1_3repE0EEENS1_30default_config_static_selectorELNS0_4arch9wavefront6targetE1EEEvT1_,comdat
	.protected	_ZN7rocprim17ROCPRIM_400000_NS6detail17trampoline_kernelINS0_14default_configENS1_35adjacent_difference_config_selectorILb1EtEEZNS1_24adjacent_difference_implIS3_Lb1ELb0EPtS7_N6thrust23THRUST_200600_302600_NS4plusItEEEE10hipError_tPvRmT2_T3_mT4_P12ihipStream_tbEUlT_E_NS1_11comp_targetILNS1_3genE2ELNS1_11target_archE906ELNS1_3gpuE6ELNS1_3repE0EEENS1_30default_config_static_selectorELNS0_4arch9wavefront6targetE1EEEvT1_ ; -- Begin function _ZN7rocprim17ROCPRIM_400000_NS6detail17trampoline_kernelINS0_14default_configENS1_35adjacent_difference_config_selectorILb1EtEEZNS1_24adjacent_difference_implIS3_Lb1ELb0EPtS7_N6thrust23THRUST_200600_302600_NS4plusItEEEE10hipError_tPvRmT2_T3_mT4_P12ihipStream_tbEUlT_E_NS1_11comp_targetILNS1_3genE2ELNS1_11target_archE906ELNS1_3gpuE6ELNS1_3repE0EEENS1_30default_config_static_selectorELNS0_4arch9wavefront6targetE1EEEvT1_
	.globl	_ZN7rocprim17ROCPRIM_400000_NS6detail17trampoline_kernelINS0_14default_configENS1_35adjacent_difference_config_selectorILb1EtEEZNS1_24adjacent_difference_implIS3_Lb1ELb0EPtS7_N6thrust23THRUST_200600_302600_NS4plusItEEEE10hipError_tPvRmT2_T3_mT4_P12ihipStream_tbEUlT_E_NS1_11comp_targetILNS1_3genE2ELNS1_11target_archE906ELNS1_3gpuE6ELNS1_3repE0EEENS1_30default_config_static_selectorELNS0_4arch9wavefront6targetE1EEEvT1_
	.p2align	8
	.type	_ZN7rocprim17ROCPRIM_400000_NS6detail17trampoline_kernelINS0_14default_configENS1_35adjacent_difference_config_selectorILb1EtEEZNS1_24adjacent_difference_implIS3_Lb1ELb0EPtS7_N6thrust23THRUST_200600_302600_NS4plusItEEEE10hipError_tPvRmT2_T3_mT4_P12ihipStream_tbEUlT_E_NS1_11comp_targetILNS1_3genE2ELNS1_11target_archE906ELNS1_3gpuE6ELNS1_3repE0EEENS1_30default_config_static_selectorELNS0_4arch9wavefront6targetE1EEEvT1_,@function
_ZN7rocprim17ROCPRIM_400000_NS6detail17trampoline_kernelINS0_14default_configENS1_35adjacent_difference_config_selectorILb1EtEEZNS1_24adjacent_difference_implIS3_Lb1ELb0EPtS7_N6thrust23THRUST_200600_302600_NS4plusItEEEE10hipError_tPvRmT2_T3_mT4_P12ihipStream_tbEUlT_E_NS1_11comp_targetILNS1_3genE2ELNS1_11target_archE906ELNS1_3gpuE6ELNS1_3repE0EEENS1_30default_config_static_selectorELNS0_4arch9wavefront6targetE1EEEvT1_: ; @_ZN7rocprim17ROCPRIM_400000_NS6detail17trampoline_kernelINS0_14default_configENS1_35adjacent_difference_config_selectorILb1EtEEZNS1_24adjacent_difference_implIS3_Lb1ELb0EPtS7_N6thrust23THRUST_200600_302600_NS4plusItEEEE10hipError_tPvRmT2_T3_mT4_P12ihipStream_tbEUlT_E_NS1_11comp_targetILNS1_3genE2ELNS1_11target_archE906ELNS1_3gpuE6ELNS1_3repE0EEENS1_30default_config_static_selectorELNS0_4arch9wavefront6targetE1EEEvT1_
; %bb.0:
	s_load_dwordx8 s[8:15], s[4:5], 0x0
	s_load_dwordx4 s[16:19], s[4:5], 0x28
	s_mul_i32 s20, s6, 0x440
	s_mov_b32 s7, 0
	s_mov_b64 s[22:23], -1
	s_waitcnt lgkmcnt(0)
	s_lshl_b64 s[10:11], s[10:11], 1
	s_add_u32 s26, s8, s10
	s_addc_u32 s27, s9, s11
	s_mul_i32 s3, s15, 0xf0f0f0f1
	s_mul_hi_u32 s4, s14, 0xf0f0f0f1
	s_mul_hi_u32 s2, s15, 0xf0f0f0f1
	s_add_u32 s3, s3, s4
	s_mul_i32 s1, s14, 0xf0f0f0f0
	s_addc_u32 s2, s2, 0
	s_mul_hi_u32 s0, s14, 0xf0f0f0f0
	s_add_u32 s1, s1, s3
	s_addc_u32 s0, s0, 0
	s_add_u32 s0, s2, s0
	s_addc_u32 s1, 0, 0
	s_mul_i32 s3, s15, 0xf0f0f0f0
	s_mul_hi_u32 s2, s15, 0xf0f0f0f0
	s_add_u32 s0, s3, s0
	s_addc_u32 s1, s2, s1
	s_lshr_b64 s[2:3], s[0:1], 10
	s_lshr_b32 s0, s1, 10
	s_mulk_i32 s0, 0x440
	s_mul_hi_u32 s1, s2, 0x440
	s_add_i32 s1, s1, s0
	s_mul_i32 s0, s2, 0x440
	s_sub_u32 s0, s14, s0
	s_subb_u32 s1, s15, s1
	s_cmp_lg_u64 s[0:1], 0
	s_cselect_b64 s[0:1], -1, 0
	v_cndmask_b32_e64 v1, 0, 1, s[0:1]
	v_readfirstlane_b32 s0, v1
	s_add_u32 s4, s2, s0
	s_addc_u32 s5, s3, 0
	s_add_u32 s2, s18, s6
	s_addc_u32 s3, s19, 0
	s_add_u32 s8, s4, -1
	s_addc_u32 s9, s5, -1
	v_mov_b32_e32 v1, s8
	v_mov_b32_e32 v2, s9
	v_cmp_ge_u64_e64 s[0:1], s[2:3], v[1:2]
	s_mul_i32 s15, s8, 0xfffffbc0
	s_and_b64 vcc, exec, s[0:1]
	s_cbranch_vccz .LBB253_36
; %bb.1:
	s_mov_b32 s21, s7
	s_add_i32 s28, s15, s14
	s_lshl_b64 s[22:23], s[20:21], 1
	s_add_u32 s22, s26, s22
	v_mov_b32_e32 v1, 0
	s_addc_u32 s23, s27, s23
	v_cmp_gt_u32_e32 vcc, s28, v0
	v_mov_b32_e32 v2, v1
	v_mov_b32_e32 v3, v1
	;; [unrolled: 1-line block ×8, first 2 shown]
	s_and_saveexec_b64 s[24:25], vcc
	s_cbranch_execz .LBB253_3
; %bb.2:
	v_mov_b32_e32 v2, v1
	v_mov_b32_e32 v3, v1
	;; [unrolled: 1-line block ×8, first 2 shown]
	v_lshlrev_b32_e32 v1, 1, v0
	global_load_ushort v1, v1, s[22:23]
	s_waitcnt vmcnt(0)
	v_and_b32_e32 v1, 0xffff, v1
.LBB253_3:
	s_or_b64 exec, exec, s[24:25]
	v_or_b32_e32 v10, 64, v0
	v_cmp_gt_u32_e32 vcc, s28, v10
	s_and_saveexec_b64 s[24:25], vcc
	s_cbranch_execz .LBB253_5
; %bb.4:
	v_lshlrev_b32_e32 v10, 1, v0
	global_load_ushort v10, v10, s[22:23] offset:128
	s_mov_b32 s21, 0x5040100
	s_waitcnt vmcnt(0)
	v_perm_b32 v1, v10, v1, s21
.LBB253_5:
	s_or_b64 exec, exec, s[24:25]
	v_or_b32_e32 v10, 0x80, v0
	v_cmp_gt_u32_e32 vcc, s28, v10
	s_and_saveexec_b64 s[24:25], vcc
	s_cbranch_execz .LBB253_7
; %bb.6:
	v_lshlrev_b32_e32 v10, 1, v0
	global_load_ushort v10, v10, s[22:23] offset:256
	s_mov_b32 s21, 0xffff
	s_waitcnt vmcnt(0)
	v_bfi_b32 v2, s21, v10, v2
.LBB253_7:
	s_or_b64 exec, exec, s[24:25]
	v_or_b32_e32 v10, 0xc0, v0
	v_cmp_gt_u32_e32 vcc, s28, v10
	s_and_saveexec_b64 s[24:25], vcc
	s_cbranch_execz .LBB253_9
; %bb.8:
	v_lshlrev_b32_e32 v10, 1, v0
	global_load_ushort v10, v10, s[22:23] offset:384
	s_mov_b32 s21, 0x5040100
	s_waitcnt vmcnt(0)
	v_perm_b32 v2, v10, v2, s21
.LBB253_9:
	s_or_b64 exec, exec, s[24:25]
	v_or_b32_e32 v10, 0x100, v0
	v_cmp_gt_u32_e32 vcc, s28, v10
	s_and_saveexec_b64 s[24:25], vcc
	s_cbranch_execz .LBB253_11
; %bb.10:
	v_lshlrev_b32_e32 v10, 1, v0
	global_load_ushort v10, v10, s[22:23] offset:512
	s_mov_b32 s21, 0xffff
	s_waitcnt vmcnt(0)
	v_bfi_b32 v3, s21, v10, v3
.LBB253_11:
	;; [unrolled: 24-line block ×7, first 2 shown]
	s_or_b64 exec, exec, s[24:25]
	v_or_b32_e32 v10, 0x3c0, v0
	v_cmp_gt_u32_e32 vcc, s28, v10
	s_and_saveexec_b64 s[24:25], vcc
	s_cbranch_execz .LBB253_33
; %bb.32:
	v_lshlrev_b32_e32 v10, 1, v0
	global_load_ushort v10, v10, s[22:23] offset:1920
	s_mov_b32 s21, 0x5040100
	s_waitcnt vmcnt(0)
	v_perm_b32 v8, v10, v8, s21
.LBB253_33:
	s_or_b64 exec, exec, s[24:25]
	v_or_b32_e32 v10, 0x400, v0
	v_cmp_gt_u32_e32 vcc, s28, v10
	s_and_saveexec_b64 s[24:25], vcc
	s_cbranch_execz .LBB253_35
; %bb.34:
	v_lshlrev_b32_e32 v9, 1, v0
	global_load_ushort v9, v9, s[22:23] offset:2048
.LBB253_35:
	s_or_b64 exec, exec, s[24:25]
	v_lshlrev_b32_e32 v10, 1, v0
	s_mov_b64 s[22:23], 0
	ds_write_b16 v10, v1
	ds_write_b16_d16_hi v10, v1 offset:128
	ds_write_b16 v10, v2 offset:256
	ds_write_b16_d16_hi v10, v2 offset:384
	ds_write_b16 v10, v3 offset:512
	;; [unrolled: 2-line block ×7, first 2 shown]
	ds_write_b16_d16_hi v10, v8 offset:1920
	s_waitcnt vmcnt(0)
	ds_write_b16 v10, v9 offset:2048
	s_waitcnt lgkmcnt(0)
	; wave barrier
.LBB253_36:
	s_and_b64 vcc, exec, s[22:23]
	v_lshlrev_b32_e32 v11, 1, v0
	s_cbranch_vccz .LBB253_38
; %bb.37:
	s_mov_b32 s21, 0
	s_lshl_b64 s[22:23], s[20:21], 1
	s_add_u32 s22, s26, s22
	s_addc_u32 s23, s27, s23
	global_load_ushort v1, v11, s[22:23]
	global_load_ushort v2, v11, s[22:23] offset:128
	global_load_ushort v3, v11, s[22:23] offset:256
	;; [unrolled: 1-line block ×16, first 2 shown]
	s_waitcnt vmcnt(16)
	ds_write_b16 v11, v1
	s_waitcnt vmcnt(15)
	ds_write_b16 v11, v2 offset:128
	s_waitcnt vmcnt(14)
	ds_write_b16 v11, v3 offset:256
	;; [unrolled: 2-line block ×16, first 2 shown]
	s_waitcnt lgkmcnt(0)
	; wave barrier
.LBB253_38:
	v_mul_u32_u24_e32 v12, 34, v0
	ds_read_b32 v9, v12
	ds_read_b32 v15, v12 offset:2
	ds_read_b32 v22, v12 offset:4
	;; [unrolled: 1-line block ×13, first 2 shown]
	ds_read_u16 v28, v12 offset:28
	ds_read_u16 v10, v12 offset:30
	;; [unrolled: 1-line block ×3, first 2 shown]
	s_cmp_eq_u64 s[2:3], 0
	s_waitcnt lgkmcnt(0)
	; wave barrier
	s_cbranch_scc1 .LBB253_43
; %bb.39:
	s_lshl_b64 s[18:19], s[18:19], 1
	s_add_u32 s16, s16, s18
	s_addc_u32 s17, s17, s19
	s_lshl_b64 s[6:7], s[6:7], 1
	s_add_u32 s6, s16, s6
	s_addc_u32 s7, s17, s7
	v_mov_b32_e32 v1, 0
	global_load_ushort v29, v1, s[6:7] offset:-2
	s_cmp_eq_u64 s[2:3], s[8:9]
	s_cbranch_scc1 .LBB253_44
; %bb.40:
	v_cmp_ne_u32_e32 vcc, 0, v0
	s_waitcnt vmcnt(0)
	v_mov_b32_e32 v14, v29
	ds_write_b16 v11, v4
	s_waitcnt lgkmcnt(0)
	; wave barrier
	s_and_saveexec_b64 s[6:7], vcc
; %bb.41:
	v_add_u32_e32 v1, -2, v11
	ds_read_u16 v14, v1
; %bb.42:
	s_or_b64 exec, exec, s[6:7]
	v_add_u16_e32 v13, v10, v28
	v_pk_add_u16 v3, v21, v27
	v_pk_add_u16 v2, v20, v26
	;; [unrolled: 1-line block ×7, first 2 shown]
	s_waitcnt lgkmcnt(0)
	v_add_u16_e32 v14, v14, v9
	v_mov_b32_e32 v30, v10
	s_branch .LBB253_48
.LBB253_43:
                                        ; implicit-def: $vgpr3
                                        ; implicit-def: $vgpr8
                                        ; implicit-def: $vgpr30
                                        ; implicit-def: $vgpr13
                                        ; implicit-def: $vgpr14
	s_branch .LBB253_49
.LBB253_44:
                                        ; implicit-def: $vgpr3
                                        ; implicit-def: $vgpr8
                                        ; implicit-def: $vgpr13
                                        ; implicit-def: $vgpr14
	v_mov_b32_e32 v30, v10
	s_cbranch_execz .LBB253_48
; %bb.45:
	v_mul_u32_u24_e32 v14, 17, v0
	v_cmp_ne_u32_e32 vcc, 0, v0
	ds_write_b16 v11, v4
	s_waitcnt lgkmcnt(0)
	; wave barrier
	s_and_saveexec_b64 s[6:7], vcc
	s_cbranch_execz .LBB253_47
; %bb.46:
	v_add_u32_e32 v1, -2, v11
	s_waitcnt vmcnt(0)
	ds_read_u16 v29, v1
.LBB253_47:
	s_or_b64 exec, exec, s[6:7]
	s_mulk_i32 s2, 0xfbc0
	s_add_i32 s6, s2, s14
	v_add_u32_e32 v1, 13, v14
	v_add_u32_e32 v2, 14, v14
	v_cmp_gt_u32_e32 vcc, s6, v1
	v_cndmask_b32_e32 v1, 0, v27, vcc
	v_lshrrev_b32_e32 v3, 16, v27
	v_cmp_gt_u32_e32 vcc, s6, v2
	v_cndmask_b32_e32 v2, 0, v3, vcc
	s_mov_b32 s7, 0x5040100
	v_perm_b32 v1, v2, v1, s7
	v_pk_add_u16 v3, v1, v21
	v_add_u32_e32 v1, 11, v14
	v_add_u32_e32 v2, 12, v14
	v_cmp_gt_u32_e32 vcc, s6, v2
	v_cmp_gt_u32_e64 s[2:3], s6, v1
	v_mov_b32_e32 v5, 0
	v_cndmask_b32_e64 v1, 0, v26, s[2:3]
	v_cndmask_b32_sdwa v2, v5, v26, vcc dst_sel:DWORD dst_unused:UNUSED_PAD src0_sel:DWORD src1_sel:WORD_1
	v_perm_b32 v1, v2, v1, s7
	v_pk_add_u16 v2, v1, v20
	v_add_u32_e32 v1, 9, v14
	v_add_u32_e32 v6, 10, v14
	v_cmp_gt_u32_e32 vcc, s6, v6
	v_cmp_gt_u32_e64 s[2:3], s6, v1
	v_cndmask_b32_e64 v1, 0, v25, s[2:3]
	v_cndmask_b32_sdwa v6, v5, v25, vcc dst_sel:DWORD dst_unused:UNUSED_PAD src0_sel:DWORD src1_sel:WORD_1
	v_perm_b32 v1, v6, v1, s7
	v_add_u32_e32 v6, 7, v14
	v_add_u32_e32 v7, 8, v14
	v_cmp_gt_u32_e32 vcc, s6, v7
	v_cmp_gt_u32_e64 s[2:3], s6, v6
	v_cndmask_b32_e64 v6, 0, v24, s[2:3]
	v_cndmask_b32_sdwa v7, v5, v24, vcc dst_sel:DWORD dst_unused:UNUSED_PAD src0_sel:DWORD src1_sel:WORD_1
	v_perm_b32 v6, v7, v6, s7
	;; [unrolled: 7-line block ×3, first 2 shown]
	v_pk_add_u16 v8, v6, v18
	v_add_u32_e32 v6, 4, v14
	v_cmp_gt_u32_e32 vcc, s6, v6
	v_add_u32_e32 v6, 3, v14
	v_cmp_gt_u32_e64 s[2:3], s6, v6
	v_cndmask_b32_e64 v6, 0, v22, s[2:3]
	v_cndmask_b32_sdwa v13, v5, v22, vcc dst_sel:DWORD dst_unused:UNUSED_PAD src0_sel:DWORD src1_sel:WORD_1
	v_perm_b32 v6, v13, v6, s7
	v_add_u32_e32 v13, 2, v14
	v_cmp_gt_u32_e32 vcc, s6, v13
	v_add_u32_e32 v13, 1, v14
	v_cmp_gt_u32_e64 s[2:3], s6, v13
	v_cndmask_b32_e64 v13, 0, v9, s[2:3]
	v_cndmask_b32_sdwa v5, v5, v9, vcc dst_sel:DWORD dst_unused:UNUSED_PAD src0_sel:DWORD src1_sel:WORD_1
	v_perm_b32 v5, v5, v13, s7
	v_add_u32_e32 v13, 16, v14
	v_cmp_gt_u32_e32 vcc, s6, v13
	v_add_u32_e32 v13, 15, v14
	v_cndmask_b32_e32 v30, 0, v10, vcc
	v_cmp_gt_u32_e32 vcc, s6, v13
	v_cndmask_b32_e32 v13, 0, v28, vcc
	v_cmp_gt_u32_e32 vcc, s6, v14
	s_waitcnt vmcnt(0) lgkmcnt(0)
	v_cndmask_b32_e32 v14, 0, v29, vcc
	v_pk_add_u16 v1, v1, v19
	v_pk_add_u16 v7, v7, v17
	;; [unrolled: 1-line block ×4, first 2 shown]
	v_add_u16_e32 v13, v13, v10
	v_add_u16_e32 v14, v14, v9
.LBB253_48:
	s_cbranch_execnz .LBB253_58
.LBB253_49:
	s_cmp_eq_u64 s[4:5], 1
	v_cmp_ne_u32_e32 vcc, 0, v0
	s_cbranch_scc1 .LBB253_53
; %bb.50:
	v_mov_b32_e32 v14, v9
	ds_write_b16 v11, v4
	s_waitcnt lgkmcnt(0)
	; wave barrier
	s_and_saveexec_b64 s[2:3], vcc
	s_cbranch_execz .LBB253_52
; %bb.51:
	v_add_u32_e32 v1, -2, v11
	ds_read_u16 v1, v1
	s_waitcnt lgkmcnt(0)
	v_add_u16_e32 v14, v1, v9
.LBB253_52:
	s_or_b64 exec, exec, s[2:3]
	v_add_u16_e32 v13, v10, v28
	v_pk_add_u16 v3, v21, v27
	v_pk_add_u16 v2, v20, v26
	;; [unrolled: 1-line block ×7, first 2 shown]
	s_cbranch_execz .LBB253_54
	s_branch .LBB253_57
.LBB253_53:
                                        ; implicit-def: $vgpr3
                                        ; implicit-def: $vgpr8
                                        ; implicit-def: $vgpr13
                                        ; implicit-def: $vgpr14
.LBB253_54:
	v_mad_u32_u24 v1, v0, 17, 16
	v_cmp_gt_u32_e64 s[2:3], s14, v1
	v_mad_u32_u24 v1, v0, 17, 15
	v_cmp_gt_u32_e32 vcc, s14, v1
	v_mad_u32_u24 v2, v0, 17, 13
	v_mad_u32_u24 v5, v0, 17, 14
	v_cndmask_b32_e32 v1, 0, v28, vcc
	v_cmp_gt_u32_e32 vcc, s14, v5
	v_cmp_gt_u32_e64 s[4:5], s14, v2
	v_mov_b32_e32 v8, 0
	v_cndmask_b32_e64 v2, 0, v27, s[4:5]
	v_cndmask_b32_sdwa v5, v8, v27, vcc dst_sel:DWORD dst_unused:UNUSED_PAD src0_sel:DWORD src1_sel:WORD_1
	s_mov_b32 s6, 0x5040100
	v_perm_b32 v2, v5, v2, s6
	v_mad_u32_u24 v5, v0, 17, 11
	v_mad_u32_u24 v6, v0, 17, 12
	v_cmp_gt_u32_e32 vcc, s14, v6
	v_cmp_gt_u32_e64 s[4:5], s14, v5
	v_cndmask_b32_e64 v5, 0, v26, s[4:5]
	v_cndmask_b32_sdwa v6, v8, v26, vcc dst_sel:DWORD dst_unused:UNUSED_PAD src0_sel:DWORD src1_sel:WORD_1
	v_perm_b32 v5, v6, v5, s6
	v_mad_u32_u24 v6, v0, 17, 9
	v_mad_u32_u24 v7, v0, 17, 10
	v_cmp_gt_u32_e32 vcc, s14, v7
	v_cmp_gt_u32_e64 s[4:5], s14, v6
	v_cndmask_b32_e64 v6, 0, v25, s[4:5]
	v_cndmask_b32_sdwa v7, v8, v25, vcc dst_sel:DWORD dst_unused:UNUSED_PAD src0_sel:DWORD src1_sel:WORD_1
	;; [unrolled: 7-line block ×5, first 2 shown]
	v_perm_b32 v22, v22, v13, s6
	v_mad_u32_u24 v13, v0, 17, 1
	v_mad_u32_u24 v23, v0, 17, 2
	v_mul_u32_u24_e32 v3, 17, v0
	v_cmp_gt_u32_e32 vcc, s14, v23
	v_cmp_gt_u32_e64 s[4:5], s14, v13
	v_cndmask_b32_e64 v13, 0, v9, s[4:5]
	v_cndmask_b32_sdwa v8, v8, v9, vcc dst_sel:DWORD dst_unused:UNUSED_PAD src0_sel:DWORD src1_sel:WORD_1
	v_cmp_ne_u32_e32 vcc, 0, v0
	v_cmp_gt_u32_e64 s[4:5], s14, v3
	v_perm_b32 v23, v8, v13, s6
	s_and_b64 s[6:7], vcc, s[4:5]
	ds_write_b16 v11, v4
	s_waitcnt lgkmcnt(0)
	; wave barrier
	s_and_saveexec_b64 s[4:5], s[6:7]
	s_cbranch_execz .LBB253_56
; %bb.55:
	v_add_u32_e32 v3, -2, v11
	ds_read_u16 v3, v3
	s_waitcnt lgkmcnt(0)
	v_add_u16_e32 v9, v3, v9
.LBB253_56:
	s_or_b64 exec, exec, s[4:5]
	v_cndmask_b32_e64 v24, 0, v10, s[2:3]
	v_add_u16_e32 v13, v1, v10
	v_pk_add_u16 v3, v2, v21
	v_pk_add_u16 v2, v5, v20
	v_pk_add_u16 v1, v6, v19
	v_pk_add_u16 v8, v7, v18
	v_pk_add_u16 v7, v14, v17
	v_pk_add_u16 v6, v22, v16
	v_pk_add_u16 v5, v23, v15
	v_mov_b32_e32 v10, v24
	v_mov_b32_e32 v14, v9
.LBB253_57:
	v_mov_b32_e32 v30, v10
.LBB253_58:
	s_add_u32 s4, s12, s10
	s_addc_u32 s5, s13, s11
	v_add_u16_e32 v16, v30, v4
	s_and_b64 vcc, exec, s[0:1]
	v_lshlrev_b32_e32 v15, 5, v0
	; wave barrier
	s_cbranch_vccz .LBB253_92
; %bb.59:
	s_mov_b32 s2, 0x5040100
	v_perm_b32 v4, v16, v13, s2
	ds_write_b16 v12, v14
	ds_write_b128 v12, v[5:8] offset:2
	ds_write_b128 v12, v[1:4] offset:18
	v_sub_u32_e32 v4, v12, v15
	s_waitcnt lgkmcnt(0)
	; wave barrier
	ds_read_u16 v31, v4 offset:128
	ds_read_u16 v30, v4 offset:256
	s_waitcnt vmcnt(0)
	ds_read_u16 v29, v4 offset:384
	ds_read_u16 v28, v4 offset:512
	;; [unrolled: 1-line block ×14, first 2 shown]
	s_mov_b32 s21, 0
	s_add_i32 s15, s15, s14
	s_lshl_b64 s[0:1], s[20:21], 1
	s_add_u32 s0, s4, s0
	s_addc_u32 s1, s5, s1
	v_mov_b32_e32 v10, s1
	v_add_co_u32_e32 v9, vcc, s0, v11
	v_addc_co_u32_e32 v10, vcc, 0, v10, vcc
	v_cmp_gt_u32_e32 vcc, s15, v0
	s_and_saveexec_b64 s[0:1], vcc
	s_cbranch_execz .LBB253_61
; %bb.60:
	v_sub_u32_e32 v32, 0, v15
	v_add_u32_e32 v32, v12, v32
	ds_read_u16 v32, v32
	s_waitcnt lgkmcnt(0)
	global_store_short v[9:10], v32, off
.LBB253_61:
	s_or_b64 exec, exec, s[0:1]
	v_or_b32_e32 v32, 64, v0
	v_cmp_gt_u32_e32 vcc, s15, v32
	s_and_saveexec_b64 s[0:1], vcc
	s_cbranch_execz .LBB253_63
; %bb.62:
	s_waitcnt lgkmcnt(14)
	global_store_short v[9:10], v31, off offset:128
.LBB253_63:
	s_or_b64 exec, exec, s[0:1]
	s_waitcnt lgkmcnt(14)
	v_or_b32_e32 v31, 0x80, v0
	v_cmp_gt_u32_e32 vcc, s15, v31
	s_and_saveexec_b64 s[0:1], vcc
	s_cbranch_execz .LBB253_65
; %bb.64:
	global_store_short v[9:10], v30, off offset:256
.LBB253_65:
	s_or_b64 exec, exec, s[0:1]
	v_or_b32_e32 v30, 0xc0, v0
	v_cmp_gt_u32_e32 vcc, s15, v30
	s_and_saveexec_b64 s[0:1], vcc
	s_cbranch_execz .LBB253_67
; %bb.66:
	s_waitcnt lgkmcnt(13)
	global_store_short v[9:10], v29, off offset:384
.LBB253_67:
	s_or_b64 exec, exec, s[0:1]
	s_waitcnt lgkmcnt(13)
	v_or_b32_e32 v29, 0x100, v0
	v_cmp_gt_u32_e32 vcc, s15, v29
	s_and_saveexec_b64 s[0:1], vcc
	s_cbranch_execz .LBB253_69
; %bb.68:
	s_waitcnt lgkmcnt(12)
	global_store_short v[9:10], v28, off offset:512
.LBB253_69:
	s_or_b64 exec, exec, s[0:1]
	s_waitcnt lgkmcnt(12)
	;; [unrolled: 10-line block ×12, first 2 shown]
	v_or_b32_e32 v18, 0x3c0, v0
	v_cmp_gt_u32_e32 vcc, s15, v18
	s_and_saveexec_b64 s[0:1], vcc
	s_cbranch_execz .LBB253_91
; %bb.90:
	s_waitcnt lgkmcnt(1)
	global_store_short v[9:10], v17, off offset:1920
.LBB253_91:
	s_or_b64 exec, exec, s[0:1]
	v_or_b32_e32 v0, 0x400, v0
	v_cmp_gt_u32_e64 s[0:1], s15, v0
	s_branch .LBB253_94
.LBB253_92:
	s_mov_b64 s[0:1], 0
                                        ; implicit-def: $vgpr4
                                        ; implicit-def: $vgpr9_vgpr10
	s_cbranch_execz .LBB253_94
; %bb.93:
	s_mov_b32 s21, 0
	s_lshl_b64 s[2:3], s[20:21], 1
	s_add_u32 s2, s4, s2
	s_mov_b32 s4, 0x5040100
	s_waitcnt lgkmcnt(0)
	v_perm_b32 v4, v16, v13, s4
	v_sub_u32_e32 v0, v12, v15
	ds_write_b16 v12, v14
	ds_write_b128 v12, v[5:8] offset:2
	ds_write_b128 v12, v[1:4] offset:18
	s_waitcnt lgkmcnt(0)
	; wave barrier
	ds_read_u16 v1, v0
	ds_read_u16 v2, v0 offset:128
	ds_read_u16 v3, v0 offset:256
	;; [unrolled: 1-line block ×16, first 2 shown]
	s_addc_u32 s3, s5, s3
	v_mov_b32_e32 v0, s3
	v_add_co_u32_e32 v9, vcc, s2, v11
	v_addc_co_u32_e32 v10, vcc, 0, v0, vcc
	s_or_b64 s[0:1], s[0:1], exec
	s_waitcnt lgkmcnt(14)
	global_store_short v11, v1, s[2:3]
	global_store_short v11, v2, s[2:3] offset:128
	global_store_short v11, v3, s[2:3] offset:256
	s_waitcnt lgkmcnt(13)
	global_store_short v11, v5, s[2:3] offset:384
	s_waitcnt lgkmcnt(12)
	;; [unrolled: 2-line block ×13, first 2 shown]
	global_store_short v11, v20, s[2:3] offset:1920
.LBB253_94:
	s_and_saveexec_b64 s[2:3], s[0:1]
	s_cbranch_execnz .LBB253_96
; %bb.95:
	s_endpgm
.LBB253_96:
	s_waitcnt lgkmcnt(0)
	global_store_short v[9:10], v4, off offset:2048
	s_endpgm
	.section	.rodata,"a",@progbits
	.p2align	6, 0x0
	.amdhsa_kernel _ZN7rocprim17ROCPRIM_400000_NS6detail17trampoline_kernelINS0_14default_configENS1_35adjacent_difference_config_selectorILb1EtEEZNS1_24adjacent_difference_implIS3_Lb1ELb0EPtS7_N6thrust23THRUST_200600_302600_NS4plusItEEEE10hipError_tPvRmT2_T3_mT4_P12ihipStream_tbEUlT_E_NS1_11comp_targetILNS1_3genE2ELNS1_11target_archE906ELNS1_3gpuE6ELNS1_3repE0EEENS1_30default_config_static_selectorELNS0_4arch9wavefront6targetE1EEEvT1_
		.amdhsa_group_segment_fixed_size 2176
		.amdhsa_private_segment_fixed_size 0
		.amdhsa_kernarg_size 56
		.amdhsa_user_sgpr_count 6
		.amdhsa_user_sgpr_private_segment_buffer 1
		.amdhsa_user_sgpr_dispatch_ptr 0
		.amdhsa_user_sgpr_queue_ptr 0
		.amdhsa_user_sgpr_kernarg_segment_ptr 1
		.amdhsa_user_sgpr_dispatch_id 0
		.amdhsa_user_sgpr_flat_scratch_init 0
		.amdhsa_user_sgpr_private_segment_size 0
		.amdhsa_uses_dynamic_stack 0
		.amdhsa_system_sgpr_private_segment_wavefront_offset 0
		.amdhsa_system_sgpr_workgroup_id_x 1
		.amdhsa_system_sgpr_workgroup_id_y 0
		.amdhsa_system_sgpr_workgroup_id_z 0
		.amdhsa_system_sgpr_workgroup_info 0
		.amdhsa_system_vgpr_workitem_id 0
		.amdhsa_next_free_vgpr 33
		.amdhsa_next_free_sgpr 61
		.amdhsa_reserve_vcc 1
		.amdhsa_reserve_flat_scratch 0
		.amdhsa_float_round_mode_32 0
		.amdhsa_float_round_mode_16_64 0
		.amdhsa_float_denorm_mode_32 3
		.amdhsa_float_denorm_mode_16_64 3
		.amdhsa_dx10_clamp 1
		.amdhsa_ieee_mode 1
		.amdhsa_fp16_overflow 0
		.amdhsa_exception_fp_ieee_invalid_op 0
		.amdhsa_exception_fp_denorm_src 0
		.amdhsa_exception_fp_ieee_div_zero 0
		.amdhsa_exception_fp_ieee_overflow 0
		.amdhsa_exception_fp_ieee_underflow 0
		.amdhsa_exception_fp_ieee_inexact 0
		.amdhsa_exception_int_div_zero 0
	.end_amdhsa_kernel
	.section	.text._ZN7rocprim17ROCPRIM_400000_NS6detail17trampoline_kernelINS0_14default_configENS1_35adjacent_difference_config_selectorILb1EtEEZNS1_24adjacent_difference_implIS3_Lb1ELb0EPtS7_N6thrust23THRUST_200600_302600_NS4plusItEEEE10hipError_tPvRmT2_T3_mT4_P12ihipStream_tbEUlT_E_NS1_11comp_targetILNS1_3genE2ELNS1_11target_archE906ELNS1_3gpuE6ELNS1_3repE0EEENS1_30default_config_static_selectorELNS0_4arch9wavefront6targetE1EEEvT1_,"axG",@progbits,_ZN7rocprim17ROCPRIM_400000_NS6detail17trampoline_kernelINS0_14default_configENS1_35adjacent_difference_config_selectorILb1EtEEZNS1_24adjacent_difference_implIS3_Lb1ELb0EPtS7_N6thrust23THRUST_200600_302600_NS4plusItEEEE10hipError_tPvRmT2_T3_mT4_P12ihipStream_tbEUlT_E_NS1_11comp_targetILNS1_3genE2ELNS1_11target_archE906ELNS1_3gpuE6ELNS1_3repE0EEENS1_30default_config_static_selectorELNS0_4arch9wavefront6targetE1EEEvT1_,comdat
.Lfunc_end253:
	.size	_ZN7rocprim17ROCPRIM_400000_NS6detail17trampoline_kernelINS0_14default_configENS1_35adjacent_difference_config_selectorILb1EtEEZNS1_24adjacent_difference_implIS3_Lb1ELb0EPtS7_N6thrust23THRUST_200600_302600_NS4plusItEEEE10hipError_tPvRmT2_T3_mT4_P12ihipStream_tbEUlT_E_NS1_11comp_targetILNS1_3genE2ELNS1_11target_archE906ELNS1_3gpuE6ELNS1_3repE0EEENS1_30default_config_static_selectorELNS0_4arch9wavefront6targetE1EEEvT1_, .Lfunc_end253-_ZN7rocprim17ROCPRIM_400000_NS6detail17trampoline_kernelINS0_14default_configENS1_35adjacent_difference_config_selectorILb1EtEEZNS1_24adjacent_difference_implIS3_Lb1ELb0EPtS7_N6thrust23THRUST_200600_302600_NS4plusItEEEE10hipError_tPvRmT2_T3_mT4_P12ihipStream_tbEUlT_E_NS1_11comp_targetILNS1_3genE2ELNS1_11target_archE906ELNS1_3gpuE6ELNS1_3repE0EEENS1_30default_config_static_selectorELNS0_4arch9wavefront6targetE1EEEvT1_
                                        ; -- End function
	.set _ZN7rocprim17ROCPRIM_400000_NS6detail17trampoline_kernelINS0_14default_configENS1_35adjacent_difference_config_selectorILb1EtEEZNS1_24adjacent_difference_implIS3_Lb1ELb0EPtS7_N6thrust23THRUST_200600_302600_NS4plusItEEEE10hipError_tPvRmT2_T3_mT4_P12ihipStream_tbEUlT_E_NS1_11comp_targetILNS1_3genE2ELNS1_11target_archE906ELNS1_3gpuE6ELNS1_3repE0EEENS1_30default_config_static_selectorELNS0_4arch9wavefront6targetE1EEEvT1_.num_vgpr, 33
	.set _ZN7rocprim17ROCPRIM_400000_NS6detail17trampoline_kernelINS0_14default_configENS1_35adjacent_difference_config_selectorILb1EtEEZNS1_24adjacent_difference_implIS3_Lb1ELb0EPtS7_N6thrust23THRUST_200600_302600_NS4plusItEEEE10hipError_tPvRmT2_T3_mT4_P12ihipStream_tbEUlT_E_NS1_11comp_targetILNS1_3genE2ELNS1_11target_archE906ELNS1_3gpuE6ELNS1_3repE0EEENS1_30default_config_static_selectorELNS0_4arch9wavefront6targetE1EEEvT1_.num_agpr, 0
	.set _ZN7rocprim17ROCPRIM_400000_NS6detail17trampoline_kernelINS0_14default_configENS1_35adjacent_difference_config_selectorILb1EtEEZNS1_24adjacent_difference_implIS3_Lb1ELb0EPtS7_N6thrust23THRUST_200600_302600_NS4plusItEEEE10hipError_tPvRmT2_T3_mT4_P12ihipStream_tbEUlT_E_NS1_11comp_targetILNS1_3genE2ELNS1_11target_archE906ELNS1_3gpuE6ELNS1_3repE0EEENS1_30default_config_static_selectorELNS0_4arch9wavefront6targetE1EEEvT1_.numbered_sgpr, 29
	.set _ZN7rocprim17ROCPRIM_400000_NS6detail17trampoline_kernelINS0_14default_configENS1_35adjacent_difference_config_selectorILb1EtEEZNS1_24adjacent_difference_implIS3_Lb1ELb0EPtS7_N6thrust23THRUST_200600_302600_NS4plusItEEEE10hipError_tPvRmT2_T3_mT4_P12ihipStream_tbEUlT_E_NS1_11comp_targetILNS1_3genE2ELNS1_11target_archE906ELNS1_3gpuE6ELNS1_3repE0EEENS1_30default_config_static_selectorELNS0_4arch9wavefront6targetE1EEEvT1_.num_named_barrier, 0
	.set _ZN7rocprim17ROCPRIM_400000_NS6detail17trampoline_kernelINS0_14default_configENS1_35adjacent_difference_config_selectorILb1EtEEZNS1_24adjacent_difference_implIS3_Lb1ELb0EPtS7_N6thrust23THRUST_200600_302600_NS4plusItEEEE10hipError_tPvRmT2_T3_mT4_P12ihipStream_tbEUlT_E_NS1_11comp_targetILNS1_3genE2ELNS1_11target_archE906ELNS1_3gpuE6ELNS1_3repE0EEENS1_30default_config_static_selectorELNS0_4arch9wavefront6targetE1EEEvT1_.private_seg_size, 0
	.set _ZN7rocprim17ROCPRIM_400000_NS6detail17trampoline_kernelINS0_14default_configENS1_35adjacent_difference_config_selectorILb1EtEEZNS1_24adjacent_difference_implIS3_Lb1ELb0EPtS7_N6thrust23THRUST_200600_302600_NS4plusItEEEE10hipError_tPvRmT2_T3_mT4_P12ihipStream_tbEUlT_E_NS1_11comp_targetILNS1_3genE2ELNS1_11target_archE906ELNS1_3gpuE6ELNS1_3repE0EEENS1_30default_config_static_selectorELNS0_4arch9wavefront6targetE1EEEvT1_.uses_vcc, 1
	.set _ZN7rocprim17ROCPRIM_400000_NS6detail17trampoline_kernelINS0_14default_configENS1_35adjacent_difference_config_selectorILb1EtEEZNS1_24adjacent_difference_implIS3_Lb1ELb0EPtS7_N6thrust23THRUST_200600_302600_NS4plusItEEEE10hipError_tPvRmT2_T3_mT4_P12ihipStream_tbEUlT_E_NS1_11comp_targetILNS1_3genE2ELNS1_11target_archE906ELNS1_3gpuE6ELNS1_3repE0EEENS1_30default_config_static_selectorELNS0_4arch9wavefront6targetE1EEEvT1_.uses_flat_scratch, 0
	.set _ZN7rocprim17ROCPRIM_400000_NS6detail17trampoline_kernelINS0_14default_configENS1_35adjacent_difference_config_selectorILb1EtEEZNS1_24adjacent_difference_implIS3_Lb1ELb0EPtS7_N6thrust23THRUST_200600_302600_NS4plusItEEEE10hipError_tPvRmT2_T3_mT4_P12ihipStream_tbEUlT_E_NS1_11comp_targetILNS1_3genE2ELNS1_11target_archE906ELNS1_3gpuE6ELNS1_3repE0EEENS1_30default_config_static_selectorELNS0_4arch9wavefront6targetE1EEEvT1_.has_dyn_sized_stack, 0
	.set _ZN7rocprim17ROCPRIM_400000_NS6detail17trampoline_kernelINS0_14default_configENS1_35adjacent_difference_config_selectorILb1EtEEZNS1_24adjacent_difference_implIS3_Lb1ELb0EPtS7_N6thrust23THRUST_200600_302600_NS4plusItEEEE10hipError_tPvRmT2_T3_mT4_P12ihipStream_tbEUlT_E_NS1_11comp_targetILNS1_3genE2ELNS1_11target_archE906ELNS1_3gpuE6ELNS1_3repE0EEENS1_30default_config_static_selectorELNS0_4arch9wavefront6targetE1EEEvT1_.has_recursion, 0
	.set _ZN7rocprim17ROCPRIM_400000_NS6detail17trampoline_kernelINS0_14default_configENS1_35adjacent_difference_config_selectorILb1EtEEZNS1_24adjacent_difference_implIS3_Lb1ELb0EPtS7_N6thrust23THRUST_200600_302600_NS4plusItEEEE10hipError_tPvRmT2_T3_mT4_P12ihipStream_tbEUlT_E_NS1_11comp_targetILNS1_3genE2ELNS1_11target_archE906ELNS1_3gpuE6ELNS1_3repE0EEENS1_30default_config_static_selectorELNS0_4arch9wavefront6targetE1EEEvT1_.has_indirect_call, 0
	.section	.AMDGPU.csdata,"",@progbits
; Kernel info:
; codeLenInByte = 4580
; TotalNumSgprs: 33
; NumVgprs: 33
; ScratchSize: 0
; MemoryBound: 0
; FloatMode: 240
; IeeeMode: 1
; LDSByteSize: 2176 bytes/workgroup (compile time only)
; SGPRBlocks: 8
; VGPRBlocks: 8
; NumSGPRsForWavesPerEU: 65
; NumVGPRsForWavesPerEU: 33
; Occupancy: 7
; WaveLimiterHint : 1
; COMPUTE_PGM_RSRC2:SCRATCH_EN: 0
; COMPUTE_PGM_RSRC2:USER_SGPR: 6
; COMPUTE_PGM_RSRC2:TRAP_HANDLER: 0
; COMPUTE_PGM_RSRC2:TGID_X_EN: 1
; COMPUTE_PGM_RSRC2:TGID_Y_EN: 0
; COMPUTE_PGM_RSRC2:TGID_Z_EN: 0
; COMPUTE_PGM_RSRC2:TIDIG_COMP_CNT: 0
	.section	.text._ZN7rocprim17ROCPRIM_400000_NS6detail17trampoline_kernelINS0_14default_configENS1_35adjacent_difference_config_selectorILb1EtEEZNS1_24adjacent_difference_implIS3_Lb1ELb0EPtS7_N6thrust23THRUST_200600_302600_NS4plusItEEEE10hipError_tPvRmT2_T3_mT4_P12ihipStream_tbEUlT_E_NS1_11comp_targetILNS1_3genE9ELNS1_11target_archE1100ELNS1_3gpuE3ELNS1_3repE0EEENS1_30default_config_static_selectorELNS0_4arch9wavefront6targetE1EEEvT1_,"axG",@progbits,_ZN7rocprim17ROCPRIM_400000_NS6detail17trampoline_kernelINS0_14default_configENS1_35adjacent_difference_config_selectorILb1EtEEZNS1_24adjacent_difference_implIS3_Lb1ELb0EPtS7_N6thrust23THRUST_200600_302600_NS4plusItEEEE10hipError_tPvRmT2_T3_mT4_P12ihipStream_tbEUlT_E_NS1_11comp_targetILNS1_3genE9ELNS1_11target_archE1100ELNS1_3gpuE3ELNS1_3repE0EEENS1_30default_config_static_selectorELNS0_4arch9wavefront6targetE1EEEvT1_,comdat
	.protected	_ZN7rocprim17ROCPRIM_400000_NS6detail17trampoline_kernelINS0_14default_configENS1_35adjacent_difference_config_selectorILb1EtEEZNS1_24adjacent_difference_implIS3_Lb1ELb0EPtS7_N6thrust23THRUST_200600_302600_NS4plusItEEEE10hipError_tPvRmT2_T3_mT4_P12ihipStream_tbEUlT_E_NS1_11comp_targetILNS1_3genE9ELNS1_11target_archE1100ELNS1_3gpuE3ELNS1_3repE0EEENS1_30default_config_static_selectorELNS0_4arch9wavefront6targetE1EEEvT1_ ; -- Begin function _ZN7rocprim17ROCPRIM_400000_NS6detail17trampoline_kernelINS0_14default_configENS1_35adjacent_difference_config_selectorILb1EtEEZNS1_24adjacent_difference_implIS3_Lb1ELb0EPtS7_N6thrust23THRUST_200600_302600_NS4plusItEEEE10hipError_tPvRmT2_T3_mT4_P12ihipStream_tbEUlT_E_NS1_11comp_targetILNS1_3genE9ELNS1_11target_archE1100ELNS1_3gpuE3ELNS1_3repE0EEENS1_30default_config_static_selectorELNS0_4arch9wavefront6targetE1EEEvT1_
	.globl	_ZN7rocprim17ROCPRIM_400000_NS6detail17trampoline_kernelINS0_14default_configENS1_35adjacent_difference_config_selectorILb1EtEEZNS1_24adjacent_difference_implIS3_Lb1ELb0EPtS7_N6thrust23THRUST_200600_302600_NS4plusItEEEE10hipError_tPvRmT2_T3_mT4_P12ihipStream_tbEUlT_E_NS1_11comp_targetILNS1_3genE9ELNS1_11target_archE1100ELNS1_3gpuE3ELNS1_3repE0EEENS1_30default_config_static_selectorELNS0_4arch9wavefront6targetE1EEEvT1_
	.p2align	8
	.type	_ZN7rocprim17ROCPRIM_400000_NS6detail17trampoline_kernelINS0_14default_configENS1_35adjacent_difference_config_selectorILb1EtEEZNS1_24adjacent_difference_implIS3_Lb1ELb0EPtS7_N6thrust23THRUST_200600_302600_NS4plusItEEEE10hipError_tPvRmT2_T3_mT4_P12ihipStream_tbEUlT_E_NS1_11comp_targetILNS1_3genE9ELNS1_11target_archE1100ELNS1_3gpuE3ELNS1_3repE0EEENS1_30default_config_static_selectorELNS0_4arch9wavefront6targetE1EEEvT1_,@function
_ZN7rocprim17ROCPRIM_400000_NS6detail17trampoline_kernelINS0_14default_configENS1_35adjacent_difference_config_selectorILb1EtEEZNS1_24adjacent_difference_implIS3_Lb1ELb0EPtS7_N6thrust23THRUST_200600_302600_NS4plusItEEEE10hipError_tPvRmT2_T3_mT4_P12ihipStream_tbEUlT_E_NS1_11comp_targetILNS1_3genE9ELNS1_11target_archE1100ELNS1_3gpuE3ELNS1_3repE0EEENS1_30default_config_static_selectorELNS0_4arch9wavefront6targetE1EEEvT1_: ; @_ZN7rocprim17ROCPRIM_400000_NS6detail17trampoline_kernelINS0_14default_configENS1_35adjacent_difference_config_selectorILb1EtEEZNS1_24adjacent_difference_implIS3_Lb1ELb0EPtS7_N6thrust23THRUST_200600_302600_NS4plusItEEEE10hipError_tPvRmT2_T3_mT4_P12ihipStream_tbEUlT_E_NS1_11comp_targetILNS1_3genE9ELNS1_11target_archE1100ELNS1_3gpuE3ELNS1_3repE0EEENS1_30default_config_static_selectorELNS0_4arch9wavefront6targetE1EEEvT1_
; %bb.0:
	.section	.rodata,"a",@progbits
	.p2align	6, 0x0
	.amdhsa_kernel _ZN7rocprim17ROCPRIM_400000_NS6detail17trampoline_kernelINS0_14default_configENS1_35adjacent_difference_config_selectorILb1EtEEZNS1_24adjacent_difference_implIS3_Lb1ELb0EPtS7_N6thrust23THRUST_200600_302600_NS4plusItEEEE10hipError_tPvRmT2_T3_mT4_P12ihipStream_tbEUlT_E_NS1_11comp_targetILNS1_3genE9ELNS1_11target_archE1100ELNS1_3gpuE3ELNS1_3repE0EEENS1_30default_config_static_selectorELNS0_4arch9wavefront6targetE1EEEvT1_
		.amdhsa_group_segment_fixed_size 0
		.amdhsa_private_segment_fixed_size 0
		.amdhsa_kernarg_size 56
		.amdhsa_user_sgpr_count 6
		.amdhsa_user_sgpr_private_segment_buffer 1
		.amdhsa_user_sgpr_dispatch_ptr 0
		.amdhsa_user_sgpr_queue_ptr 0
		.amdhsa_user_sgpr_kernarg_segment_ptr 1
		.amdhsa_user_sgpr_dispatch_id 0
		.amdhsa_user_sgpr_flat_scratch_init 0
		.amdhsa_user_sgpr_private_segment_size 0
		.amdhsa_uses_dynamic_stack 0
		.amdhsa_system_sgpr_private_segment_wavefront_offset 0
		.amdhsa_system_sgpr_workgroup_id_x 1
		.amdhsa_system_sgpr_workgroup_id_y 0
		.amdhsa_system_sgpr_workgroup_id_z 0
		.amdhsa_system_sgpr_workgroup_info 0
		.amdhsa_system_vgpr_workitem_id 0
		.amdhsa_next_free_vgpr 1
		.amdhsa_next_free_sgpr 0
		.amdhsa_reserve_vcc 0
		.amdhsa_reserve_flat_scratch 0
		.amdhsa_float_round_mode_32 0
		.amdhsa_float_round_mode_16_64 0
		.amdhsa_float_denorm_mode_32 3
		.amdhsa_float_denorm_mode_16_64 3
		.amdhsa_dx10_clamp 1
		.amdhsa_ieee_mode 1
		.amdhsa_fp16_overflow 0
		.amdhsa_exception_fp_ieee_invalid_op 0
		.amdhsa_exception_fp_denorm_src 0
		.amdhsa_exception_fp_ieee_div_zero 0
		.amdhsa_exception_fp_ieee_overflow 0
		.amdhsa_exception_fp_ieee_underflow 0
		.amdhsa_exception_fp_ieee_inexact 0
		.amdhsa_exception_int_div_zero 0
	.end_amdhsa_kernel
	.section	.text._ZN7rocprim17ROCPRIM_400000_NS6detail17trampoline_kernelINS0_14default_configENS1_35adjacent_difference_config_selectorILb1EtEEZNS1_24adjacent_difference_implIS3_Lb1ELb0EPtS7_N6thrust23THRUST_200600_302600_NS4plusItEEEE10hipError_tPvRmT2_T3_mT4_P12ihipStream_tbEUlT_E_NS1_11comp_targetILNS1_3genE9ELNS1_11target_archE1100ELNS1_3gpuE3ELNS1_3repE0EEENS1_30default_config_static_selectorELNS0_4arch9wavefront6targetE1EEEvT1_,"axG",@progbits,_ZN7rocprim17ROCPRIM_400000_NS6detail17trampoline_kernelINS0_14default_configENS1_35adjacent_difference_config_selectorILb1EtEEZNS1_24adjacent_difference_implIS3_Lb1ELb0EPtS7_N6thrust23THRUST_200600_302600_NS4plusItEEEE10hipError_tPvRmT2_T3_mT4_P12ihipStream_tbEUlT_E_NS1_11comp_targetILNS1_3genE9ELNS1_11target_archE1100ELNS1_3gpuE3ELNS1_3repE0EEENS1_30default_config_static_selectorELNS0_4arch9wavefront6targetE1EEEvT1_,comdat
.Lfunc_end254:
	.size	_ZN7rocprim17ROCPRIM_400000_NS6detail17trampoline_kernelINS0_14default_configENS1_35adjacent_difference_config_selectorILb1EtEEZNS1_24adjacent_difference_implIS3_Lb1ELb0EPtS7_N6thrust23THRUST_200600_302600_NS4plusItEEEE10hipError_tPvRmT2_T3_mT4_P12ihipStream_tbEUlT_E_NS1_11comp_targetILNS1_3genE9ELNS1_11target_archE1100ELNS1_3gpuE3ELNS1_3repE0EEENS1_30default_config_static_selectorELNS0_4arch9wavefront6targetE1EEEvT1_, .Lfunc_end254-_ZN7rocprim17ROCPRIM_400000_NS6detail17trampoline_kernelINS0_14default_configENS1_35adjacent_difference_config_selectorILb1EtEEZNS1_24adjacent_difference_implIS3_Lb1ELb0EPtS7_N6thrust23THRUST_200600_302600_NS4plusItEEEE10hipError_tPvRmT2_T3_mT4_P12ihipStream_tbEUlT_E_NS1_11comp_targetILNS1_3genE9ELNS1_11target_archE1100ELNS1_3gpuE3ELNS1_3repE0EEENS1_30default_config_static_selectorELNS0_4arch9wavefront6targetE1EEEvT1_
                                        ; -- End function
	.set _ZN7rocprim17ROCPRIM_400000_NS6detail17trampoline_kernelINS0_14default_configENS1_35adjacent_difference_config_selectorILb1EtEEZNS1_24adjacent_difference_implIS3_Lb1ELb0EPtS7_N6thrust23THRUST_200600_302600_NS4plusItEEEE10hipError_tPvRmT2_T3_mT4_P12ihipStream_tbEUlT_E_NS1_11comp_targetILNS1_3genE9ELNS1_11target_archE1100ELNS1_3gpuE3ELNS1_3repE0EEENS1_30default_config_static_selectorELNS0_4arch9wavefront6targetE1EEEvT1_.num_vgpr, 0
	.set _ZN7rocprim17ROCPRIM_400000_NS6detail17trampoline_kernelINS0_14default_configENS1_35adjacent_difference_config_selectorILb1EtEEZNS1_24adjacent_difference_implIS3_Lb1ELb0EPtS7_N6thrust23THRUST_200600_302600_NS4plusItEEEE10hipError_tPvRmT2_T3_mT4_P12ihipStream_tbEUlT_E_NS1_11comp_targetILNS1_3genE9ELNS1_11target_archE1100ELNS1_3gpuE3ELNS1_3repE0EEENS1_30default_config_static_selectorELNS0_4arch9wavefront6targetE1EEEvT1_.num_agpr, 0
	.set _ZN7rocprim17ROCPRIM_400000_NS6detail17trampoline_kernelINS0_14default_configENS1_35adjacent_difference_config_selectorILb1EtEEZNS1_24adjacent_difference_implIS3_Lb1ELb0EPtS7_N6thrust23THRUST_200600_302600_NS4plusItEEEE10hipError_tPvRmT2_T3_mT4_P12ihipStream_tbEUlT_E_NS1_11comp_targetILNS1_3genE9ELNS1_11target_archE1100ELNS1_3gpuE3ELNS1_3repE0EEENS1_30default_config_static_selectorELNS0_4arch9wavefront6targetE1EEEvT1_.numbered_sgpr, 0
	.set _ZN7rocprim17ROCPRIM_400000_NS6detail17trampoline_kernelINS0_14default_configENS1_35adjacent_difference_config_selectorILb1EtEEZNS1_24adjacent_difference_implIS3_Lb1ELb0EPtS7_N6thrust23THRUST_200600_302600_NS4plusItEEEE10hipError_tPvRmT2_T3_mT4_P12ihipStream_tbEUlT_E_NS1_11comp_targetILNS1_3genE9ELNS1_11target_archE1100ELNS1_3gpuE3ELNS1_3repE0EEENS1_30default_config_static_selectorELNS0_4arch9wavefront6targetE1EEEvT1_.num_named_barrier, 0
	.set _ZN7rocprim17ROCPRIM_400000_NS6detail17trampoline_kernelINS0_14default_configENS1_35adjacent_difference_config_selectorILb1EtEEZNS1_24adjacent_difference_implIS3_Lb1ELb0EPtS7_N6thrust23THRUST_200600_302600_NS4plusItEEEE10hipError_tPvRmT2_T3_mT4_P12ihipStream_tbEUlT_E_NS1_11comp_targetILNS1_3genE9ELNS1_11target_archE1100ELNS1_3gpuE3ELNS1_3repE0EEENS1_30default_config_static_selectorELNS0_4arch9wavefront6targetE1EEEvT1_.private_seg_size, 0
	.set _ZN7rocprim17ROCPRIM_400000_NS6detail17trampoline_kernelINS0_14default_configENS1_35adjacent_difference_config_selectorILb1EtEEZNS1_24adjacent_difference_implIS3_Lb1ELb0EPtS7_N6thrust23THRUST_200600_302600_NS4plusItEEEE10hipError_tPvRmT2_T3_mT4_P12ihipStream_tbEUlT_E_NS1_11comp_targetILNS1_3genE9ELNS1_11target_archE1100ELNS1_3gpuE3ELNS1_3repE0EEENS1_30default_config_static_selectorELNS0_4arch9wavefront6targetE1EEEvT1_.uses_vcc, 0
	.set _ZN7rocprim17ROCPRIM_400000_NS6detail17trampoline_kernelINS0_14default_configENS1_35adjacent_difference_config_selectorILb1EtEEZNS1_24adjacent_difference_implIS3_Lb1ELb0EPtS7_N6thrust23THRUST_200600_302600_NS4plusItEEEE10hipError_tPvRmT2_T3_mT4_P12ihipStream_tbEUlT_E_NS1_11comp_targetILNS1_3genE9ELNS1_11target_archE1100ELNS1_3gpuE3ELNS1_3repE0EEENS1_30default_config_static_selectorELNS0_4arch9wavefront6targetE1EEEvT1_.uses_flat_scratch, 0
	.set _ZN7rocprim17ROCPRIM_400000_NS6detail17trampoline_kernelINS0_14default_configENS1_35adjacent_difference_config_selectorILb1EtEEZNS1_24adjacent_difference_implIS3_Lb1ELb0EPtS7_N6thrust23THRUST_200600_302600_NS4plusItEEEE10hipError_tPvRmT2_T3_mT4_P12ihipStream_tbEUlT_E_NS1_11comp_targetILNS1_3genE9ELNS1_11target_archE1100ELNS1_3gpuE3ELNS1_3repE0EEENS1_30default_config_static_selectorELNS0_4arch9wavefront6targetE1EEEvT1_.has_dyn_sized_stack, 0
	.set _ZN7rocprim17ROCPRIM_400000_NS6detail17trampoline_kernelINS0_14default_configENS1_35adjacent_difference_config_selectorILb1EtEEZNS1_24adjacent_difference_implIS3_Lb1ELb0EPtS7_N6thrust23THRUST_200600_302600_NS4plusItEEEE10hipError_tPvRmT2_T3_mT4_P12ihipStream_tbEUlT_E_NS1_11comp_targetILNS1_3genE9ELNS1_11target_archE1100ELNS1_3gpuE3ELNS1_3repE0EEENS1_30default_config_static_selectorELNS0_4arch9wavefront6targetE1EEEvT1_.has_recursion, 0
	.set _ZN7rocprim17ROCPRIM_400000_NS6detail17trampoline_kernelINS0_14default_configENS1_35adjacent_difference_config_selectorILb1EtEEZNS1_24adjacent_difference_implIS3_Lb1ELb0EPtS7_N6thrust23THRUST_200600_302600_NS4plusItEEEE10hipError_tPvRmT2_T3_mT4_P12ihipStream_tbEUlT_E_NS1_11comp_targetILNS1_3genE9ELNS1_11target_archE1100ELNS1_3gpuE3ELNS1_3repE0EEENS1_30default_config_static_selectorELNS0_4arch9wavefront6targetE1EEEvT1_.has_indirect_call, 0
	.section	.AMDGPU.csdata,"",@progbits
; Kernel info:
; codeLenInByte = 0
; TotalNumSgprs: 4
; NumVgprs: 0
; ScratchSize: 0
; MemoryBound: 0
; FloatMode: 240
; IeeeMode: 1
; LDSByteSize: 0 bytes/workgroup (compile time only)
; SGPRBlocks: 0
; VGPRBlocks: 0
; NumSGPRsForWavesPerEU: 4
; NumVGPRsForWavesPerEU: 1
; Occupancy: 10
; WaveLimiterHint : 0
; COMPUTE_PGM_RSRC2:SCRATCH_EN: 0
; COMPUTE_PGM_RSRC2:USER_SGPR: 6
; COMPUTE_PGM_RSRC2:TRAP_HANDLER: 0
; COMPUTE_PGM_RSRC2:TGID_X_EN: 1
; COMPUTE_PGM_RSRC2:TGID_Y_EN: 0
; COMPUTE_PGM_RSRC2:TGID_Z_EN: 0
; COMPUTE_PGM_RSRC2:TIDIG_COMP_CNT: 0
	.section	.text._ZN7rocprim17ROCPRIM_400000_NS6detail17trampoline_kernelINS0_14default_configENS1_35adjacent_difference_config_selectorILb1EtEEZNS1_24adjacent_difference_implIS3_Lb1ELb0EPtS7_N6thrust23THRUST_200600_302600_NS4plusItEEEE10hipError_tPvRmT2_T3_mT4_P12ihipStream_tbEUlT_E_NS1_11comp_targetILNS1_3genE8ELNS1_11target_archE1030ELNS1_3gpuE2ELNS1_3repE0EEENS1_30default_config_static_selectorELNS0_4arch9wavefront6targetE1EEEvT1_,"axG",@progbits,_ZN7rocprim17ROCPRIM_400000_NS6detail17trampoline_kernelINS0_14default_configENS1_35adjacent_difference_config_selectorILb1EtEEZNS1_24adjacent_difference_implIS3_Lb1ELb0EPtS7_N6thrust23THRUST_200600_302600_NS4plusItEEEE10hipError_tPvRmT2_T3_mT4_P12ihipStream_tbEUlT_E_NS1_11comp_targetILNS1_3genE8ELNS1_11target_archE1030ELNS1_3gpuE2ELNS1_3repE0EEENS1_30default_config_static_selectorELNS0_4arch9wavefront6targetE1EEEvT1_,comdat
	.protected	_ZN7rocprim17ROCPRIM_400000_NS6detail17trampoline_kernelINS0_14default_configENS1_35adjacent_difference_config_selectorILb1EtEEZNS1_24adjacent_difference_implIS3_Lb1ELb0EPtS7_N6thrust23THRUST_200600_302600_NS4plusItEEEE10hipError_tPvRmT2_T3_mT4_P12ihipStream_tbEUlT_E_NS1_11comp_targetILNS1_3genE8ELNS1_11target_archE1030ELNS1_3gpuE2ELNS1_3repE0EEENS1_30default_config_static_selectorELNS0_4arch9wavefront6targetE1EEEvT1_ ; -- Begin function _ZN7rocprim17ROCPRIM_400000_NS6detail17trampoline_kernelINS0_14default_configENS1_35adjacent_difference_config_selectorILb1EtEEZNS1_24adjacent_difference_implIS3_Lb1ELb0EPtS7_N6thrust23THRUST_200600_302600_NS4plusItEEEE10hipError_tPvRmT2_T3_mT4_P12ihipStream_tbEUlT_E_NS1_11comp_targetILNS1_3genE8ELNS1_11target_archE1030ELNS1_3gpuE2ELNS1_3repE0EEENS1_30default_config_static_selectorELNS0_4arch9wavefront6targetE1EEEvT1_
	.globl	_ZN7rocprim17ROCPRIM_400000_NS6detail17trampoline_kernelINS0_14default_configENS1_35adjacent_difference_config_selectorILb1EtEEZNS1_24adjacent_difference_implIS3_Lb1ELb0EPtS7_N6thrust23THRUST_200600_302600_NS4plusItEEEE10hipError_tPvRmT2_T3_mT4_P12ihipStream_tbEUlT_E_NS1_11comp_targetILNS1_3genE8ELNS1_11target_archE1030ELNS1_3gpuE2ELNS1_3repE0EEENS1_30default_config_static_selectorELNS0_4arch9wavefront6targetE1EEEvT1_
	.p2align	8
	.type	_ZN7rocprim17ROCPRIM_400000_NS6detail17trampoline_kernelINS0_14default_configENS1_35adjacent_difference_config_selectorILb1EtEEZNS1_24adjacent_difference_implIS3_Lb1ELb0EPtS7_N6thrust23THRUST_200600_302600_NS4plusItEEEE10hipError_tPvRmT2_T3_mT4_P12ihipStream_tbEUlT_E_NS1_11comp_targetILNS1_3genE8ELNS1_11target_archE1030ELNS1_3gpuE2ELNS1_3repE0EEENS1_30default_config_static_selectorELNS0_4arch9wavefront6targetE1EEEvT1_,@function
_ZN7rocprim17ROCPRIM_400000_NS6detail17trampoline_kernelINS0_14default_configENS1_35adjacent_difference_config_selectorILb1EtEEZNS1_24adjacent_difference_implIS3_Lb1ELb0EPtS7_N6thrust23THRUST_200600_302600_NS4plusItEEEE10hipError_tPvRmT2_T3_mT4_P12ihipStream_tbEUlT_E_NS1_11comp_targetILNS1_3genE8ELNS1_11target_archE1030ELNS1_3gpuE2ELNS1_3repE0EEENS1_30default_config_static_selectorELNS0_4arch9wavefront6targetE1EEEvT1_: ; @_ZN7rocprim17ROCPRIM_400000_NS6detail17trampoline_kernelINS0_14default_configENS1_35adjacent_difference_config_selectorILb1EtEEZNS1_24adjacent_difference_implIS3_Lb1ELb0EPtS7_N6thrust23THRUST_200600_302600_NS4plusItEEEE10hipError_tPvRmT2_T3_mT4_P12ihipStream_tbEUlT_E_NS1_11comp_targetILNS1_3genE8ELNS1_11target_archE1030ELNS1_3gpuE2ELNS1_3repE0EEENS1_30default_config_static_selectorELNS0_4arch9wavefront6targetE1EEEvT1_
; %bb.0:
	.section	.rodata,"a",@progbits
	.p2align	6, 0x0
	.amdhsa_kernel _ZN7rocprim17ROCPRIM_400000_NS6detail17trampoline_kernelINS0_14default_configENS1_35adjacent_difference_config_selectorILb1EtEEZNS1_24adjacent_difference_implIS3_Lb1ELb0EPtS7_N6thrust23THRUST_200600_302600_NS4plusItEEEE10hipError_tPvRmT2_T3_mT4_P12ihipStream_tbEUlT_E_NS1_11comp_targetILNS1_3genE8ELNS1_11target_archE1030ELNS1_3gpuE2ELNS1_3repE0EEENS1_30default_config_static_selectorELNS0_4arch9wavefront6targetE1EEEvT1_
		.amdhsa_group_segment_fixed_size 0
		.amdhsa_private_segment_fixed_size 0
		.amdhsa_kernarg_size 56
		.amdhsa_user_sgpr_count 6
		.amdhsa_user_sgpr_private_segment_buffer 1
		.amdhsa_user_sgpr_dispatch_ptr 0
		.amdhsa_user_sgpr_queue_ptr 0
		.amdhsa_user_sgpr_kernarg_segment_ptr 1
		.amdhsa_user_sgpr_dispatch_id 0
		.amdhsa_user_sgpr_flat_scratch_init 0
		.amdhsa_user_sgpr_private_segment_size 0
		.amdhsa_uses_dynamic_stack 0
		.amdhsa_system_sgpr_private_segment_wavefront_offset 0
		.amdhsa_system_sgpr_workgroup_id_x 1
		.amdhsa_system_sgpr_workgroup_id_y 0
		.amdhsa_system_sgpr_workgroup_id_z 0
		.amdhsa_system_sgpr_workgroup_info 0
		.amdhsa_system_vgpr_workitem_id 0
		.amdhsa_next_free_vgpr 1
		.amdhsa_next_free_sgpr 0
		.amdhsa_reserve_vcc 0
		.amdhsa_reserve_flat_scratch 0
		.amdhsa_float_round_mode_32 0
		.amdhsa_float_round_mode_16_64 0
		.amdhsa_float_denorm_mode_32 3
		.amdhsa_float_denorm_mode_16_64 3
		.amdhsa_dx10_clamp 1
		.amdhsa_ieee_mode 1
		.amdhsa_fp16_overflow 0
		.amdhsa_exception_fp_ieee_invalid_op 0
		.amdhsa_exception_fp_denorm_src 0
		.amdhsa_exception_fp_ieee_div_zero 0
		.amdhsa_exception_fp_ieee_overflow 0
		.amdhsa_exception_fp_ieee_underflow 0
		.amdhsa_exception_fp_ieee_inexact 0
		.amdhsa_exception_int_div_zero 0
	.end_amdhsa_kernel
	.section	.text._ZN7rocprim17ROCPRIM_400000_NS6detail17trampoline_kernelINS0_14default_configENS1_35adjacent_difference_config_selectorILb1EtEEZNS1_24adjacent_difference_implIS3_Lb1ELb0EPtS7_N6thrust23THRUST_200600_302600_NS4plusItEEEE10hipError_tPvRmT2_T3_mT4_P12ihipStream_tbEUlT_E_NS1_11comp_targetILNS1_3genE8ELNS1_11target_archE1030ELNS1_3gpuE2ELNS1_3repE0EEENS1_30default_config_static_selectorELNS0_4arch9wavefront6targetE1EEEvT1_,"axG",@progbits,_ZN7rocprim17ROCPRIM_400000_NS6detail17trampoline_kernelINS0_14default_configENS1_35adjacent_difference_config_selectorILb1EtEEZNS1_24adjacent_difference_implIS3_Lb1ELb0EPtS7_N6thrust23THRUST_200600_302600_NS4plusItEEEE10hipError_tPvRmT2_T3_mT4_P12ihipStream_tbEUlT_E_NS1_11comp_targetILNS1_3genE8ELNS1_11target_archE1030ELNS1_3gpuE2ELNS1_3repE0EEENS1_30default_config_static_selectorELNS0_4arch9wavefront6targetE1EEEvT1_,comdat
.Lfunc_end255:
	.size	_ZN7rocprim17ROCPRIM_400000_NS6detail17trampoline_kernelINS0_14default_configENS1_35adjacent_difference_config_selectorILb1EtEEZNS1_24adjacent_difference_implIS3_Lb1ELb0EPtS7_N6thrust23THRUST_200600_302600_NS4plusItEEEE10hipError_tPvRmT2_T3_mT4_P12ihipStream_tbEUlT_E_NS1_11comp_targetILNS1_3genE8ELNS1_11target_archE1030ELNS1_3gpuE2ELNS1_3repE0EEENS1_30default_config_static_selectorELNS0_4arch9wavefront6targetE1EEEvT1_, .Lfunc_end255-_ZN7rocprim17ROCPRIM_400000_NS6detail17trampoline_kernelINS0_14default_configENS1_35adjacent_difference_config_selectorILb1EtEEZNS1_24adjacent_difference_implIS3_Lb1ELb0EPtS7_N6thrust23THRUST_200600_302600_NS4plusItEEEE10hipError_tPvRmT2_T3_mT4_P12ihipStream_tbEUlT_E_NS1_11comp_targetILNS1_3genE8ELNS1_11target_archE1030ELNS1_3gpuE2ELNS1_3repE0EEENS1_30default_config_static_selectorELNS0_4arch9wavefront6targetE1EEEvT1_
                                        ; -- End function
	.set _ZN7rocprim17ROCPRIM_400000_NS6detail17trampoline_kernelINS0_14default_configENS1_35adjacent_difference_config_selectorILb1EtEEZNS1_24adjacent_difference_implIS3_Lb1ELb0EPtS7_N6thrust23THRUST_200600_302600_NS4plusItEEEE10hipError_tPvRmT2_T3_mT4_P12ihipStream_tbEUlT_E_NS1_11comp_targetILNS1_3genE8ELNS1_11target_archE1030ELNS1_3gpuE2ELNS1_3repE0EEENS1_30default_config_static_selectorELNS0_4arch9wavefront6targetE1EEEvT1_.num_vgpr, 0
	.set _ZN7rocprim17ROCPRIM_400000_NS6detail17trampoline_kernelINS0_14default_configENS1_35adjacent_difference_config_selectorILb1EtEEZNS1_24adjacent_difference_implIS3_Lb1ELb0EPtS7_N6thrust23THRUST_200600_302600_NS4plusItEEEE10hipError_tPvRmT2_T3_mT4_P12ihipStream_tbEUlT_E_NS1_11comp_targetILNS1_3genE8ELNS1_11target_archE1030ELNS1_3gpuE2ELNS1_3repE0EEENS1_30default_config_static_selectorELNS0_4arch9wavefront6targetE1EEEvT1_.num_agpr, 0
	.set _ZN7rocprim17ROCPRIM_400000_NS6detail17trampoline_kernelINS0_14default_configENS1_35adjacent_difference_config_selectorILb1EtEEZNS1_24adjacent_difference_implIS3_Lb1ELb0EPtS7_N6thrust23THRUST_200600_302600_NS4plusItEEEE10hipError_tPvRmT2_T3_mT4_P12ihipStream_tbEUlT_E_NS1_11comp_targetILNS1_3genE8ELNS1_11target_archE1030ELNS1_3gpuE2ELNS1_3repE0EEENS1_30default_config_static_selectorELNS0_4arch9wavefront6targetE1EEEvT1_.numbered_sgpr, 0
	.set _ZN7rocprim17ROCPRIM_400000_NS6detail17trampoline_kernelINS0_14default_configENS1_35adjacent_difference_config_selectorILb1EtEEZNS1_24adjacent_difference_implIS3_Lb1ELb0EPtS7_N6thrust23THRUST_200600_302600_NS4plusItEEEE10hipError_tPvRmT2_T3_mT4_P12ihipStream_tbEUlT_E_NS1_11comp_targetILNS1_3genE8ELNS1_11target_archE1030ELNS1_3gpuE2ELNS1_3repE0EEENS1_30default_config_static_selectorELNS0_4arch9wavefront6targetE1EEEvT1_.num_named_barrier, 0
	.set _ZN7rocprim17ROCPRIM_400000_NS6detail17trampoline_kernelINS0_14default_configENS1_35adjacent_difference_config_selectorILb1EtEEZNS1_24adjacent_difference_implIS3_Lb1ELb0EPtS7_N6thrust23THRUST_200600_302600_NS4plusItEEEE10hipError_tPvRmT2_T3_mT4_P12ihipStream_tbEUlT_E_NS1_11comp_targetILNS1_3genE8ELNS1_11target_archE1030ELNS1_3gpuE2ELNS1_3repE0EEENS1_30default_config_static_selectorELNS0_4arch9wavefront6targetE1EEEvT1_.private_seg_size, 0
	.set _ZN7rocprim17ROCPRIM_400000_NS6detail17trampoline_kernelINS0_14default_configENS1_35adjacent_difference_config_selectorILb1EtEEZNS1_24adjacent_difference_implIS3_Lb1ELb0EPtS7_N6thrust23THRUST_200600_302600_NS4plusItEEEE10hipError_tPvRmT2_T3_mT4_P12ihipStream_tbEUlT_E_NS1_11comp_targetILNS1_3genE8ELNS1_11target_archE1030ELNS1_3gpuE2ELNS1_3repE0EEENS1_30default_config_static_selectorELNS0_4arch9wavefront6targetE1EEEvT1_.uses_vcc, 0
	.set _ZN7rocprim17ROCPRIM_400000_NS6detail17trampoline_kernelINS0_14default_configENS1_35adjacent_difference_config_selectorILb1EtEEZNS1_24adjacent_difference_implIS3_Lb1ELb0EPtS7_N6thrust23THRUST_200600_302600_NS4plusItEEEE10hipError_tPvRmT2_T3_mT4_P12ihipStream_tbEUlT_E_NS1_11comp_targetILNS1_3genE8ELNS1_11target_archE1030ELNS1_3gpuE2ELNS1_3repE0EEENS1_30default_config_static_selectorELNS0_4arch9wavefront6targetE1EEEvT1_.uses_flat_scratch, 0
	.set _ZN7rocprim17ROCPRIM_400000_NS6detail17trampoline_kernelINS0_14default_configENS1_35adjacent_difference_config_selectorILb1EtEEZNS1_24adjacent_difference_implIS3_Lb1ELb0EPtS7_N6thrust23THRUST_200600_302600_NS4plusItEEEE10hipError_tPvRmT2_T3_mT4_P12ihipStream_tbEUlT_E_NS1_11comp_targetILNS1_3genE8ELNS1_11target_archE1030ELNS1_3gpuE2ELNS1_3repE0EEENS1_30default_config_static_selectorELNS0_4arch9wavefront6targetE1EEEvT1_.has_dyn_sized_stack, 0
	.set _ZN7rocprim17ROCPRIM_400000_NS6detail17trampoline_kernelINS0_14default_configENS1_35adjacent_difference_config_selectorILb1EtEEZNS1_24adjacent_difference_implIS3_Lb1ELb0EPtS7_N6thrust23THRUST_200600_302600_NS4plusItEEEE10hipError_tPvRmT2_T3_mT4_P12ihipStream_tbEUlT_E_NS1_11comp_targetILNS1_3genE8ELNS1_11target_archE1030ELNS1_3gpuE2ELNS1_3repE0EEENS1_30default_config_static_selectorELNS0_4arch9wavefront6targetE1EEEvT1_.has_recursion, 0
	.set _ZN7rocprim17ROCPRIM_400000_NS6detail17trampoline_kernelINS0_14default_configENS1_35adjacent_difference_config_selectorILb1EtEEZNS1_24adjacent_difference_implIS3_Lb1ELb0EPtS7_N6thrust23THRUST_200600_302600_NS4plusItEEEE10hipError_tPvRmT2_T3_mT4_P12ihipStream_tbEUlT_E_NS1_11comp_targetILNS1_3genE8ELNS1_11target_archE1030ELNS1_3gpuE2ELNS1_3repE0EEENS1_30default_config_static_selectorELNS0_4arch9wavefront6targetE1EEEvT1_.has_indirect_call, 0
	.section	.AMDGPU.csdata,"",@progbits
; Kernel info:
; codeLenInByte = 0
; TotalNumSgprs: 4
; NumVgprs: 0
; ScratchSize: 0
; MemoryBound: 0
; FloatMode: 240
; IeeeMode: 1
; LDSByteSize: 0 bytes/workgroup (compile time only)
; SGPRBlocks: 0
; VGPRBlocks: 0
; NumSGPRsForWavesPerEU: 4
; NumVGPRsForWavesPerEU: 1
; Occupancy: 10
; WaveLimiterHint : 0
; COMPUTE_PGM_RSRC2:SCRATCH_EN: 0
; COMPUTE_PGM_RSRC2:USER_SGPR: 6
; COMPUTE_PGM_RSRC2:TRAP_HANDLER: 0
; COMPUTE_PGM_RSRC2:TGID_X_EN: 1
; COMPUTE_PGM_RSRC2:TGID_Y_EN: 0
; COMPUTE_PGM_RSRC2:TGID_Z_EN: 0
; COMPUTE_PGM_RSRC2:TIDIG_COMP_CNT: 0
	.section	.text._ZN6thrust23THRUST_200600_302600_NS11hip_rocprim14__parallel_for6kernelILj256ENS1_20__uninitialized_fill7functorINS0_10device_ptrIxEExEEmLj1EEEvT0_T1_SA_,"axG",@progbits,_ZN6thrust23THRUST_200600_302600_NS11hip_rocprim14__parallel_for6kernelILj256ENS1_20__uninitialized_fill7functorINS0_10device_ptrIxEExEEmLj1EEEvT0_T1_SA_,comdat
	.protected	_ZN6thrust23THRUST_200600_302600_NS11hip_rocprim14__parallel_for6kernelILj256ENS1_20__uninitialized_fill7functorINS0_10device_ptrIxEExEEmLj1EEEvT0_T1_SA_ ; -- Begin function _ZN6thrust23THRUST_200600_302600_NS11hip_rocprim14__parallel_for6kernelILj256ENS1_20__uninitialized_fill7functorINS0_10device_ptrIxEExEEmLj1EEEvT0_T1_SA_
	.globl	_ZN6thrust23THRUST_200600_302600_NS11hip_rocprim14__parallel_for6kernelILj256ENS1_20__uninitialized_fill7functorINS0_10device_ptrIxEExEEmLj1EEEvT0_T1_SA_
	.p2align	8
	.type	_ZN6thrust23THRUST_200600_302600_NS11hip_rocprim14__parallel_for6kernelILj256ENS1_20__uninitialized_fill7functorINS0_10device_ptrIxEExEEmLj1EEEvT0_T1_SA_,@function
_ZN6thrust23THRUST_200600_302600_NS11hip_rocprim14__parallel_for6kernelILj256ENS1_20__uninitialized_fill7functorINS0_10device_ptrIxEExEEmLj1EEEvT0_T1_SA_: ; @_ZN6thrust23THRUST_200600_302600_NS11hip_rocprim14__parallel_for6kernelILj256ENS1_20__uninitialized_fill7functorINS0_10device_ptrIxEExEEmLj1EEEvT0_T1_SA_
; %bb.0:
	s_load_dwordx8 s[8:15], s[4:5], 0x0
	s_lshl_b32 s0, s6, 8
	v_mov_b32_e32 v1, 0xff
	v_mov_b32_e32 v2, 0
	s_mov_b64 s[4:5], -1
	s_waitcnt lgkmcnt(0)
	s_add_u32 s0, s14, s0
	s_addc_u32 s1, s15, 0
	s_sub_u32 s2, s12, s0
	s_subb_u32 s3, s13, s1
	v_cmp_gt_u64_e32 vcc, s[2:3], v[1:2]
	s_cbranch_vccz .LBB256_3
; %bb.1:
	s_andn2_b64 vcc, exec, s[4:5]
	s_cbranch_vccz .LBB256_6
.LBB256_2:
	s_endpgm
.LBB256_3:
	v_cmp_gt_u32_e32 vcc, s2, v0
	s_and_saveexec_b64 s[2:3], vcc
	s_cbranch_execz .LBB256_5
; %bb.4:
	s_lshl_b64 s[4:5], s[0:1], 3
	s_add_u32 s4, s8, s4
	s_addc_u32 s5, s9, s5
	v_lshlrev_b32_e32 v1, 3, v0
	v_mov_b32_e32 v2, s5
	v_add_co_u32_e32 v1, vcc, s4, v1
	v_mov_b32_e32 v3, s10
	v_addc_co_u32_e32 v2, vcc, 0, v2, vcc
	v_mov_b32_e32 v4, s11
	flat_store_dwordx2 v[1:2], v[3:4]
.LBB256_5:
	s_or_b64 exec, exec, s[2:3]
	s_cbranch_execnz .LBB256_2
.LBB256_6:
	s_lshl_b64 s[0:1], s[0:1], 3
	s_add_u32 s0, s8, s0
	s_addc_u32 s1, s9, s1
	v_lshlrev_b32_e32 v0, 3, v0
	v_mov_b32_e32 v1, s1
	v_add_co_u32_e32 v0, vcc, s0, v0
	v_mov_b32_e32 v2, s10
	v_addc_co_u32_e32 v1, vcc, 0, v1, vcc
	v_mov_b32_e32 v3, s11
	flat_store_dwordx2 v[0:1], v[2:3]
	s_endpgm
	.section	.rodata,"a",@progbits
	.p2align	6, 0x0
	.amdhsa_kernel _ZN6thrust23THRUST_200600_302600_NS11hip_rocprim14__parallel_for6kernelILj256ENS1_20__uninitialized_fill7functorINS0_10device_ptrIxEExEEmLj1EEEvT0_T1_SA_
		.amdhsa_group_segment_fixed_size 0
		.amdhsa_private_segment_fixed_size 0
		.amdhsa_kernarg_size 32
		.amdhsa_user_sgpr_count 6
		.amdhsa_user_sgpr_private_segment_buffer 1
		.amdhsa_user_sgpr_dispatch_ptr 0
		.amdhsa_user_sgpr_queue_ptr 0
		.amdhsa_user_sgpr_kernarg_segment_ptr 1
		.amdhsa_user_sgpr_dispatch_id 0
		.amdhsa_user_sgpr_flat_scratch_init 0
		.amdhsa_user_sgpr_private_segment_size 0
		.amdhsa_uses_dynamic_stack 0
		.amdhsa_system_sgpr_private_segment_wavefront_offset 0
		.amdhsa_system_sgpr_workgroup_id_x 1
		.amdhsa_system_sgpr_workgroup_id_y 0
		.amdhsa_system_sgpr_workgroup_id_z 0
		.amdhsa_system_sgpr_workgroup_info 0
		.amdhsa_system_vgpr_workitem_id 0
		.amdhsa_next_free_vgpr 5
		.amdhsa_next_free_sgpr 16
		.amdhsa_reserve_vcc 1
		.amdhsa_reserve_flat_scratch 0
		.amdhsa_float_round_mode_32 0
		.amdhsa_float_round_mode_16_64 0
		.amdhsa_float_denorm_mode_32 3
		.amdhsa_float_denorm_mode_16_64 3
		.amdhsa_dx10_clamp 1
		.amdhsa_ieee_mode 1
		.amdhsa_fp16_overflow 0
		.amdhsa_exception_fp_ieee_invalid_op 0
		.amdhsa_exception_fp_denorm_src 0
		.amdhsa_exception_fp_ieee_div_zero 0
		.amdhsa_exception_fp_ieee_overflow 0
		.amdhsa_exception_fp_ieee_underflow 0
		.amdhsa_exception_fp_ieee_inexact 0
		.amdhsa_exception_int_div_zero 0
	.end_amdhsa_kernel
	.section	.text._ZN6thrust23THRUST_200600_302600_NS11hip_rocprim14__parallel_for6kernelILj256ENS1_20__uninitialized_fill7functorINS0_10device_ptrIxEExEEmLj1EEEvT0_T1_SA_,"axG",@progbits,_ZN6thrust23THRUST_200600_302600_NS11hip_rocprim14__parallel_for6kernelILj256ENS1_20__uninitialized_fill7functorINS0_10device_ptrIxEExEEmLj1EEEvT0_T1_SA_,comdat
.Lfunc_end256:
	.size	_ZN6thrust23THRUST_200600_302600_NS11hip_rocprim14__parallel_for6kernelILj256ENS1_20__uninitialized_fill7functorINS0_10device_ptrIxEExEEmLj1EEEvT0_T1_SA_, .Lfunc_end256-_ZN6thrust23THRUST_200600_302600_NS11hip_rocprim14__parallel_for6kernelILj256ENS1_20__uninitialized_fill7functorINS0_10device_ptrIxEExEEmLj1EEEvT0_T1_SA_
                                        ; -- End function
	.set _ZN6thrust23THRUST_200600_302600_NS11hip_rocprim14__parallel_for6kernelILj256ENS1_20__uninitialized_fill7functorINS0_10device_ptrIxEExEEmLj1EEEvT0_T1_SA_.num_vgpr, 5
	.set _ZN6thrust23THRUST_200600_302600_NS11hip_rocprim14__parallel_for6kernelILj256ENS1_20__uninitialized_fill7functorINS0_10device_ptrIxEExEEmLj1EEEvT0_T1_SA_.num_agpr, 0
	.set _ZN6thrust23THRUST_200600_302600_NS11hip_rocprim14__parallel_for6kernelILj256ENS1_20__uninitialized_fill7functorINS0_10device_ptrIxEExEEmLj1EEEvT0_T1_SA_.numbered_sgpr, 16
	.set _ZN6thrust23THRUST_200600_302600_NS11hip_rocprim14__parallel_for6kernelILj256ENS1_20__uninitialized_fill7functorINS0_10device_ptrIxEExEEmLj1EEEvT0_T1_SA_.num_named_barrier, 0
	.set _ZN6thrust23THRUST_200600_302600_NS11hip_rocprim14__parallel_for6kernelILj256ENS1_20__uninitialized_fill7functorINS0_10device_ptrIxEExEEmLj1EEEvT0_T1_SA_.private_seg_size, 0
	.set _ZN6thrust23THRUST_200600_302600_NS11hip_rocprim14__parallel_for6kernelILj256ENS1_20__uninitialized_fill7functorINS0_10device_ptrIxEExEEmLj1EEEvT0_T1_SA_.uses_vcc, 1
	.set _ZN6thrust23THRUST_200600_302600_NS11hip_rocprim14__parallel_for6kernelILj256ENS1_20__uninitialized_fill7functorINS0_10device_ptrIxEExEEmLj1EEEvT0_T1_SA_.uses_flat_scratch, 0
	.set _ZN6thrust23THRUST_200600_302600_NS11hip_rocprim14__parallel_for6kernelILj256ENS1_20__uninitialized_fill7functorINS0_10device_ptrIxEExEEmLj1EEEvT0_T1_SA_.has_dyn_sized_stack, 0
	.set _ZN6thrust23THRUST_200600_302600_NS11hip_rocprim14__parallel_for6kernelILj256ENS1_20__uninitialized_fill7functorINS0_10device_ptrIxEExEEmLj1EEEvT0_T1_SA_.has_recursion, 0
	.set _ZN6thrust23THRUST_200600_302600_NS11hip_rocprim14__parallel_for6kernelILj256ENS1_20__uninitialized_fill7functorINS0_10device_ptrIxEExEEmLj1EEEvT0_T1_SA_.has_indirect_call, 0
	.section	.AMDGPU.csdata,"",@progbits
; Kernel info:
; codeLenInByte = 180
; TotalNumSgprs: 20
; NumVgprs: 5
; ScratchSize: 0
; MemoryBound: 0
; FloatMode: 240
; IeeeMode: 1
; LDSByteSize: 0 bytes/workgroup (compile time only)
; SGPRBlocks: 2
; VGPRBlocks: 1
; NumSGPRsForWavesPerEU: 20
; NumVGPRsForWavesPerEU: 5
; Occupancy: 10
; WaveLimiterHint : 0
; COMPUTE_PGM_RSRC2:SCRATCH_EN: 0
; COMPUTE_PGM_RSRC2:USER_SGPR: 6
; COMPUTE_PGM_RSRC2:TRAP_HANDLER: 0
; COMPUTE_PGM_RSRC2:TGID_X_EN: 1
; COMPUTE_PGM_RSRC2:TGID_Y_EN: 0
; COMPUTE_PGM_RSRC2:TGID_Z_EN: 0
; COMPUTE_PGM_RSRC2:TIDIG_COMP_CNT: 0
	.section	.text._ZN7rocprim17ROCPRIM_400000_NS6detail17trampoline_kernelINS0_14default_configENS1_35adjacent_difference_config_selectorILb0ExEEZNS1_24adjacent_difference_implIS3_Lb0ELb0EPxS7_N6thrust23THRUST_200600_302600_NS5minusIxEEEE10hipError_tPvRmT2_T3_mT4_P12ihipStream_tbEUlT_E_NS1_11comp_targetILNS1_3genE0ELNS1_11target_archE4294967295ELNS1_3gpuE0ELNS1_3repE0EEENS1_30default_config_static_selectorELNS0_4arch9wavefront6targetE1EEEvT1_,"axG",@progbits,_ZN7rocprim17ROCPRIM_400000_NS6detail17trampoline_kernelINS0_14default_configENS1_35adjacent_difference_config_selectorILb0ExEEZNS1_24adjacent_difference_implIS3_Lb0ELb0EPxS7_N6thrust23THRUST_200600_302600_NS5minusIxEEEE10hipError_tPvRmT2_T3_mT4_P12ihipStream_tbEUlT_E_NS1_11comp_targetILNS1_3genE0ELNS1_11target_archE4294967295ELNS1_3gpuE0ELNS1_3repE0EEENS1_30default_config_static_selectorELNS0_4arch9wavefront6targetE1EEEvT1_,comdat
	.protected	_ZN7rocprim17ROCPRIM_400000_NS6detail17trampoline_kernelINS0_14default_configENS1_35adjacent_difference_config_selectorILb0ExEEZNS1_24adjacent_difference_implIS3_Lb0ELb0EPxS7_N6thrust23THRUST_200600_302600_NS5minusIxEEEE10hipError_tPvRmT2_T3_mT4_P12ihipStream_tbEUlT_E_NS1_11comp_targetILNS1_3genE0ELNS1_11target_archE4294967295ELNS1_3gpuE0ELNS1_3repE0EEENS1_30default_config_static_selectorELNS0_4arch9wavefront6targetE1EEEvT1_ ; -- Begin function _ZN7rocprim17ROCPRIM_400000_NS6detail17trampoline_kernelINS0_14default_configENS1_35adjacent_difference_config_selectorILb0ExEEZNS1_24adjacent_difference_implIS3_Lb0ELb0EPxS7_N6thrust23THRUST_200600_302600_NS5minusIxEEEE10hipError_tPvRmT2_T3_mT4_P12ihipStream_tbEUlT_E_NS1_11comp_targetILNS1_3genE0ELNS1_11target_archE4294967295ELNS1_3gpuE0ELNS1_3repE0EEENS1_30default_config_static_selectorELNS0_4arch9wavefront6targetE1EEEvT1_
	.globl	_ZN7rocprim17ROCPRIM_400000_NS6detail17trampoline_kernelINS0_14default_configENS1_35adjacent_difference_config_selectorILb0ExEEZNS1_24adjacent_difference_implIS3_Lb0ELb0EPxS7_N6thrust23THRUST_200600_302600_NS5minusIxEEEE10hipError_tPvRmT2_T3_mT4_P12ihipStream_tbEUlT_E_NS1_11comp_targetILNS1_3genE0ELNS1_11target_archE4294967295ELNS1_3gpuE0ELNS1_3repE0EEENS1_30default_config_static_selectorELNS0_4arch9wavefront6targetE1EEEvT1_
	.p2align	8
	.type	_ZN7rocprim17ROCPRIM_400000_NS6detail17trampoline_kernelINS0_14default_configENS1_35adjacent_difference_config_selectorILb0ExEEZNS1_24adjacent_difference_implIS3_Lb0ELb0EPxS7_N6thrust23THRUST_200600_302600_NS5minusIxEEEE10hipError_tPvRmT2_T3_mT4_P12ihipStream_tbEUlT_E_NS1_11comp_targetILNS1_3genE0ELNS1_11target_archE4294967295ELNS1_3gpuE0ELNS1_3repE0EEENS1_30default_config_static_selectorELNS0_4arch9wavefront6targetE1EEEvT1_,@function
_ZN7rocprim17ROCPRIM_400000_NS6detail17trampoline_kernelINS0_14default_configENS1_35adjacent_difference_config_selectorILb0ExEEZNS1_24adjacent_difference_implIS3_Lb0ELb0EPxS7_N6thrust23THRUST_200600_302600_NS5minusIxEEEE10hipError_tPvRmT2_T3_mT4_P12ihipStream_tbEUlT_E_NS1_11comp_targetILNS1_3genE0ELNS1_11target_archE4294967295ELNS1_3gpuE0ELNS1_3repE0EEENS1_30default_config_static_selectorELNS0_4arch9wavefront6targetE1EEEvT1_: ; @_ZN7rocprim17ROCPRIM_400000_NS6detail17trampoline_kernelINS0_14default_configENS1_35adjacent_difference_config_selectorILb0ExEEZNS1_24adjacent_difference_implIS3_Lb0ELb0EPxS7_N6thrust23THRUST_200600_302600_NS5minusIxEEEE10hipError_tPvRmT2_T3_mT4_P12ihipStream_tbEUlT_E_NS1_11comp_targetILNS1_3genE0ELNS1_11target_archE4294967295ELNS1_3gpuE0ELNS1_3repE0EEENS1_30default_config_static_selectorELNS0_4arch9wavefront6targetE1EEEvT1_
; %bb.0:
	.section	.rodata,"a",@progbits
	.p2align	6, 0x0
	.amdhsa_kernel _ZN7rocprim17ROCPRIM_400000_NS6detail17trampoline_kernelINS0_14default_configENS1_35adjacent_difference_config_selectorILb0ExEEZNS1_24adjacent_difference_implIS3_Lb0ELb0EPxS7_N6thrust23THRUST_200600_302600_NS5minusIxEEEE10hipError_tPvRmT2_T3_mT4_P12ihipStream_tbEUlT_E_NS1_11comp_targetILNS1_3genE0ELNS1_11target_archE4294967295ELNS1_3gpuE0ELNS1_3repE0EEENS1_30default_config_static_selectorELNS0_4arch9wavefront6targetE1EEEvT1_
		.amdhsa_group_segment_fixed_size 0
		.amdhsa_private_segment_fixed_size 0
		.amdhsa_kernarg_size 56
		.amdhsa_user_sgpr_count 6
		.amdhsa_user_sgpr_private_segment_buffer 1
		.amdhsa_user_sgpr_dispatch_ptr 0
		.amdhsa_user_sgpr_queue_ptr 0
		.amdhsa_user_sgpr_kernarg_segment_ptr 1
		.amdhsa_user_sgpr_dispatch_id 0
		.amdhsa_user_sgpr_flat_scratch_init 0
		.amdhsa_user_sgpr_private_segment_size 0
		.amdhsa_uses_dynamic_stack 0
		.amdhsa_system_sgpr_private_segment_wavefront_offset 0
		.amdhsa_system_sgpr_workgroup_id_x 1
		.amdhsa_system_sgpr_workgroup_id_y 0
		.amdhsa_system_sgpr_workgroup_id_z 0
		.amdhsa_system_sgpr_workgroup_info 0
		.amdhsa_system_vgpr_workitem_id 0
		.amdhsa_next_free_vgpr 1
		.amdhsa_next_free_sgpr 0
		.amdhsa_reserve_vcc 0
		.amdhsa_reserve_flat_scratch 0
		.amdhsa_float_round_mode_32 0
		.amdhsa_float_round_mode_16_64 0
		.amdhsa_float_denorm_mode_32 3
		.amdhsa_float_denorm_mode_16_64 3
		.amdhsa_dx10_clamp 1
		.amdhsa_ieee_mode 1
		.amdhsa_fp16_overflow 0
		.amdhsa_exception_fp_ieee_invalid_op 0
		.amdhsa_exception_fp_denorm_src 0
		.amdhsa_exception_fp_ieee_div_zero 0
		.amdhsa_exception_fp_ieee_overflow 0
		.amdhsa_exception_fp_ieee_underflow 0
		.amdhsa_exception_fp_ieee_inexact 0
		.amdhsa_exception_int_div_zero 0
	.end_amdhsa_kernel
	.section	.text._ZN7rocprim17ROCPRIM_400000_NS6detail17trampoline_kernelINS0_14default_configENS1_35adjacent_difference_config_selectorILb0ExEEZNS1_24adjacent_difference_implIS3_Lb0ELb0EPxS7_N6thrust23THRUST_200600_302600_NS5minusIxEEEE10hipError_tPvRmT2_T3_mT4_P12ihipStream_tbEUlT_E_NS1_11comp_targetILNS1_3genE0ELNS1_11target_archE4294967295ELNS1_3gpuE0ELNS1_3repE0EEENS1_30default_config_static_selectorELNS0_4arch9wavefront6targetE1EEEvT1_,"axG",@progbits,_ZN7rocprim17ROCPRIM_400000_NS6detail17trampoline_kernelINS0_14default_configENS1_35adjacent_difference_config_selectorILb0ExEEZNS1_24adjacent_difference_implIS3_Lb0ELb0EPxS7_N6thrust23THRUST_200600_302600_NS5minusIxEEEE10hipError_tPvRmT2_T3_mT4_P12ihipStream_tbEUlT_E_NS1_11comp_targetILNS1_3genE0ELNS1_11target_archE4294967295ELNS1_3gpuE0ELNS1_3repE0EEENS1_30default_config_static_selectorELNS0_4arch9wavefront6targetE1EEEvT1_,comdat
.Lfunc_end257:
	.size	_ZN7rocprim17ROCPRIM_400000_NS6detail17trampoline_kernelINS0_14default_configENS1_35adjacent_difference_config_selectorILb0ExEEZNS1_24adjacent_difference_implIS3_Lb0ELb0EPxS7_N6thrust23THRUST_200600_302600_NS5minusIxEEEE10hipError_tPvRmT2_T3_mT4_P12ihipStream_tbEUlT_E_NS1_11comp_targetILNS1_3genE0ELNS1_11target_archE4294967295ELNS1_3gpuE0ELNS1_3repE0EEENS1_30default_config_static_selectorELNS0_4arch9wavefront6targetE1EEEvT1_, .Lfunc_end257-_ZN7rocprim17ROCPRIM_400000_NS6detail17trampoline_kernelINS0_14default_configENS1_35adjacent_difference_config_selectorILb0ExEEZNS1_24adjacent_difference_implIS3_Lb0ELb0EPxS7_N6thrust23THRUST_200600_302600_NS5minusIxEEEE10hipError_tPvRmT2_T3_mT4_P12ihipStream_tbEUlT_E_NS1_11comp_targetILNS1_3genE0ELNS1_11target_archE4294967295ELNS1_3gpuE0ELNS1_3repE0EEENS1_30default_config_static_selectorELNS0_4arch9wavefront6targetE1EEEvT1_
                                        ; -- End function
	.set _ZN7rocprim17ROCPRIM_400000_NS6detail17trampoline_kernelINS0_14default_configENS1_35adjacent_difference_config_selectorILb0ExEEZNS1_24adjacent_difference_implIS3_Lb0ELb0EPxS7_N6thrust23THRUST_200600_302600_NS5minusIxEEEE10hipError_tPvRmT2_T3_mT4_P12ihipStream_tbEUlT_E_NS1_11comp_targetILNS1_3genE0ELNS1_11target_archE4294967295ELNS1_3gpuE0ELNS1_3repE0EEENS1_30default_config_static_selectorELNS0_4arch9wavefront6targetE1EEEvT1_.num_vgpr, 0
	.set _ZN7rocprim17ROCPRIM_400000_NS6detail17trampoline_kernelINS0_14default_configENS1_35adjacent_difference_config_selectorILb0ExEEZNS1_24adjacent_difference_implIS3_Lb0ELb0EPxS7_N6thrust23THRUST_200600_302600_NS5minusIxEEEE10hipError_tPvRmT2_T3_mT4_P12ihipStream_tbEUlT_E_NS1_11comp_targetILNS1_3genE0ELNS1_11target_archE4294967295ELNS1_3gpuE0ELNS1_3repE0EEENS1_30default_config_static_selectorELNS0_4arch9wavefront6targetE1EEEvT1_.num_agpr, 0
	.set _ZN7rocprim17ROCPRIM_400000_NS6detail17trampoline_kernelINS0_14default_configENS1_35adjacent_difference_config_selectorILb0ExEEZNS1_24adjacent_difference_implIS3_Lb0ELb0EPxS7_N6thrust23THRUST_200600_302600_NS5minusIxEEEE10hipError_tPvRmT2_T3_mT4_P12ihipStream_tbEUlT_E_NS1_11comp_targetILNS1_3genE0ELNS1_11target_archE4294967295ELNS1_3gpuE0ELNS1_3repE0EEENS1_30default_config_static_selectorELNS0_4arch9wavefront6targetE1EEEvT1_.numbered_sgpr, 0
	.set _ZN7rocprim17ROCPRIM_400000_NS6detail17trampoline_kernelINS0_14default_configENS1_35adjacent_difference_config_selectorILb0ExEEZNS1_24adjacent_difference_implIS3_Lb0ELb0EPxS7_N6thrust23THRUST_200600_302600_NS5minusIxEEEE10hipError_tPvRmT2_T3_mT4_P12ihipStream_tbEUlT_E_NS1_11comp_targetILNS1_3genE0ELNS1_11target_archE4294967295ELNS1_3gpuE0ELNS1_3repE0EEENS1_30default_config_static_selectorELNS0_4arch9wavefront6targetE1EEEvT1_.num_named_barrier, 0
	.set _ZN7rocprim17ROCPRIM_400000_NS6detail17trampoline_kernelINS0_14default_configENS1_35adjacent_difference_config_selectorILb0ExEEZNS1_24adjacent_difference_implIS3_Lb0ELb0EPxS7_N6thrust23THRUST_200600_302600_NS5minusIxEEEE10hipError_tPvRmT2_T3_mT4_P12ihipStream_tbEUlT_E_NS1_11comp_targetILNS1_3genE0ELNS1_11target_archE4294967295ELNS1_3gpuE0ELNS1_3repE0EEENS1_30default_config_static_selectorELNS0_4arch9wavefront6targetE1EEEvT1_.private_seg_size, 0
	.set _ZN7rocprim17ROCPRIM_400000_NS6detail17trampoline_kernelINS0_14default_configENS1_35adjacent_difference_config_selectorILb0ExEEZNS1_24adjacent_difference_implIS3_Lb0ELb0EPxS7_N6thrust23THRUST_200600_302600_NS5minusIxEEEE10hipError_tPvRmT2_T3_mT4_P12ihipStream_tbEUlT_E_NS1_11comp_targetILNS1_3genE0ELNS1_11target_archE4294967295ELNS1_3gpuE0ELNS1_3repE0EEENS1_30default_config_static_selectorELNS0_4arch9wavefront6targetE1EEEvT1_.uses_vcc, 0
	.set _ZN7rocprim17ROCPRIM_400000_NS6detail17trampoline_kernelINS0_14default_configENS1_35adjacent_difference_config_selectorILb0ExEEZNS1_24adjacent_difference_implIS3_Lb0ELb0EPxS7_N6thrust23THRUST_200600_302600_NS5minusIxEEEE10hipError_tPvRmT2_T3_mT4_P12ihipStream_tbEUlT_E_NS1_11comp_targetILNS1_3genE0ELNS1_11target_archE4294967295ELNS1_3gpuE0ELNS1_3repE0EEENS1_30default_config_static_selectorELNS0_4arch9wavefront6targetE1EEEvT1_.uses_flat_scratch, 0
	.set _ZN7rocprim17ROCPRIM_400000_NS6detail17trampoline_kernelINS0_14default_configENS1_35adjacent_difference_config_selectorILb0ExEEZNS1_24adjacent_difference_implIS3_Lb0ELb0EPxS7_N6thrust23THRUST_200600_302600_NS5minusIxEEEE10hipError_tPvRmT2_T3_mT4_P12ihipStream_tbEUlT_E_NS1_11comp_targetILNS1_3genE0ELNS1_11target_archE4294967295ELNS1_3gpuE0ELNS1_3repE0EEENS1_30default_config_static_selectorELNS0_4arch9wavefront6targetE1EEEvT1_.has_dyn_sized_stack, 0
	.set _ZN7rocprim17ROCPRIM_400000_NS6detail17trampoline_kernelINS0_14default_configENS1_35adjacent_difference_config_selectorILb0ExEEZNS1_24adjacent_difference_implIS3_Lb0ELb0EPxS7_N6thrust23THRUST_200600_302600_NS5minusIxEEEE10hipError_tPvRmT2_T3_mT4_P12ihipStream_tbEUlT_E_NS1_11comp_targetILNS1_3genE0ELNS1_11target_archE4294967295ELNS1_3gpuE0ELNS1_3repE0EEENS1_30default_config_static_selectorELNS0_4arch9wavefront6targetE1EEEvT1_.has_recursion, 0
	.set _ZN7rocprim17ROCPRIM_400000_NS6detail17trampoline_kernelINS0_14default_configENS1_35adjacent_difference_config_selectorILb0ExEEZNS1_24adjacent_difference_implIS3_Lb0ELb0EPxS7_N6thrust23THRUST_200600_302600_NS5minusIxEEEE10hipError_tPvRmT2_T3_mT4_P12ihipStream_tbEUlT_E_NS1_11comp_targetILNS1_3genE0ELNS1_11target_archE4294967295ELNS1_3gpuE0ELNS1_3repE0EEENS1_30default_config_static_selectorELNS0_4arch9wavefront6targetE1EEEvT1_.has_indirect_call, 0
	.section	.AMDGPU.csdata,"",@progbits
; Kernel info:
; codeLenInByte = 0
; TotalNumSgprs: 4
; NumVgprs: 0
; ScratchSize: 0
; MemoryBound: 0
; FloatMode: 240
; IeeeMode: 1
; LDSByteSize: 0 bytes/workgroup (compile time only)
; SGPRBlocks: 0
; VGPRBlocks: 0
; NumSGPRsForWavesPerEU: 4
; NumVGPRsForWavesPerEU: 1
; Occupancy: 10
; WaveLimiterHint : 0
; COMPUTE_PGM_RSRC2:SCRATCH_EN: 0
; COMPUTE_PGM_RSRC2:USER_SGPR: 6
; COMPUTE_PGM_RSRC2:TRAP_HANDLER: 0
; COMPUTE_PGM_RSRC2:TGID_X_EN: 1
; COMPUTE_PGM_RSRC2:TGID_Y_EN: 0
; COMPUTE_PGM_RSRC2:TGID_Z_EN: 0
; COMPUTE_PGM_RSRC2:TIDIG_COMP_CNT: 0
	.section	.text._ZN7rocprim17ROCPRIM_400000_NS6detail17trampoline_kernelINS0_14default_configENS1_35adjacent_difference_config_selectorILb0ExEEZNS1_24adjacent_difference_implIS3_Lb0ELb0EPxS7_N6thrust23THRUST_200600_302600_NS5minusIxEEEE10hipError_tPvRmT2_T3_mT4_P12ihipStream_tbEUlT_E_NS1_11comp_targetILNS1_3genE10ELNS1_11target_archE1201ELNS1_3gpuE5ELNS1_3repE0EEENS1_30default_config_static_selectorELNS0_4arch9wavefront6targetE1EEEvT1_,"axG",@progbits,_ZN7rocprim17ROCPRIM_400000_NS6detail17trampoline_kernelINS0_14default_configENS1_35adjacent_difference_config_selectorILb0ExEEZNS1_24adjacent_difference_implIS3_Lb0ELb0EPxS7_N6thrust23THRUST_200600_302600_NS5minusIxEEEE10hipError_tPvRmT2_T3_mT4_P12ihipStream_tbEUlT_E_NS1_11comp_targetILNS1_3genE10ELNS1_11target_archE1201ELNS1_3gpuE5ELNS1_3repE0EEENS1_30default_config_static_selectorELNS0_4arch9wavefront6targetE1EEEvT1_,comdat
	.protected	_ZN7rocprim17ROCPRIM_400000_NS6detail17trampoline_kernelINS0_14default_configENS1_35adjacent_difference_config_selectorILb0ExEEZNS1_24adjacent_difference_implIS3_Lb0ELb0EPxS7_N6thrust23THRUST_200600_302600_NS5minusIxEEEE10hipError_tPvRmT2_T3_mT4_P12ihipStream_tbEUlT_E_NS1_11comp_targetILNS1_3genE10ELNS1_11target_archE1201ELNS1_3gpuE5ELNS1_3repE0EEENS1_30default_config_static_selectorELNS0_4arch9wavefront6targetE1EEEvT1_ ; -- Begin function _ZN7rocprim17ROCPRIM_400000_NS6detail17trampoline_kernelINS0_14default_configENS1_35adjacent_difference_config_selectorILb0ExEEZNS1_24adjacent_difference_implIS3_Lb0ELb0EPxS7_N6thrust23THRUST_200600_302600_NS5minusIxEEEE10hipError_tPvRmT2_T3_mT4_P12ihipStream_tbEUlT_E_NS1_11comp_targetILNS1_3genE10ELNS1_11target_archE1201ELNS1_3gpuE5ELNS1_3repE0EEENS1_30default_config_static_selectorELNS0_4arch9wavefront6targetE1EEEvT1_
	.globl	_ZN7rocprim17ROCPRIM_400000_NS6detail17trampoline_kernelINS0_14default_configENS1_35adjacent_difference_config_selectorILb0ExEEZNS1_24adjacent_difference_implIS3_Lb0ELb0EPxS7_N6thrust23THRUST_200600_302600_NS5minusIxEEEE10hipError_tPvRmT2_T3_mT4_P12ihipStream_tbEUlT_E_NS1_11comp_targetILNS1_3genE10ELNS1_11target_archE1201ELNS1_3gpuE5ELNS1_3repE0EEENS1_30default_config_static_selectorELNS0_4arch9wavefront6targetE1EEEvT1_
	.p2align	8
	.type	_ZN7rocprim17ROCPRIM_400000_NS6detail17trampoline_kernelINS0_14default_configENS1_35adjacent_difference_config_selectorILb0ExEEZNS1_24adjacent_difference_implIS3_Lb0ELb0EPxS7_N6thrust23THRUST_200600_302600_NS5minusIxEEEE10hipError_tPvRmT2_T3_mT4_P12ihipStream_tbEUlT_E_NS1_11comp_targetILNS1_3genE10ELNS1_11target_archE1201ELNS1_3gpuE5ELNS1_3repE0EEENS1_30default_config_static_selectorELNS0_4arch9wavefront6targetE1EEEvT1_,@function
_ZN7rocprim17ROCPRIM_400000_NS6detail17trampoline_kernelINS0_14default_configENS1_35adjacent_difference_config_selectorILb0ExEEZNS1_24adjacent_difference_implIS3_Lb0ELb0EPxS7_N6thrust23THRUST_200600_302600_NS5minusIxEEEE10hipError_tPvRmT2_T3_mT4_P12ihipStream_tbEUlT_E_NS1_11comp_targetILNS1_3genE10ELNS1_11target_archE1201ELNS1_3gpuE5ELNS1_3repE0EEENS1_30default_config_static_selectorELNS0_4arch9wavefront6targetE1EEEvT1_: ; @_ZN7rocprim17ROCPRIM_400000_NS6detail17trampoline_kernelINS0_14default_configENS1_35adjacent_difference_config_selectorILb0ExEEZNS1_24adjacent_difference_implIS3_Lb0ELb0EPxS7_N6thrust23THRUST_200600_302600_NS5minusIxEEEE10hipError_tPvRmT2_T3_mT4_P12ihipStream_tbEUlT_E_NS1_11comp_targetILNS1_3genE10ELNS1_11target_archE1201ELNS1_3gpuE5ELNS1_3repE0EEENS1_30default_config_static_selectorELNS0_4arch9wavefront6targetE1EEEvT1_
; %bb.0:
	.section	.rodata,"a",@progbits
	.p2align	6, 0x0
	.amdhsa_kernel _ZN7rocprim17ROCPRIM_400000_NS6detail17trampoline_kernelINS0_14default_configENS1_35adjacent_difference_config_selectorILb0ExEEZNS1_24adjacent_difference_implIS3_Lb0ELb0EPxS7_N6thrust23THRUST_200600_302600_NS5minusIxEEEE10hipError_tPvRmT2_T3_mT4_P12ihipStream_tbEUlT_E_NS1_11comp_targetILNS1_3genE10ELNS1_11target_archE1201ELNS1_3gpuE5ELNS1_3repE0EEENS1_30default_config_static_selectorELNS0_4arch9wavefront6targetE1EEEvT1_
		.amdhsa_group_segment_fixed_size 0
		.amdhsa_private_segment_fixed_size 0
		.amdhsa_kernarg_size 56
		.amdhsa_user_sgpr_count 6
		.amdhsa_user_sgpr_private_segment_buffer 1
		.amdhsa_user_sgpr_dispatch_ptr 0
		.amdhsa_user_sgpr_queue_ptr 0
		.amdhsa_user_sgpr_kernarg_segment_ptr 1
		.amdhsa_user_sgpr_dispatch_id 0
		.amdhsa_user_sgpr_flat_scratch_init 0
		.amdhsa_user_sgpr_private_segment_size 0
		.amdhsa_uses_dynamic_stack 0
		.amdhsa_system_sgpr_private_segment_wavefront_offset 0
		.amdhsa_system_sgpr_workgroup_id_x 1
		.amdhsa_system_sgpr_workgroup_id_y 0
		.amdhsa_system_sgpr_workgroup_id_z 0
		.amdhsa_system_sgpr_workgroup_info 0
		.amdhsa_system_vgpr_workitem_id 0
		.amdhsa_next_free_vgpr 1
		.amdhsa_next_free_sgpr 0
		.amdhsa_reserve_vcc 0
		.amdhsa_reserve_flat_scratch 0
		.amdhsa_float_round_mode_32 0
		.amdhsa_float_round_mode_16_64 0
		.amdhsa_float_denorm_mode_32 3
		.amdhsa_float_denorm_mode_16_64 3
		.amdhsa_dx10_clamp 1
		.amdhsa_ieee_mode 1
		.amdhsa_fp16_overflow 0
		.amdhsa_exception_fp_ieee_invalid_op 0
		.amdhsa_exception_fp_denorm_src 0
		.amdhsa_exception_fp_ieee_div_zero 0
		.amdhsa_exception_fp_ieee_overflow 0
		.amdhsa_exception_fp_ieee_underflow 0
		.amdhsa_exception_fp_ieee_inexact 0
		.amdhsa_exception_int_div_zero 0
	.end_amdhsa_kernel
	.section	.text._ZN7rocprim17ROCPRIM_400000_NS6detail17trampoline_kernelINS0_14default_configENS1_35adjacent_difference_config_selectorILb0ExEEZNS1_24adjacent_difference_implIS3_Lb0ELb0EPxS7_N6thrust23THRUST_200600_302600_NS5minusIxEEEE10hipError_tPvRmT2_T3_mT4_P12ihipStream_tbEUlT_E_NS1_11comp_targetILNS1_3genE10ELNS1_11target_archE1201ELNS1_3gpuE5ELNS1_3repE0EEENS1_30default_config_static_selectorELNS0_4arch9wavefront6targetE1EEEvT1_,"axG",@progbits,_ZN7rocprim17ROCPRIM_400000_NS6detail17trampoline_kernelINS0_14default_configENS1_35adjacent_difference_config_selectorILb0ExEEZNS1_24adjacent_difference_implIS3_Lb0ELb0EPxS7_N6thrust23THRUST_200600_302600_NS5minusIxEEEE10hipError_tPvRmT2_T3_mT4_P12ihipStream_tbEUlT_E_NS1_11comp_targetILNS1_3genE10ELNS1_11target_archE1201ELNS1_3gpuE5ELNS1_3repE0EEENS1_30default_config_static_selectorELNS0_4arch9wavefront6targetE1EEEvT1_,comdat
.Lfunc_end258:
	.size	_ZN7rocprim17ROCPRIM_400000_NS6detail17trampoline_kernelINS0_14default_configENS1_35adjacent_difference_config_selectorILb0ExEEZNS1_24adjacent_difference_implIS3_Lb0ELb0EPxS7_N6thrust23THRUST_200600_302600_NS5minusIxEEEE10hipError_tPvRmT2_T3_mT4_P12ihipStream_tbEUlT_E_NS1_11comp_targetILNS1_3genE10ELNS1_11target_archE1201ELNS1_3gpuE5ELNS1_3repE0EEENS1_30default_config_static_selectorELNS0_4arch9wavefront6targetE1EEEvT1_, .Lfunc_end258-_ZN7rocprim17ROCPRIM_400000_NS6detail17trampoline_kernelINS0_14default_configENS1_35adjacent_difference_config_selectorILb0ExEEZNS1_24adjacent_difference_implIS3_Lb0ELb0EPxS7_N6thrust23THRUST_200600_302600_NS5minusIxEEEE10hipError_tPvRmT2_T3_mT4_P12ihipStream_tbEUlT_E_NS1_11comp_targetILNS1_3genE10ELNS1_11target_archE1201ELNS1_3gpuE5ELNS1_3repE0EEENS1_30default_config_static_selectorELNS0_4arch9wavefront6targetE1EEEvT1_
                                        ; -- End function
	.set _ZN7rocprim17ROCPRIM_400000_NS6detail17trampoline_kernelINS0_14default_configENS1_35adjacent_difference_config_selectorILb0ExEEZNS1_24adjacent_difference_implIS3_Lb0ELb0EPxS7_N6thrust23THRUST_200600_302600_NS5minusIxEEEE10hipError_tPvRmT2_T3_mT4_P12ihipStream_tbEUlT_E_NS1_11comp_targetILNS1_3genE10ELNS1_11target_archE1201ELNS1_3gpuE5ELNS1_3repE0EEENS1_30default_config_static_selectorELNS0_4arch9wavefront6targetE1EEEvT1_.num_vgpr, 0
	.set _ZN7rocprim17ROCPRIM_400000_NS6detail17trampoline_kernelINS0_14default_configENS1_35adjacent_difference_config_selectorILb0ExEEZNS1_24adjacent_difference_implIS3_Lb0ELb0EPxS7_N6thrust23THRUST_200600_302600_NS5minusIxEEEE10hipError_tPvRmT2_T3_mT4_P12ihipStream_tbEUlT_E_NS1_11comp_targetILNS1_3genE10ELNS1_11target_archE1201ELNS1_3gpuE5ELNS1_3repE0EEENS1_30default_config_static_selectorELNS0_4arch9wavefront6targetE1EEEvT1_.num_agpr, 0
	.set _ZN7rocprim17ROCPRIM_400000_NS6detail17trampoline_kernelINS0_14default_configENS1_35adjacent_difference_config_selectorILb0ExEEZNS1_24adjacent_difference_implIS3_Lb0ELb0EPxS7_N6thrust23THRUST_200600_302600_NS5minusIxEEEE10hipError_tPvRmT2_T3_mT4_P12ihipStream_tbEUlT_E_NS1_11comp_targetILNS1_3genE10ELNS1_11target_archE1201ELNS1_3gpuE5ELNS1_3repE0EEENS1_30default_config_static_selectorELNS0_4arch9wavefront6targetE1EEEvT1_.numbered_sgpr, 0
	.set _ZN7rocprim17ROCPRIM_400000_NS6detail17trampoline_kernelINS0_14default_configENS1_35adjacent_difference_config_selectorILb0ExEEZNS1_24adjacent_difference_implIS3_Lb0ELb0EPxS7_N6thrust23THRUST_200600_302600_NS5minusIxEEEE10hipError_tPvRmT2_T3_mT4_P12ihipStream_tbEUlT_E_NS1_11comp_targetILNS1_3genE10ELNS1_11target_archE1201ELNS1_3gpuE5ELNS1_3repE0EEENS1_30default_config_static_selectorELNS0_4arch9wavefront6targetE1EEEvT1_.num_named_barrier, 0
	.set _ZN7rocprim17ROCPRIM_400000_NS6detail17trampoline_kernelINS0_14default_configENS1_35adjacent_difference_config_selectorILb0ExEEZNS1_24adjacent_difference_implIS3_Lb0ELb0EPxS7_N6thrust23THRUST_200600_302600_NS5minusIxEEEE10hipError_tPvRmT2_T3_mT4_P12ihipStream_tbEUlT_E_NS1_11comp_targetILNS1_3genE10ELNS1_11target_archE1201ELNS1_3gpuE5ELNS1_3repE0EEENS1_30default_config_static_selectorELNS0_4arch9wavefront6targetE1EEEvT1_.private_seg_size, 0
	.set _ZN7rocprim17ROCPRIM_400000_NS6detail17trampoline_kernelINS0_14default_configENS1_35adjacent_difference_config_selectorILb0ExEEZNS1_24adjacent_difference_implIS3_Lb0ELb0EPxS7_N6thrust23THRUST_200600_302600_NS5minusIxEEEE10hipError_tPvRmT2_T3_mT4_P12ihipStream_tbEUlT_E_NS1_11comp_targetILNS1_3genE10ELNS1_11target_archE1201ELNS1_3gpuE5ELNS1_3repE0EEENS1_30default_config_static_selectorELNS0_4arch9wavefront6targetE1EEEvT1_.uses_vcc, 0
	.set _ZN7rocprim17ROCPRIM_400000_NS6detail17trampoline_kernelINS0_14default_configENS1_35adjacent_difference_config_selectorILb0ExEEZNS1_24adjacent_difference_implIS3_Lb0ELb0EPxS7_N6thrust23THRUST_200600_302600_NS5minusIxEEEE10hipError_tPvRmT2_T3_mT4_P12ihipStream_tbEUlT_E_NS1_11comp_targetILNS1_3genE10ELNS1_11target_archE1201ELNS1_3gpuE5ELNS1_3repE0EEENS1_30default_config_static_selectorELNS0_4arch9wavefront6targetE1EEEvT1_.uses_flat_scratch, 0
	.set _ZN7rocprim17ROCPRIM_400000_NS6detail17trampoline_kernelINS0_14default_configENS1_35adjacent_difference_config_selectorILb0ExEEZNS1_24adjacent_difference_implIS3_Lb0ELb0EPxS7_N6thrust23THRUST_200600_302600_NS5minusIxEEEE10hipError_tPvRmT2_T3_mT4_P12ihipStream_tbEUlT_E_NS1_11comp_targetILNS1_3genE10ELNS1_11target_archE1201ELNS1_3gpuE5ELNS1_3repE0EEENS1_30default_config_static_selectorELNS0_4arch9wavefront6targetE1EEEvT1_.has_dyn_sized_stack, 0
	.set _ZN7rocprim17ROCPRIM_400000_NS6detail17trampoline_kernelINS0_14default_configENS1_35adjacent_difference_config_selectorILb0ExEEZNS1_24adjacent_difference_implIS3_Lb0ELb0EPxS7_N6thrust23THRUST_200600_302600_NS5minusIxEEEE10hipError_tPvRmT2_T3_mT4_P12ihipStream_tbEUlT_E_NS1_11comp_targetILNS1_3genE10ELNS1_11target_archE1201ELNS1_3gpuE5ELNS1_3repE0EEENS1_30default_config_static_selectorELNS0_4arch9wavefront6targetE1EEEvT1_.has_recursion, 0
	.set _ZN7rocprim17ROCPRIM_400000_NS6detail17trampoline_kernelINS0_14default_configENS1_35adjacent_difference_config_selectorILb0ExEEZNS1_24adjacent_difference_implIS3_Lb0ELb0EPxS7_N6thrust23THRUST_200600_302600_NS5minusIxEEEE10hipError_tPvRmT2_T3_mT4_P12ihipStream_tbEUlT_E_NS1_11comp_targetILNS1_3genE10ELNS1_11target_archE1201ELNS1_3gpuE5ELNS1_3repE0EEENS1_30default_config_static_selectorELNS0_4arch9wavefront6targetE1EEEvT1_.has_indirect_call, 0
	.section	.AMDGPU.csdata,"",@progbits
; Kernel info:
; codeLenInByte = 0
; TotalNumSgprs: 4
; NumVgprs: 0
; ScratchSize: 0
; MemoryBound: 0
; FloatMode: 240
; IeeeMode: 1
; LDSByteSize: 0 bytes/workgroup (compile time only)
; SGPRBlocks: 0
; VGPRBlocks: 0
; NumSGPRsForWavesPerEU: 4
; NumVGPRsForWavesPerEU: 1
; Occupancy: 10
; WaveLimiterHint : 0
; COMPUTE_PGM_RSRC2:SCRATCH_EN: 0
; COMPUTE_PGM_RSRC2:USER_SGPR: 6
; COMPUTE_PGM_RSRC2:TRAP_HANDLER: 0
; COMPUTE_PGM_RSRC2:TGID_X_EN: 1
; COMPUTE_PGM_RSRC2:TGID_Y_EN: 0
; COMPUTE_PGM_RSRC2:TGID_Z_EN: 0
; COMPUTE_PGM_RSRC2:TIDIG_COMP_CNT: 0
	.section	.text._ZN7rocprim17ROCPRIM_400000_NS6detail17trampoline_kernelINS0_14default_configENS1_35adjacent_difference_config_selectorILb0ExEEZNS1_24adjacent_difference_implIS3_Lb0ELb0EPxS7_N6thrust23THRUST_200600_302600_NS5minusIxEEEE10hipError_tPvRmT2_T3_mT4_P12ihipStream_tbEUlT_E_NS1_11comp_targetILNS1_3genE5ELNS1_11target_archE942ELNS1_3gpuE9ELNS1_3repE0EEENS1_30default_config_static_selectorELNS0_4arch9wavefront6targetE1EEEvT1_,"axG",@progbits,_ZN7rocprim17ROCPRIM_400000_NS6detail17trampoline_kernelINS0_14default_configENS1_35adjacent_difference_config_selectorILb0ExEEZNS1_24adjacent_difference_implIS3_Lb0ELb0EPxS7_N6thrust23THRUST_200600_302600_NS5minusIxEEEE10hipError_tPvRmT2_T3_mT4_P12ihipStream_tbEUlT_E_NS1_11comp_targetILNS1_3genE5ELNS1_11target_archE942ELNS1_3gpuE9ELNS1_3repE0EEENS1_30default_config_static_selectorELNS0_4arch9wavefront6targetE1EEEvT1_,comdat
	.protected	_ZN7rocprim17ROCPRIM_400000_NS6detail17trampoline_kernelINS0_14default_configENS1_35adjacent_difference_config_selectorILb0ExEEZNS1_24adjacent_difference_implIS3_Lb0ELb0EPxS7_N6thrust23THRUST_200600_302600_NS5minusIxEEEE10hipError_tPvRmT2_T3_mT4_P12ihipStream_tbEUlT_E_NS1_11comp_targetILNS1_3genE5ELNS1_11target_archE942ELNS1_3gpuE9ELNS1_3repE0EEENS1_30default_config_static_selectorELNS0_4arch9wavefront6targetE1EEEvT1_ ; -- Begin function _ZN7rocprim17ROCPRIM_400000_NS6detail17trampoline_kernelINS0_14default_configENS1_35adjacent_difference_config_selectorILb0ExEEZNS1_24adjacent_difference_implIS3_Lb0ELb0EPxS7_N6thrust23THRUST_200600_302600_NS5minusIxEEEE10hipError_tPvRmT2_T3_mT4_P12ihipStream_tbEUlT_E_NS1_11comp_targetILNS1_3genE5ELNS1_11target_archE942ELNS1_3gpuE9ELNS1_3repE0EEENS1_30default_config_static_selectorELNS0_4arch9wavefront6targetE1EEEvT1_
	.globl	_ZN7rocprim17ROCPRIM_400000_NS6detail17trampoline_kernelINS0_14default_configENS1_35adjacent_difference_config_selectorILb0ExEEZNS1_24adjacent_difference_implIS3_Lb0ELb0EPxS7_N6thrust23THRUST_200600_302600_NS5minusIxEEEE10hipError_tPvRmT2_T3_mT4_P12ihipStream_tbEUlT_E_NS1_11comp_targetILNS1_3genE5ELNS1_11target_archE942ELNS1_3gpuE9ELNS1_3repE0EEENS1_30default_config_static_selectorELNS0_4arch9wavefront6targetE1EEEvT1_
	.p2align	8
	.type	_ZN7rocprim17ROCPRIM_400000_NS6detail17trampoline_kernelINS0_14default_configENS1_35adjacent_difference_config_selectorILb0ExEEZNS1_24adjacent_difference_implIS3_Lb0ELb0EPxS7_N6thrust23THRUST_200600_302600_NS5minusIxEEEE10hipError_tPvRmT2_T3_mT4_P12ihipStream_tbEUlT_E_NS1_11comp_targetILNS1_3genE5ELNS1_11target_archE942ELNS1_3gpuE9ELNS1_3repE0EEENS1_30default_config_static_selectorELNS0_4arch9wavefront6targetE1EEEvT1_,@function
_ZN7rocprim17ROCPRIM_400000_NS6detail17trampoline_kernelINS0_14default_configENS1_35adjacent_difference_config_selectorILb0ExEEZNS1_24adjacent_difference_implIS3_Lb0ELb0EPxS7_N6thrust23THRUST_200600_302600_NS5minusIxEEEE10hipError_tPvRmT2_T3_mT4_P12ihipStream_tbEUlT_E_NS1_11comp_targetILNS1_3genE5ELNS1_11target_archE942ELNS1_3gpuE9ELNS1_3repE0EEENS1_30default_config_static_selectorELNS0_4arch9wavefront6targetE1EEEvT1_: ; @_ZN7rocprim17ROCPRIM_400000_NS6detail17trampoline_kernelINS0_14default_configENS1_35adjacent_difference_config_selectorILb0ExEEZNS1_24adjacent_difference_implIS3_Lb0ELb0EPxS7_N6thrust23THRUST_200600_302600_NS5minusIxEEEE10hipError_tPvRmT2_T3_mT4_P12ihipStream_tbEUlT_E_NS1_11comp_targetILNS1_3genE5ELNS1_11target_archE942ELNS1_3gpuE9ELNS1_3repE0EEENS1_30default_config_static_selectorELNS0_4arch9wavefront6targetE1EEEvT1_
; %bb.0:
	.section	.rodata,"a",@progbits
	.p2align	6, 0x0
	.amdhsa_kernel _ZN7rocprim17ROCPRIM_400000_NS6detail17trampoline_kernelINS0_14default_configENS1_35adjacent_difference_config_selectorILb0ExEEZNS1_24adjacent_difference_implIS3_Lb0ELb0EPxS7_N6thrust23THRUST_200600_302600_NS5minusIxEEEE10hipError_tPvRmT2_T3_mT4_P12ihipStream_tbEUlT_E_NS1_11comp_targetILNS1_3genE5ELNS1_11target_archE942ELNS1_3gpuE9ELNS1_3repE0EEENS1_30default_config_static_selectorELNS0_4arch9wavefront6targetE1EEEvT1_
		.amdhsa_group_segment_fixed_size 0
		.amdhsa_private_segment_fixed_size 0
		.amdhsa_kernarg_size 56
		.amdhsa_user_sgpr_count 6
		.amdhsa_user_sgpr_private_segment_buffer 1
		.amdhsa_user_sgpr_dispatch_ptr 0
		.amdhsa_user_sgpr_queue_ptr 0
		.amdhsa_user_sgpr_kernarg_segment_ptr 1
		.amdhsa_user_sgpr_dispatch_id 0
		.amdhsa_user_sgpr_flat_scratch_init 0
		.amdhsa_user_sgpr_private_segment_size 0
		.amdhsa_uses_dynamic_stack 0
		.amdhsa_system_sgpr_private_segment_wavefront_offset 0
		.amdhsa_system_sgpr_workgroup_id_x 1
		.amdhsa_system_sgpr_workgroup_id_y 0
		.amdhsa_system_sgpr_workgroup_id_z 0
		.amdhsa_system_sgpr_workgroup_info 0
		.amdhsa_system_vgpr_workitem_id 0
		.amdhsa_next_free_vgpr 1
		.amdhsa_next_free_sgpr 0
		.amdhsa_reserve_vcc 0
		.amdhsa_reserve_flat_scratch 0
		.amdhsa_float_round_mode_32 0
		.amdhsa_float_round_mode_16_64 0
		.amdhsa_float_denorm_mode_32 3
		.amdhsa_float_denorm_mode_16_64 3
		.amdhsa_dx10_clamp 1
		.amdhsa_ieee_mode 1
		.amdhsa_fp16_overflow 0
		.amdhsa_exception_fp_ieee_invalid_op 0
		.amdhsa_exception_fp_denorm_src 0
		.amdhsa_exception_fp_ieee_div_zero 0
		.amdhsa_exception_fp_ieee_overflow 0
		.amdhsa_exception_fp_ieee_underflow 0
		.amdhsa_exception_fp_ieee_inexact 0
		.amdhsa_exception_int_div_zero 0
	.end_amdhsa_kernel
	.section	.text._ZN7rocprim17ROCPRIM_400000_NS6detail17trampoline_kernelINS0_14default_configENS1_35adjacent_difference_config_selectorILb0ExEEZNS1_24adjacent_difference_implIS3_Lb0ELb0EPxS7_N6thrust23THRUST_200600_302600_NS5minusIxEEEE10hipError_tPvRmT2_T3_mT4_P12ihipStream_tbEUlT_E_NS1_11comp_targetILNS1_3genE5ELNS1_11target_archE942ELNS1_3gpuE9ELNS1_3repE0EEENS1_30default_config_static_selectorELNS0_4arch9wavefront6targetE1EEEvT1_,"axG",@progbits,_ZN7rocprim17ROCPRIM_400000_NS6detail17trampoline_kernelINS0_14default_configENS1_35adjacent_difference_config_selectorILb0ExEEZNS1_24adjacent_difference_implIS3_Lb0ELb0EPxS7_N6thrust23THRUST_200600_302600_NS5minusIxEEEE10hipError_tPvRmT2_T3_mT4_P12ihipStream_tbEUlT_E_NS1_11comp_targetILNS1_3genE5ELNS1_11target_archE942ELNS1_3gpuE9ELNS1_3repE0EEENS1_30default_config_static_selectorELNS0_4arch9wavefront6targetE1EEEvT1_,comdat
.Lfunc_end259:
	.size	_ZN7rocprim17ROCPRIM_400000_NS6detail17trampoline_kernelINS0_14default_configENS1_35adjacent_difference_config_selectorILb0ExEEZNS1_24adjacent_difference_implIS3_Lb0ELb0EPxS7_N6thrust23THRUST_200600_302600_NS5minusIxEEEE10hipError_tPvRmT2_T3_mT4_P12ihipStream_tbEUlT_E_NS1_11comp_targetILNS1_3genE5ELNS1_11target_archE942ELNS1_3gpuE9ELNS1_3repE0EEENS1_30default_config_static_selectorELNS0_4arch9wavefront6targetE1EEEvT1_, .Lfunc_end259-_ZN7rocprim17ROCPRIM_400000_NS6detail17trampoline_kernelINS0_14default_configENS1_35adjacent_difference_config_selectorILb0ExEEZNS1_24adjacent_difference_implIS3_Lb0ELb0EPxS7_N6thrust23THRUST_200600_302600_NS5minusIxEEEE10hipError_tPvRmT2_T3_mT4_P12ihipStream_tbEUlT_E_NS1_11comp_targetILNS1_3genE5ELNS1_11target_archE942ELNS1_3gpuE9ELNS1_3repE0EEENS1_30default_config_static_selectorELNS0_4arch9wavefront6targetE1EEEvT1_
                                        ; -- End function
	.set _ZN7rocprim17ROCPRIM_400000_NS6detail17trampoline_kernelINS0_14default_configENS1_35adjacent_difference_config_selectorILb0ExEEZNS1_24adjacent_difference_implIS3_Lb0ELb0EPxS7_N6thrust23THRUST_200600_302600_NS5minusIxEEEE10hipError_tPvRmT2_T3_mT4_P12ihipStream_tbEUlT_E_NS1_11comp_targetILNS1_3genE5ELNS1_11target_archE942ELNS1_3gpuE9ELNS1_3repE0EEENS1_30default_config_static_selectorELNS0_4arch9wavefront6targetE1EEEvT1_.num_vgpr, 0
	.set _ZN7rocprim17ROCPRIM_400000_NS6detail17trampoline_kernelINS0_14default_configENS1_35adjacent_difference_config_selectorILb0ExEEZNS1_24adjacent_difference_implIS3_Lb0ELb0EPxS7_N6thrust23THRUST_200600_302600_NS5minusIxEEEE10hipError_tPvRmT2_T3_mT4_P12ihipStream_tbEUlT_E_NS1_11comp_targetILNS1_3genE5ELNS1_11target_archE942ELNS1_3gpuE9ELNS1_3repE0EEENS1_30default_config_static_selectorELNS0_4arch9wavefront6targetE1EEEvT1_.num_agpr, 0
	.set _ZN7rocprim17ROCPRIM_400000_NS6detail17trampoline_kernelINS0_14default_configENS1_35adjacent_difference_config_selectorILb0ExEEZNS1_24adjacent_difference_implIS3_Lb0ELb0EPxS7_N6thrust23THRUST_200600_302600_NS5minusIxEEEE10hipError_tPvRmT2_T3_mT4_P12ihipStream_tbEUlT_E_NS1_11comp_targetILNS1_3genE5ELNS1_11target_archE942ELNS1_3gpuE9ELNS1_3repE0EEENS1_30default_config_static_selectorELNS0_4arch9wavefront6targetE1EEEvT1_.numbered_sgpr, 0
	.set _ZN7rocprim17ROCPRIM_400000_NS6detail17trampoline_kernelINS0_14default_configENS1_35adjacent_difference_config_selectorILb0ExEEZNS1_24adjacent_difference_implIS3_Lb0ELb0EPxS7_N6thrust23THRUST_200600_302600_NS5minusIxEEEE10hipError_tPvRmT2_T3_mT4_P12ihipStream_tbEUlT_E_NS1_11comp_targetILNS1_3genE5ELNS1_11target_archE942ELNS1_3gpuE9ELNS1_3repE0EEENS1_30default_config_static_selectorELNS0_4arch9wavefront6targetE1EEEvT1_.num_named_barrier, 0
	.set _ZN7rocprim17ROCPRIM_400000_NS6detail17trampoline_kernelINS0_14default_configENS1_35adjacent_difference_config_selectorILb0ExEEZNS1_24adjacent_difference_implIS3_Lb0ELb0EPxS7_N6thrust23THRUST_200600_302600_NS5minusIxEEEE10hipError_tPvRmT2_T3_mT4_P12ihipStream_tbEUlT_E_NS1_11comp_targetILNS1_3genE5ELNS1_11target_archE942ELNS1_3gpuE9ELNS1_3repE0EEENS1_30default_config_static_selectorELNS0_4arch9wavefront6targetE1EEEvT1_.private_seg_size, 0
	.set _ZN7rocprim17ROCPRIM_400000_NS6detail17trampoline_kernelINS0_14default_configENS1_35adjacent_difference_config_selectorILb0ExEEZNS1_24adjacent_difference_implIS3_Lb0ELb0EPxS7_N6thrust23THRUST_200600_302600_NS5minusIxEEEE10hipError_tPvRmT2_T3_mT4_P12ihipStream_tbEUlT_E_NS1_11comp_targetILNS1_3genE5ELNS1_11target_archE942ELNS1_3gpuE9ELNS1_3repE0EEENS1_30default_config_static_selectorELNS0_4arch9wavefront6targetE1EEEvT1_.uses_vcc, 0
	.set _ZN7rocprim17ROCPRIM_400000_NS6detail17trampoline_kernelINS0_14default_configENS1_35adjacent_difference_config_selectorILb0ExEEZNS1_24adjacent_difference_implIS3_Lb0ELb0EPxS7_N6thrust23THRUST_200600_302600_NS5minusIxEEEE10hipError_tPvRmT2_T3_mT4_P12ihipStream_tbEUlT_E_NS1_11comp_targetILNS1_3genE5ELNS1_11target_archE942ELNS1_3gpuE9ELNS1_3repE0EEENS1_30default_config_static_selectorELNS0_4arch9wavefront6targetE1EEEvT1_.uses_flat_scratch, 0
	.set _ZN7rocprim17ROCPRIM_400000_NS6detail17trampoline_kernelINS0_14default_configENS1_35adjacent_difference_config_selectorILb0ExEEZNS1_24adjacent_difference_implIS3_Lb0ELb0EPxS7_N6thrust23THRUST_200600_302600_NS5minusIxEEEE10hipError_tPvRmT2_T3_mT4_P12ihipStream_tbEUlT_E_NS1_11comp_targetILNS1_3genE5ELNS1_11target_archE942ELNS1_3gpuE9ELNS1_3repE0EEENS1_30default_config_static_selectorELNS0_4arch9wavefront6targetE1EEEvT1_.has_dyn_sized_stack, 0
	.set _ZN7rocprim17ROCPRIM_400000_NS6detail17trampoline_kernelINS0_14default_configENS1_35adjacent_difference_config_selectorILb0ExEEZNS1_24adjacent_difference_implIS3_Lb0ELb0EPxS7_N6thrust23THRUST_200600_302600_NS5minusIxEEEE10hipError_tPvRmT2_T3_mT4_P12ihipStream_tbEUlT_E_NS1_11comp_targetILNS1_3genE5ELNS1_11target_archE942ELNS1_3gpuE9ELNS1_3repE0EEENS1_30default_config_static_selectorELNS0_4arch9wavefront6targetE1EEEvT1_.has_recursion, 0
	.set _ZN7rocprim17ROCPRIM_400000_NS6detail17trampoline_kernelINS0_14default_configENS1_35adjacent_difference_config_selectorILb0ExEEZNS1_24adjacent_difference_implIS3_Lb0ELb0EPxS7_N6thrust23THRUST_200600_302600_NS5minusIxEEEE10hipError_tPvRmT2_T3_mT4_P12ihipStream_tbEUlT_E_NS1_11comp_targetILNS1_3genE5ELNS1_11target_archE942ELNS1_3gpuE9ELNS1_3repE0EEENS1_30default_config_static_selectorELNS0_4arch9wavefront6targetE1EEEvT1_.has_indirect_call, 0
	.section	.AMDGPU.csdata,"",@progbits
; Kernel info:
; codeLenInByte = 0
; TotalNumSgprs: 4
; NumVgprs: 0
; ScratchSize: 0
; MemoryBound: 0
; FloatMode: 240
; IeeeMode: 1
; LDSByteSize: 0 bytes/workgroup (compile time only)
; SGPRBlocks: 0
; VGPRBlocks: 0
; NumSGPRsForWavesPerEU: 4
; NumVGPRsForWavesPerEU: 1
; Occupancy: 10
; WaveLimiterHint : 0
; COMPUTE_PGM_RSRC2:SCRATCH_EN: 0
; COMPUTE_PGM_RSRC2:USER_SGPR: 6
; COMPUTE_PGM_RSRC2:TRAP_HANDLER: 0
; COMPUTE_PGM_RSRC2:TGID_X_EN: 1
; COMPUTE_PGM_RSRC2:TGID_Y_EN: 0
; COMPUTE_PGM_RSRC2:TGID_Z_EN: 0
; COMPUTE_PGM_RSRC2:TIDIG_COMP_CNT: 0
	.section	.text._ZN7rocprim17ROCPRIM_400000_NS6detail17trampoline_kernelINS0_14default_configENS1_35adjacent_difference_config_selectorILb0ExEEZNS1_24adjacent_difference_implIS3_Lb0ELb0EPxS7_N6thrust23THRUST_200600_302600_NS5minusIxEEEE10hipError_tPvRmT2_T3_mT4_P12ihipStream_tbEUlT_E_NS1_11comp_targetILNS1_3genE4ELNS1_11target_archE910ELNS1_3gpuE8ELNS1_3repE0EEENS1_30default_config_static_selectorELNS0_4arch9wavefront6targetE1EEEvT1_,"axG",@progbits,_ZN7rocprim17ROCPRIM_400000_NS6detail17trampoline_kernelINS0_14default_configENS1_35adjacent_difference_config_selectorILb0ExEEZNS1_24adjacent_difference_implIS3_Lb0ELb0EPxS7_N6thrust23THRUST_200600_302600_NS5minusIxEEEE10hipError_tPvRmT2_T3_mT4_P12ihipStream_tbEUlT_E_NS1_11comp_targetILNS1_3genE4ELNS1_11target_archE910ELNS1_3gpuE8ELNS1_3repE0EEENS1_30default_config_static_selectorELNS0_4arch9wavefront6targetE1EEEvT1_,comdat
	.protected	_ZN7rocprim17ROCPRIM_400000_NS6detail17trampoline_kernelINS0_14default_configENS1_35adjacent_difference_config_selectorILb0ExEEZNS1_24adjacent_difference_implIS3_Lb0ELb0EPxS7_N6thrust23THRUST_200600_302600_NS5minusIxEEEE10hipError_tPvRmT2_T3_mT4_P12ihipStream_tbEUlT_E_NS1_11comp_targetILNS1_3genE4ELNS1_11target_archE910ELNS1_3gpuE8ELNS1_3repE0EEENS1_30default_config_static_selectorELNS0_4arch9wavefront6targetE1EEEvT1_ ; -- Begin function _ZN7rocprim17ROCPRIM_400000_NS6detail17trampoline_kernelINS0_14default_configENS1_35adjacent_difference_config_selectorILb0ExEEZNS1_24adjacent_difference_implIS3_Lb0ELb0EPxS7_N6thrust23THRUST_200600_302600_NS5minusIxEEEE10hipError_tPvRmT2_T3_mT4_P12ihipStream_tbEUlT_E_NS1_11comp_targetILNS1_3genE4ELNS1_11target_archE910ELNS1_3gpuE8ELNS1_3repE0EEENS1_30default_config_static_selectorELNS0_4arch9wavefront6targetE1EEEvT1_
	.globl	_ZN7rocprim17ROCPRIM_400000_NS6detail17trampoline_kernelINS0_14default_configENS1_35adjacent_difference_config_selectorILb0ExEEZNS1_24adjacent_difference_implIS3_Lb0ELb0EPxS7_N6thrust23THRUST_200600_302600_NS5minusIxEEEE10hipError_tPvRmT2_T3_mT4_P12ihipStream_tbEUlT_E_NS1_11comp_targetILNS1_3genE4ELNS1_11target_archE910ELNS1_3gpuE8ELNS1_3repE0EEENS1_30default_config_static_selectorELNS0_4arch9wavefront6targetE1EEEvT1_
	.p2align	8
	.type	_ZN7rocprim17ROCPRIM_400000_NS6detail17trampoline_kernelINS0_14default_configENS1_35adjacent_difference_config_selectorILb0ExEEZNS1_24adjacent_difference_implIS3_Lb0ELb0EPxS7_N6thrust23THRUST_200600_302600_NS5minusIxEEEE10hipError_tPvRmT2_T3_mT4_P12ihipStream_tbEUlT_E_NS1_11comp_targetILNS1_3genE4ELNS1_11target_archE910ELNS1_3gpuE8ELNS1_3repE0EEENS1_30default_config_static_selectorELNS0_4arch9wavefront6targetE1EEEvT1_,@function
_ZN7rocprim17ROCPRIM_400000_NS6detail17trampoline_kernelINS0_14default_configENS1_35adjacent_difference_config_selectorILb0ExEEZNS1_24adjacent_difference_implIS3_Lb0ELb0EPxS7_N6thrust23THRUST_200600_302600_NS5minusIxEEEE10hipError_tPvRmT2_T3_mT4_P12ihipStream_tbEUlT_E_NS1_11comp_targetILNS1_3genE4ELNS1_11target_archE910ELNS1_3gpuE8ELNS1_3repE0EEENS1_30default_config_static_selectorELNS0_4arch9wavefront6targetE1EEEvT1_: ; @_ZN7rocprim17ROCPRIM_400000_NS6detail17trampoline_kernelINS0_14default_configENS1_35adjacent_difference_config_selectorILb0ExEEZNS1_24adjacent_difference_implIS3_Lb0ELb0EPxS7_N6thrust23THRUST_200600_302600_NS5minusIxEEEE10hipError_tPvRmT2_T3_mT4_P12ihipStream_tbEUlT_E_NS1_11comp_targetILNS1_3genE4ELNS1_11target_archE910ELNS1_3gpuE8ELNS1_3repE0EEENS1_30default_config_static_selectorELNS0_4arch9wavefront6targetE1EEEvT1_
; %bb.0:
	.section	.rodata,"a",@progbits
	.p2align	6, 0x0
	.amdhsa_kernel _ZN7rocprim17ROCPRIM_400000_NS6detail17trampoline_kernelINS0_14default_configENS1_35adjacent_difference_config_selectorILb0ExEEZNS1_24adjacent_difference_implIS3_Lb0ELb0EPxS7_N6thrust23THRUST_200600_302600_NS5minusIxEEEE10hipError_tPvRmT2_T3_mT4_P12ihipStream_tbEUlT_E_NS1_11comp_targetILNS1_3genE4ELNS1_11target_archE910ELNS1_3gpuE8ELNS1_3repE0EEENS1_30default_config_static_selectorELNS0_4arch9wavefront6targetE1EEEvT1_
		.amdhsa_group_segment_fixed_size 0
		.amdhsa_private_segment_fixed_size 0
		.amdhsa_kernarg_size 56
		.amdhsa_user_sgpr_count 6
		.amdhsa_user_sgpr_private_segment_buffer 1
		.amdhsa_user_sgpr_dispatch_ptr 0
		.amdhsa_user_sgpr_queue_ptr 0
		.amdhsa_user_sgpr_kernarg_segment_ptr 1
		.amdhsa_user_sgpr_dispatch_id 0
		.amdhsa_user_sgpr_flat_scratch_init 0
		.amdhsa_user_sgpr_private_segment_size 0
		.amdhsa_uses_dynamic_stack 0
		.amdhsa_system_sgpr_private_segment_wavefront_offset 0
		.amdhsa_system_sgpr_workgroup_id_x 1
		.amdhsa_system_sgpr_workgroup_id_y 0
		.amdhsa_system_sgpr_workgroup_id_z 0
		.amdhsa_system_sgpr_workgroup_info 0
		.amdhsa_system_vgpr_workitem_id 0
		.amdhsa_next_free_vgpr 1
		.amdhsa_next_free_sgpr 0
		.amdhsa_reserve_vcc 0
		.amdhsa_reserve_flat_scratch 0
		.amdhsa_float_round_mode_32 0
		.amdhsa_float_round_mode_16_64 0
		.amdhsa_float_denorm_mode_32 3
		.amdhsa_float_denorm_mode_16_64 3
		.amdhsa_dx10_clamp 1
		.amdhsa_ieee_mode 1
		.amdhsa_fp16_overflow 0
		.amdhsa_exception_fp_ieee_invalid_op 0
		.amdhsa_exception_fp_denorm_src 0
		.amdhsa_exception_fp_ieee_div_zero 0
		.amdhsa_exception_fp_ieee_overflow 0
		.amdhsa_exception_fp_ieee_underflow 0
		.amdhsa_exception_fp_ieee_inexact 0
		.amdhsa_exception_int_div_zero 0
	.end_amdhsa_kernel
	.section	.text._ZN7rocprim17ROCPRIM_400000_NS6detail17trampoline_kernelINS0_14default_configENS1_35adjacent_difference_config_selectorILb0ExEEZNS1_24adjacent_difference_implIS3_Lb0ELb0EPxS7_N6thrust23THRUST_200600_302600_NS5minusIxEEEE10hipError_tPvRmT2_T3_mT4_P12ihipStream_tbEUlT_E_NS1_11comp_targetILNS1_3genE4ELNS1_11target_archE910ELNS1_3gpuE8ELNS1_3repE0EEENS1_30default_config_static_selectorELNS0_4arch9wavefront6targetE1EEEvT1_,"axG",@progbits,_ZN7rocprim17ROCPRIM_400000_NS6detail17trampoline_kernelINS0_14default_configENS1_35adjacent_difference_config_selectorILb0ExEEZNS1_24adjacent_difference_implIS3_Lb0ELb0EPxS7_N6thrust23THRUST_200600_302600_NS5minusIxEEEE10hipError_tPvRmT2_T3_mT4_P12ihipStream_tbEUlT_E_NS1_11comp_targetILNS1_3genE4ELNS1_11target_archE910ELNS1_3gpuE8ELNS1_3repE0EEENS1_30default_config_static_selectorELNS0_4arch9wavefront6targetE1EEEvT1_,comdat
.Lfunc_end260:
	.size	_ZN7rocprim17ROCPRIM_400000_NS6detail17trampoline_kernelINS0_14default_configENS1_35adjacent_difference_config_selectorILb0ExEEZNS1_24adjacent_difference_implIS3_Lb0ELb0EPxS7_N6thrust23THRUST_200600_302600_NS5minusIxEEEE10hipError_tPvRmT2_T3_mT4_P12ihipStream_tbEUlT_E_NS1_11comp_targetILNS1_3genE4ELNS1_11target_archE910ELNS1_3gpuE8ELNS1_3repE0EEENS1_30default_config_static_selectorELNS0_4arch9wavefront6targetE1EEEvT1_, .Lfunc_end260-_ZN7rocprim17ROCPRIM_400000_NS6detail17trampoline_kernelINS0_14default_configENS1_35adjacent_difference_config_selectorILb0ExEEZNS1_24adjacent_difference_implIS3_Lb0ELb0EPxS7_N6thrust23THRUST_200600_302600_NS5minusIxEEEE10hipError_tPvRmT2_T3_mT4_P12ihipStream_tbEUlT_E_NS1_11comp_targetILNS1_3genE4ELNS1_11target_archE910ELNS1_3gpuE8ELNS1_3repE0EEENS1_30default_config_static_selectorELNS0_4arch9wavefront6targetE1EEEvT1_
                                        ; -- End function
	.set _ZN7rocprim17ROCPRIM_400000_NS6detail17trampoline_kernelINS0_14default_configENS1_35adjacent_difference_config_selectorILb0ExEEZNS1_24adjacent_difference_implIS3_Lb0ELb0EPxS7_N6thrust23THRUST_200600_302600_NS5minusIxEEEE10hipError_tPvRmT2_T3_mT4_P12ihipStream_tbEUlT_E_NS1_11comp_targetILNS1_3genE4ELNS1_11target_archE910ELNS1_3gpuE8ELNS1_3repE0EEENS1_30default_config_static_selectorELNS0_4arch9wavefront6targetE1EEEvT1_.num_vgpr, 0
	.set _ZN7rocprim17ROCPRIM_400000_NS6detail17trampoline_kernelINS0_14default_configENS1_35adjacent_difference_config_selectorILb0ExEEZNS1_24adjacent_difference_implIS3_Lb0ELb0EPxS7_N6thrust23THRUST_200600_302600_NS5minusIxEEEE10hipError_tPvRmT2_T3_mT4_P12ihipStream_tbEUlT_E_NS1_11comp_targetILNS1_3genE4ELNS1_11target_archE910ELNS1_3gpuE8ELNS1_3repE0EEENS1_30default_config_static_selectorELNS0_4arch9wavefront6targetE1EEEvT1_.num_agpr, 0
	.set _ZN7rocprim17ROCPRIM_400000_NS6detail17trampoline_kernelINS0_14default_configENS1_35adjacent_difference_config_selectorILb0ExEEZNS1_24adjacent_difference_implIS3_Lb0ELb0EPxS7_N6thrust23THRUST_200600_302600_NS5minusIxEEEE10hipError_tPvRmT2_T3_mT4_P12ihipStream_tbEUlT_E_NS1_11comp_targetILNS1_3genE4ELNS1_11target_archE910ELNS1_3gpuE8ELNS1_3repE0EEENS1_30default_config_static_selectorELNS0_4arch9wavefront6targetE1EEEvT1_.numbered_sgpr, 0
	.set _ZN7rocprim17ROCPRIM_400000_NS6detail17trampoline_kernelINS0_14default_configENS1_35adjacent_difference_config_selectorILb0ExEEZNS1_24adjacent_difference_implIS3_Lb0ELb0EPxS7_N6thrust23THRUST_200600_302600_NS5minusIxEEEE10hipError_tPvRmT2_T3_mT4_P12ihipStream_tbEUlT_E_NS1_11comp_targetILNS1_3genE4ELNS1_11target_archE910ELNS1_3gpuE8ELNS1_3repE0EEENS1_30default_config_static_selectorELNS0_4arch9wavefront6targetE1EEEvT1_.num_named_barrier, 0
	.set _ZN7rocprim17ROCPRIM_400000_NS6detail17trampoline_kernelINS0_14default_configENS1_35adjacent_difference_config_selectorILb0ExEEZNS1_24adjacent_difference_implIS3_Lb0ELb0EPxS7_N6thrust23THRUST_200600_302600_NS5minusIxEEEE10hipError_tPvRmT2_T3_mT4_P12ihipStream_tbEUlT_E_NS1_11comp_targetILNS1_3genE4ELNS1_11target_archE910ELNS1_3gpuE8ELNS1_3repE0EEENS1_30default_config_static_selectorELNS0_4arch9wavefront6targetE1EEEvT1_.private_seg_size, 0
	.set _ZN7rocprim17ROCPRIM_400000_NS6detail17trampoline_kernelINS0_14default_configENS1_35adjacent_difference_config_selectorILb0ExEEZNS1_24adjacent_difference_implIS3_Lb0ELb0EPxS7_N6thrust23THRUST_200600_302600_NS5minusIxEEEE10hipError_tPvRmT2_T3_mT4_P12ihipStream_tbEUlT_E_NS1_11comp_targetILNS1_3genE4ELNS1_11target_archE910ELNS1_3gpuE8ELNS1_3repE0EEENS1_30default_config_static_selectorELNS0_4arch9wavefront6targetE1EEEvT1_.uses_vcc, 0
	.set _ZN7rocprim17ROCPRIM_400000_NS6detail17trampoline_kernelINS0_14default_configENS1_35adjacent_difference_config_selectorILb0ExEEZNS1_24adjacent_difference_implIS3_Lb0ELb0EPxS7_N6thrust23THRUST_200600_302600_NS5minusIxEEEE10hipError_tPvRmT2_T3_mT4_P12ihipStream_tbEUlT_E_NS1_11comp_targetILNS1_3genE4ELNS1_11target_archE910ELNS1_3gpuE8ELNS1_3repE0EEENS1_30default_config_static_selectorELNS0_4arch9wavefront6targetE1EEEvT1_.uses_flat_scratch, 0
	.set _ZN7rocprim17ROCPRIM_400000_NS6detail17trampoline_kernelINS0_14default_configENS1_35adjacent_difference_config_selectorILb0ExEEZNS1_24adjacent_difference_implIS3_Lb0ELb0EPxS7_N6thrust23THRUST_200600_302600_NS5minusIxEEEE10hipError_tPvRmT2_T3_mT4_P12ihipStream_tbEUlT_E_NS1_11comp_targetILNS1_3genE4ELNS1_11target_archE910ELNS1_3gpuE8ELNS1_3repE0EEENS1_30default_config_static_selectorELNS0_4arch9wavefront6targetE1EEEvT1_.has_dyn_sized_stack, 0
	.set _ZN7rocprim17ROCPRIM_400000_NS6detail17trampoline_kernelINS0_14default_configENS1_35adjacent_difference_config_selectorILb0ExEEZNS1_24adjacent_difference_implIS3_Lb0ELb0EPxS7_N6thrust23THRUST_200600_302600_NS5minusIxEEEE10hipError_tPvRmT2_T3_mT4_P12ihipStream_tbEUlT_E_NS1_11comp_targetILNS1_3genE4ELNS1_11target_archE910ELNS1_3gpuE8ELNS1_3repE0EEENS1_30default_config_static_selectorELNS0_4arch9wavefront6targetE1EEEvT1_.has_recursion, 0
	.set _ZN7rocprim17ROCPRIM_400000_NS6detail17trampoline_kernelINS0_14default_configENS1_35adjacent_difference_config_selectorILb0ExEEZNS1_24adjacent_difference_implIS3_Lb0ELb0EPxS7_N6thrust23THRUST_200600_302600_NS5minusIxEEEE10hipError_tPvRmT2_T3_mT4_P12ihipStream_tbEUlT_E_NS1_11comp_targetILNS1_3genE4ELNS1_11target_archE910ELNS1_3gpuE8ELNS1_3repE0EEENS1_30default_config_static_selectorELNS0_4arch9wavefront6targetE1EEEvT1_.has_indirect_call, 0
	.section	.AMDGPU.csdata,"",@progbits
; Kernel info:
; codeLenInByte = 0
; TotalNumSgprs: 4
; NumVgprs: 0
; ScratchSize: 0
; MemoryBound: 0
; FloatMode: 240
; IeeeMode: 1
; LDSByteSize: 0 bytes/workgroup (compile time only)
; SGPRBlocks: 0
; VGPRBlocks: 0
; NumSGPRsForWavesPerEU: 4
; NumVGPRsForWavesPerEU: 1
; Occupancy: 10
; WaveLimiterHint : 0
; COMPUTE_PGM_RSRC2:SCRATCH_EN: 0
; COMPUTE_PGM_RSRC2:USER_SGPR: 6
; COMPUTE_PGM_RSRC2:TRAP_HANDLER: 0
; COMPUTE_PGM_RSRC2:TGID_X_EN: 1
; COMPUTE_PGM_RSRC2:TGID_Y_EN: 0
; COMPUTE_PGM_RSRC2:TGID_Z_EN: 0
; COMPUTE_PGM_RSRC2:TIDIG_COMP_CNT: 0
	.section	.text._ZN7rocprim17ROCPRIM_400000_NS6detail17trampoline_kernelINS0_14default_configENS1_35adjacent_difference_config_selectorILb0ExEEZNS1_24adjacent_difference_implIS3_Lb0ELb0EPxS7_N6thrust23THRUST_200600_302600_NS5minusIxEEEE10hipError_tPvRmT2_T3_mT4_P12ihipStream_tbEUlT_E_NS1_11comp_targetILNS1_3genE3ELNS1_11target_archE908ELNS1_3gpuE7ELNS1_3repE0EEENS1_30default_config_static_selectorELNS0_4arch9wavefront6targetE1EEEvT1_,"axG",@progbits,_ZN7rocprim17ROCPRIM_400000_NS6detail17trampoline_kernelINS0_14default_configENS1_35adjacent_difference_config_selectorILb0ExEEZNS1_24adjacent_difference_implIS3_Lb0ELb0EPxS7_N6thrust23THRUST_200600_302600_NS5minusIxEEEE10hipError_tPvRmT2_T3_mT4_P12ihipStream_tbEUlT_E_NS1_11comp_targetILNS1_3genE3ELNS1_11target_archE908ELNS1_3gpuE7ELNS1_3repE0EEENS1_30default_config_static_selectorELNS0_4arch9wavefront6targetE1EEEvT1_,comdat
	.protected	_ZN7rocprim17ROCPRIM_400000_NS6detail17trampoline_kernelINS0_14default_configENS1_35adjacent_difference_config_selectorILb0ExEEZNS1_24adjacent_difference_implIS3_Lb0ELb0EPxS7_N6thrust23THRUST_200600_302600_NS5minusIxEEEE10hipError_tPvRmT2_T3_mT4_P12ihipStream_tbEUlT_E_NS1_11comp_targetILNS1_3genE3ELNS1_11target_archE908ELNS1_3gpuE7ELNS1_3repE0EEENS1_30default_config_static_selectorELNS0_4arch9wavefront6targetE1EEEvT1_ ; -- Begin function _ZN7rocprim17ROCPRIM_400000_NS6detail17trampoline_kernelINS0_14default_configENS1_35adjacent_difference_config_selectorILb0ExEEZNS1_24adjacent_difference_implIS3_Lb0ELb0EPxS7_N6thrust23THRUST_200600_302600_NS5minusIxEEEE10hipError_tPvRmT2_T3_mT4_P12ihipStream_tbEUlT_E_NS1_11comp_targetILNS1_3genE3ELNS1_11target_archE908ELNS1_3gpuE7ELNS1_3repE0EEENS1_30default_config_static_selectorELNS0_4arch9wavefront6targetE1EEEvT1_
	.globl	_ZN7rocprim17ROCPRIM_400000_NS6detail17trampoline_kernelINS0_14default_configENS1_35adjacent_difference_config_selectorILb0ExEEZNS1_24adjacent_difference_implIS3_Lb0ELb0EPxS7_N6thrust23THRUST_200600_302600_NS5minusIxEEEE10hipError_tPvRmT2_T3_mT4_P12ihipStream_tbEUlT_E_NS1_11comp_targetILNS1_3genE3ELNS1_11target_archE908ELNS1_3gpuE7ELNS1_3repE0EEENS1_30default_config_static_selectorELNS0_4arch9wavefront6targetE1EEEvT1_
	.p2align	8
	.type	_ZN7rocprim17ROCPRIM_400000_NS6detail17trampoline_kernelINS0_14default_configENS1_35adjacent_difference_config_selectorILb0ExEEZNS1_24adjacent_difference_implIS3_Lb0ELb0EPxS7_N6thrust23THRUST_200600_302600_NS5minusIxEEEE10hipError_tPvRmT2_T3_mT4_P12ihipStream_tbEUlT_E_NS1_11comp_targetILNS1_3genE3ELNS1_11target_archE908ELNS1_3gpuE7ELNS1_3repE0EEENS1_30default_config_static_selectorELNS0_4arch9wavefront6targetE1EEEvT1_,@function
_ZN7rocprim17ROCPRIM_400000_NS6detail17trampoline_kernelINS0_14default_configENS1_35adjacent_difference_config_selectorILb0ExEEZNS1_24adjacent_difference_implIS3_Lb0ELb0EPxS7_N6thrust23THRUST_200600_302600_NS5minusIxEEEE10hipError_tPvRmT2_T3_mT4_P12ihipStream_tbEUlT_E_NS1_11comp_targetILNS1_3genE3ELNS1_11target_archE908ELNS1_3gpuE7ELNS1_3repE0EEENS1_30default_config_static_selectorELNS0_4arch9wavefront6targetE1EEEvT1_: ; @_ZN7rocprim17ROCPRIM_400000_NS6detail17trampoline_kernelINS0_14default_configENS1_35adjacent_difference_config_selectorILb0ExEEZNS1_24adjacent_difference_implIS3_Lb0ELb0EPxS7_N6thrust23THRUST_200600_302600_NS5minusIxEEEE10hipError_tPvRmT2_T3_mT4_P12ihipStream_tbEUlT_E_NS1_11comp_targetILNS1_3genE3ELNS1_11target_archE908ELNS1_3gpuE7ELNS1_3repE0EEENS1_30default_config_static_selectorELNS0_4arch9wavefront6targetE1EEEvT1_
; %bb.0:
	.section	.rodata,"a",@progbits
	.p2align	6, 0x0
	.amdhsa_kernel _ZN7rocprim17ROCPRIM_400000_NS6detail17trampoline_kernelINS0_14default_configENS1_35adjacent_difference_config_selectorILb0ExEEZNS1_24adjacent_difference_implIS3_Lb0ELb0EPxS7_N6thrust23THRUST_200600_302600_NS5minusIxEEEE10hipError_tPvRmT2_T3_mT4_P12ihipStream_tbEUlT_E_NS1_11comp_targetILNS1_3genE3ELNS1_11target_archE908ELNS1_3gpuE7ELNS1_3repE0EEENS1_30default_config_static_selectorELNS0_4arch9wavefront6targetE1EEEvT1_
		.amdhsa_group_segment_fixed_size 0
		.amdhsa_private_segment_fixed_size 0
		.amdhsa_kernarg_size 56
		.amdhsa_user_sgpr_count 6
		.amdhsa_user_sgpr_private_segment_buffer 1
		.amdhsa_user_sgpr_dispatch_ptr 0
		.amdhsa_user_sgpr_queue_ptr 0
		.amdhsa_user_sgpr_kernarg_segment_ptr 1
		.amdhsa_user_sgpr_dispatch_id 0
		.amdhsa_user_sgpr_flat_scratch_init 0
		.amdhsa_user_sgpr_private_segment_size 0
		.amdhsa_uses_dynamic_stack 0
		.amdhsa_system_sgpr_private_segment_wavefront_offset 0
		.amdhsa_system_sgpr_workgroup_id_x 1
		.amdhsa_system_sgpr_workgroup_id_y 0
		.amdhsa_system_sgpr_workgroup_id_z 0
		.amdhsa_system_sgpr_workgroup_info 0
		.amdhsa_system_vgpr_workitem_id 0
		.amdhsa_next_free_vgpr 1
		.amdhsa_next_free_sgpr 0
		.amdhsa_reserve_vcc 0
		.amdhsa_reserve_flat_scratch 0
		.amdhsa_float_round_mode_32 0
		.amdhsa_float_round_mode_16_64 0
		.amdhsa_float_denorm_mode_32 3
		.amdhsa_float_denorm_mode_16_64 3
		.amdhsa_dx10_clamp 1
		.amdhsa_ieee_mode 1
		.amdhsa_fp16_overflow 0
		.amdhsa_exception_fp_ieee_invalid_op 0
		.amdhsa_exception_fp_denorm_src 0
		.amdhsa_exception_fp_ieee_div_zero 0
		.amdhsa_exception_fp_ieee_overflow 0
		.amdhsa_exception_fp_ieee_underflow 0
		.amdhsa_exception_fp_ieee_inexact 0
		.amdhsa_exception_int_div_zero 0
	.end_amdhsa_kernel
	.section	.text._ZN7rocprim17ROCPRIM_400000_NS6detail17trampoline_kernelINS0_14default_configENS1_35adjacent_difference_config_selectorILb0ExEEZNS1_24adjacent_difference_implIS3_Lb0ELb0EPxS7_N6thrust23THRUST_200600_302600_NS5minusIxEEEE10hipError_tPvRmT2_T3_mT4_P12ihipStream_tbEUlT_E_NS1_11comp_targetILNS1_3genE3ELNS1_11target_archE908ELNS1_3gpuE7ELNS1_3repE0EEENS1_30default_config_static_selectorELNS0_4arch9wavefront6targetE1EEEvT1_,"axG",@progbits,_ZN7rocprim17ROCPRIM_400000_NS6detail17trampoline_kernelINS0_14default_configENS1_35adjacent_difference_config_selectorILb0ExEEZNS1_24adjacent_difference_implIS3_Lb0ELb0EPxS7_N6thrust23THRUST_200600_302600_NS5minusIxEEEE10hipError_tPvRmT2_T3_mT4_P12ihipStream_tbEUlT_E_NS1_11comp_targetILNS1_3genE3ELNS1_11target_archE908ELNS1_3gpuE7ELNS1_3repE0EEENS1_30default_config_static_selectorELNS0_4arch9wavefront6targetE1EEEvT1_,comdat
.Lfunc_end261:
	.size	_ZN7rocprim17ROCPRIM_400000_NS6detail17trampoline_kernelINS0_14default_configENS1_35adjacent_difference_config_selectorILb0ExEEZNS1_24adjacent_difference_implIS3_Lb0ELb0EPxS7_N6thrust23THRUST_200600_302600_NS5minusIxEEEE10hipError_tPvRmT2_T3_mT4_P12ihipStream_tbEUlT_E_NS1_11comp_targetILNS1_3genE3ELNS1_11target_archE908ELNS1_3gpuE7ELNS1_3repE0EEENS1_30default_config_static_selectorELNS0_4arch9wavefront6targetE1EEEvT1_, .Lfunc_end261-_ZN7rocprim17ROCPRIM_400000_NS6detail17trampoline_kernelINS0_14default_configENS1_35adjacent_difference_config_selectorILb0ExEEZNS1_24adjacent_difference_implIS3_Lb0ELb0EPxS7_N6thrust23THRUST_200600_302600_NS5minusIxEEEE10hipError_tPvRmT2_T3_mT4_P12ihipStream_tbEUlT_E_NS1_11comp_targetILNS1_3genE3ELNS1_11target_archE908ELNS1_3gpuE7ELNS1_3repE0EEENS1_30default_config_static_selectorELNS0_4arch9wavefront6targetE1EEEvT1_
                                        ; -- End function
	.set _ZN7rocprim17ROCPRIM_400000_NS6detail17trampoline_kernelINS0_14default_configENS1_35adjacent_difference_config_selectorILb0ExEEZNS1_24adjacent_difference_implIS3_Lb0ELb0EPxS7_N6thrust23THRUST_200600_302600_NS5minusIxEEEE10hipError_tPvRmT2_T3_mT4_P12ihipStream_tbEUlT_E_NS1_11comp_targetILNS1_3genE3ELNS1_11target_archE908ELNS1_3gpuE7ELNS1_3repE0EEENS1_30default_config_static_selectorELNS0_4arch9wavefront6targetE1EEEvT1_.num_vgpr, 0
	.set _ZN7rocprim17ROCPRIM_400000_NS6detail17trampoline_kernelINS0_14default_configENS1_35adjacent_difference_config_selectorILb0ExEEZNS1_24adjacent_difference_implIS3_Lb0ELb0EPxS7_N6thrust23THRUST_200600_302600_NS5minusIxEEEE10hipError_tPvRmT2_T3_mT4_P12ihipStream_tbEUlT_E_NS1_11comp_targetILNS1_3genE3ELNS1_11target_archE908ELNS1_3gpuE7ELNS1_3repE0EEENS1_30default_config_static_selectorELNS0_4arch9wavefront6targetE1EEEvT1_.num_agpr, 0
	.set _ZN7rocprim17ROCPRIM_400000_NS6detail17trampoline_kernelINS0_14default_configENS1_35adjacent_difference_config_selectorILb0ExEEZNS1_24adjacent_difference_implIS3_Lb0ELb0EPxS7_N6thrust23THRUST_200600_302600_NS5minusIxEEEE10hipError_tPvRmT2_T3_mT4_P12ihipStream_tbEUlT_E_NS1_11comp_targetILNS1_3genE3ELNS1_11target_archE908ELNS1_3gpuE7ELNS1_3repE0EEENS1_30default_config_static_selectorELNS0_4arch9wavefront6targetE1EEEvT1_.numbered_sgpr, 0
	.set _ZN7rocprim17ROCPRIM_400000_NS6detail17trampoline_kernelINS0_14default_configENS1_35adjacent_difference_config_selectorILb0ExEEZNS1_24adjacent_difference_implIS3_Lb0ELb0EPxS7_N6thrust23THRUST_200600_302600_NS5minusIxEEEE10hipError_tPvRmT2_T3_mT4_P12ihipStream_tbEUlT_E_NS1_11comp_targetILNS1_3genE3ELNS1_11target_archE908ELNS1_3gpuE7ELNS1_3repE0EEENS1_30default_config_static_selectorELNS0_4arch9wavefront6targetE1EEEvT1_.num_named_barrier, 0
	.set _ZN7rocprim17ROCPRIM_400000_NS6detail17trampoline_kernelINS0_14default_configENS1_35adjacent_difference_config_selectorILb0ExEEZNS1_24adjacent_difference_implIS3_Lb0ELb0EPxS7_N6thrust23THRUST_200600_302600_NS5minusIxEEEE10hipError_tPvRmT2_T3_mT4_P12ihipStream_tbEUlT_E_NS1_11comp_targetILNS1_3genE3ELNS1_11target_archE908ELNS1_3gpuE7ELNS1_3repE0EEENS1_30default_config_static_selectorELNS0_4arch9wavefront6targetE1EEEvT1_.private_seg_size, 0
	.set _ZN7rocprim17ROCPRIM_400000_NS6detail17trampoline_kernelINS0_14default_configENS1_35adjacent_difference_config_selectorILb0ExEEZNS1_24adjacent_difference_implIS3_Lb0ELb0EPxS7_N6thrust23THRUST_200600_302600_NS5minusIxEEEE10hipError_tPvRmT2_T3_mT4_P12ihipStream_tbEUlT_E_NS1_11comp_targetILNS1_3genE3ELNS1_11target_archE908ELNS1_3gpuE7ELNS1_3repE0EEENS1_30default_config_static_selectorELNS0_4arch9wavefront6targetE1EEEvT1_.uses_vcc, 0
	.set _ZN7rocprim17ROCPRIM_400000_NS6detail17trampoline_kernelINS0_14default_configENS1_35adjacent_difference_config_selectorILb0ExEEZNS1_24adjacent_difference_implIS3_Lb0ELb0EPxS7_N6thrust23THRUST_200600_302600_NS5minusIxEEEE10hipError_tPvRmT2_T3_mT4_P12ihipStream_tbEUlT_E_NS1_11comp_targetILNS1_3genE3ELNS1_11target_archE908ELNS1_3gpuE7ELNS1_3repE0EEENS1_30default_config_static_selectorELNS0_4arch9wavefront6targetE1EEEvT1_.uses_flat_scratch, 0
	.set _ZN7rocprim17ROCPRIM_400000_NS6detail17trampoline_kernelINS0_14default_configENS1_35adjacent_difference_config_selectorILb0ExEEZNS1_24adjacent_difference_implIS3_Lb0ELb0EPxS7_N6thrust23THRUST_200600_302600_NS5minusIxEEEE10hipError_tPvRmT2_T3_mT4_P12ihipStream_tbEUlT_E_NS1_11comp_targetILNS1_3genE3ELNS1_11target_archE908ELNS1_3gpuE7ELNS1_3repE0EEENS1_30default_config_static_selectorELNS0_4arch9wavefront6targetE1EEEvT1_.has_dyn_sized_stack, 0
	.set _ZN7rocprim17ROCPRIM_400000_NS6detail17trampoline_kernelINS0_14default_configENS1_35adjacent_difference_config_selectorILb0ExEEZNS1_24adjacent_difference_implIS3_Lb0ELb0EPxS7_N6thrust23THRUST_200600_302600_NS5minusIxEEEE10hipError_tPvRmT2_T3_mT4_P12ihipStream_tbEUlT_E_NS1_11comp_targetILNS1_3genE3ELNS1_11target_archE908ELNS1_3gpuE7ELNS1_3repE0EEENS1_30default_config_static_selectorELNS0_4arch9wavefront6targetE1EEEvT1_.has_recursion, 0
	.set _ZN7rocprim17ROCPRIM_400000_NS6detail17trampoline_kernelINS0_14default_configENS1_35adjacent_difference_config_selectorILb0ExEEZNS1_24adjacent_difference_implIS3_Lb0ELb0EPxS7_N6thrust23THRUST_200600_302600_NS5minusIxEEEE10hipError_tPvRmT2_T3_mT4_P12ihipStream_tbEUlT_E_NS1_11comp_targetILNS1_3genE3ELNS1_11target_archE908ELNS1_3gpuE7ELNS1_3repE0EEENS1_30default_config_static_selectorELNS0_4arch9wavefront6targetE1EEEvT1_.has_indirect_call, 0
	.section	.AMDGPU.csdata,"",@progbits
; Kernel info:
; codeLenInByte = 0
; TotalNumSgprs: 4
; NumVgprs: 0
; ScratchSize: 0
; MemoryBound: 0
; FloatMode: 240
; IeeeMode: 1
; LDSByteSize: 0 bytes/workgroup (compile time only)
; SGPRBlocks: 0
; VGPRBlocks: 0
; NumSGPRsForWavesPerEU: 4
; NumVGPRsForWavesPerEU: 1
; Occupancy: 10
; WaveLimiterHint : 0
; COMPUTE_PGM_RSRC2:SCRATCH_EN: 0
; COMPUTE_PGM_RSRC2:USER_SGPR: 6
; COMPUTE_PGM_RSRC2:TRAP_HANDLER: 0
; COMPUTE_PGM_RSRC2:TGID_X_EN: 1
; COMPUTE_PGM_RSRC2:TGID_Y_EN: 0
; COMPUTE_PGM_RSRC2:TGID_Z_EN: 0
; COMPUTE_PGM_RSRC2:TIDIG_COMP_CNT: 0
	.section	.text._ZN7rocprim17ROCPRIM_400000_NS6detail17trampoline_kernelINS0_14default_configENS1_35adjacent_difference_config_selectorILb0ExEEZNS1_24adjacent_difference_implIS3_Lb0ELb0EPxS7_N6thrust23THRUST_200600_302600_NS5minusIxEEEE10hipError_tPvRmT2_T3_mT4_P12ihipStream_tbEUlT_E_NS1_11comp_targetILNS1_3genE2ELNS1_11target_archE906ELNS1_3gpuE6ELNS1_3repE0EEENS1_30default_config_static_selectorELNS0_4arch9wavefront6targetE1EEEvT1_,"axG",@progbits,_ZN7rocprim17ROCPRIM_400000_NS6detail17trampoline_kernelINS0_14default_configENS1_35adjacent_difference_config_selectorILb0ExEEZNS1_24adjacent_difference_implIS3_Lb0ELb0EPxS7_N6thrust23THRUST_200600_302600_NS5minusIxEEEE10hipError_tPvRmT2_T3_mT4_P12ihipStream_tbEUlT_E_NS1_11comp_targetILNS1_3genE2ELNS1_11target_archE906ELNS1_3gpuE6ELNS1_3repE0EEENS1_30default_config_static_selectorELNS0_4arch9wavefront6targetE1EEEvT1_,comdat
	.protected	_ZN7rocprim17ROCPRIM_400000_NS6detail17trampoline_kernelINS0_14default_configENS1_35adjacent_difference_config_selectorILb0ExEEZNS1_24adjacent_difference_implIS3_Lb0ELb0EPxS7_N6thrust23THRUST_200600_302600_NS5minusIxEEEE10hipError_tPvRmT2_T3_mT4_P12ihipStream_tbEUlT_E_NS1_11comp_targetILNS1_3genE2ELNS1_11target_archE906ELNS1_3gpuE6ELNS1_3repE0EEENS1_30default_config_static_selectorELNS0_4arch9wavefront6targetE1EEEvT1_ ; -- Begin function _ZN7rocprim17ROCPRIM_400000_NS6detail17trampoline_kernelINS0_14default_configENS1_35adjacent_difference_config_selectorILb0ExEEZNS1_24adjacent_difference_implIS3_Lb0ELb0EPxS7_N6thrust23THRUST_200600_302600_NS5minusIxEEEE10hipError_tPvRmT2_T3_mT4_P12ihipStream_tbEUlT_E_NS1_11comp_targetILNS1_3genE2ELNS1_11target_archE906ELNS1_3gpuE6ELNS1_3repE0EEENS1_30default_config_static_selectorELNS0_4arch9wavefront6targetE1EEEvT1_
	.globl	_ZN7rocprim17ROCPRIM_400000_NS6detail17trampoline_kernelINS0_14default_configENS1_35adjacent_difference_config_selectorILb0ExEEZNS1_24adjacent_difference_implIS3_Lb0ELb0EPxS7_N6thrust23THRUST_200600_302600_NS5minusIxEEEE10hipError_tPvRmT2_T3_mT4_P12ihipStream_tbEUlT_E_NS1_11comp_targetILNS1_3genE2ELNS1_11target_archE906ELNS1_3gpuE6ELNS1_3repE0EEENS1_30default_config_static_selectorELNS0_4arch9wavefront6targetE1EEEvT1_
	.p2align	8
	.type	_ZN7rocprim17ROCPRIM_400000_NS6detail17trampoline_kernelINS0_14default_configENS1_35adjacent_difference_config_selectorILb0ExEEZNS1_24adjacent_difference_implIS3_Lb0ELb0EPxS7_N6thrust23THRUST_200600_302600_NS5minusIxEEEE10hipError_tPvRmT2_T3_mT4_P12ihipStream_tbEUlT_E_NS1_11comp_targetILNS1_3genE2ELNS1_11target_archE906ELNS1_3gpuE6ELNS1_3repE0EEENS1_30default_config_static_selectorELNS0_4arch9wavefront6targetE1EEEvT1_,@function
_ZN7rocprim17ROCPRIM_400000_NS6detail17trampoline_kernelINS0_14default_configENS1_35adjacent_difference_config_selectorILb0ExEEZNS1_24adjacent_difference_implIS3_Lb0ELb0EPxS7_N6thrust23THRUST_200600_302600_NS5minusIxEEEE10hipError_tPvRmT2_T3_mT4_P12ihipStream_tbEUlT_E_NS1_11comp_targetILNS1_3genE2ELNS1_11target_archE906ELNS1_3gpuE6ELNS1_3repE0EEENS1_30default_config_static_selectorELNS0_4arch9wavefront6targetE1EEEvT1_: ; @_ZN7rocprim17ROCPRIM_400000_NS6detail17trampoline_kernelINS0_14default_configENS1_35adjacent_difference_config_selectorILb0ExEEZNS1_24adjacent_difference_implIS3_Lb0ELb0EPxS7_N6thrust23THRUST_200600_302600_NS5minusIxEEEE10hipError_tPvRmT2_T3_mT4_P12ihipStream_tbEUlT_E_NS1_11comp_targetILNS1_3genE2ELNS1_11target_archE906ELNS1_3gpuE6ELNS1_3repE0EEENS1_30default_config_static_selectorELNS0_4arch9wavefront6targetE1EEEvT1_
; %bb.0:
	s_load_dwordx8 s[8:15], s[4:5], 0x0
	s_load_dwordx2 s[0:1], s[4:5], 0x30
	s_mov_b32 s5, 0
	s_mov_b64 s[16:17], -1
	s_waitcnt lgkmcnt(0)
	s_lshl_b64 s[10:11], s[10:11], 3
	s_add_u32 s20, s8, s10
	s_addc_u32 s21, s9, s11
	s_lshl_b32 s4, s6, 8
	s_lshr_b64 s[2:3], s[14:15], 8
	s_and_b32 s8, s14, 0xff
	s_mov_b32 s9, s5
	s_cmp_lg_u64 s[8:9], 0
	s_cselect_b64 s[8:9], -1, 0
	v_cndmask_b32_e64 v1, 0, 1, s[8:9]
	v_readfirstlane_b32 s7, v1
	s_add_u32 s2, s2, s7
	s_addc_u32 s3, s3, 0
	s_add_u32 s8, s0, s6
	s_addc_u32 s9, s1, 0
	s_add_u32 s6, s2, -1
	s_addc_u32 s7, s3, -1
	v_mov_b32_e32 v1, s6
	v_mov_b32_e32 v2, s7
	v_cmp_ge_u64_e64 s[0:1], s[8:9], v[1:2]
	s_and_b64 vcc, exec, s[0:1]
	s_cbranch_vccz .LBB262_6
; %bb.1:
	s_lshl_b32 s15, s6, 8
	s_sub_i32 s15, s14, s15
	s_lshl_b64 s[16:17], s[4:5], 3
	s_add_u32 s16, s20, s16
	v_mov_b32_e32 v1, 0
	s_addc_u32 s17, s21, s17
	v_cmp_gt_u32_e32 vcc, s15, v0
	v_mov_b32_e32 v2, v1
	v_mov_b32_e32 v3, v1
	;; [unrolled: 1-line block ×3, first 2 shown]
	s_and_saveexec_b64 s[18:19], vcc
	s_cbranch_execz .LBB262_3
; %bb.2:
	v_lshlrev_b32_e32 v2, 3, v0
	global_load_dwordx2 v[2:3], v2, s[16:17]
	v_mov_b32_e32 v4, v1
	v_mov_b32_e32 v5, v1
	s_waitcnt vmcnt(0)
	v_mov_b32_e32 v1, v2
	v_mov_b32_e32 v2, v3
	;; [unrolled: 1-line block ×4, first 2 shown]
.LBB262_3:
	s_or_b64 exec, exec, s[18:19]
	v_or_b32_e32 v5, 0x80, v0
	v_cmp_gt_u32_e32 vcc, s15, v5
	s_and_saveexec_b64 s[18:19], vcc
	s_cbranch_execz .LBB262_5
; %bb.4:
	v_lshlrev_b32_e32 v3, 3, v0
	global_load_dwordx2 v[3:4], v3, s[16:17] offset:1024
.LBB262_5:
	s_or_b64 exec, exec, s[18:19]
	v_lshrrev_b32_e32 v6, 2, v0
	v_and_b32_e32 v6, 24, v6
	v_lshlrev_b32_e32 v7, 3, v0
	v_add_u32_e32 v6, v6, v7
	ds_write_b64 v6, v[1:2]
	v_lshrrev_b32_e32 v1, 2, v5
	v_and_b32_e32 v1, 56, v1
	v_add_u32_e32 v1, v1, v7
	s_mov_b64 s[16:17], 0
	s_waitcnt vmcnt(0)
	ds_write_b64 v1, v[3:4] offset:1024
	s_waitcnt lgkmcnt(0)
	s_barrier
.LBB262_6:
	s_and_b64 vcc, exec, s[16:17]
	v_lshlrev_b32_e32 v9, 3, v0
	v_lshrrev_b32_e32 v10, 2, v0
	s_cbranch_vccz .LBB262_8
; %bb.7:
	s_lshl_b64 s[16:17], s[4:5], 3
	s_add_u32 s16, s20, s16
	s_addc_u32 s17, s21, s17
	global_load_dwordx2 v[1:2], v9, s[16:17]
	global_load_dwordx2 v[3:4], v9, s[16:17] offset:1024
	v_or_b32_e32 v6, 0x80, v0
	v_and_b32_e32 v5, 24, v10
	v_lshrrev_b32_e32 v6, 2, v6
	v_add_u32_e32 v5, v5, v9
	v_and_b32_e32 v6, 56, v6
	v_add_u32_e32 v6, v6, v9
	s_waitcnt vmcnt(1)
	ds_write_b64 v5, v[1:2]
	s_waitcnt vmcnt(0)
	ds_write_b64 v6, v[3:4] offset:1024
	s_waitcnt lgkmcnt(0)
	s_barrier
.LBB262_8:
	v_lshrrev_b32_e32 v1, 1, v0
	v_and_b32_e32 v1, 56, v1
	v_lshl_add_u32 v11, v0, 4, v1
	ds_read2_b64 v[1:4], v11 offset1:1
	s_cmp_eq_u64 s[8:9], 0
	s_waitcnt lgkmcnt(0)
	s_barrier
	s_cbranch_scc1 .LBB262_13
; %bb.9:
	s_lshl_b64 s[16:17], s[4:5], 3
	s_add_u32 s5, s20, s16
	s_addc_u32 s15, s21, s17
	s_add_u32 s16, s5, -8
	s_addc_u32 s17, s15, -1
	s_load_dwordx2 s[16:17], s[16:17], 0x0
	s_cmp_eq_u64 s[8:9], s[6:7]
	s_cbranch_scc1 .LBB262_14
; %bb.10:
	v_sub_co_u32_e32 v5, vcc, v3, v1
	v_subb_co_u32_e32 v6, vcc, v4, v2, vcc
	s_waitcnt lgkmcnt(0)
	v_mov_b32_e32 v7, s16
	v_cmp_ne_u32_e32 vcc, 0, v0
	v_mov_b32_e32 v8, s17
	ds_write_b64 v9, v[3:4]
	s_waitcnt lgkmcnt(0)
	s_barrier
	s_and_saveexec_b64 s[18:19], vcc
; %bb.11:
	v_add_u32_e32 v7, -8, v9
	ds_read_b64 v[7:8], v7
; %bb.12:
	s_or_b64 exec, exec, s[18:19]
	s_cbranch_execz .LBB262_15
	s_branch .LBB262_18
.LBB262_13:
	s_mov_b64 s[8:9], 0
                                        ; implicit-def: $vgpr7_vgpr8
                                        ; implicit-def: $vgpr5_vgpr6
	s_branch .LBB262_19
.LBB262_14:
                                        ; implicit-def: $vgpr5_vgpr6
                                        ; implicit-def: $vgpr7_vgpr8
.LBB262_15:
	s_lshl_b32 s5, s8, 8
	v_lshlrev_b32_e32 v12, 1, v0
	s_sub_i32 s5, s14, s5
	v_or_b32_e32 v5, 1, v12
	v_cmp_gt_u32_e32 vcc, s5, v5
	v_cndmask_b32_e32 v5, 0, v1, vcc
	v_cndmask_b32_e32 v6, 0, v2, vcc
	v_sub_co_u32_e32 v5, vcc, v3, v5
	v_subb_co_u32_e32 v6, vcc, v4, v6, vcc
	s_waitcnt lgkmcnt(0)
	v_mov_b32_e32 v7, s16
	v_cmp_ne_u32_e32 vcc, 0, v0
	v_mov_b32_e32 v8, s17
	ds_write_b64 v9, v[3:4]
	s_waitcnt lgkmcnt(0)
	s_barrier
	s_and_saveexec_b64 s[8:9], vcc
; %bb.16:
	v_add_u32_e32 v7, -8, v9
	ds_read_b64 v[7:8], v7
; %bb.17:
	s_or_b64 exec, exec, s[8:9]
	v_cmp_gt_u32_e32 vcc, s5, v12
	s_waitcnt lgkmcnt(0)
	v_cndmask_b32_e32 v8, 0, v8, vcc
	v_cndmask_b32_e32 v7, 0, v7, vcc
.LBB262_18:
	s_waitcnt lgkmcnt(0)
	s_mov_b64 s[8:9], -1
	s_cbranch_execnz .LBB262_27
.LBB262_19:
	s_cmp_lg_u64 s[2:3], 1
	v_cmp_ne_u32_e32 vcc, 0, v0
	s_cbranch_scc0 .LBB262_23
; %bb.20:
	v_sub_co_u32_e64 v5, s[2:3], v3, v1
	v_subb_co_u32_e64 v6, s[2:3], v4, v2, s[2:3]
	ds_write_b64 v9, v[3:4]
	s_waitcnt lgkmcnt(0)
	s_barrier
                                        ; implicit-def: $vgpr7_vgpr8
	s_and_saveexec_b64 s[2:3], vcc
; %bb.21:
	v_add_u32_e32 v7, -8, v9
	ds_read_b64 v[7:8], v7
	s_or_b64 s[8:9], s[8:9], exec
; %bb.22:
	s_or_b64 exec, exec, s[2:3]
	s_branch .LBB262_27
.LBB262_23:
                                        ; implicit-def: $vgpr5_vgpr6
                                        ; implicit-def: $vgpr7_vgpr8
	s_cbranch_execz .LBB262_27
; %bb.24:
	s_waitcnt lgkmcnt(0)
	v_lshlrev_b32_e32 v7, 1, v0
	v_or_b32_e32 v5, 1, v7
	v_cmp_gt_u32_e32 vcc, s14, v5
	v_cndmask_b32_e32 v5, 0, v1, vcc
	v_cndmask_b32_e32 v6, 0, v2, vcc
	v_sub_co_u32_e32 v5, vcc, v3, v5
	v_subb_co_u32_e32 v6, vcc, v4, v6, vcc
	v_cmp_ne_u32_e32 vcc, 0, v0
	v_cmp_gt_u32_e64 s[2:3], s14, v7
	s_and_b64 s[16:17], vcc, s[2:3]
	ds_write_b64 v9, v[3:4]
	s_waitcnt lgkmcnt(0)
	s_barrier
                                        ; implicit-def: $vgpr7_vgpr8
	s_and_saveexec_b64 s[2:3], s[16:17]
; %bb.25:
	v_add_u32_e32 v3, -8, v9
	ds_read_b64 v[7:8], v3
	s_or_b64 s[8:9], s[8:9], exec
; %bb.26:
	s_or_b64 exec, exec, s[2:3]
.LBB262_27:
	s_and_saveexec_b64 s[2:3], s[8:9]
	s_cbranch_execz .LBB262_29
; %bb.28:
	s_waitcnt lgkmcnt(0)
	v_sub_co_u32_e32 v1, vcc, v1, v7
	v_subb_co_u32_e32 v2, vcc, v2, v8, vcc
.LBB262_29:
	s_or_b64 exec, exec, s[2:3]
	s_add_u32 s7, s12, s10
	s_addc_u32 s8, s13, s11
	s_and_b64 vcc, exec, s[0:1]
	s_waitcnt lgkmcnt(0)
	s_barrier
	s_cbranch_vccz .LBB262_33
; %bb.30:
	v_mov_b32_e32 v3, v5
	v_mov_b32_e32 v4, v6
	v_or_b32_e32 v12, 0x80, v0
	ds_write2_b64 v11, v[1:2], v[3:4] offset1:1
	v_lshrrev_b32_e32 v3, 2, v12
	s_lshl_b32 s0, s6, 8
	s_mov_b32 s5, 0
	v_and_b32_e32 v3, 56, v3
	s_sub_i32 s2, s14, s0
	s_lshl_b64 s[0:1], s[4:5], 3
	v_add_u32_e32 v3, v3, v9
	s_add_u32 s0, s7, s0
	s_waitcnt lgkmcnt(0)
	s_barrier
	ds_read_b64 v[3:4], v3 offset:1024
	s_addc_u32 s1, s8, s1
	v_mov_b32_e32 v8, s1
	v_add_co_u32_e32 v7, vcc, s0, v9
	v_addc_co_u32_e32 v8, vcc, 0, v8, vcc
	v_cmp_gt_u32_e32 vcc, s2, v0
	s_and_saveexec_b64 s[0:1], vcc
	s_cbranch_execz .LBB262_32
; %bb.31:
	v_and_b32_e32 v13, 24, v10
	v_lshl_add_u32 v13, v0, 3, v13
	ds_read_b64 v[13:14], v13
	s_waitcnt lgkmcnt(0)
	global_store_dwordx2 v[7:8], v[13:14], off
.LBB262_32:
	s_or_b64 exec, exec, s[0:1]
	v_cmp_gt_u32_e64 s[0:1], s2, v12
	s_branch .LBB262_35
.LBB262_33:
	s_mov_b64 s[0:1], 0
                                        ; implicit-def: $vgpr3_vgpr4
                                        ; implicit-def: $vgpr7_vgpr8
	s_cbranch_execz .LBB262_35
; %bb.34:
	v_or_b32_e32 v0, 0x80, v0
	s_mov_b32 s5, 0
	ds_write2_b64 v11, v[1:2], v[5:6] offset1:1
	v_and_b32_e32 v1, 24, v10
	v_lshrrev_b32_e32 v0, 2, v0
	s_lshl_b64 s[2:3], s[4:5], 3
	v_add_u32_e32 v1, v1, v9
	v_and_b32_e32 v0, 56, v0
	s_add_u32 s2, s7, s2
	s_waitcnt vmcnt(0) lgkmcnt(0)
	s_barrier
	v_add_u32_e32 v2, v0, v9
	ds_read_b64 v[0:1], v1
	ds_read_b64 v[3:4], v2 offset:1024
	s_addc_u32 s3, s8, s3
	v_mov_b32_e32 v2, s3
	v_add_co_u32_e32 v7, vcc, s2, v9
	v_addc_co_u32_e32 v8, vcc, 0, v2, vcc
	s_or_b64 s[0:1], s[0:1], exec
	s_waitcnt lgkmcnt(1)
	global_store_dwordx2 v9, v[0:1], s[2:3]
.LBB262_35:
	s_and_saveexec_b64 s[2:3], s[0:1]
	s_cbranch_execnz .LBB262_37
; %bb.36:
	s_endpgm
.LBB262_37:
	s_waitcnt lgkmcnt(0)
	global_store_dwordx2 v[7:8], v[3:4], off offset:1024
	s_endpgm
	.section	.rodata,"a",@progbits
	.p2align	6, 0x0
	.amdhsa_kernel _ZN7rocprim17ROCPRIM_400000_NS6detail17trampoline_kernelINS0_14default_configENS1_35adjacent_difference_config_selectorILb0ExEEZNS1_24adjacent_difference_implIS3_Lb0ELb0EPxS7_N6thrust23THRUST_200600_302600_NS5minusIxEEEE10hipError_tPvRmT2_T3_mT4_P12ihipStream_tbEUlT_E_NS1_11comp_targetILNS1_3genE2ELNS1_11target_archE906ELNS1_3gpuE6ELNS1_3repE0EEENS1_30default_config_static_selectorELNS0_4arch9wavefront6targetE1EEEvT1_
		.amdhsa_group_segment_fixed_size 2112
		.amdhsa_private_segment_fixed_size 0
		.amdhsa_kernarg_size 56
		.amdhsa_user_sgpr_count 6
		.amdhsa_user_sgpr_private_segment_buffer 1
		.amdhsa_user_sgpr_dispatch_ptr 0
		.amdhsa_user_sgpr_queue_ptr 0
		.amdhsa_user_sgpr_kernarg_segment_ptr 1
		.amdhsa_user_sgpr_dispatch_id 0
		.amdhsa_user_sgpr_flat_scratch_init 0
		.amdhsa_user_sgpr_private_segment_size 0
		.amdhsa_uses_dynamic_stack 0
		.amdhsa_system_sgpr_private_segment_wavefront_offset 0
		.amdhsa_system_sgpr_workgroup_id_x 1
		.amdhsa_system_sgpr_workgroup_id_y 0
		.amdhsa_system_sgpr_workgroup_id_z 0
		.amdhsa_system_sgpr_workgroup_info 0
		.amdhsa_system_vgpr_workitem_id 0
		.amdhsa_next_free_vgpr 29
		.amdhsa_next_free_sgpr 61
		.amdhsa_reserve_vcc 1
		.amdhsa_reserve_flat_scratch 0
		.amdhsa_float_round_mode_32 0
		.amdhsa_float_round_mode_16_64 0
		.amdhsa_float_denorm_mode_32 3
		.amdhsa_float_denorm_mode_16_64 3
		.amdhsa_dx10_clamp 1
		.amdhsa_ieee_mode 1
		.amdhsa_fp16_overflow 0
		.amdhsa_exception_fp_ieee_invalid_op 0
		.amdhsa_exception_fp_denorm_src 0
		.amdhsa_exception_fp_ieee_div_zero 0
		.amdhsa_exception_fp_ieee_overflow 0
		.amdhsa_exception_fp_ieee_underflow 0
		.amdhsa_exception_fp_ieee_inexact 0
		.amdhsa_exception_int_div_zero 0
	.end_amdhsa_kernel
	.section	.text._ZN7rocprim17ROCPRIM_400000_NS6detail17trampoline_kernelINS0_14default_configENS1_35adjacent_difference_config_selectorILb0ExEEZNS1_24adjacent_difference_implIS3_Lb0ELb0EPxS7_N6thrust23THRUST_200600_302600_NS5minusIxEEEE10hipError_tPvRmT2_T3_mT4_P12ihipStream_tbEUlT_E_NS1_11comp_targetILNS1_3genE2ELNS1_11target_archE906ELNS1_3gpuE6ELNS1_3repE0EEENS1_30default_config_static_selectorELNS0_4arch9wavefront6targetE1EEEvT1_,"axG",@progbits,_ZN7rocprim17ROCPRIM_400000_NS6detail17trampoline_kernelINS0_14default_configENS1_35adjacent_difference_config_selectorILb0ExEEZNS1_24adjacent_difference_implIS3_Lb0ELb0EPxS7_N6thrust23THRUST_200600_302600_NS5minusIxEEEE10hipError_tPvRmT2_T3_mT4_P12ihipStream_tbEUlT_E_NS1_11comp_targetILNS1_3genE2ELNS1_11target_archE906ELNS1_3gpuE6ELNS1_3repE0EEENS1_30default_config_static_selectorELNS0_4arch9wavefront6targetE1EEEvT1_,comdat
.Lfunc_end262:
	.size	_ZN7rocprim17ROCPRIM_400000_NS6detail17trampoline_kernelINS0_14default_configENS1_35adjacent_difference_config_selectorILb0ExEEZNS1_24adjacent_difference_implIS3_Lb0ELb0EPxS7_N6thrust23THRUST_200600_302600_NS5minusIxEEEE10hipError_tPvRmT2_T3_mT4_P12ihipStream_tbEUlT_E_NS1_11comp_targetILNS1_3genE2ELNS1_11target_archE906ELNS1_3gpuE6ELNS1_3repE0EEENS1_30default_config_static_selectorELNS0_4arch9wavefront6targetE1EEEvT1_, .Lfunc_end262-_ZN7rocprim17ROCPRIM_400000_NS6detail17trampoline_kernelINS0_14default_configENS1_35adjacent_difference_config_selectorILb0ExEEZNS1_24adjacent_difference_implIS3_Lb0ELb0EPxS7_N6thrust23THRUST_200600_302600_NS5minusIxEEEE10hipError_tPvRmT2_T3_mT4_P12ihipStream_tbEUlT_E_NS1_11comp_targetILNS1_3genE2ELNS1_11target_archE906ELNS1_3gpuE6ELNS1_3repE0EEENS1_30default_config_static_selectorELNS0_4arch9wavefront6targetE1EEEvT1_
                                        ; -- End function
	.set _ZN7rocprim17ROCPRIM_400000_NS6detail17trampoline_kernelINS0_14default_configENS1_35adjacent_difference_config_selectorILb0ExEEZNS1_24adjacent_difference_implIS3_Lb0ELb0EPxS7_N6thrust23THRUST_200600_302600_NS5minusIxEEEE10hipError_tPvRmT2_T3_mT4_P12ihipStream_tbEUlT_E_NS1_11comp_targetILNS1_3genE2ELNS1_11target_archE906ELNS1_3gpuE6ELNS1_3repE0EEENS1_30default_config_static_selectorELNS0_4arch9wavefront6targetE1EEEvT1_.num_vgpr, 15
	.set _ZN7rocprim17ROCPRIM_400000_NS6detail17trampoline_kernelINS0_14default_configENS1_35adjacent_difference_config_selectorILb0ExEEZNS1_24adjacent_difference_implIS3_Lb0ELb0EPxS7_N6thrust23THRUST_200600_302600_NS5minusIxEEEE10hipError_tPvRmT2_T3_mT4_P12ihipStream_tbEUlT_E_NS1_11comp_targetILNS1_3genE2ELNS1_11target_archE906ELNS1_3gpuE6ELNS1_3repE0EEENS1_30default_config_static_selectorELNS0_4arch9wavefront6targetE1EEEvT1_.num_agpr, 0
	.set _ZN7rocprim17ROCPRIM_400000_NS6detail17trampoline_kernelINS0_14default_configENS1_35adjacent_difference_config_selectorILb0ExEEZNS1_24adjacent_difference_implIS3_Lb0ELb0EPxS7_N6thrust23THRUST_200600_302600_NS5minusIxEEEE10hipError_tPvRmT2_T3_mT4_P12ihipStream_tbEUlT_E_NS1_11comp_targetILNS1_3genE2ELNS1_11target_archE906ELNS1_3gpuE6ELNS1_3repE0EEENS1_30default_config_static_selectorELNS0_4arch9wavefront6targetE1EEEvT1_.numbered_sgpr, 22
	.set _ZN7rocprim17ROCPRIM_400000_NS6detail17trampoline_kernelINS0_14default_configENS1_35adjacent_difference_config_selectorILb0ExEEZNS1_24adjacent_difference_implIS3_Lb0ELb0EPxS7_N6thrust23THRUST_200600_302600_NS5minusIxEEEE10hipError_tPvRmT2_T3_mT4_P12ihipStream_tbEUlT_E_NS1_11comp_targetILNS1_3genE2ELNS1_11target_archE906ELNS1_3gpuE6ELNS1_3repE0EEENS1_30default_config_static_selectorELNS0_4arch9wavefront6targetE1EEEvT1_.num_named_barrier, 0
	.set _ZN7rocprim17ROCPRIM_400000_NS6detail17trampoline_kernelINS0_14default_configENS1_35adjacent_difference_config_selectorILb0ExEEZNS1_24adjacent_difference_implIS3_Lb0ELb0EPxS7_N6thrust23THRUST_200600_302600_NS5minusIxEEEE10hipError_tPvRmT2_T3_mT4_P12ihipStream_tbEUlT_E_NS1_11comp_targetILNS1_3genE2ELNS1_11target_archE906ELNS1_3gpuE6ELNS1_3repE0EEENS1_30default_config_static_selectorELNS0_4arch9wavefront6targetE1EEEvT1_.private_seg_size, 0
	.set _ZN7rocprim17ROCPRIM_400000_NS6detail17trampoline_kernelINS0_14default_configENS1_35adjacent_difference_config_selectorILb0ExEEZNS1_24adjacent_difference_implIS3_Lb0ELb0EPxS7_N6thrust23THRUST_200600_302600_NS5minusIxEEEE10hipError_tPvRmT2_T3_mT4_P12ihipStream_tbEUlT_E_NS1_11comp_targetILNS1_3genE2ELNS1_11target_archE906ELNS1_3gpuE6ELNS1_3repE0EEENS1_30default_config_static_selectorELNS0_4arch9wavefront6targetE1EEEvT1_.uses_vcc, 1
	.set _ZN7rocprim17ROCPRIM_400000_NS6detail17trampoline_kernelINS0_14default_configENS1_35adjacent_difference_config_selectorILb0ExEEZNS1_24adjacent_difference_implIS3_Lb0ELb0EPxS7_N6thrust23THRUST_200600_302600_NS5minusIxEEEE10hipError_tPvRmT2_T3_mT4_P12ihipStream_tbEUlT_E_NS1_11comp_targetILNS1_3genE2ELNS1_11target_archE906ELNS1_3gpuE6ELNS1_3repE0EEENS1_30default_config_static_selectorELNS0_4arch9wavefront6targetE1EEEvT1_.uses_flat_scratch, 0
	.set _ZN7rocprim17ROCPRIM_400000_NS6detail17trampoline_kernelINS0_14default_configENS1_35adjacent_difference_config_selectorILb0ExEEZNS1_24adjacent_difference_implIS3_Lb0ELb0EPxS7_N6thrust23THRUST_200600_302600_NS5minusIxEEEE10hipError_tPvRmT2_T3_mT4_P12ihipStream_tbEUlT_E_NS1_11comp_targetILNS1_3genE2ELNS1_11target_archE906ELNS1_3gpuE6ELNS1_3repE0EEENS1_30default_config_static_selectorELNS0_4arch9wavefront6targetE1EEEvT1_.has_dyn_sized_stack, 0
	.set _ZN7rocprim17ROCPRIM_400000_NS6detail17trampoline_kernelINS0_14default_configENS1_35adjacent_difference_config_selectorILb0ExEEZNS1_24adjacent_difference_implIS3_Lb0ELb0EPxS7_N6thrust23THRUST_200600_302600_NS5minusIxEEEE10hipError_tPvRmT2_T3_mT4_P12ihipStream_tbEUlT_E_NS1_11comp_targetILNS1_3genE2ELNS1_11target_archE906ELNS1_3gpuE6ELNS1_3repE0EEENS1_30default_config_static_selectorELNS0_4arch9wavefront6targetE1EEEvT1_.has_recursion, 0
	.set _ZN7rocprim17ROCPRIM_400000_NS6detail17trampoline_kernelINS0_14default_configENS1_35adjacent_difference_config_selectorILb0ExEEZNS1_24adjacent_difference_implIS3_Lb0ELb0EPxS7_N6thrust23THRUST_200600_302600_NS5minusIxEEEE10hipError_tPvRmT2_T3_mT4_P12ihipStream_tbEUlT_E_NS1_11comp_targetILNS1_3genE2ELNS1_11target_archE906ELNS1_3gpuE6ELNS1_3repE0EEENS1_30default_config_static_selectorELNS0_4arch9wavefront6targetE1EEEvT1_.has_indirect_call, 0
	.section	.AMDGPU.csdata,"",@progbits
; Kernel info:
; codeLenInByte = 1188
; TotalNumSgprs: 26
; NumVgprs: 15
; ScratchSize: 0
; MemoryBound: 0
; FloatMode: 240
; IeeeMode: 1
; LDSByteSize: 2112 bytes/workgroup (compile time only)
; SGPRBlocks: 8
; VGPRBlocks: 7
; NumSGPRsForWavesPerEU: 65
; NumVGPRsForWavesPerEU: 29
; Occupancy: 8
; WaveLimiterHint : 1
; COMPUTE_PGM_RSRC2:SCRATCH_EN: 0
; COMPUTE_PGM_RSRC2:USER_SGPR: 6
; COMPUTE_PGM_RSRC2:TRAP_HANDLER: 0
; COMPUTE_PGM_RSRC2:TGID_X_EN: 1
; COMPUTE_PGM_RSRC2:TGID_Y_EN: 0
; COMPUTE_PGM_RSRC2:TGID_Z_EN: 0
; COMPUTE_PGM_RSRC2:TIDIG_COMP_CNT: 0
	.section	.text._ZN7rocprim17ROCPRIM_400000_NS6detail17trampoline_kernelINS0_14default_configENS1_35adjacent_difference_config_selectorILb0ExEEZNS1_24adjacent_difference_implIS3_Lb0ELb0EPxS7_N6thrust23THRUST_200600_302600_NS5minusIxEEEE10hipError_tPvRmT2_T3_mT4_P12ihipStream_tbEUlT_E_NS1_11comp_targetILNS1_3genE9ELNS1_11target_archE1100ELNS1_3gpuE3ELNS1_3repE0EEENS1_30default_config_static_selectorELNS0_4arch9wavefront6targetE1EEEvT1_,"axG",@progbits,_ZN7rocprim17ROCPRIM_400000_NS6detail17trampoline_kernelINS0_14default_configENS1_35adjacent_difference_config_selectorILb0ExEEZNS1_24adjacent_difference_implIS3_Lb0ELb0EPxS7_N6thrust23THRUST_200600_302600_NS5minusIxEEEE10hipError_tPvRmT2_T3_mT4_P12ihipStream_tbEUlT_E_NS1_11comp_targetILNS1_3genE9ELNS1_11target_archE1100ELNS1_3gpuE3ELNS1_3repE0EEENS1_30default_config_static_selectorELNS0_4arch9wavefront6targetE1EEEvT1_,comdat
	.protected	_ZN7rocprim17ROCPRIM_400000_NS6detail17trampoline_kernelINS0_14default_configENS1_35adjacent_difference_config_selectorILb0ExEEZNS1_24adjacent_difference_implIS3_Lb0ELb0EPxS7_N6thrust23THRUST_200600_302600_NS5minusIxEEEE10hipError_tPvRmT2_T3_mT4_P12ihipStream_tbEUlT_E_NS1_11comp_targetILNS1_3genE9ELNS1_11target_archE1100ELNS1_3gpuE3ELNS1_3repE0EEENS1_30default_config_static_selectorELNS0_4arch9wavefront6targetE1EEEvT1_ ; -- Begin function _ZN7rocprim17ROCPRIM_400000_NS6detail17trampoline_kernelINS0_14default_configENS1_35adjacent_difference_config_selectorILb0ExEEZNS1_24adjacent_difference_implIS3_Lb0ELb0EPxS7_N6thrust23THRUST_200600_302600_NS5minusIxEEEE10hipError_tPvRmT2_T3_mT4_P12ihipStream_tbEUlT_E_NS1_11comp_targetILNS1_3genE9ELNS1_11target_archE1100ELNS1_3gpuE3ELNS1_3repE0EEENS1_30default_config_static_selectorELNS0_4arch9wavefront6targetE1EEEvT1_
	.globl	_ZN7rocprim17ROCPRIM_400000_NS6detail17trampoline_kernelINS0_14default_configENS1_35adjacent_difference_config_selectorILb0ExEEZNS1_24adjacent_difference_implIS3_Lb0ELb0EPxS7_N6thrust23THRUST_200600_302600_NS5minusIxEEEE10hipError_tPvRmT2_T3_mT4_P12ihipStream_tbEUlT_E_NS1_11comp_targetILNS1_3genE9ELNS1_11target_archE1100ELNS1_3gpuE3ELNS1_3repE0EEENS1_30default_config_static_selectorELNS0_4arch9wavefront6targetE1EEEvT1_
	.p2align	8
	.type	_ZN7rocprim17ROCPRIM_400000_NS6detail17trampoline_kernelINS0_14default_configENS1_35adjacent_difference_config_selectorILb0ExEEZNS1_24adjacent_difference_implIS3_Lb0ELb0EPxS7_N6thrust23THRUST_200600_302600_NS5minusIxEEEE10hipError_tPvRmT2_T3_mT4_P12ihipStream_tbEUlT_E_NS1_11comp_targetILNS1_3genE9ELNS1_11target_archE1100ELNS1_3gpuE3ELNS1_3repE0EEENS1_30default_config_static_selectorELNS0_4arch9wavefront6targetE1EEEvT1_,@function
_ZN7rocprim17ROCPRIM_400000_NS6detail17trampoline_kernelINS0_14default_configENS1_35adjacent_difference_config_selectorILb0ExEEZNS1_24adjacent_difference_implIS3_Lb0ELb0EPxS7_N6thrust23THRUST_200600_302600_NS5minusIxEEEE10hipError_tPvRmT2_T3_mT4_P12ihipStream_tbEUlT_E_NS1_11comp_targetILNS1_3genE9ELNS1_11target_archE1100ELNS1_3gpuE3ELNS1_3repE0EEENS1_30default_config_static_selectorELNS0_4arch9wavefront6targetE1EEEvT1_: ; @_ZN7rocprim17ROCPRIM_400000_NS6detail17trampoline_kernelINS0_14default_configENS1_35adjacent_difference_config_selectorILb0ExEEZNS1_24adjacent_difference_implIS3_Lb0ELb0EPxS7_N6thrust23THRUST_200600_302600_NS5minusIxEEEE10hipError_tPvRmT2_T3_mT4_P12ihipStream_tbEUlT_E_NS1_11comp_targetILNS1_3genE9ELNS1_11target_archE1100ELNS1_3gpuE3ELNS1_3repE0EEENS1_30default_config_static_selectorELNS0_4arch9wavefront6targetE1EEEvT1_
; %bb.0:
	.section	.rodata,"a",@progbits
	.p2align	6, 0x0
	.amdhsa_kernel _ZN7rocprim17ROCPRIM_400000_NS6detail17trampoline_kernelINS0_14default_configENS1_35adjacent_difference_config_selectorILb0ExEEZNS1_24adjacent_difference_implIS3_Lb0ELb0EPxS7_N6thrust23THRUST_200600_302600_NS5minusIxEEEE10hipError_tPvRmT2_T3_mT4_P12ihipStream_tbEUlT_E_NS1_11comp_targetILNS1_3genE9ELNS1_11target_archE1100ELNS1_3gpuE3ELNS1_3repE0EEENS1_30default_config_static_selectorELNS0_4arch9wavefront6targetE1EEEvT1_
		.amdhsa_group_segment_fixed_size 0
		.amdhsa_private_segment_fixed_size 0
		.amdhsa_kernarg_size 56
		.amdhsa_user_sgpr_count 6
		.amdhsa_user_sgpr_private_segment_buffer 1
		.amdhsa_user_sgpr_dispatch_ptr 0
		.amdhsa_user_sgpr_queue_ptr 0
		.amdhsa_user_sgpr_kernarg_segment_ptr 1
		.amdhsa_user_sgpr_dispatch_id 0
		.amdhsa_user_sgpr_flat_scratch_init 0
		.amdhsa_user_sgpr_private_segment_size 0
		.amdhsa_uses_dynamic_stack 0
		.amdhsa_system_sgpr_private_segment_wavefront_offset 0
		.amdhsa_system_sgpr_workgroup_id_x 1
		.amdhsa_system_sgpr_workgroup_id_y 0
		.amdhsa_system_sgpr_workgroup_id_z 0
		.amdhsa_system_sgpr_workgroup_info 0
		.amdhsa_system_vgpr_workitem_id 0
		.amdhsa_next_free_vgpr 1
		.amdhsa_next_free_sgpr 0
		.amdhsa_reserve_vcc 0
		.amdhsa_reserve_flat_scratch 0
		.amdhsa_float_round_mode_32 0
		.amdhsa_float_round_mode_16_64 0
		.amdhsa_float_denorm_mode_32 3
		.amdhsa_float_denorm_mode_16_64 3
		.amdhsa_dx10_clamp 1
		.amdhsa_ieee_mode 1
		.amdhsa_fp16_overflow 0
		.amdhsa_exception_fp_ieee_invalid_op 0
		.amdhsa_exception_fp_denorm_src 0
		.amdhsa_exception_fp_ieee_div_zero 0
		.amdhsa_exception_fp_ieee_overflow 0
		.amdhsa_exception_fp_ieee_underflow 0
		.amdhsa_exception_fp_ieee_inexact 0
		.amdhsa_exception_int_div_zero 0
	.end_amdhsa_kernel
	.section	.text._ZN7rocprim17ROCPRIM_400000_NS6detail17trampoline_kernelINS0_14default_configENS1_35adjacent_difference_config_selectorILb0ExEEZNS1_24adjacent_difference_implIS3_Lb0ELb0EPxS7_N6thrust23THRUST_200600_302600_NS5minusIxEEEE10hipError_tPvRmT2_T3_mT4_P12ihipStream_tbEUlT_E_NS1_11comp_targetILNS1_3genE9ELNS1_11target_archE1100ELNS1_3gpuE3ELNS1_3repE0EEENS1_30default_config_static_selectorELNS0_4arch9wavefront6targetE1EEEvT1_,"axG",@progbits,_ZN7rocprim17ROCPRIM_400000_NS6detail17trampoline_kernelINS0_14default_configENS1_35adjacent_difference_config_selectorILb0ExEEZNS1_24adjacent_difference_implIS3_Lb0ELb0EPxS7_N6thrust23THRUST_200600_302600_NS5minusIxEEEE10hipError_tPvRmT2_T3_mT4_P12ihipStream_tbEUlT_E_NS1_11comp_targetILNS1_3genE9ELNS1_11target_archE1100ELNS1_3gpuE3ELNS1_3repE0EEENS1_30default_config_static_selectorELNS0_4arch9wavefront6targetE1EEEvT1_,comdat
.Lfunc_end263:
	.size	_ZN7rocprim17ROCPRIM_400000_NS6detail17trampoline_kernelINS0_14default_configENS1_35adjacent_difference_config_selectorILb0ExEEZNS1_24adjacent_difference_implIS3_Lb0ELb0EPxS7_N6thrust23THRUST_200600_302600_NS5minusIxEEEE10hipError_tPvRmT2_T3_mT4_P12ihipStream_tbEUlT_E_NS1_11comp_targetILNS1_3genE9ELNS1_11target_archE1100ELNS1_3gpuE3ELNS1_3repE0EEENS1_30default_config_static_selectorELNS0_4arch9wavefront6targetE1EEEvT1_, .Lfunc_end263-_ZN7rocprim17ROCPRIM_400000_NS6detail17trampoline_kernelINS0_14default_configENS1_35adjacent_difference_config_selectorILb0ExEEZNS1_24adjacent_difference_implIS3_Lb0ELb0EPxS7_N6thrust23THRUST_200600_302600_NS5minusIxEEEE10hipError_tPvRmT2_T3_mT4_P12ihipStream_tbEUlT_E_NS1_11comp_targetILNS1_3genE9ELNS1_11target_archE1100ELNS1_3gpuE3ELNS1_3repE0EEENS1_30default_config_static_selectorELNS0_4arch9wavefront6targetE1EEEvT1_
                                        ; -- End function
	.set _ZN7rocprim17ROCPRIM_400000_NS6detail17trampoline_kernelINS0_14default_configENS1_35adjacent_difference_config_selectorILb0ExEEZNS1_24adjacent_difference_implIS3_Lb0ELb0EPxS7_N6thrust23THRUST_200600_302600_NS5minusIxEEEE10hipError_tPvRmT2_T3_mT4_P12ihipStream_tbEUlT_E_NS1_11comp_targetILNS1_3genE9ELNS1_11target_archE1100ELNS1_3gpuE3ELNS1_3repE0EEENS1_30default_config_static_selectorELNS0_4arch9wavefront6targetE1EEEvT1_.num_vgpr, 0
	.set _ZN7rocprim17ROCPRIM_400000_NS6detail17trampoline_kernelINS0_14default_configENS1_35adjacent_difference_config_selectorILb0ExEEZNS1_24adjacent_difference_implIS3_Lb0ELb0EPxS7_N6thrust23THRUST_200600_302600_NS5minusIxEEEE10hipError_tPvRmT2_T3_mT4_P12ihipStream_tbEUlT_E_NS1_11comp_targetILNS1_3genE9ELNS1_11target_archE1100ELNS1_3gpuE3ELNS1_3repE0EEENS1_30default_config_static_selectorELNS0_4arch9wavefront6targetE1EEEvT1_.num_agpr, 0
	.set _ZN7rocprim17ROCPRIM_400000_NS6detail17trampoline_kernelINS0_14default_configENS1_35adjacent_difference_config_selectorILb0ExEEZNS1_24adjacent_difference_implIS3_Lb0ELb0EPxS7_N6thrust23THRUST_200600_302600_NS5minusIxEEEE10hipError_tPvRmT2_T3_mT4_P12ihipStream_tbEUlT_E_NS1_11comp_targetILNS1_3genE9ELNS1_11target_archE1100ELNS1_3gpuE3ELNS1_3repE0EEENS1_30default_config_static_selectorELNS0_4arch9wavefront6targetE1EEEvT1_.numbered_sgpr, 0
	.set _ZN7rocprim17ROCPRIM_400000_NS6detail17trampoline_kernelINS0_14default_configENS1_35adjacent_difference_config_selectorILb0ExEEZNS1_24adjacent_difference_implIS3_Lb0ELb0EPxS7_N6thrust23THRUST_200600_302600_NS5minusIxEEEE10hipError_tPvRmT2_T3_mT4_P12ihipStream_tbEUlT_E_NS1_11comp_targetILNS1_3genE9ELNS1_11target_archE1100ELNS1_3gpuE3ELNS1_3repE0EEENS1_30default_config_static_selectorELNS0_4arch9wavefront6targetE1EEEvT1_.num_named_barrier, 0
	.set _ZN7rocprim17ROCPRIM_400000_NS6detail17trampoline_kernelINS0_14default_configENS1_35adjacent_difference_config_selectorILb0ExEEZNS1_24adjacent_difference_implIS3_Lb0ELb0EPxS7_N6thrust23THRUST_200600_302600_NS5minusIxEEEE10hipError_tPvRmT2_T3_mT4_P12ihipStream_tbEUlT_E_NS1_11comp_targetILNS1_3genE9ELNS1_11target_archE1100ELNS1_3gpuE3ELNS1_3repE0EEENS1_30default_config_static_selectorELNS0_4arch9wavefront6targetE1EEEvT1_.private_seg_size, 0
	.set _ZN7rocprim17ROCPRIM_400000_NS6detail17trampoline_kernelINS0_14default_configENS1_35adjacent_difference_config_selectorILb0ExEEZNS1_24adjacent_difference_implIS3_Lb0ELb0EPxS7_N6thrust23THRUST_200600_302600_NS5minusIxEEEE10hipError_tPvRmT2_T3_mT4_P12ihipStream_tbEUlT_E_NS1_11comp_targetILNS1_3genE9ELNS1_11target_archE1100ELNS1_3gpuE3ELNS1_3repE0EEENS1_30default_config_static_selectorELNS0_4arch9wavefront6targetE1EEEvT1_.uses_vcc, 0
	.set _ZN7rocprim17ROCPRIM_400000_NS6detail17trampoline_kernelINS0_14default_configENS1_35adjacent_difference_config_selectorILb0ExEEZNS1_24adjacent_difference_implIS3_Lb0ELb0EPxS7_N6thrust23THRUST_200600_302600_NS5minusIxEEEE10hipError_tPvRmT2_T3_mT4_P12ihipStream_tbEUlT_E_NS1_11comp_targetILNS1_3genE9ELNS1_11target_archE1100ELNS1_3gpuE3ELNS1_3repE0EEENS1_30default_config_static_selectorELNS0_4arch9wavefront6targetE1EEEvT1_.uses_flat_scratch, 0
	.set _ZN7rocprim17ROCPRIM_400000_NS6detail17trampoline_kernelINS0_14default_configENS1_35adjacent_difference_config_selectorILb0ExEEZNS1_24adjacent_difference_implIS3_Lb0ELb0EPxS7_N6thrust23THRUST_200600_302600_NS5minusIxEEEE10hipError_tPvRmT2_T3_mT4_P12ihipStream_tbEUlT_E_NS1_11comp_targetILNS1_3genE9ELNS1_11target_archE1100ELNS1_3gpuE3ELNS1_3repE0EEENS1_30default_config_static_selectorELNS0_4arch9wavefront6targetE1EEEvT1_.has_dyn_sized_stack, 0
	.set _ZN7rocprim17ROCPRIM_400000_NS6detail17trampoline_kernelINS0_14default_configENS1_35adjacent_difference_config_selectorILb0ExEEZNS1_24adjacent_difference_implIS3_Lb0ELb0EPxS7_N6thrust23THRUST_200600_302600_NS5minusIxEEEE10hipError_tPvRmT2_T3_mT4_P12ihipStream_tbEUlT_E_NS1_11comp_targetILNS1_3genE9ELNS1_11target_archE1100ELNS1_3gpuE3ELNS1_3repE0EEENS1_30default_config_static_selectorELNS0_4arch9wavefront6targetE1EEEvT1_.has_recursion, 0
	.set _ZN7rocprim17ROCPRIM_400000_NS6detail17trampoline_kernelINS0_14default_configENS1_35adjacent_difference_config_selectorILb0ExEEZNS1_24adjacent_difference_implIS3_Lb0ELb0EPxS7_N6thrust23THRUST_200600_302600_NS5minusIxEEEE10hipError_tPvRmT2_T3_mT4_P12ihipStream_tbEUlT_E_NS1_11comp_targetILNS1_3genE9ELNS1_11target_archE1100ELNS1_3gpuE3ELNS1_3repE0EEENS1_30default_config_static_selectorELNS0_4arch9wavefront6targetE1EEEvT1_.has_indirect_call, 0
	.section	.AMDGPU.csdata,"",@progbits
; Kernel info:
; codeLenInByte = 0
; TotalNumSgprs: 4
; NumVgprs: 0
; ScratchSize: 0
; MemoryBound: 0
; FloatMode: 240
; IeeeMode: 1
; LDSByteSize: 0 bytes/workgroup (compile time only)
; SGPRBlocks: 0
; VGPRBlocks: 0
; NumSGPRsForWavesPerEU: 4
; NumVGPRsForWavesPerEU: 1
; Occupancy: 10
; WaveLimiterHint : 0
; COMPUTE_PGM_RSRC2:SCRATCH_EN: 0
; COMPUTE_PGM_RSRC2:USER_SGPR: 6
; COMPUTE_PGM_RSRC2:TRAP_HANDLER: 0
; COMPUTE_PGM_RSRC2:TGID_X_EN: 1
; COMPUTE_PGM_RSRC2:TGID_Y_EN: 0
; COMPUTE_PGM_RSRC2:TGID_Z_EN: 0
; COMPUTE_PGM_RSRC2:TIDIG_COMP_CNT: 0
	.section	.text._ZN7rocprim17ROCPRIM_400000_NS6detail17trampoline_kernelINS0_14default_configENS1_35adjacent_difference_config_selectorILb0ExEEZNS1_24adjacent_difference_implIS3_Lb0ELb0EPxS7_N6thrust23THRUST_200600_302600_NS5minusIxEEEE10hipError_tPvRmT2_T3_mT4_P12ihipStream_tbEUlT_E_NS1_11comp_targetILNS1_3genE8ELNS1_11target_archE1030ELNS1_3gpuE2ELNS1_3repE0EEENS1_30default_config_static_selectorELNS0_4arch9wavefront6targetE1EEEvT1_,"axG",@progbits,_ZN7rocprim17ROCPRIM_400000_NS6detail17trampoline_kernelINS0_14default_configENS1_35adjacent_difference_config_selectorILb0ExEEZNS1_24adjacent_difference_implIS3_Lb0ELb0EPxS7_N6thrust23THRUST_200600_302600_NS5minusIxEEEE10hipError_tPvRmT2_T3_mT4_P12ihipStream_tbEUlT_E_NS1_11comp_targetILNS1_3genE8ELNS1_11target_archE1030ELNS1_3gpuE2ELNS1_3repE0EEENS1_30default_config_static_selectorELNS0_4arch9wavefront6targetE1EEEvT1_,comdat
	.protected	_ZN7rocprim17ROCPRIM_400000_NS6detail17trampoline_kernelINS0_14default_configENS1_35adjacent_difference_config_selectorILb0ExEEZNS1_24adjacent_difference_implIS3_Lb0ELb0EPxS7_N6thrust23THRUST_200600_302600_NS5minusIxEEEE10hipError_tPvRmT2_T3_mT4_P12ihipStream_tbEUlT_E_NS1_11comp_targetILNS1_3genE8ELNS1_11target_archE1030ELNS1_3gpuE2ELNS1_3repE0EEENS1_30default_config_static_selectorELNS0_4arch9wavefront6targetE1EEEvT1_ ; -- Begin function _ZN7rocprim17ROCPRIM_400000_NS6detail17trampoline_kernelINS0_14default_configENS1_35adjacent_difference_config_selectorILb0ExEEZNS1_24adjacent_difference_implIS3_Lb0ELb0EPxS7_N6thrust23THRUST_200600_302600_NS5minusIxEEEE10hipError_tPvRmT2_T3_mT4_P12ihipStream_tbEUlT_E_NS1_11comp_targetILNS1_3genE8ELNS1_11target_archE1030ELNS1_3gpuE2ELNS1_3repE0EEENS1_30default_config_static_selectorELNS0_4arch9wavefront6targetE1EEEvT1_
	.globl	_ZN7rocprim17ROCPRIM_400000_NS6detail17trampoline_kernelINS0_14default_configENS1_35adjacent_difference_config_selectorILb0ExEEZNS1_24adjacent_difference_implIS3_Lb0ELb0EPxS7_N6thrust23THRUST_200600_302600_NS5minusIxEEEE10hipError_tPvRmT2_T3_mT4_P12ihipStream_tbEUlT_E_NS1_11comp_targetILNS1_3genE8ELNS1_11target_archE1030ELNS1_3gpuE2ELNS1_3repE0EEENS1_30default_config_static_selectorELNS0_4arch9wavefront6targetE1EEEvT1_
	.p2align	8
	.type	_ZN7rocprim17ROCPRIM_400000_NS6detail17trampoline_kernelINS0_14default_configENS1_35adjacent_difference_config_selectorILb0ExEEZNS1_24adjacent_difference_implIS3_Lb0ELb0EPxS7_N6thrust23THRUST_200600_302600_NS5minusIxEEEE10hipError_tPvRmT2_T3_mT4_P12ihipStream_tbEUlT_E_NS1_11comp_targetILNS1_3genE8ELNS1_11target_archE1030ELNS1_3gpuE2ELNS1_3repE0EEENS1_30default_config_static_selectorELNS0_4arch9wavefront6targetE1EEEvT1_,@function
_ZN7rocprim17ROCPRIM_400000_NS6detail17trampoline_kernelINS0_14default_configENS1_35adjacent_difference_config_selectorILb0ExEEZNS1_24adjacent_difference_implIS3_Lb0ELb0EPxS7_N6thrust23THRUST_200600_302600_NS5minusIxEEEE10hipError_tPvRmT2_T3_mT4_P12ihipStream_tbEUlT_E_NS1_11comp_targetILNS1_3genE8ELNS1_11target_archE1030ELNS1_3gpuE2ELNS1_3repE0EEENS1_30default_config_static_selectorELNS0_4arch9wavefront6targetE1EEEvT1_: ; @_ZN7rocprim17ROCPRIM_400000_NS6detail17trampoline_kernelINS0_14default_configENS1_35adjacent_difference_config_selectorILb0ExEEZNS1_24adjacent_difference_implIS3_Lb0ELb0EPxS7_N6thrust23THRUST_200600_302600_NS5minusIxEEEE10hipError_tPvRmT2_T3_mT4_P12ihipStream_tbEUlT_E_NS1_11comp_targetILNS1_3genE8ELNS1_11target_archE1030ELNS1_3gpuE2ELNS1_3repE0EEENS1_30default_config_static_selectorELNS0_4arch9wavefront6targetE1EEEvT1_
; %bb.0:
	.section	.rodata,"a",@progbits
	.p2align	6, 0x0
	.amdhsa_kernel _ZN7rocprim17ROCPRIM_400000_NS6detail17trampoline_kernelINS0_14default_configENS1_35adjacent_difference_config_selectorILb0ExEEZNS1_24adjacent_difference_implIS3_Lb0ELb0EPxS7_N6thrust23THRUST_200600_302600_NS5minusIxEEEE10hipError_tPvRmT2_T3_mT4_P12ihipStream_tbEUlT_E_NS1_11comp_targetILNS1_3genE8ELNS1_11target_archE1030ELNS1_3gpuE2ELNS1_3repE0EEENS1_30default_config_static_selectorELNS0_4arch9wavefront6targetE1EEEvT1_
		.amdhsa_group_segment_fixed_size 0
		.amdhsa_private_segment_fixed_size 0
		.amdhsa_kernarg_size 56
		.amdhsa_user_sgpr_count 6
		.amdhsa_user_sgpr_private_segment_buffer 1
		.amdhsa_user_sgpr_dispatch_ptr 0
		.amdhsa_user_sgpr_queue_ptr 0
		.amdhsa_user_sgpr_kernarg_segment_ptr 1
		.amdhsa_user_sgpr_dispatch_id 0
		.amdhsa_user_sgpr_flat_scratch_init 0
		.amdhsa_user_sgpr_private_segment_size 0
		.amdhsa_uses_dynamic_stack 0
		.amdhsa_system_sgpr_private_segment_wavefront_offset 0
		.amdhsa_system_sgpr_workgroup_id_x 1
		.amdhsa_system_sgpr_workgroup_id_y 0
		.amdhsa_system_sgpr_workgroup_id_z 0
		.amdhsa_system_sgpr_workgroup_info 0
		.amdhsa_system_vgpr_workitem_id 0
		.amdhsa_next_free_vgpr 1
		.amdhsa_next_free_sgpr 0
		.amdhsa_reserve_vcc 0
		.amdhsa_reserve_flat_scratch 0
		.amdhsa_float_round_mode_32 0
		.amdhsa_float_round_mode_16_64 0
		.amdhsa_float_denorm_mode_32 3
		.amdhsa_float_denorm_mode_16_64 3
		.amdhsa_dx10_clamp 1
		.amdhsa_ieee_mode 1
		.amdhsa_fp16_overflow 0
		.amdhsa_exception_fp_ieee_invalid_op 0
		.amdhsa_exception_fp_denorm_src 0
		.amdhsa_exception_fp_ieee_div_zero 0
		.amdhsa_exception_fp_ieee_overflow 0
		.amdhsa_exception_fp_ieee_underflow 0
		.amdhsa_exception_fp_ieee_inexact 0
		.amdhsa_exception_int_div_zero 0
	.end_amdhsa_kernel
	.section	.text._ZN7rocprim17ROCPRIM_400000_NS6detail17trampoline_kernelINS0_14default_configENS1_35adjacent_difference_config_selectorILb0ExEEZNS1_24adjacent_difference_implIS3_Lb0ELb0EPxS7_N6thrust23THRUST_200600_302600_NS5minusIxEEEE10hipError_tPvRmT2_T3_mT4_P12ihipStream_tbEUlT_E_NS1_11comp_targetILNS1_3genE8ELNS1_11target_archE1030ELNS1_3gpuE2ELNS1_3repE0EEENS1_30default_config_static_selectorELNS0_4arch9wavefront6targetE1EEEvT1_,"axG",@progbits,_ZN7rocprim17ROCPRIM_400000_NS6detail17trampoline_kernelINS0_14default_configENS1_35adjacent_difference_config_selectorILb0ExEEZNS1_24adjacent_difference_implIS3_Lb0ELb0EPxS7_N6thrust23THRUST_200600_302600_NS5minusIxEEEE10hipError_tPvRmT2_T3_mT4_P12ihipStream_tbEUlT_E_NS1_11comp_targetILNS1_3genE8ELNS1_11target_archE1030ELNS1_3gpuE2ELNS1_3repE0EEENS1_30default_config_static_selectorELNS0_4arch9wavefront6targetE1EEEvT1_,comdat
.Lfunc_end264:
	.size	_ZN7rocprim17ROCPRIM_400000_NS6detail17trampoline_kernelINS0_14default_configENS1_35adjacent_difference_config_selectorILb0ExEEZNS1_24adjacent_difference_implIS3_Lb0ELb0EPxS7_N6thrust23THRUST_200600_302600_NS5minusIxEEEE10hipError_tPvRmT2_T3_mT4_P12ihipStream_tbEUlT_E_NS1_11comp_targetILNS1_3genE8ELNS1_11target_archE1030ELNS1_3gpuE2ELNS1_3repE0EEENS1_30default_config_static_selectorELNS0_4arch9wavefront6targetE1EEEvT1_, .Lfunc_end264-_ZN7rocprim17ROCPRIM_400000_NS6detail17trampoline_kernelINS0_14default_configENS1_35adjacent_difference_config_selectorILb0ExEEZNS1_24adjacent_difference_implIS3_Lb0ELb0EPxS7_N6thrust23THRUST_200600_302600_NS5minusIxEEEE10hipError_tPvRmT2_T3_mT4_P12ihipStream_tbEUlT_E_NS1_11comp_targetILNS1_3genE8ELNS1_11target_archE1030ELNS1_3gpuE2ELNS1_3repE0EEENS1_30default_config_static_selectorELNS0_4arch9wavefront6targetE1EEEvT1_
                                        ; -- End function
	.set _ZN7rocprim17ROCPRIM_400000_NS6detail17trampoline_kernelINS0_14default_configENS1_35adjacent_difference_config_selectorILb0ExEEZNS1_24adjacent_difference_implIS3_Lb0ELb0EPxS7_N6thrust23THRUST_200600_302600_NS5minusIxEEEE10hipError_tPvRmT2_T3_mT4_P12ihipStream_tbEUlT_E_NS1_11comp_targetILNS1_3genE8ELNS1_11target_archE1030ELNS1_3gpuE2ELNS1_3repE0EEENS1_30default_config_static_selectorELNS0_4arch9wavefront6targetE1EEEvT1_.num_vgpr, 0
	.set _ZN7rocprim17ROCPRIM_400000_NS6detail17trampoline_kernelINS0_14default_configENS1_35adjacent_difference_config_selectorILb0ExEEZNS1_24adjacent_difference_implIS3_Lb0ELb0EPxS7_N6thrust23THRUST_200600_302600_NS5minusIxEEEE10hipError_tPvRmT2_T3_mT4_P12ihipStream_tbEUlT_E_NS1_11comp_targetILNS1_3genE8ELNS1_11target_archE1030ELNS1_3gpuE2ELNS1_3repE0EEENS1_30default_config_static_selectorELNS0_4arch9wavefront6targetE1EEEvT1_.num_agpr, 0
	.set _ZN7rocprim17ROCPRIM_400000_NS6detail17trampoline_kernelINS0_14default_configENS1_35adjacent_difference_config_selectorILb0ExEEZNS1_24adjacent_difference_implIS3_Lb0ELb0EPxS7_N6thrust23THRUST_200600_302600_NS5minusIxEEEE10hipError_tPvRmT2_T3_mT4_P12ihipStream_tbEUlT_E_NS1_11comp_targetILNS1_3genE8ELNS1_11target_archE1030ELNS1_3gpuE2ELNS1_3repE0EEENS1_30default_config_static_selectorELNS0_4arch9wavefront6targetE1EEEvT1_.numbered_sgpr, 0
	.set _ZN7rocprim17ROCPRIM_400000_NS6detail17trampoline_kernelINS0_14default_configENS1_35adjacent_difference_config_selectorILb0ExEEZNS1_24adjacent_difference_implIS3_Lb0ELb0EPxS7_N6thrust23THRUST_200600_302600_NS5minusIxEEEE10hipError_tPvRmT2_T3_mT4_P12ihipStream_tbEUlT_E_NS1_11comp_targetILNS1_3genE8ELNS1_11target_archE1030ELNS1_3gpuE2ELNS1_3repE0EEENS1_30default_config_static_selectorELNS0_4arch9wavefront6targetE1EEEvT1_.num_named_barrier, 0
	.set _ZN7rocprim17ROCPRIM_400000_NS6detail17trampoline_kernelINS0_14default_configENS1_35adjacent_difference_config_selectorILb0ExEEZNS1_24adjacent_difference_implIS3_Lb0ELb0EPxS7_N6thrust23THRUST_200600_302600_NS5minusIxEEEE10hipError_tPvRmT2_T3_mT4_P12ihipStream_tbEUlT_E_NS1_11comp_targetILNS1_3genE8ELNS1_11target_archE1030ELNS1_3gpuE2ELNS1_3repE0EEENS1_30default_config_static_selectorELNS0_4arch9wavefront6targetE1EEEvT1_.private_seg_size, 0
	.set _ZN7rocprim17ROCPRIM_400000_NS6detail17trampoline_kernelINS0_14default_configENS1_35adjacent_difference_config_selectorILb0ExEEZNS1_24adjacent_difference_implIS3_Lb0ELb0EPxS7_N6thrust23THRUST_200600_302600_NS5minusIxEEEE10hipError_tPvRmT2_T3_mT4_P12ihipStream_tbEUlT_E_NS1_11comp_targetILNS1_3genE8ELNS1_11target_archE1030ELNS1_3gpuE2ELNS1_3repE0EEENS1_30default_config_static_selectorELNS0_4arch9wavefront6targetE1EEEvT1_.uses_vcc, 0
	.set _ZN7rocprim17ROCPRIM_400000_NS6detail17trampoline_kernelINS0_14default_configENS1_35adjacent_difference_config_selectorILb0ExEEZNS1_24adjacent_difference_implIS3_Lb0ELb0EPxS7_N6thrust23THRUST_200600_302600_NS5minusIxEEEE10hipError_tPvRmT2_T3_mT4_P12ihipStream_tbEUlT_E_NS1_11comp_targetILNS1_3genE8ELNS1_11target_archE1030ELNS1_3gpuE2ELNS1_3repE0EEENS1_30default_config_static_selectorELNS0_4arch9wavefront6targetE1EEEvT1_.uses_flat_scratch, 0
	.set _ZN7rocprim17ROCPRIM_400000_NS6detail17trampoline_kernelINS0_14default_configENS1_35adjacent_difference_config_selectorILb0ExEEZNS1_24adjacent_difference_implIS3_Lb0ELb0EPxS7_N6thrust23THRUST_200600_302600_NS5minusIxEEEE10hipError_tPvRmT2_T3_mT4_P12ihipStream_tbEUlT_E_NS1_11comp_targetILNS1_3genE8ELNS1_11target_archE1030ELNS1_3gpuE2ELNS1_3repE0EEENS1_30default_config_static_selectorELNS0_4arch9wavefront6targetE1EEEvT1_.has_dyn_sized_stack, 0
	.set _ZN7rocprim17ROCPRIM_400000_NS6detail17trampoline_kernelINS0_14default_configENS1_35adjacent_difference_config_selectorILb0ExEEZNS1_24adjacent_difference_implIS3_Lb0ELb0EPxS7_N6thrust23THRUST_200600_302600_NS5minusIxEEEE10hipError_tPvRmT2_T3_mT4_P12ihipStream_tbEUlT_E_NS1_11comp_targetILNS1_3genE8ELNS1_11target_archE1030ELNS1_3gpuE2ELNS1_3repE0EEENS1_30default_config_static_selectorELNS0_4arch9wavefront6targetE1EEEvT1_.has_recursion, 0
	.set _ZN7rocprim17ROCPRIM_400000_NS6detail17trampoline_kernelINS0_14default_configENS1_35adjacent_difference_config_selectorILb0ExEEZNS1_24adjacent_difference_implIS3_Lb0ELb0EPxS7_N6thrust23THRUST_200600_302600_NS5minusIxEEEE10hipError_tPvRmT2_T3_mT4_P12ihipStream_tbEUlT_E_NS1_11comp_targetILNS1_3genE8ELNS1_11target_archE1030ELNS1_3gpuE2ELNS1_3repE0EEENS1_30default_config_static_selectorELNS0_4arch9wavefront6targetE1EEEvT1_.has_indirect_call, 0
	.section	.AMDGPU.csdata,"",@progbits
; Kernel info:
; codeLenInByte = 0
; TotalNumSgprs: 4
; NumVgprs: 0
; ScratchSize: 0
; MemoryBound: 0
; FloatMode: 240
; IeeeMode: 1
; LDSByteSize: 0 bytes/workgroup (compile time only)
; SGPRBlocks: 0
; VGPRBlocks: 0
; NumSGPRsForWavesPerEU: 4
; NumVGPRsForWavesPerEU: 1
; Occupancy: 10
; WaveLimiterHint : 0
; COMPUTE_PGM_RSRC2:SCRATCH_EN: 0
; COMPUTE_PGM_RSRC2:USER_SGPR: 6
; COMPUTE_PGM_RSRC2:TRAP_HANDLER: 0
; COMPUTE_PGM_RSRC2:TGID_X_EN: 1
; COMPUTE_PGM_RSRC2:TGID_Y_EN: 0
; COMPUTE_PGM_RSRC2:TGID_Z_EN: 0
; COMPUTE_PGM_RSRC2:TIDIG_COMP_CNT: 0
	.section	.text._ZN7rocprim17ROCPRIM_400000_NS6detail17trampoline_kernelINS0_14default_configENS1_25transform_config_selectorIxLb0EEEZNS1_14transform_implILb0ES3_S5_NS0_18transform_iteratorINS0_17counting_iteratorImlEEZNS1_24adjacent_difference_implIS3_Lb1ELb0EPxSB_N6thrust23THRUST_200600_302600_NS5minusIxEEEE10hipError_tPvRmT2_T3_mT4_P12ihipStream_tbEUlmE_xEESB_NS0_8identityIvEEEESG_SJ_SK_mSL_SN_bEUlT_E_NS1_11comp_targetILNS1_3genE0ELNS1_11target_archE4294967295ELNS1_3gpuE0ELNS1_3repE0EEENS1_30default_config_static_selectorELNS0_4arch9wavefront6targetE1EEEvT1_,"axG",@progbits,_ZN7rocprim17ROCPRIM_400000_NS6detail17trampoline_kernelINS0_14default_configENS1_25transform_config_selectorIxLb0EEEZNS1_14transform_implILb0ES3_S5_NS0_18transform_iteratorINS0_17counting_iteratorImlEEZNS1_24adjacent_difference_implIS3_Lb1ELb0EPxSB_N6thrust23THRUST_200600_302600_NS5minusIxEEEE10hipError_tPvRmT2_T3_mT4_P12ihipStream_tbEUlmE_xEESB_NS0_8identityIvEEEESG_SJ_SK_mSL_SN_bEUlT_E_NS1_11comp_targetILNS1_3genE0ELNS1_11target_archE4294967295ELNS1_3gpuE0ELNS1_3repE0EEENS1_30default_config_static_selectorELNS0_4arch9wavefront6targetE1EEEvT1_,comdat
	.protected	_ZN7rocprim17ROCPRIM_400000_NS6detail17trampoline_kernelINS0_14default_configENS1_25transform_config_selectorIxLb0EEEZNS1_14transform_implILb0ES3_S5_NS0_18transform_iteratorINS0_17counting_iteratorImlEEZNS1_24adjacent_difference_implIS3_Lb1ELb0EPxSB_N6thrust23THRUST_200600_302600_NS5minusIxEEEE10hipError_tPvRmT2_T3_mT4_P12ihipStream_tbEUlmE_xEESB_NS0_8identityIvEEEESG_SJ_SK_mSL_SN_bEUlT_E_NS1_11comp_targetILNS1_3genE0ELNS1_11target_archE4294967295ELNS1_3gpuE0ELNS1_3repE0EEENS1_30default_config_static_selectorELNS0_4arch9wavefront6targetE1EEEvT1_ ; -- Begin function _ZN7rocprim17ROCPRIM_400000_NS6detail17trampoline_kernelINS0_14default_configENS1_25transform_config_selectorIxLb0EEEZNS1_14transform_implILb0ES3_S5_NS0_18transform_iteratorINS0_17counting_iteratorImlEEZNS1_24adjacent_difference_implIS3_Lb1ELb0EPxSB_N6thrust23THRUST_200600_302600_NS5minusIxEEEE10hipError_tPvRmT2_T3_mT4_P12ihipStream_tbEUlmE_xEESB_NS0_8identityIvEEEESG_SJ_SK_mSL_SN_bEUlT_E_NS1_11comp_targetILNS1_3genE0ELNS1_11target_archE4294967295ELNS1_3gpuE0ELNS1_3repE0EEENS1_30default_config_static_selectorELNS0_4arch9wavefront6targetE1EEEvT1_
	.globl	_ZN7rocprim17ROCPRIM_400000_NS6detail17trampoline_kernelINS0_14default_configENS1_25transform_config_selectorIxLb0EEEZNS1_14transform_implILb0ES3_S5_NS0_18transform_iteratorINS0_17counting_iteratorImlEEZNS1_24adjacent_difference_implIS3_Lb1ELb0EPxSB_N6thrust23THRUST_200600_302600_NS5minusIxEEEE10hipError_tPvRmT2_T3_mT4_P12ihipStream_tbEUlmE_xEESB_NS0_8identityIvEEEESG_SJ_SK_mSL_SN_bEUlT_E_NS1_11comp_targetILNS1_3genE0ELNS1_11target_archE4294967295ELNS1_3gpuE0ELNS1_3repE0EEENS1_30default_config_static_selectorELNS0_4arch9wavefront6targetE1EEEvT1_
	.p2align	8
	.type	_ZN7rocprim17ROCPRIM_400000_NS6detail17trampoline_kernelINS0_14default_configENS1_25transform_config_selectorIxLb0EEEZNS1_14transform_implILb0ES3_S5_NS0_18transform_iteratorINS0_17counting_iteratorImlEEZNS1_24adjacent_difference_implIS3_Lb1ELb0EPxSB_N6thrust23THRUST_200600_302600_NS5minusIxEEEE10hipError_tPvRmT2_T3_mT4_P12ihipStream_tbEUlmE_xEESB_NS0_8identityIvEEEESG_SJ_SK_mSL_SN_bEUlT_E_NS1_11comp_targetILNS1_3genE0ELNS1_11target_archE4294967295ELNS1_3gpuE0ELNS1_3repE0EEENS1_30default_config_static_selectorELNS0_4arch9wavefront6targetE1EEEvT1_,@function
_ZN7rocprim17ROCPRIM_400000_NS6detail17trampoline_kernelINS0_14default_configENS1_25transform_config_selectorIxLb0EEEZNS1_14transform_implILb0ES3_S5_NS0_18transform_iteratorINS0_17counting_iteratorImlEEZNS1_24adjacent_difference_implIS3_Lb1ELb0EPxSB_N6thrust23THRUST_200600_302600_NS5minusIxEEEE10hipError_tPvRmT2_T3_mT4_P12ihipStream_tbEUlmE_xEESB_NS0_8identityIvEEEESG_SJ_SK_mSL_SN_bEUlT_E_NS1_11comp_targetILNS1_3genE0ELNS1_11target_archE4294967295ELNS1_3gpuE0ELNS1_3repE0EEENS1_30default_config_static_selectorELNS0_4arch9wavefront6targetE1EEEvT1_: ; @_ZN7rocprim17ROCPRIM_400000_NS6detail17trampoline_kernelINS0_14default_configENS1_25transform_config_selectorIxLb0EEEZNS1_14transform_implILb0ES3_S5_NS0_18transform_iteratorINS0_17counting_iteratorImlEEZNS1_24adjacent_difference_implIS3_Lb1ELb0EPxSB_N6thrust23THRUST_200600_302600_NS5minusIxEEEE10hipError_tPvRmT2_T3_mT4_P12ihipStream_tbEUlmE_xEESB_NS0_8identityIvEEEESG_SJ_SK_mSL_SN_bEUlT_E_NS1_11comp_targetILNS1_3genE0ELNS1_11target_archE4294967295ELNS1_3gpuE0ELNS1_3repE0EEENS1_30default_config_static_selectorELNS0_4arch9wavefront6targetE1EEEvT1_
; %bb.0:
	.section	.rodata,"a",@progbits
	.p2align	6, 0x0
	.amdhsa_kernel _ZN7rocprim17ROCPRIM_400000_NS6detail17trampoline_kernelINS0_14default_configENS1_25transform_config_selectorIxLb0EEEZNS1_14transform_implILb0ES3_S5_NS0_18transform_iteratorINS0_17counting_iteratorImlEEZNS1_24adjacent_difference_implIS3_Lb1ELb0EPxSB_N6thrust23THRUST_200600_302600_NS5minusIxEEEE10hipError_tPvRmT2_T3_mT4_P12ihipStream_tbEUlmE_xEESB_NS0_8identityIvEEEESG_SJ_SK_mSL_SN_bEUlT_E_NS1_11comp_targetILNS1_3genE0ELNS1_11target_archE4294967295ELNS1_3gpuE0ELNS1_3repE0EEENS1_30default_config_static_selectorELNS0_4arch9wavefront6targetE1EEEvT1_
		.amdhsa_group_segment_fixed_size 0
		.amdhsa_private_segment_fixed_size 0
		.amdhsa_kernarg_size 56
		.amdhsa_user_sgpr_count 6
		.amdhsa_user_sgpr_private_segment_buffer 1
		.amdhsa_user_sgpr_dispatch_ptr 0
		.amdhsa_user_sgpr_queue_ptr 0
		.amdhsa_user_sgpr_kernarg_segment_ptr 1
		.amdhsa_user_sgpr_dispatch_id 0
		.amdhsa_user_sgpr_flat_scratch_init 0
		.amdhsa_user_sgpr_private_segment_size 0
		.amdhsa_uses_dynamic_stack 0
		.amdhsa_system_sgpr_private_segment_wavefront_offset 0
		.amdhsa_system_sgpr_workgroup_id_x 1
		.amdhsa_system_sgpr_workgroup_id_y 0
		.amdhsa_system_sgpr_workgroup_id_z 0
		.amdhsa_system_sgpr_workgroup_info 0
		.amdhsa_system_vgpr_workitem_id 0
		.amdhsa_next_free_vgpr 1
		.amdhsa_next_free_sgpr 0
		.amdhsa_reserve_vcc 0
		.amdhsa_reserve_flat_scratch 0
		.amdhsa_float_round_mode_32 0
		.amdhsa_float_round_mode_16_64 0
		.amdhsa_float_denorm_mode_32 3
		.amdhsa_float_denorm_mode_16_64 3
		.amdhsa_dx10_clamp 1
		.amdhsa_ieee_mode 1
		.amdhsa_fp16_overflow 0
		.amdhsa_exception_fp_ieee_invalid_op 0
		.amdhsa_exception_fp_denorm_src 0
		.amdhsa_exception_fp_ieee_div_zero 0
		.amdhsa_exception_fp_ieee_overflow 0
		.amdhsa_exception_fp_ieee_underflow 0
		.amdhsa_exception_fp_ieee_inexact 0
		.amdhsa_exception_int_div_zero 0
	.end_amdhsa_kernel
	.section	.text._ZN7rocprim17ROCPRIM_400000_NS6detail17trampoline_kernelINS0_14default_configENS1_25transform_config_selectorIxLb0EEEZNS1_14transform_implILb0ES3_S5_NS0_18transform_iteratorINS0_17counting_iteratorImlEEZNS1_24adjacent_difference_implIS3_Lb1ELb0EPxSB_N6thrust23THRUST_200600_302600_NS5minusIxEEEE10hipError_tPvRmT2_T3_mT4_P12ihipStream_tbEUlmE_xEESB_NS0_8identityIvEEEESG_SJ_SK_mSL_SN_bEUlT_E_NS1_11comp_targetILNS1_3genE0ELNS1_11target_archE4294967295ELNS1_3gpuE0ELNS1_3repE0EEENS1_30default_config_static_selectorELNS0_4arch9wavefront6targetE1EEEvT1_,"axG",@progbits,_ZN7rocprim17ROCPRIM_400000_NS6detail17trampoline_kernelINS0_14default_configENS1_25transform_config_selectorIxLb0EEEZNS1_14transform_implILb0ES3_S5_NS0_18transform_iteratorINS0_17counting_iteratorImlEEZNS1_24adjacent_difference_implIS3_Lb1ELb0EPxSB_N6thrust23THRUST_200600_302600_NS5minusIxEEEE10hipError_tPvRmT2_T3_mT4_P12ihipStream_tbEUlmE_xEESB_NS0_8identityIvEEEESG_SJ_SK_mSL_SN_bEUlT_E_NS1_11comp_targetILNS1_3genE0ELNS1_11target_archE4294967295ELNS1_3gpuE0ELNS1_3repE0EEENS1_30default_config_static_selectorELNS0_4arch9wavefront6targetE1EEEvT1_,comdat
.Lfunc_end265:
	.size	_ZN7rocprim17ROCPRIM_400000_NS6detail17trampoline_kernelINS0_14default_configENS1_25transform_config_selectorIxLb0EEEZNS1_14transform_implILb0ES3_S5_NS0_18transform_iteratorINS0_17counting_iteratorImlEEZNS1_24adjacent_difference_implIS3_Lb1ELb0EPxSB_N6thrust23THRUST_200600_302600_NS5minusIxEEEE10hipError_tPvRmT2_T3_mT4_P12ihipStream_tbEUlmE_xEESB_NS0_8identityIvEEEESG_SJ_SK_mSL_SN_bEUlT_E_NS1_11comp_targetILNS1_3genE0ELNS1_11target_archE4294967295ELNS1_3gpuE0ELNS1_3repE0EEENS1_30default_config_static_selectorELNS0_4arch9wavefront6targetE1EEEvT1_, .Lfunc_end265-_ZN7rocprim17ROCPRIM_400000_NS6detail17trampoline_kernelINS0_14default_configENS1_25transform_config_selectorIxLb0EEEZNS1_14transform_implILb0ES3_S5_NS0_18transform_iteratorINS0_17counting_iteratorImlEEZNS1_24adjacent_difference_implIS3_Lb1ELb0EPxSB_N6thrust23THRUST_200600_302600_NS5minusIxEEEE10hipError_tPvRmT2_T3_mT4_P12ihipStream_tbEUlmE_xEESB_NS0_8identityIvEEEESG_SJ_SK_mSL_SN_bEUlT_E_NS1_11comp_targetILNS1_3genE0ELNS1_11target_archE4294967295ELNS1_3gpuE0ELNS1_3repE0EEENS1_30default_config_static_selectorELNS0_4arch9wavefront6targetE1EEEvT1_
                                        ; -- End function
	.set _ZN7rocprim17ROCPRIM_400000_NS6detail17trampoline_kernelINS0_14default_configENS1_25transform_config_selectorIxLb0EEEZNS1_14transform_implILb0ES3_S5_NS0_18transform_iteratorINS0_17counting_iteratorImlEEZNS1_24adjacent_difference_implIS3_Lb1ELb0EPxSB_N6thrust23THRUST_200600_302600_NS5minusIxEEEE10hipError_tPvRmT2_T3_mT4_P12ihipStream_tbEUlmE_xEESB_NS0_8identityIvEEEESG_SJ_SK_mSL_SN_bEUlT_E_NS1_11comp_targetILNS1_3genE0ELNS1_11target_archE4294967295ELNS1_3gpuE0ELNS1_3repE0EEENS1_30default_config_static_selectorELNS0_4arch9wavefront6targetE1EEEvT1_.num_vgpr, 0
	.set _ZN7rocprim17ROCPRIM_400000_NS6detail17trampoline_kernelINS0_14default_configENS1_25transform_config_selectorIxLb0EEEZNS1_14transform_implILb0ES3_S5_NS0_18transform_iteratorINS0_17counting_iteratorImlEEZNS1_24adjacent_difference_implIS3_Lb1ELb0EPxSB_N6thrust23THRUST_200600_302600_NS5minusIxEEEE10hipError_tPvRmT2_T3_mT4_P12ihipStream_tbEUlmE_xEESB_NS0_8identityIvEEEESG_SJ_SK_mSL_SN_bEUlT_E_NS1_11comp_targetILNS1_3genE0ELNS1_11target_archE4294967295ELNS1_3gpuE0ELNS1_3repE0EEENS1_30default_config_static_selectorELNS0_4arch9wavefront6targetE1EEEvT1_.num_agpr, 0
	.set _ZN7rocprim17ROCPRIM_400000_NS6detail17trampoline_kernelINS0_14default_configENS1_25transform_config_selectorIxLb0EEEZNS1_14transform_implILb0ES3_S5_NS0_18transform_iteratorINS0_17counting_iteratorImlEEZNS1_24adjacent_difference_implIS3_Lb1ELb0EPxSB_N6thrust23THRUST_200600_302600_NS5minusIxEEEE10hipError_tPvRmT2_T3_mT4_P12ihipStream_tbEUlmE_xEESB_NS0_8identityIvEEEESG_SJ_SK_mSL_SN_bEUlT_E_NS1_11comp_targetILNS1_3genE0ELNS1_11target_archE4294967295ELNS1_3gpuE0ELNS1_3repE0EEENS1_30default_config_static_selectorELNS0_4arch9wavefront6targetE1EEEvT1_.numbered_sgpr, 0
	.set _ZN7rocprim17ROCPRIM_400000_NS6detail17trampoline_kernelINS0_14default_configENS1_25transform_config_selectorIxLb0EEEZNS1_14transform_implILb0ES3_S5_NS0_18transform_iteratorINS0_17counting_iteratorImlEEZNS1_24adjacent_difference_implIS3_Lb1ELb0EPxSB_N6thrust23THRUST_200600_302600_NS5minusIxEEEE10hipError_tPvRmT2_T3_mT4_P12ihipStream_tbEUlmE_xEESB_NS0_8identityIvEEEESG_SJ_SK_mSL_SN_bEUlT_E_NS1_11comp_targetILNS1_3genE0ELNS1_11target_archE4294967295ELNS1_3gpuE0ELNS1_3repE0EEENS1_30default_config_static_selectorELNS0_4arch9wavefront6targetE1EEEvT1_.num_named_barrier, 0
	.set _ZN7rocprim17ROCPRIM_400000_NS6detail17trampoline_kernelINS0_14default_configENS1_25transform_config_selectorIxLb0EEEZNS1_14transform_implILb0ES3_S5_NS0_18transform_iteratorINS0_17counting_iteratorImlEEZNS1_24adjacent_difference_implIS3_Lb1ELb0EPxSB_N6thrust23THRUST_200600_302600_NS5minusIxEEEE10hipError_tPvRmT2_T3_mT4_P12ihipStream_tbEUlmE_xEESB_NS0_8identityIvEEEESG_SJ_SK_mSL_SN_bEUlT_E_NS1_11comp_targetILNS1_3genE0ELNS1_11target_archE4294967295ELNS1_3gpuE0ELNS1_3repE0EEENS1_30default_config_static_selectorELNS0_4arch9wavefront6targetE1EEEvT1_.private_seg_size, 0
	.set _ZN7rocprim17ROCPRIM_400000_NS6detail17trampoline_kernelINS0_14default_configENS1_25transform_config_selectorIxLb0EEEZNS1_14transform_implILb0ES3_S5_NS0_18transform_iteratorINS0_17counting_iteratorImlEEZNS1_24adjacent_difference_implIS3_Lb1ELb0EPxSB_N6thrust23THRUST_200600_302600_NS5minusIxEEEE10hipError_tPvRmT2_T3_mT4_P12ihipStream_tbEUlmE_xEESB_NS0_8identityIvEEEESG_SJ_SK_mSL_SN_bEUlT_E_NS1_11comp_targetILNS1_3genE0ELNS1_11target_archE4294967295ELNS1_3gpuE0ELNS1_3repE0EEENS1_30default_config_static_selectorELNS0_4arch9wavefront6targetE1EEEvT1_.uses_vcc, 0
	.set _ZN7rocprim17ROCPRIM_400000_NS6detail17trampoline_kernelINS0_14default_configENS1_25transform_config_selectorIxLb0EEEZNS1_14transform_implILb0ES3_S5_NS0_18transform_iteratorINS0_17counting_iteratorImlEEZNS1_24adjacent_difference_implIS3_Lb1ELb0EPxSB_N6thrust23THRUST_200600_302600_NS5minusIxEEEE10hipError_tPvRmT2_T3_mT4_P12ihipStream_tbEUlmE_xEESB_NS0_8identityIvEEEESG_SJ_SK_mSL_SN_bEUlT_E_NS1_11comp_targetILNS1_3genE0ELNS1_11target_archE4294967295ELNS1_3gpuE0ELNS1_3repE0EEENS1_30default_config_static_selectorELNS0_4arch9wavefront6targetE1EEEvT1_.uses_flat_scratch, 0
	.set _ZN7rocprim17ROCPRIM_400000_NS6detail17trampoline_kernelINS0_14default_configENS1_25transform_config_selectorIxLb0EEEZNS1_14transform_implILb0ES3_S5_NS0_18transform_iteratorINS0_17counting_iteratorImlEEZNS1_24adjacent_difference_implIS3_Lb1ELb0EPxSB_N6thrust23THRUST_200600_302600_NS5minusIxEEEE10hipError_tPvRmT2_T3_mT4_P12ihipStream_tbEUlmE_xEESB_NS0_8identityIvEEEESG_SJ_SK_mSL_SN_bEUlT_E_NS1_11comp_targetILNS1_3genE0ELNS1_11target_archE4294967295ELNS1_3gpuE0ELNS1_3repE0EEENS1_30default_config_static_selectorELNS0_4arch9wavefront6targetE1EEEvT1_.has_dyn_sized_stack, 0
	.set _ZN7rocprim17ROCPRIM_400000_NS6detail17trampoline_kernelINS0_14default_configENS1_25transform_config_selectorIxLb0EEEZNS1_14transform_implILb0ES3_S5_NS0_18transform_iteratorINS0_17counting_iteratorImlEEZNS1_24adjacent_difference_implIS3_Lb1ELb0EPxSB_N6thrust23THRUST_200600_302600_NS5minusIxEEEE10hipError_tPvRmT2_T3_mT4_P12ihipStream_tbEUlmE_xEESB_NS0_8identityIvEEEESG_SJ_SK_mSL_SN_bEUlT_E_NS1_11comp_targetILNS1_3genE0ELNS1_11target_archE4294967295ELNS1_3gpuE0ELNS1_3repE0EEENS1_30default_config_static_selectorELNS0_4arch9wavefront6targetE1EEEvT1_.has_recursion, 0
	.set _ZN7rocprim17ROCPRIM_400000_NS6detail17trampoline_kernelINS0_14default_configENS1_25transform_config_selectorIxLb0EEEZNS1_14transform_implILb0ES3_S5_NS0_18transform_iteratorINS0_17counting_iteratorImlEEZNS1_24adjacent_difference_implIS3_Lb1ELb0EPxSB_N6thrust23THRUST_200600_302600_NS5minusIxEEEE10hipError_tPvRmT2_T3_mT4_P12ihipStream_tbEUlmE_xEESB_NS0_8identityIvEEEESG_SJ_SK_mSL_SN_bEUlT_E_NS1_11comp_targetILNS1_3genE0ELNS1_11target_archE4294967295ELNS1_3gpuE0ELNS1_3repE0EEENS1_30default_config_static_selectorELNS0_4arch9wavefront6targetE1EEEvT1_.has_indirect_call, 0
	.section	.AMDGPU.csdata,"",@progbits
; Kernel info:
; codeLenInByte = 0
; TotalNumSgprs: 4
; NumVgprs: 0
; ScratchSize: 0
; MemoryBound: 0
; FloatMode: 240
; IeeeMode: 1
; LDSByteSize: 0 bytes/workgroup (compile time only)
; SGPRBlocks: 0
; VGPRBlocks: 0
; NumSGPRsForWavesPerEU: 4
; NumVGPRsForWavesPerEU: 1
; Occupancy: 10
; WaveLimiterHint : 0
; COMPUTE_PGM_RSRC2:SCRATCH_EN: 0
; COMPUTE_PGM_RSRC2:USER_SGPR: 6
; COMPUTE_PGM_RSRC2:TRAP_HANDLER: 0
; COMPUTE_PGM_RSRC2:TGID_X_EN: 1
; COMPUTE_PGM_RSRC2:TGID_Y_EN: 0
; COMPUTE_PGM_RSRC2:TGID_Z_EN: 0
; COMPUTE_PGM_RSRC2:TIDIG_COMP_CNT: 0
	.section	.text._ZN7rocprim17ROCPRIM_400000_NS6detail17trampoline_kernelINS0_14default_configENS1_25transform_config_selectorIxLb0EEEZNS1_14transform_implILb0ES3_S5_NS0_18transform_iteratorINS0_17counting_iteratorImlEEZNS1_24adjacent_difference_implIS3_Lb1ELb0EPxSB_N6thrust23THRUST_200600_302600_NS5minusIxEEEE10hipError_tPvRmT2_T3_mT4_P12ihipStream_tbEUlmE_xEESB_NS0_8identityIvEEEESG_SJ_SK_mSL_SN_bEUlT_E_NS1_11comp_targetILNS1_3genE5ELNS1_11target_archE942ELNS1_3gpuE9ELNS1_3repE0EEENS1_30default_config_static_selectorELNS0_4arch9wavefront6targetE1EEEvT1_,"axG",@progbits,_ZN7rocprim17ROCPRIM_400000_NS6detail17trampoline_kernelINS0_14default_configENS1_25transform_config_selectorIxLb0EEEZNS1_14transform_implILb0ES3_S5_NS0_18transform_iteratorINS0_17counting_iteratorImlEEZNS1_24adjacent_difference_implIS3_Lb1ELb0EPxSB_N6thrust23THRUST_200600_302600_NS5minusIxEEEE10hipError_tPvRmT2_T3_mT4_P12ihipStream_tbEUlmE_xEESB_NS0_8identityIvEEEESG_SJ_SK_mSL_SN_bEUlT_E_NS1_11comp_targetILNS1_3genE5ELNS1_11target_archE942ELNS1_3gpuE9ELNS1_3repE0EEENS1_30default_config_static_selectorELNS0_4arch9wavefront6targetE1EEEvT1_,comdat
	.protected	_ZN7rocprim17ROCPRIM_400000_NS6detail17trampoline_kernelINS0_14default_configENS1_25transform_config_selectorIxLb0EEEZNS1_14transform_implILb0ES3_S5_NS0_18transform_iteratorINS0_17counting_iteratorImlEEZNS1_24adjacent_difference_implIS3_Lb1ELb0EPxSB_N6thrust23THRUST_200600_302600_NS5minusIxEEEE10hipError_tPvRmT2_T3_mT4_P12ihipStream_tbEUlmE_xEESB_NS0_8identityIvEEEESG_SJ_SK_mSL_SN_bEUlT_E_NS1_11comp_targetILNS1_3genE5ELNS1_11target_archE942ELNS1_3gpuE9ELNS1_3repE0EEENS1_30default_config_static_selectorELNS0_4arch9wavefront6targetE1EEEvT1_ ; -- Begin function _ZN7rocprim17ROCPRIM_400000_NS6detail17trampoline_kernelINS0_14default_configENS1_25transform_config_selectorIxLb0EEEZNS1_14transform_implILb0ES3_S5_NS0_18transform_iteratorINS0_17counting_iteratorImlEEZNS1_24adjacent_difference_implIS3_Lb1ELb0EPxSB_N6thrust23THRUST_200600_302600_NS5minusIxEEEE10hipError_tPvRmT2_T3_mT4_P12ihipStream_tbEUlmE_xEESB_NS0_8identityIvEEEESG_SJ_SK_mSL_SN_bEUlT_E_NS1_11comp_targetILNS1_3genE5ELNS1_11target_archE942ELNS1_3gpuE9ELNS1_3repE0EEENS1_30default_config_static_selectorELNS0_4arch9wavefront6targetE1EEEvT1_
	.globl	_ZN7rocprim17ROCPRIM_400000_NS6detail17trampoline_kernelINS0_14default_configENS1_25transform_config_selectorIxLb0EEEZNS1_14transform_implILb0ES3_S5_NS0_18transform_iteratorINS0_17counting_iteratorImlEEZNS1_24adjacent_difference_implIS3_Lb1ELb0EPxSB_N6thrust23THRUST_200600_302600_NS5minusIxEEEE10hipError_tPvRmT2_T3_mT4_P12ihipStream_tbEUlmE_xEESB_NS0_8identityIvEEEESG_SJ_SK_mSL_SN_bEUlT_E_NS1_11comp_targetILNS1_3genE5ELNS1_11target_archE942ELNS1_3gpuE9ELNS1_3repE0EEENS1_30default_config_static_selectorELNS0_4arch9wavefront6targetE1EEEvT1_
	.p2align	8
	.type	_ZN7rocprim17ROCPRIM_400000_NS6detail17trampoline_kernelINS0_14default_configENS1_25transform_config_selectorIxLb0EEEZNS1_14transform_implILb0ES3_S5_NS0_18transform_iteratorINS0_17counting_iteratorImlEEZNS1_24adjacent_difference_implIS3_Lb1ELb0EPxSB_N6thrust23THRUST_200600_302600_NS5minusIxEEEE10hipError_tPvRmT2_T3_mT4_P12ihipStream_tbEUlmE_xEESB_NS0_8identityIvEEEESG_SJ_SK_mSL_SN_bEUlT_E_NS1_11comp_targetILNS1_3genE5ELNS1_11target_archE942ELNS1_3gpuE9ELNS1_3repE0EEENS1_30default_config_static_selectorELNS0_4arch9wavefront6targetE1EEEvT1_,@function
_ZN7rocprim17ROCPRIM_400000_NS6detail17trampoline_kernelINS0_14default_configENS1_25transform_config_selectorIxLb0EEEZNS1_14transform_implILb0ES3_S5_NS0_18transform_iteratorINS0_17counting_iteratorImlEEZNS1_24adjacent_difference_implIS3_Lb1ELb0EPxSB_N6thrust23THRUST_200600_302600_NS5minusIxEEEE10hipError_tPvRmT2_T3_mT4_P12ihipStream_tbEUlmE_xEESB_NS0_8identityIvEEEESG_SJ_SK_mSL_SN_bEUlT_E_NS1_11comp_targetILNS1_3genE5ELNS1_11target_archE942ELNS1_3gpuE9ELNS1_3repE0EEENS1_30default_config_static_selectorELNS0_4arch9wavefront6targetE1EEEvT1_: ; @_ZN7rocprim17ROCPRIM_400000_NS6detail17trampoline_kernelINS0_14default_configENS1_25transform_config_selectorIxLb0EEEZNS1_14transform_implILb0ES3_S5_NS0_18transform_iteratorINS0_17counting_iteratorImlEEZNS1_24adjacent_difference_implIS3_Lb1ELb0EPxSB_N6thrust23THRUST_200600_302600_NS5minusIxEEEE10hipError_tPvRmT2_T3_mT4_P12ihipStream_tbEUlmE_xEESB_NS0_8identityIvEEEESG_SJ_SK_mSL_SN_bEUlT_E_NS1_11comp_targetILNS1_3genE5ELNS1_11target_archE942ELNS1_3gpuE9ELNS1_3repE0EEENS1_30default_config_static_selectorELNS0_4arch9wavefront6targetE1EEEvT1_
; %bb.0:
	.section	.rodata,"a",@progbits
	.p2align	6, 0x0
	.amdhsa_kernel _ZN7rocprim17ROCPRIM_400000_NS6detail17trampoline_kernelINS0_14default_configENS1_25transform_config_selectorIxLb0EEEZNS1_14transform_implILb0ES3_S5_NS0_18transform_iteratorINS0_17counting_iteratorImlEEZNS1_24adjacent_difference_implIS3_Lb1ELb0EPxSB_N6thrust23THRUST_200600_302600_NS5minusIxEEEE10hipError_tPvRmT2_T3_mT4_P12ihipStream_tbEUlmE_xEESB_NS0_8identityIvEEEESG_SJ_SK_mSL_SN_bEUlT_E_NS1_11comp_targetILNS1_3genE5ELNS1_11target_archE942ELNS1_3gpuE9ELNS1_3repE0EEENS1_30default_config_static_selectorELNS0_4arch9wavefront6targetE1EEEvT1_
		.amdhsa_group_segment_fixed_size 0
		.amdhsa_private_segment_fixed_size 0
		.amdhsa_kernarg_size 56
		.amdhsa_user_sgpr_count 6
		.amdhsa_user_sgpr_private_segment_buffer 1
		.amdhsa_user_sgpr_dispatch_ptr 0
		.amdhsa_user_sgpr_queue_ptr 0
		.amdhsa_user_sgpr_kernarg_segment_ptr 1
		.amdhsa_user_sgpr_dispatch_id 0
		.amdhsa_user_sgpr_flat_scratch_init 0
		.amdhsa_user_sgpr_private_segment_size 0
		.amdhsa_uses_dynamic_stack 0
		.amdhsa_system_sgpr_private_segment_wavefront_offset 0
		.amdhsa_system_sgpr_workgroup_id_x 1
		.amdhsa_system_sgpr_workgroup_id_y 0
		.amdhsa_system_sgpr_workgroup_id_z 0
		.amdhsa_system_sgpr_workgroup_info 0
		.amdhsa_system_vgpr_workitem_id 0
		.amdhsa_next_free_vgpr 1
		.amdhsa_next_free_sgpr 0
		.amdhsa_reserve_vcc 0
		.amdhsa_reserve_flat_scratch 0
		.amdhsa_float_round_mode_32 0
		.amdhsa_float_round_mode_16_64 0
		.amdhsa_float_denorm_mode_32 3
		.amdhsa_float_denorm_mode_16_64 3
		.amdhsa_dx10_clamp 1
		.amdhsa_ieee_mode 1
		.amdhsa_fp16_overflow 0
		.amdhsa_exception_fp_ieee_invalid_op 0
		.amdhsa_exception_fp_denorm_src 0
		.amdhsa_exception_fp_ieee_div_zero 0
		.amdhsa_exception_fp_ieee_overflow 0
		.amdhsa_exception_fp_ieee_underflow 0
		.amdhsa_exception_fp_ieee_inexact 0
		.amdhsa_exception_int_div_zero 0
	.end_amdhsa_kernel
	.section	.text._ZN7rocprim17ROCPRIM_400000_NS6detail17trampoline_kernelINS0_14default_configENS1_25transform_config_selectorIxLb0EEEZNS1_14transform_implILb0ES3_S5_NS0_18transform_iteratorINS0_17counting_iteratorImlEEZNS1_24adjacent_difference_implIS3_Lb1ELb0EPxSB_N6thrust23THRUST_200600_302600_NS5minusIxEEEE10hipError_tPvRmT2_T3_mT4_P12ihipStream_tbEUlmE_xEESB_NS0_8identityIvEEEESG_SJ_SK_mSL_SN_bEUlT_E_NS1_11comp_targetILNS1_3genE5ELNS1_11target_archE942ELNS1_3gpuE9ELNS1_3repE0EEENS1_30default_config_static_selectorELNS0_4arch9wavefront6targetE1EEEvT1_,"axG",@progbits,_ZN7rocprim17ROCPRIM_400000_NS6detail17trampoline_kernelINS0_14default_configENS1_25transform_config_selectorIxLb0EEEZNS1_14transform_implILb0ES3_S5_NS0_18transform_iteratorINS0_17counting_iteratorImlEEZNS1_24adjacent_difference_implIS3_Lb1ELb0EPxSB_N6thrust23THRUST_200600_302600_NS5minusIxEEEE10hipError_tPvRmT2_T3_mT4_P12ihipStream_tbEUlmE_xEESB_NS0_8identityIvEEEESG_SJ_SK_mSL_SN_bEUlT_E_NS1_11comp_targetILNS1_3genE5ELNS1_11target_archE942ELNS1_3gpuE9ELNS1_3repE0EEENS1_30default_config_static_selectorELNS0_4arch9wavefront6targetE1EEEvT1_,comdat
.Lfunc_end266:
	.size	_ZN7rocprim17ROCPRIM_400000_NS6detail17trampoline_kernelINS0_14default_configENS1_25transform_config_selectorIxLb0EEEZNS1_14transform_implILb0ES3_S5_NS0_18transform_iteratorINS0_17counting_iteratorImlEEZNS1_24adjacent_difference_implIS3_Lb1ELb0EPxSB_N6thrust23THRUST_200600_302600_NS5minusIxEEEE10hipError_tPvRmT2_T3_mT4_P12ihipStream_tbEUlmE_xEESB_NS0_8identityIvEEEESG_SJ_SK_mSL_SN_bEUlT_E_NS1_11comp_targetILNS1_3genE5ELNS1_11target_archE942ELNS1_3gpuE9ELNS1_3repE0EEENS1_30default_config_static_selectorELNS0_4arch9wavefront6targetE1EEEvT1_, .Lfunc_end266-_ZN7rocprim17ROCPRIM_400000_NS6detail17trampoline_kernelINS0_14default_configENS1_25transform_config_selectorIxLb0EEEZNS1_14transform_implILb0ES3_S5_NS0_18transform_iteratorINS0_17counting_iteratorImlEEZNS1_24adjacent_difference_implIS3_Lb1ELb0EPxSB_N6thrust23THRUST_200600_302600_NS5minusIxEEEE10hipError_tPvRmT2_T3_mT4_P12ihipStream_tbEUlmE_xEESB_NS0_8identityIvEEEESG_SJ_SK_mSL_SN_bEUlT_E_NS1_11comp_targetILNS1_3genE5ELNS1_11target_archE942ELNS1_3gpuE9ELNS1_3repE0EEENS1_30default_config_static_selectorELNS0_4arch9wavefront6targetE1EEEvT1_
                                        ; -- End function
	.set _ZN7rocprim17ROCPRIM_400000_NS6detail17trampoline_kernelINS0_14default_configENS1_25transform_config_selectorIxLb0EEEZNS1_14transform_implILb0ES3_S5_NS0_18transform_iteratorINS0_17counting_iteratorImlEEZNS1_24adjacent_difference_implIS3_Lb1ELb0EPxSB_N6thrust23THRUST_200600_302600_NS5minusIxEEEE10hipError_tPvRmT2_T3_mT4_P12ihipStream_tbEUlmE_xEESB_NS0_8identityIvEEEESG_SJ_SK_mSL_SN_bEUlT_E_NS1_11comp_targetILNS1_3genE5ELNS1_11target_archE942ELNS1_3gpuE9ELNS1_3repE0EEENS1_30default_config_static_selectorELNS0_4arch9wavefront6targetE1EEEvT1_.num_vgpr, 0
	.set _ZN7rocprim17ROCPRIM_400000_NS6detail17trampoline_kernelINS0_14default_configENS1_25transform_config_selectorIxLb0EEEZNS1_14transform_implILb0ES3_S5_NS0_18transform_iteratorINS0_17counting_iteratorImlEEZNS1_24adjacent_difference_implIS3_Lb1ELb0EPxSB_N6thrust23THRUST_200600_302600_NS5minusIxEEEE10hipError_tPvRmT2_T3_mT4_P12ihipStream_tbEUlmE_xEESB_NS0_8identityIvEEEESG_SJ_SK_mSL_SN_bEUlT_E_NS1_11comp_targetILNS1_3genE5ELNS1_11target_archE942ELNS1_3gpuE9ELNS1_3repE0EEENS1_30default_config_static_selectorELNS0_4arch9wavefront6targetE1EEEvT1_.num_agpr, 0
	.set _ZN7rocprim17ROCPRIM_400000_NS6detail17trampoline_kernelINS0_14default_configENS1_25transform_config_selectorIxLb0EEEZNS1_14transform_implILb0ES3_S5_NS0_18transform_iteratorINS0_17counting_iteratorImlEEZNS1_24adjacent_difference_implIS3_Lb1ELb0EPxSB_N6thrust23THRUST_200600_302600_NS5minusIxEEEE10hipError_tPvRmT2_T3_mT4_P12ihipStream_tbEUlmE_xEESB_NS0_8identityIvEEEESG_SJ_SK_mSL_SN_bEUlT_E_NS1_11comp_targetILNS1_3genE5ELNS1_11target_archE942ELNS1_3gpuE9ELNS1_3repE0EEENS1_30default_config_static_selectorELNS0_4arch9wavefront6targetE1EEEvT1_.numbered_sgpr, 0
	.set _ZN7rocprim17ROCPRIM_400000_NS6detail17trampoline_kernelINS0_14default_configENS1_25transform_config_selectorIxLb0EEEZNS1_14transform_implILb0ES3_S5_NS0_18transform_iteratorINS0_17counting_iteratorImlEEZNS1_24adjacent_difference_implIS3_Lb1ELb0EPxSB_N6thrust23THRUST_200600_302600_NS5minusIxEEEE10hipError_tPvRmT2_T3_mT4_P12ihipStream_tbEUlmE_xEESB_NS0_8identityIvEEEESG_SJ_SK_mSL_SN_bEUlT_E_NS1_11comp_targetILNS1_3genE5ELNS1_11target_archE942ELNS1_3gpuE9ELNS1_3repE0EEENS1_30default_config_static_selectorELNS0_4arch9wavefront6targetE1EEEvT1_.num_named_barrier, 0
	.set _ZN7rocprim17ROCPRIM_400000_NS6detail17trampoline_kernelINS0_14default_configENS1_25transform_config_selectorIxLb0EEEZNS1_14transform_implILb0ES3_S5_NS0_18transform_iteratorINS0_17counting_iteratorImlEEZNS1_24adjacent_difference_implIS3_Lb1ELb0EPxSB_N6thrust23THRUST_200600_302600_NS5minusIxEEEE10hipError_tPvRmT2_T3_mT4_P12ihipStream_tbEUlmE_xEESB_NS0_8identityIvEEEESG_SJ_SK_mSL_SN_bEUlT_E_NS1_11comp_targetILNS1_3genE5ELNS1_11target_archE942ELNS1_3gpuE9ELNS1_3repE0EEENS1_30default_config_static_selectorELNS0_4arch9wavefront6targetE1EEEvT1_.private_seg_size, 0
	.set _ZN7rocprim17ROCPRIM_400000_NS6detail17trampoline_kernelINS0_14default_configENS1_25transform_config_selectorIxLb0EEEZNS1_14transform_implILb0ES3_S5_NS0_18transform_iteratorINS0_17counting_iteratorImlEEZNS1_24adjacent_difference_implIS3_Lb1ELb0EPxSB_N6thrust23THRUST_200600_302600_NS5minusIxEEEE10hipError_tPvRmT2_T3_mT4_P12ihipStream_tbEUlmE_xEESB_NS0_8identityIvEEEESG_SJ_SK_mSL_SN_bEUlT_E_NS1_11comp_targetILNS1_3genE5ELNS1_11target_archE942ELNS1_3gpuE9ELNS1_3repE0EEENS1_30default_config_static_selectorELNS0_4arch9wavefront6targetE1EEEvT1_.uses_vcc, 0
	.set _ZN7rocprim17ROCPRIM_400000_NS6detail17trampoline_kernelINS0_14default_configENS1_25transform_config_selectorIxLb0EEEZNS1_14transform_implILb0ES3_S5_NS0_18transform_iteratorINS0_17counting_iteratorImlEEZNS1_24adjacent_difference_implIS3_Lb1ELb0EPxSB_N6thrust23THRUST_200600_302600_NS5minusIxEEEE10hipError_tPvRmT2_T3_mT4_P12ihipStream_tbEUlmE_xEESB_NS0_8identityIvEEEESG_SJ_SK_mSL_SN_bEUlT_E_NS1_11comp_targetILNS1_3genE5ELNS1_11target_archE942ELNS1_3gpuE9ELNS1_3repE0EEENS1_30default_config_static_selectorELNS0_4arch9wavefront6targetE1EEEvT1_.uses_flat_scratch, 0
	.set _ZN7rocprim17ROCPRIM_400000_NS6detail17trampoline_kernelINS0_14default_configENS1_25transform_config_selectorIxLb0EEEZNS1_14transform_implILb0ES3_S5_NS0_18transform_iteratorINS0_17counting_iteratorImlEEZNS1_24adjacent_difference_implIS3_Lb1ELb0EPxSB_N6thrust23THRUST_200600_302600_NS5minusIxEEEE10hipError_tPvRmT2_T3_mT4_P12ihipStream_tbEUlmE_xEESB_NS0_8identityIvEEEESG_SJ_SK_mSL_SN_bEUlT_E_NS1_11comp_targetILNS1_3genE5ELNS1_11target_archE942ELNS1_3gpuE9ELNS1_3repE0EEENS1_30default_config_static_selectorELNS0_4arch9wavefront6targetE1EEEvT1_.has_dyn_sized_stack, 0
	.set _ZN7rocprim17ROCPRIM_400000_NS6detail17trampoline_kernelINS0_14default_configENS1_25transform_config_selectorIxLb0EEEZNS1_14transform_implILb0ES3_S5_NS0_18transform_iteratorINS0_17counting_iteratorImlEEZNS1_24adjacent_difference_implIS3_Lb1ELb0EPxSB_N6thrust23THRUST_200600_302600_NS5minusIxEEEE10hipError_tPvRmT2_T3_mT4_P12ihipStream_tbEUlmE_xEESB_NS0_8identityIvEEEESG_SJ_SK_mSL_SN_bEUlT_E_NS1_11comp_targetILNS1_3genE5ELNS1_11target_archE942ELNS1_3gpuE9ELNS1_3repE0EEENS1_30default_config_static_selectorELNS0_4arch9wavefront6targetE1EEEvT1_.has_recursion, 0
	.set _ZN7rocprim17ROCPRIM_400000_NS6detail17trampoline_kernelINS0_14default_configENS1_25transform_config_selectorIxLb0EEEZNS1_14transform_implILb0ES3_S5_NS0_18transform_iteratorINS0_17counting_iteratorImlEEZNS1_24adjacent_difference_implIS3_Lb1ELb0EPxSB_N6thrust23THRUST_200600_302600_NS5minusIxEEEE10hipError_tPvRmT2_T3_mT4_P12ihipStream_tbEUlmE_xEESB_NS0_8identityIvEEEESG_SJ_SK_mSL_SN_bEUlT_E_NS1_11comp_targetILNS1_3genE5ELNS1_11target_archE942ELNS1_3gpuE9ELNS1_3repE0EEENS1_30default_config_static_selectorELNS0_4arch9wavefront6targetE1EEEvT1_.has_indirect_call, 0
	.section	.AMDGPU.csdata,"",@progbits
; Kernel info:
; codeLenInByte = 0
; TotalNumSgprs: 4
; NumVgprs: 0
; ScratchSize: 0
; MemoryBound: 0
; FloatMode: 240
; IeeeMode: 1
; LDSByteSize: 0 bytes/workgroup (compile time only)
; SGPRBlocks: 0
; VGPRBlocks: 0
; NumSGPRsForWavesPerEU: 4
; NumVGPRsForWavesPerEU: 1
; Occupancy: 10
; WaveLimiterHint : 0
; COMPUTE_PGM_RSRC2:SCRATCH_EN: 0
; COMPUTE_PGM_RSRC2:USER_SGPR: 6
; COMPUTE_PGM_RSRC2:TRAP_HANDLER: 0
; COMPUTE_PGM_RSRC2:TGID_X_EN: 1
; COMPUTE_PGM_RSRC2:TGID_Y_EN: 0
; COMPUTE_PGM_RSRC2:TGID_Z_EN: 0
; COMPUTE_PGM_RSRC2:TIDIG_COMP_CNT: 0
	.section	.text._ZN7rocprim17ROCPRIM_400000_NS6detail17trampoline_kernelINS0_14default_configENS1_25transform_config_selectorIxLb0EEEZNS1_14transform_implILb0ES3_S5_NS0_18transform_iteratorINS0_17counting_iteratorImlEEZNS1_24adjacent_difference_implIS3_Lb1ELb0EPxSB_N6thrust23THRUST_200600_302600_NS5minusIxEEEE10hipError_tPvRmT2_T3_mT4_P12ihipStream_tbEUlmE_xEESB_NS0_8identityIvEEEESG_SJ_SK_mSL_SN_bEUlT_E_NS1_11comp_targetILNS1_3genE4ELNS1_11target_archE910ELNS1_3gpuE8ELNS1_3repE0EEENS1_30default_config_static_selectorELNS0_4arch9wavefront6targetE1EEEvT1_,"axG",@progbits,_ZN7rocprim17ROCPRIM_400000_NS6detail17trampoline_kernelINS0_14default_configENS1_25transform_config_selectorIxLb0EEEZNS1_14transform_implILb0ES3_S5_NS0_18transform_iteratorINS0_17counting_iteratorImlEEZNS1_24adjacent_difference_implIS3_Lb1ELb0EPxSB_N6thrust23THRUST_200600_302600_NS5minusIxEEEE10hipError_tPvRmT2_T3_mT4_P12ihipStream_tbEUlmE_xEESB_NS0_8identityIvEEEESG_SJ_SK_mSL_SN_bEUlT_E_NS1_11comp_targetILNS1_3genE4ELNS1_11target_archE910ELNS1_3gpuE8ELNS1_3repE0EEENS1_30default_config_static_selectorELNS0_4arch9wavefront6targetE1EEEvT1_,comdat
	.protected	_ZN7rocprim17ROCPRIM_400000_NS6detail17trampoline_kernelINS0_14default_configENS1_25transform_config_selectorIxLb0EEEZNS1_14transform_implILb0ES3_S5_NS0_18transform_iteratorINS0_17counting_iteratorImlEEZNS1_24adjacent_difference_implIS3_Lb1ELb0EPxSB_N6thrust23THRUST_200600_302600_NS5minusIxEEEE10hipError_tPvRmT2_T3_mT4_P12ihipStream_tbEUlmE_xEESB_NS0_8identityIvEEEESG_SJ_SK_mSL_SN_bEUlT_E_NS1_11comp_targetILNS1_3genE4ELNS1_11target_archE910ELNS1_3gpuE8ELNS1_3repE0EEENS1_30default_config_static_selectorELNS0_4arch9wavefront6targetE1EEEvT1_ ; -- Begin function _ZN7rocprim17ROCPRIM_400000_NS6detail17trampoline_kernelINS0_14default_configENS1_25transform_config_selectorIxLb0EEEZNS1_14transform_implILb0ES3_S5_NS0_18transform_iteratorINS0_17counting_iteratorImlEEZNS1_24adjacent_difference_implIS3_Lb1ELb0EPxSB_N6thrust23THRUST_200600_302600_NS5minusIxEEEE10hipError_tPvRmT2_T3_mT4_P12ihipStream_tbEUlmE_xEESB_NS0_8identityIvEEEESG_SJ_SK_mSL_SN_bEUlT_E_NS1_11comp_targetILNS1_3genE4ELNS1_11target_archE910ELNS1_3gpuE8ELNS1_3repE0EEENS1_30default_config_static_selectorELNS0_4arch9wavefront6targetE1EEEvT1_
	.globl	_ZN7rocprim17ROCPRIM_400000_NS6detail17trampoline_kernelINS0_14default_configENS1_25transform_config_selectorIxLb0EEEZNS1_14transform_implILb0ES3_S5_NS0_18transform_iteratorINS0_17counting_iteratorImlEEZNS1_24adjacent_difference_implIS3_Lb1ELb0EPxSB_N6thrust23THRUST_200600_302600_NS5minusIxEEEE10hipError_tPvRmT2_T3_mT4_P12ihipStream_tbEUlmE_xEESB_NS0_8identityIvEEEESG_SJ_SK_mSL_SN_bEUlT_E_NS1_11comp_targetILNS1_3genE4ELNS1_11target_archE910ELNS1_3gpuE8ELNS1_3repE0EEENS1_30default_config_static_selectorELNS0_4arch9wavefront6targetE1EEEvT1_
	.p2align	8
	.type	_ZN7rocprim17ROCPRIM_400000_NS6detail17trampoline_kernelINS0_14default_configENS1_25transform_config_selectorIxLb0EEEZNS1_14transform_implILb0ES3_S5_NS0_18transform_iteratorINS0_17counting_iteratorImlEEZNS1_24adjacent_difference_implIS3_Lb1ELb0EPxSB_N6thrust23THRUST_200600_302600_NS5minusIxEEEE10hipError_tPvRmT2_T3_mT4_P12ihipStream_tbEUlmE_xEESB_NS0_8identityIvEEEESG_SJ_SK_mSL_SN_bEUlT_E_NS1_11comp_targetILNS1_3genE4ELNS1_11target_archE910ELNS1_3gpuE8ELNS1_3repE0EEENS1_30default_config_static_selectorELNS0_4arch9wavefront6targetE1EEEvT1_,@function
_ZN7rocprim17ROCPRIM_400000_NS6detail17trampoline_kernelINS0_14default_configENS1_25transform_config_selectorIxLb0EEEZNS1_14transform_implILb0ES3_S5_NS0_18transform_iteratorINS0_17counting_iteratorImlEEZNS1_24adjacent_difference_implIS3_Lb1ELb0EPxSB_N6thrust23THRUST_200600_302600_NS5minusIxEEEE10hipError_tPvRmT2_T3_mT4_P12ihipStream_tbEUlmE_xEESB_NS0_8identityIvEEEESG_SJ_SK_mSL_SN_bEUlT_E_NS1_11comp_targetILNS1_3genE4ELNS1_11target_archE910ELNS1_3gpuE8ELNS1_3repE0EEENS1_30default_config_static_selectorELNS0_4arch9wavefront6targetE1EEEvT1_: ; @_ZN7rocprim17ROCPRIM_400000_NS6detail17trampoline_kernelINS0_14default_configENS1_25transform_config_selectorIxLb0EEEZNS1_14transform_implILb0ES3_S5_NS0_18transform_iteratorINS0_17counting_iteratorImlEEZNS1_24adjacent_difference_implIS3_Lb1ELb0EPxSB_N6thrust23THRUST_200600_302600_NS5minusIxEEEE10hipError_tPvRmT2_T3_mT4_P12ihipStream_tbEUlmE_xEESB_NS0_8identityIvEEEESG_SJ_SK_mSL_SN_bEUlT_E_NS1_11comp_targetILNS1_3genE4ELNS1_11target_archE910ELNS1_3gpuE8ELNS1_3repE0EEENS1_30default_config_static_selectorELNS0_4arch9wavefront6targetE1EEEvT1_
; %bb.0:
	.section	.rodata,"a",@progbits
	.p2align	6, 0x0
	.amdhsa_kernel _ZN7rocprim17ROCPRIM_400000_NS6detail17trampoline_kernelINS0_14default_configENS1_25transform_config_selectorIxLb0EEEZNS1_14transform_implILb0ES3_S5_NS0_18transform_iteratorINS0_17counting_iteratorImlEEZNS1_24adjacent_difference_implIS3_Lb1ELb0EPxSB_N6thrust23THRUST_200600_302600_NS5minusIxEEEE10hipError_tPvRmT2_T3_mT4_P12ihipStream_tbEUlmE_xEESB_NS0_8identityIvEEEESG_SJ_SK_mSL_SN_bEUlT_E_NS1_11comp_targetILNS1_3genE4ELNS1_11target_archE910ELNS1_3gpuE8ELNS1_3repE0EEENS1_30default_config_static_selectorELNS0_4arch9wavefront6targetE1EEEvT1_
		.amdhsa_group_segment_fixed_size 0
		.amdhsa_private_segment_fixed_size 0
		.amdhsa_kernarg_size 56
		.amdhsa_user_sgpr_count 6
		.amdhsa_user_sgpr_private_segment_buffer 1
		.amdhsa_user_sgpr_dispatch_ptr 0
		.amdhsa_user_sgpr_queue_ptr 0
		.amdhsa_user_sgpr_kernarg_segment_ptr 1
		.amdhsa_user_sgpr_dispatch_id 0
		.amdhsa_user_sgpr_flat_scratch_init 0
		.amdhsa_user_sgpr_private_segment_size 0
		.amdhsa_uses_dynamic_stack 0
		.amdhsa_system_sgpr_private_segment_wavefront_offset 0
		.amdhsa_system_sgpr_workgroup_id_x 1
		.amdhsa_system_sgpr_workgroup_id_y 0
		.amdhsa_system_sgpr_workgroup_id_z 0
		.amdhsa_system_sgpr_workgroup_info 0
		.amdhsa_system_vgpr_workitem_id 0
		.amdhsa_next_free_vgpr 1
		.amdhsa_next_free_sgpr 0
		.amdhsa_reserve_vcc 0
		.amdhsa_reserve_flat_scratch 0
		.amdhsa_float_round_mode_32 0
		.amdhsa_float_round_mode_16_64 0
		.amdhsa_float_denorm_mode_32 3
		.amdhsa_float_denorm_mode_16_64 3
		.amdhsa_dx10_clamp 1
		.amdhsa_ieee_mode 1
		.amdhsa_fp16_overflow 0
		.amdhsa_exception_fp_ieee_invalid_op 0
		.amdhsa_exception_fp_denorm_src 0
		.amdhsa_exception_fp_ieee_div_zero 0
		.amdhsa_exception_fp_ieee_overflow 0
		.amdhsa_exception_fp_ieee_underflow 0
		.amdhsa_exception_fp_ieee_inexact 0
		.amdhsa_exception_int_div_zero 0
	.end_amdhsa_kernel
	.section	.text._ZN7rocprim17ROCPRIM_400000_NS6detail17trampoline_kernelINS0_14default_configENS1_25transform_config_selectorIxLb0EEEZNS1_14transform_implILb0ES3_S5_NS0_18transform_iteratorINS0_17counting_iteratorImlEEZNS1_24adjacent_difference_implIS3_Lb1ELb0EPxSB_N6thrust23THRUST_200600_302600_NS5minusIxEEEE10hipError_tPvRmT2_T3_mT4_P12ihipStream_tbEUlmE_xEESB_NS0_8identityIvEEEESG_SJ_SK_mSL_SN_bEUlT_E_NS1_11comp_targetILNS1_3genE4ELNS1_11target_archE910ELNS1_3gpuE8ELNS1_3repE0EEENS1_30default_config_static_selectorELNS0_4arch9wavefront6targetE1EEEvT1_,"axG",@progbits,_ZN7rocprim17ROCPRIM_400000_NS6detail17trampoline_kernelINS0_14default_configENS1_25transform_config_selectorIxLb0EEEZNS1_14transform_implILb0ES3_S5_NS0_18transform_iteratorINS0_17counting_iteratorImlEEZNS1_24adjacent_difference_implIS3_Lb1ELb0EPxSB_N6thrust23THRUST_200600_302600_NS5minusIxEEEE10hipError_tPvRmT2_T3_mT4_P12ihipStream_tbEUlmE_xEESB_NS0_8identityIvEEEESG_SJ_SK_mSL_SN_bEUlT_E_NS1_11comp_targetILNS1_3genE4ELNS1_11target_archE910ELNS1_3gpuE8ELNS1_3repE0EEENS1_30default_config_static_selectorELNS0_4arch9wavefront6targetE1EEEvT1_,comdat
.Lfunc_end267:
	.size	_ZN7rocprim17ROCPRIM_400000_NS6detail17trampoline_kernelINS0_14default_configENS1_25transform_config_selectorIxLb0EEEZNS1_14transform_implILb0ES3_S5_NS0_18transform_iteratorINS0_17counting_iteratorImlEEZNS1_24adjacent_difference_implIS3_Lb1ELb0EPxSB_N6thrust23THRUST_200600_302600_NS5minusIxEEEE10hipError_tPvRmT2_T3_mT4_P12ihipStream_tbEUlmE_xEESB_NS0_8identityIvEEEESG_SJ_SK_mSL_SN_bEUlT_E_NS1_11comp_targetILNS1_3genE4ELNS1_11target_archE910ELNS1_3gpuE8ELNS1_3repE0EEENS1_30default_config_static_selectorELNS0_4arch9wavefront6targetE1EEEvT1_, .Lfunc_end267-_ZN7rocprim17ROCPRIM_400000_NS6detail17trampoline_kernelINS0_14default_configENS1_25transform_config_selectorIxLb0EEEZNS1_14transform_implILb0ES3_S5_NS0_18transform_iteratorINS0_17counting_iteratorImlEEZNS1_24adjacent_difference_implIS3_Lb1ELb0EPxSB_N6thrust23THRUST_200600_302600_NS5minusIxEEEE10hipError_tPvRmT2_T3_mT4_P12ihipStream_tbEUlmE_xEESB_NS0_8identityIvEEEESG_SJ_SK_mSL_SN_bEUlT_E_NS1_11comp_targetILNS1_3genE4ELNS1_11target_archE910ELNS1_3gpuE8ELNS1_3repE0EEENS1_30default_config_static_selectorELNS0_4arch9wavefront6targetE1EEEvT1_
                                        ; -- End function
	.set _ZN7rocprim17ROCPRIM_400000_NS6detail17trampoline_kernelINS0_14default_configENS1_25transform_config_selectorIxLb0EEEZNS1_14transform_implILb0ES3_S5_NS0_18transform_iteratorINS0_17counting_iteratorImlEEZNS1_24adjacent_difference_implIS3_Lb1ELb0EPxSB_N6thrust23THRUST_200600_302600_NS5minusIxEEEE10hipError_tPvRmT2_T3_mT4_P12ihipStream_tbEUlmE_xEESB_NS0_8identityIvEEEESG_SJ_SK_mSL_SN_bEUlT_E_NS1_11comp_targetILNS1_3genE4ELNS1_11target_archE910ELNS1_3gpuE8ELNS1_3repE0EEENS1_30default_config_static_selectorELNS0_4arch9wavefront6targetE1EEEvT1_.num_vgpr, 0
	.set _ZN7rocprim17ROCPRIM_400000_NS6detail17trampoline_kernelINS0_14default_configENS1_25transform_config_selectorIxLb0EEEZNS1_14transform_implILb0ES3_S5_NS0_18transform_iteratorINS0_17counting_iteratorImlEEZNS1_24adjacent_difference_implIS3_Lb1ELb0EPxSB_N6thrust23THRUST_200600_302600_NS5minusIxEEEE10hipError_tPvRmT2_T3_mT4_P12ihipStream_tbEUlmE_xEESB_NS0_8identityIvEEEESG_SJ_SK_mSL_SN_bEUlT_E_NS1_11comp_targetILNS1_3genE4ELNS1_11target_archE910ELNS1_3gpuE8ELNS1_3repE0EEENS1_30default_config_static_selectorELNS0_4arch9wavefront6targetE1EEEvT1_.num_agpr, 0
	.set _ZN7rocprim17ROCPRIM_400000_NS6detail17trampoline_kernelINS0_14default_configENS1_25transform_config_selectorIxLb0EEEZNS1_14transform_implILb0ES3_S5_NS0_18transform_iteratorINS0_17counting_iteratorImlEEZNS1_24adjacent_difference_implIS3_Lb1ELb0EPxSB_N6thrust23THRUST_200600_302600_NS5minusIxEEEE10hipError_tPvRmT2_T3_mT4_P12ihipStream_tbEUlmE_xEESB_NS0_8identityIvEEEESG_SJ_SK_mSL_SN_bEUlT_E_NS1_11comp_targetILNS1_3genE4ELNS1_11target_archE910ELNS1_3gpuE8ELNS1_3repE0EEENS1_30default_config_static_selectorELNS0_4arch9wavefront6targetE1EEEvT1_.numbered_sgpr, 0
	.set _ZN7rocprim17ROCPRIM_400000_NS6detail17trampoline_kernelINS0_14default_configENS1_25transform_config_selectorIxLb0EEEZNS1_14transform_implILb0ES3_S5_NS0_18transform_iteratorINS0_17counting_iteratorImlEEZNS1_24adjacent_difference_implIS3_Lb1ELb0EPxSB_N6thrust23THRUST_200600_302600_NS5minusIxEEEE10hipError_tPvRmT2_T3_mT4_P12ihipStream_tbEUlmE_xEESB_NS0_8identityIvEEEESG_SJ_SK_mSL_SN_bEUlT_E_NS1_11comp_targetILNS1_3genE4ELNS1_11target_archE910ELNS1_3gpuE8ELNS1_3repE0EEENS1_30default_config_static_selectorELNS0_4arch9wavefront6targetE1EEEvT1_.num_named_barrier, 0
	.set _ZN7rocprim17ROCPRIM_400000_NS6detail17trampoline_kernelINS0_14default_configENS1_25transform_config_selectorIxLb0EEEZNS1_14transform_implILb0ES3_S5_NS0_18transform_iteratorINS0_17counting_iteratorImlEEZNS1_24adjacent_difference_implIS3_Lb1ELb0EPxSB_N6thrust23THRUST_200600_302600_NS5minusIxEEEE10hipError_tPvRmT2_T3_mT4_P12ihipStream_tbEUlmE_xEESB_NS0_8identityIvEEEESG_SJ_SK_mSL_SN_bEUlT_E_NS1_11comp_targetILNS1_3genE4ELNS1_11target_archE910ELNS1_3gpuE8ELNS1_3repE0EEENS1_30default_config_static_selectorELNS0_4arch9wavefront6targetE1EEEvT1_.private_seg_size, 0
	.set _ZN7rocprim17ROCPRIM_400000_NS6detail17trampoline_kernelINS0_14default_configENS1_25transform_config_selectorIxLb0EEEZNS1_14transform_implILb0ES3_S5_NS0_18transform_iteratorINS0_17counting_iteratorImlEEZNS1_24adjacent_difference_implIS3_Lb1ELb0EPxSB_N6thrust23THRUST_200600_302600_NS5minusIxEEEE10hipError_tPvRmT2_T3_mT4_P12ihipStream_tbEUlmE_xEESB_NS0_8identityIvEEEESG_SJ_SK_mSL_SN_bEUlT_E_NS1_11comp_targetILNS1_3genE4ELNS1_11target_archE910ELNS1_3gpuE8ELNS1_3repE0EEENS1_30default_config_static_selectorELNS0_4arch9wavefront6targetE1EEEvT1_.uses_vcc, 0
	.set _ZN7rocprim17ROCPRIM_400000_NS6detail17trampoline_kernelINS0_14default_configENS1_25transform_config_selectorIxLb0EEEZNS1_14transform_implILb0ES3_S5_NS0_18transform_iteratorINS0_17counting_iteratorImlEEZNS1_24adjacent_difference_implIS3_Lb1ELb0EPxSB_N6thrust23THRUST_200600_302600_NS5minusIxEEEE10hipError_tPvRmT2_T3_mT4_P12ihipStream_tbEUlmE_xEESB_NS0_8identityIvEEEESG_SJ_SK_mSL_SN_bEUlT_E_NS1_11comp_targetILNS1_3genE4ELNS1_11target_archE910ELNS1_3gpuE8ELNS1_3repE0EEENS1_30default_config_static_selectorELNS0_4arch9wavefront6targetE1EEEvT1_.uses_flat_scratch, 0
	.set _ZN7rocprim17ROCPRIM_400000_NS6detail17trampoline_kernelINS0_14default_configENS1_25transform_config_selectorIxLb0EEEZNS1_14transform_implILb0ES3_S5_NS0_18transform_iteratorINS0_17counting_iteratorImlEEZNS1_24adjacent_difference_implIS3_Lb1ELb0EPxSB_N6thrust23THRUST_200600_302600_NS5minusIxEEEE10hipError_tPvRmT2_T3_mT4_P12ihipStream_tbEUlmE_xEESB_NS0_8identityIvEEEESG_SJ_SK_mSL_SN_bEUlT_E_NS1_11comp_targetILNS1_3genE4ELNS1_11target_archE910ELNS1_3gpuE8ELNS1_3repE0EEENS1_30default_config_static_selectorELNS0_4arch9wavefront6targetE1EEEvT1_.has_dyn_sized_stack, 0
	.set _ZN7rocprim17ROCPRIM_400000_NS6detail17trampoline_kernelINS0_14default_configENS1_25transform_config_selectorIxLb0EEEZNS1_14transform_implILb0ES3_S5_NS0_18transform_iteratorINS0_17counting_iteratorImlEEZNS1_24adjacent_difference_implIS3_Lb1ELb0EPxSB_N6thrust23THRUST_200600_302600_NS5minusIxEEEE10hipError_tPvRmT2_T3_mT4_P12ihipStream_tbEUlmE_xEESB_NS0_8identityIvEEEESG_SJ_SK_mSL_SN_bEUlT_E_NS1_11comp_targetILNS1_3genE4ELNS1_11target_archE910ELNS1_3gpuE8ELNS1_3repE0EEENS1_30default_config_static_selectorELNS0_4arch9wavefront6targetE1EEEvT1_.has_recursion, 0
	.set _ZN7rocprim17ROCPRIM_400000_NS6detail17trampoline_kernelINS0_14default_configENS1_25transform_config_selectorIxLb0EEEZNS1_14transform_implILb0ES3_S5_NS0_18transform_iteratorINS0_17counting_iteratorImlEEZNS1_24adjacent_difference_implIS3_Lb1ELb0EPxSB_N6thrust23THRUST_200600_302600_NS5minusIxEEEE10hipError_tPvRmT2_T3_mT4_P12ihipStream_tbEUlmE_xEESB_NS0_8identityIvEEEESG_SJ_SK_mSL_SN_bEUlT_E_NS1_11comp_targetILNS1_3genE4ELNS1_11target_archE910ELNS1_3gpuE8ELNS1_3repE0EEENS1_30default_config_static_selectorELNS0_4arch9wavefront6targetE1EEEvT1_.has_indirect_call, 0
	.section	.AMDGPU.csdata,"",@progbits
; Kernel info:
; codeLenInByte = 0
; TotalNumSgprs: 4
; NumVgprs: 0
; ScratchSize: 0
; MemoryBound: 0
; FloatMode: 240
; IeeeMode: 1
; LDSByteSize: 0 bytes/workgroup (compile time only)
; SGPRBlocks: 0
; VGPRBlocks: 0
; NumSGPRsForWavesPerEU: 4
; NumVGPRsForWavesPerEU: 1
; Occupancy: 10
; WaveLimiterHint : 0
; COMPUTE_PGM_RSRC2:SCRATCH_EN: 0
; COMPUTE_PGM_RSRC2:USER_SGPR: 6
; COMPUTE_PGM_RSRC2:TRAP_HANDLER: 0
; COMPUTE_PGM_RSRC2:TGID_X_EN: 1
; COMPUTE_PGM_RSRC2:TGID_Y_EN: 0
; COMPUTE_PGM_RSRC2:TGID_Z_EN: 0
; COMPUTE_PGM_RSRC2:TIDIG_COMP_CNT: 0
	.section	.text._ZN7rocprim17ROCPRIM_400000_NS6detail17trampoline_kernelINS0_14default_configENS1_25transform_config_selectorIxLb0EEEZNS1_14transform_implILb0ES3_S5_NS0_18transform_iteratorINS0_17counting_iteratorImlEEZNS1_24adjacent_difference_implIS3_Lb1ELb0EPxSB_N6thrust23THRUST_200600_302600_NS5minusIxEEEE10hipError_tPvRmT2_T3_mT4_P12ihipStream_tbEUlmE_xEESB_NS0_8identityIvEEEESG_SJ_SK_mSL_SN_bEUlT_E_NS1_11comp_targetILNS1_3genE3ELNS1_11target_archE908ELNS1_3gpuE7ELNS1_3repE0EEENS1_30default_config_static_selectorELNS0_4arch9wavefront6targetE1EEEvT1_,"axG",@progbits,_ZN7rocprim17ROCPRIM_400000_NS6detail17trampoline_kernelINS0_14default_configENS1_25transform_config_selectorIxLb0EEEZNS1_14transform_implILb0ES3_S5_NS0_18transform_iteratorINS0_17counting_iteratorImlEEZNS1_24adjacent_difference_implIS3_Lb1ELb0EPxSB_N6thrust23THRUST_200600_302600_NS5minusIxEEEE10hipError_tPvRmT2_T3_mT4_P12ihipStream_tbEUlmE_xEESB_NS0_8identityIvEEEESG_SJ_SK_mSL_SN_bEUlT_E_NS1_11comp_targetILNS1_3genE3ELNS1_11target_archE908ELNS1_3gpuE7ELNS1_3repE0EEENS1_30default_config_static_selectorELNS0_4arch9wavefront6targetE1EEEvT1_,comdat
	.protected	_ZN7rocprim17ROCPRIM_400000_NS6detail17trampoline_kernelINS0_14default_configENS1_25transform_config_selectorIxLb0EEEZNS1_14transform_implILb0ES3_S5_NS0_18transform_iteratorINS0_17counting_iteratorImlEEZNS1_24adjacent_difference_implIS3_Lb1ELb0EPxSB_N6thrust23THRUST_200600_302600_NS5minusIxEEEE10hipError_tPvRmT2_T3_mT4_P12ihipStream_tbEUlmE_xEESB_NS0_8identityIvEEEESG_SJ_SK_mSL_SN_bEUlT_E_NS1_11comp_targetILNS1_3genE3ELNS1_11target_archE908ELNS1_3gpuE7ELNS1_3repE0EEENS1_30default_config_static_selectorELNS0_4arch9wavefront6targetE1EEEvT1_ ; -- Begin function _ZN7rocprim17ROCPRIM_400000_NS6detail17trampoline_kernelINS0_14default_configENS1_25transform_config_selectorIxLb0EEEZNS1_14transform_implILb0ES3_S5_NS0_18transform_iteratorINS0_17counting_iteratorImlEEZNS1_24adjacent_difference_implIS3_Lb1ELb0EPxSB_N6thrust23THRUST_200600_302600_NS5minusIxEEEE10hipError_tPvRmT2_T3_mT4_P12ihipStream_tbEUlmE_xEESB_NS0_8identityIvEEEESG_SJ_SK_mSL_SN_bEUlT_E_NS1_11comp_targetILNS1_3genE3ELNS1_11target_archE908ELNS1_3gpuE7ELNS1_3repE0EEENS1_30default_config_static_selectorELNS0_4arch9wavefront6targetE1EEEvT1_
	.globl	_ZN7rocprim17ROCPRIM_400000_NS6detail17trampoline_kernelINS0_14default_configENS1_25transform_config_selectorIxLb0EEEZNS1_14transform_implILb0ES3_S5_NS0_18transform_iteratorINS0_17counting_iteratorImlEEZNS1_24adjacent_difference_implIS3_Lb1ELb0EPxSB_N6thrust23THRUST_200600_302600_NS5minusIxEEEE10hipError_tPvRmT2_T3_mT4_P12ihipStream_tbEUlmE_xEESB_NS0_8identityIvEEEESG_SJ_SK_mSL_SN_bEUlT_E_NS1_11comp_targetILNS1_3genE3ELNS1_11target_archE908ELNS1_3gpuE7ELNS1_3repE0EEENS1_30default_config_static_selectorELNS0_4arch9wavefront6targetE1EEEvT1_
	.p2align	8
	.type	_ZN7rocprim17ROCPRIM_400000_NS6detail17trampoline_kernelINS0_14default_configENS1_25transform_config_selectorIxLb0EEEZNS1_14transform_implILb0ES3_S5_NS0_18transform_iteratorINS0_17counting_iteratorImlEEZNS1_24adjacent_difference_implIS3_Lb1ELb0EPxSB_N6thrust23THRUST_200600_302600_NS5minusIxEEEE10hipError_tPvRmT2_T3_mT4_P12ihipStream_tbEUlmE_xEESB_NS0_8identityIvEEEESG_SJ_SK_mSL_SN_bEUlT_E_NS1_11comp_targetILNS1_3genE3ELNS1_11target_archE908ELNS1_3gpuE7ELNS1_3repE0EEENS1_30default_config_static_selectorELNS0_4arch9wavefront6targetE1EEEvT1_,@function
_ZN7rocprim17ROCPRIM_400000_NS6detail17trampoline_kernelINS0_14default_configENS1_25transform_config_selectorIxLb0EEEZNS1_14transform_implILb0ES3_S5_NS0_18transform_iteratorINS0_17counting_iteratorImlEEZNS1_24adjacent_difference_implIS3_Lb1ELb0EPxSB_N6thrust23THRUST_200600_302600_NS5minusIxEEEE10hipError_tPvRmT2_T3_mT4_P12ihipStream_tbEUlmE_xEESB_NS0_8identityIvEEEESG_SJ_SK_mSL_SN_bEUlT_E_NS1_11comp_targetILNS1_3genE3ELNS1_11target_archE908ELNS1_3gpuE7ELNS1_3repE0EEENS1_30default_config_static_selectorELNS0_4arch9wavefront6targetE1EEEvT1_: ; @_ZN7rocprim17ROCPRIM_400000_NS6detail17trampoline_kernelINS0_14default_configENS1_25transform_config_selectorIxLb0EEEZNS1_14transform_implILb0ES3_S5_NS0_18transform_iteratorINS0_17counting_iteratorImlEEZNS1_24adjacent_difference_implIS3_Lb1ELb0EPxSB_N6thrust23THRUST_200600_302600_NS5minusIxEEEE10hipError_tPvRmT2_T3_mT4_P12ihipStream_tbEUlmE_xEESB_NS0_8identityIvEEEESG_SJ_SK_mSL_SN_bEUlT_E_NS1_11comp_targetILNS1_3genE3ELNS1_11target_archE908ELNS1_3gpuE7ELNS1_3repE0EEENS1_30default_config_static_selectorELNS0_4arch9wavefront6targetE1EEEvT1_
; %bb.0:
	.section	.rodata,"a",@progbits
	.p2align	6, 0x0
	.amdhsa_kernel _ZN7rocprim17ROCPRIM_400000_NS6detail17trampoline_kernelINS0_14default_configENS1_25transform_config_selectorIxLb0EEEZNS1_14transform_implILb0ES3_S5_NS0_18transform_iteratorINS0_17counting_iteratorImlEEZNS1_24adjacent_difference_implIS3_Lb1ELb0EPxSB_N6thrust23THRUST_200600_302600_NS5minusIxEEEE10hipError_tPvRmT2_T3_mT4_P12ihipStream_tbEUlmE_xEESB_NS0_8identityIvEEEESG_SJ_SK_mSL_SN_bEUlT_E_NS1_11comp_targetILNS1_3genE3ELNS1_11target_archE908ELNS1_3gpuE7ELNS1_3repE0EEENS1_30default_config_static_selectorELNS0_4arch9wavefront6targetE1EEEvT1_
		.amdhsa_group_segment_fixed_size 0
		.amdhsa_private_segment_fixed_size 0
		.amdhsa_kernarg_size 56
		.amdhsa_user_sgpr_count 6
		.amdhsa_user_sgpr_private_segment_buffer 1
		.amdhsa_user_sgpr_dispatch_ptr 0
		.amdhsa_user_sgpr_queue_ptr 0
		.amdhsa_user_sgpr_kernarg_segment_ptr 1
		.amdhsa_user_sgpr_dispatch_id 0
		.amdhsa_user_sgpr_flat_scratch_init 0
		.amdhsa_user_sgpr_private_segment_size 0
		.amdhsa_uses_dynamic_stack 0
		.amdhsa_system_sgpr_private_segment_wavefront_offset 0
		.amdhsa_system_sgpr_workgroup_id_x 1
		.amdhsa_system_sgpr_workgroup_id_y 0
		.amdhsa_system_sgpr_workgroup_id_z 0
		.amdhsa_system_sgpr_workgroup_info 0
		.amdhsa_system_vgpr_workitem_id 0
		.amdhsa_next_free_vgpr 1
		.amdhsa_next_free_sgpr 0
		.amdhsa_reserve_vcc 0
		.amdhsa_reserve_flat_scratch 0
		.amdhsa_float_round_mode_32 0
		.amdhsa_float_round_mode_16_64 0
		.amdhsa_float_denorm_mode_32 3
		.amdhsa_float_denorm_mode_16_64 3
		.amdhsa_dx10_clamp 1
		.amdhsa_ieee_mode 1
		.amdhsa_fp16_overflow 0
		.amdhsa_exception_fp_ieee_invalid_op 0
		.amdhsa_exception_fp_denorm_src 0
		.amdhsa_exception_fp_ieee_div_zero 0
		.amdhsa_exception_fp_ieee_overflow 0
		.amdhsa_exception_fp_ieee_underflow 0
		.amdhsa_exception_fp_ieee_inexact 0
		.amdhsa_exception_int_div_zero 0
	.end_amdhsa_kernel
	.section	.text._ZN7rocprim17ROCPRIM_400000_NS6detail17trampoline_kernelINS0_14default_configENS1_25transform_config_selectorIxLb0EEEZNS1_14transform_implILb0ES3_S5_NS0_18transform_iteratorINS0_17counting_iteratorImlEEZNS1_24adjacent_difference_implIS3_Lb1ELb0EPxSB_N6thrust23THRUST_200600_302600_NS5minusIxEEEE10hipError_tPvRmT2_T3_mT4_P12ihipStream_tbEUlmE_xEESB_NS0_8identityIvEEEESG_SJ_SK_mSL_SN_bEUlT_E_NS1_11comp_targetILNS1_3genE3ELNS1_11target_archE908ELNS1_3gpuE7ELNS1_3repE0EEENS1_30default_config_static_selectorELNS0_4arch9wavefront6targetE1EEEvT1_,"axG",@progbits,_ZN7rocprim17ROCPRIM_400000_NS6detail17trampoline_kernelINS0_14default_configENS1_25transform_config_selectorIxLb0EEEZNS1_14transform_implILb0ES3_S5_NS0_18transform_iteratorINS0_17counting_iteratorImlEEZNS1_24adjacent_difference_implIS3_Lb1ELb0EPxSB_N6thrust23THRUST_200600_302600_NS5minusIxEEEE10hipError_tPvRmT2_T3_mT4_P12ihipStream_tbEUlmE_xEESB_NS0_8identityIvEEEESG_SJ_SK_mSL_SN_bEUlT_E_NS1_11comp_targetILNS1_3genE3ELNS1_11target_archE908ELNS1_3gpuE7ELNS1_3repE0EEENS1_30default_config_static_selectorELNS0_4arch9wavefront6targetE1EEEvT1_,comdat
.Lfunc_end268:
	.size	_ZN7rocprim17ROCPRIM_400000_NS6detail17trampoline_kernelINS0_14default_configENS1_25transform_config_selectorIxLb0EEEZNS1_14transform_implILb0ES3_S5_NS0_18transform_iteratorINS0_17counting_iteratorImlEEZNS1_24adjacent_difference_implIS3_Lb1ELb0EPxSB_N6thrust23THRUST_200600_302600_NS5minusIxEEEE10hipError_tPvRmT2_T3_mT4_P12ihipStream_tbEUlmE_xEESB_NS0_8identityIvEEEESG_SJ_SK_mSL_SN_bEUlT_E_NS1_11comp_targetILNS1_3genE3ELNS1_11target_archE908ELNS1_3gpuE7ELNS1_3repE0EEENS1_30default_config_static_selectorELNS0_4arch9wavefront6targetE1EEEvT1_, .Lfunc_end268-_ZN7rocprim17ROCPRIM_400000_NS6detail17trampoline_kernelINS0_14default_configENS1_25transform_config_selectorIxLb0EEEZNS1_14transform_implILb0ES3_S5_NS0_18transform_iteratorINS0_17counting_iteratorImlEEZNS1_24adjacent_difference_implIS3_Lb1ELb0EPxSB_N6thrust23THRUST_200600_302600_NS5minusIxEEEE10hipError_tPvRmT2_T3_mT4_P12ihipStream_tbEUlmE_xEESB_NS0_8identityIvEEEESG_SJ_SK_mSL_SN_bEUlT_E_NS1_11comp_targetILNS1_3genE3ELNS1_11target_archE908ELNS1_3gpuE7ELNS1_3repE0EEENS1_30default_config_static_selectorELNS0_4arch9wavefront6targetE1EEEvT1_
                                        ; -- End function
	.set _ZN7rocprim17ROCPRIM_400000_NS6detail17trampoline_kernelINS0_14default_configENS1_25transform_config_selectorIxLb0EEEZNS1_14transform_implILb0ES3_S5_NS0_18transform_iteratorINS0_17counting_iteratorImlEEZNS1_24adjacent_difference_implIS3_Lb1ELb0EPxSB_N6thrust23THRUST_200600_302600_NS5minusIxEEEE10hipError_tPvRmT2_T3_mT4_P12ihipStream_tbEUlmE_xEESB_NS0_8identityIvEEEESG_SJ_SK_mSL_SN_bEUlT_E_NS1_11comp_targetILNS1_3genE3ELNS1_11target_archE908ELNS1_3gpuE7ELNS1_3repE0EEENS1_30default_config_static_selectorELNS0_4arch9wavefront6targetE1EEEvT1_.num_vgpr, 0
	.set _ZN7rocprim17ROCPRIM_400000_NS6detail17trampoline_kernelINS0_14default_configENS1_25transform_config_selectorIxLb0EEEZNS1_14transform_implILb0ES3_S5_NS0_18transform_iteratorINS0_17counting_iteratorImlEEZNS1_24adjacent_difference_implIS3_Lb1ELb0EPxSB_N6thrust23THRUST_200600_302600_NS5minusIxEEEE10hipError_tPvRmT2_T3_mT4_P12ihipStream_tbEUlmE_xEESB_NS0_8identityIvEEEESG_SJ_SK_mSL_SN_bEUlT_E_NS1_11comp_targetILNS1_3genE3ELNS1_11target_archE908ELNS1_3gpuE7ELNS1_3repE0EEENS1_30default_config_static_selectorELNS0_4arch9wavefront6targetE1EEEvT1_.num_agpr, 0
	.set _ZN7rocprim17ROCPRIM_400000_NS6detail17trampoline_kernelINS0_14default_configENS1_25transform_config_selectorIxLb0EEEZNS1_14transform_implILb0ES3_S5_NS0_18transform_iteratorINS0_17counting_iteratorImlEEZNS1_24adjacent_difference_implIS3_Lb1ELb0EPxSB_N6thrust23THRUST_200600_302600_NS5minusIxEEEE10hipError_tPvRmT2_T3_mT4_P12ihipStream_tbEUlmE_xEESB_NS0_8identityIvEEEESG_SJ_SK_mSL_SN_bEUlT_E_NS1_11comp_targetILNS1_3genE3ELNS1_11target_archE908ELNS1_3gpuE7ELNS1_3repE0EEENS1_30default_config_static_selectorELNS0_4arch9wavefront6targetE1EEEvT1_.numbered_sgpr, 0
	.set _ZN7rocprim17ROCPRIM_400000_NS6detail17trampoline_kernelINS0_14default_configENS1_25transform_config_selectorIxLb0EEEZNS1_14transform_implILb0ES3_S5_NS0_18transform_iteratorINS0_17counting_iteratorImlEEZNS1_24adjacent_difference_implIS3_Lb1ELb0EPxSB_N6thrust23THRUST_200600_302600_NS5minusIxEEEE10hipError_tPvRmT2_T3_mT4_P12ihipStream_tbEUlmE_xEESB_NS0_8identityIvEEEESG_SJ_SK_mSL_SN_bEUlT_E_NS1_11comp_targetILNS1_3genE3ELNS1_11target_archE908ELNS1_3gpuE7ELNS1_3repE0EEENS1_30default_config_static_selectorELNS0_4arch9wavefront6targetE1EEEvT1_.num_named_barrier, 0
	.set _ZN7rocprim17ROCPRIM_400000_NS6detail17trampoline_kernelINS0_14default_configENS1_25transform_config_selectorIxLb0EEEZNS1_14transform_implILb0ES3_S5_NS0_18transform_iteratorINS0_17counting_iteratorImlEEZNS1_24adjacent_difference_implIS3_Lb1ELb0EPxSB_N6thrust23THRUST_200600_302600_NS5minusIxEEEE10hipError_tPvRmT2_T3_mT4_P12ihipStream_tbEUlmE_xEESB_NS0_8identityIvEEEESG_SJ_SK_mSL_SN_bEUlT_E_NS1_11comp_targetILNS1_3genE3ELNS1_11target_archE908ELNS1_3gpuE7ELNS1_3repE0EEENS1_30default_config_static_selectorELNS0_4arch9wavefront6targetE1EEEvT1_.private_seg_size, 0
	.set _ZN7rocprim17ROCPRIM_400000_NS6detail17trampoline_kernelINS0_14default_configENS1_25transform_config_selectorIxLb0EEEZNS1_14transform_implILb0ES3_S5_NS0_18transform_iteratorINS0_17counting_iteratorImlEEZNS1_24adjacent_difference_implIS3_Lb1ELb0EPxSB_N6thrust23THRUST_200600_302600_NS5minusIxEEEE10hipError_tPvRmT2_T3_mT4_P12ihipStream_tbEUlmE_xEESB_NS0_8identityIvEEEESG_SJ_SK_mSL_SN_bEUlT_E_NS1_11comp_targetILNS1_3genE3ELNS1_11target_archE908ELNS1_3gpuE7ELNS1_3repE0EEENS1_30default_config_static_selectorELNS0_4arch9wavefront6targetE1EEEvT1_.uses_vcc, 0
	.set _ZN7rocprim17ROCPRIM_400000_NS6detail17trampoline_kernelINS0_14default_configENS1_25transform_config_selectorIxLb0EEEZNS1_14transform_implILb0ES3_S5_NS0_18transform_iteratorINS0_17counting_iteratorImlEEZNS1_24adjacent_difference_implIS3_Lb1ELb0EPxSB_N6thrust23THRUST_200600_302600_NS5minusIxEEEE10hipError_tPvRmT2_T3_mT4_P12ihipStream_tbEUlmE_xEESB_NS0_8identityIvEEEESG_SJ_SK_mSL_SN_bEUlT_E_NS1_11comp_targetILNS1_3genE3ELNS1_11target_archE908ELNS1_3gpuE7ELNS1_3repE0EEENS1_30default_config_static_selectorELNS0_4arch9wavefront6targetE1EEEvT1_.uses_flat_scratch, 0
	.set _ZN7rocprim17ROCPRIM_400000_NS6detail17trampoline_kernelINS0_14default_configENS1_25transform_config_selectorIxLb0EEEZNS1_14transform_implILb0ES3_S5_NS0_18transform_iteratorINS0_17counting_iteratorImlEEZNS1_24adjacent_difference_implIS3_Lb1ELb0EPxSB_N6thrust23THRUST_200600_302600_NS5minusIxEEEE10hipError_tPvRmT2_T3_mT4_P12ihipStream_tbEUlmE_xEESB_NS0_8identityIvEEEESG_SJ_SK_mSL_SN_bEUlT_E_NS1_11comp_targetILNS1_3genE3ELNS1_11target_archE908ELNS1_3gpuE7ELNS1_3repE0EEENS1_30default_config_static_selectorELNS0_4arch9wavefront6targetE1EEEvT1_.has_dyn_sized_stack, 0
	.set _ZN7rocprim17ROCPRIM_400000_NS6detail17trampoline_kernelINS0_14default_configENS1_25transform_config_selectorIxLb0EEEZNS1_14transform_implILb0ES3_S5_NS0_18transform_iteratorINS0_17counting_iteratorImlEEZNS1_24adjacent_difference_implIS3_Lb1ELb0EPxSB_N6thrust23THRUST_200600_302600_NS5minusIxEEEE10hipError_tPvRmT2_T3_mT4_P12ihipStream_tbEUlmE_xEESB_NS0_8identityIvEEEESG_SJ_SK_mSL_SN_bEUlT_E_NS1_11comp_targetILNS1_3genE3ELNS1_11target_archE908ELNS1_3gpuE7ELNS1_3repE0EEENS1_30default_config_static_selectorELNS0_4arch9wavefront6targetE1EEEvT1_.has_recursion, 0
	.set _ZN7rocprim17ROCPRIM_400000_NS6detail17trampoline_kernelINS0_14default_configENS1_25transform_config_selectorIxLb0EEEZNS1_14transform_implILb0ES3_S5_NS0_18transform_iteratorINS0_17counting_iteratorImlEEZNS1_24adjacent_difference_implIS3_Lb1ELb0EPxSB_N6thrust23THRUST_200600_302600_NS5minusIxEEEE10hipError_tPvRmT2_T3_mT4_P12ihipStream_tbEUlmE_xEESB_NS0_8identityIvEEEESG_SJ_SK_mSL_SN_bEUlT_E_NS1_11comp_targetILNS1_3genE3ELNS1_11target_archE908ELNS1_3gpuE7ELNS1_3repE0EEENS1_30default_config_static_selectorELNS0_4arch9wavefront6targetE1EEEvT1_.has_indirect_call, 0
	.section	.AMDGPU.csdata,"",@progbits
; Kernel info:
; codeLenInByte = 0
; TotalNumSgprs: 4
; NumVgprs: 0
; ScratchSize: 0
; MemoryBound: 0
; FloatMode: 240
; IeeeMode: 1
; LDSByteSize: 0 bytes/workgroup (compile time only)
; SGPRBlocks: 0
; VGPRBlocks: 0
; NumSGPRsForWavesPerEU: 4
; NumVGPRsForWavesPerEU: 1
; Occupancy: 10
; WaveLimiterHint : 0
; COMPUTE_PGM_RSRC2:SCRATCH_EN: 0
; COMPUTE_PGM_RSRC2:USER_SGPR: 6
; COMPUTE_PGM_RSRC2:TRAP_HANDLER: 0
; COMPUTE_PGM_RSRC2:TGID_X_EN: 1
; COMPUTE_PGM_RSRC2:TGID_Y_EN: 0
; COMPUTE_PGM_RSRC2:TGID_Z_EN: 0
; COMPUTE_PGM_RSRC2:TIDIG_COMP_CNT: 0
	.section	.text._ZN7rocprim17ROCPRIM_400000_NS6detail17trampoline_kernelINS0_14default_configENS1_25transform_config_selectorIxLb0EEEZNS1_14transform_implILb0ES3_S5_NS0_18transform_iteratorINS0_17counting_iteratorImlEEZNS1_24adjacent_difference_implIS3_Lb1ELb0EPxSB_N6thrust23THRUST_200600_302600_NS5minusIxEEEE10hipError_tPvRmT2_T3_mT4_P12ihipStream_tbEUlmE_xEESB_NS0_8identityIvEEEESG_SJ_SK_mSL_SN_bEUlT_E_NS1_11comp_targetILNS1_3genE2ELNS1_11target_archE906ELNS1_3gpuE6ELNS1_3repE0EEENS1_30default_config_static_selectorELNS0_4arch9wavefront6targetE1EEEvT1_,"axG",@progbits,_ZN7rocprim17ROCPRIM_400000_NS6detail17trampoline_kernelINS0_14default_configENS1_25transform_config_selectorIxLb0EEEZNS1_14transform_implILb0ES3_S5_NS0_18transform_iteratorINS0_17counting_iteratorImlEEZNS1_24adjacent_difference_implIS3_Lb1ELb0EPxSB_N6thrust23THRUST_200600_302600_NS5minusIxEEEE10hipError_tPvRmT2_T3_mT4_P12ihipStream_tbEUlmE_xEESB_NS0_8identityIvEEEESG_SJ_SK_mSL_SN_bEUlT_E_NS1_11comp_targetILNS1_3genE2ELNS1_11target_archE906ELNS1_3gpuE6ELNS1_3repE0EEENS1_30default_config_static_selectorELNS0_4arch9wavefront6targetE1EEEvT1_,comdat
	.protected	_ZN7rocprim17ROCPRIM_400000_NS6detail17trampoline_kernelINS0_14default_configENS1_25transform_config_selectorIxLb0EEEZNS1_14transform_implILb0ES3_S5_NS0_18transform_iteratorINS0_17counting_iteratorImlEEZNS1_24adjacent_difference_implIS3_Lb1ELb0EPxSB_N6thrust23THRUST_200600_302600_NS5minusIxEEEE10hipError_tPvRmT2_T3_mT4_P12ihipStream_tbEUlmE_xEESB_NS0_8identityIvEEEESG_SJ_SK_mSL_SN_bEUlT_E_NS1_11comp_targetILNS1_3genE2ELNS1_11target_archE906ELNS1_3gpuE6ELNS1_3repE0EEENS1_30default_config_static_selectorELNS0_4arch9wavefront6targetE1EEEvT1_ ; -- Begin function _ZN7rocprim17ROCPRIM_400000_NS6detail17trampoline_kernelINS0_14default_configENS1_25transform_config_selectorIxLb0EEEZNS1_14transform_implILb0ES3_S5_NS0_18transform_iteratorINS0_17counting_iteratorImlEEZNS1_24adjacent_difference_implIS3_Lb1ELb0EPxSB_N6thrust23THRUST_200600_302600_NS5minusIxEEEE10hipError_tPvRmT2_T3_mT4_P12ihipStream_tbEUlmE_xEESB_NS0_8identityIvEEEESG_SJ_SK_mSL_SN_bEUlT_E_NS1_11comp_targetILNS1_3genE2ELNS1_11target_archE906ELNS1_3gpuE6ELNS1_3repE0EEENS1_30default_config_static_selectorELNS0_4arch9wavefront6targetE1EEEvT1_
	.globl	_ZN7rocprim17ROCPRIM_400000_NS6detail17trampoline_kernelINS0_14default_configENS1_25transform_config_selectorIxLb0EEEZNS1_14transform_implILb0ES3_S5_NS0_18transform_iteratorINS0_17counting_iteratorImlEEZNS1_24adjacent_difference_implIS3_Lb1ELb0EPxSB_N6thrust23THRUST_200600_302600_NS5minusIxEEEE10hipError_tPvRmT2_T3_mT4_P12ihipStream_tbEUlmE_xEESB_NS0_8identityIvEEEESG_SJ_SK_mSL_SN_bEUlT_E_NS1_11comp_targetILNS1_3genE2ELNS1_11target_archE906ELNS1_3gpuE6ELNS1_3repE0EEENS1_30default_config_static_selectorELNS0_4arch9wavefront6targetE1EEEvT1_
	.p2align	8
	.type	_ZN7rocprim17ROCPRIM_400000_NS6detail17trampoline_kernelINS0_14default_configENS1_25transform_config_selectorIxLb0EEEZNS1_14transform_implILb0ES3_S5_NS0_18transform_iteratorINS0_17counting_iteratorImlEEZNS1_24adjacent_difference_implIS3_Lb1ELb0EPxSB_N6thrust23THRUST_200600_302600_NS5minusIxEEEE10hipError_tPvRmT2_T3_mT4_P12ihipStream_tbEUlmE_xEESB_NS0_8identityIvEEEESG_SJ_SK_mSL_SN_bEUlT_E_NS1_11comp_targetILNS1_3genE2ELNS1_11target_archE906ELNS1_3gpuE6ELNS1_3repE0EEENS1_30default_config_static_selectorELNS0_4arch9wavefront6targetE1EEEvT1_,@function
_ZN7rocprim17ROCPRIM_400000_NS6detail17trampoline_kernelINS0_14default_configENS1_25transform_config_selectorIxLb0EEEZNS1_14transform_implILb0ES3_S5_NS0_18transform_iteratorINS0_17counting_iteratorImlEEZNS1_24adjacent_difference_implIS3_Lb1ELb0EPxSB_N6thrust23THRUST_200600_302600_NS5minusIxEEEE10hipError_tPvRmT2_T3_mT4_P12ihipStream_tbEUlmE_xEESB_NS0_8identityIvEEEESG_SJ_SK_mSL_SN_bEUlT_E_NS1_11comp_targetILNS1_3genE2ELNS1_11target_archE906ELNS1_3gpuE6ELNS1_3repE0EEENS1_30default_config_static_selectorELNS0_4arch9wavefront6targetE1EEEvT1_: ; @_ZN7rocprim17ROCPRIM_400000_NS6detail17trampoline_kernelINS0_14default_configENS1_25transform_config_selectorIxLb0EEEZNS1_14transform_implILb0ES3_S5_NS0_18transform_iteratorINS0_17counting_iteratorImlEEZNS1_24adjacent_difference_implIS3_Lb1ELb0EPxSB_N6thrust23THRUST_200600_302600_NS5minusIxEEEE10hipError_tPvRmT2_T3_mT4_P12ihipStream_tbEUlmE_xEESB_NS0_8identityIvEEEESG_SJ_SK_mSL_SN_bEUlT_E_NS1_11comp_targetILNS1_3genE2ELNS1_11target_archE906ELNS1_3gpuE6ELNS1_3repE0EEENS1_30default_config_static_selectorELNS0_4arch9wavefront6targetE1EEEvT1_
; %bb.0:
	s_load_dword s1, s[4:5], 0x38
	s_load_dword s7, s[4:5], 0x20
	s_lshl_b32 s0, s6, 9
	s_waitcnt lgkmcnt(0)
	s_add_i32 s1, s1, -1
	s_cmp_lg_u32 s6, s1
	s_cselect_b64 s[2:3], -1, 0
	s_sub_i32 s1, s7, s0
	v_cmp_gt_u32_e32 vcc, s1, v0
	s_or_b64 s[2:3], s[2:3], vcc
	s_and_saveexec_b64 s[6:7], s[2:3]
	s_cbranch_execz .LBB269_2
; %bb.1:
	s_load_dwordx2 s[2:3], s[4:5], 0x18
	s_load_dwordx2 s[6:7], s[4:5], 0x28
	s_load_dwordx4 s[8:11], s[4:5], 0x0
	s_load_dword s1, s[4:5], 0x10
	s_waitcnt lgkmcnt(0)
	s_lshl_b64 s[4:5], s[2:3], 3
	s_add_u32 s4, s6, s4
	s_addc_u32 s5, s7, s5
	s_add_u32 s2, s8, s2
	s_addc_u32 s3, s9, s3
	;; [unrolled: 2-line block ×3, first 2 shown]
	v_mov_b32_e32 v1, s3
	v_add_co_u32_e32 v2, vcc, s2, v0
	v_addc_co_u32_e32 v3, vcc, 0, v1, vcc
	v_mad_u64_u32 v[1:2], s[2:3], v2, s1, 0
	v_mad_u64_u32 v[2:3], s[2:3], v3, s1, v[2:3]
	v_mov_b32_e32 v3, s11
	s_mov_b32 s1, 0
	v_lshlrev_b64 v[1:2], 3, v[1:2]
	s_lshl_b64 s[0:1], s[0:1], 3
	v_add_co_u32_e32 v1, vcc, s10, v1
	v_addc_co_u32_e32 v2, vcc, v3, v2, vcc
	global_load_dwordx2 v[2:3], v[1:2], off
	v_mov_b32_e32 v1, 0
	s_add_u32 s0, s4, s0
	v_lshlrev_b64 v[0:1], 3, v[0:1]
	s_addc_u32 s1, s5, s1
	v_mov_b32_e32 v4, s1
	v_add_co_u32_e32 v0, vcc, s0, v0
	v_addc_co_u32_e32 v1, vcc, v4, v1, vcc
	s_waitcnt vmcnt(0)
	global_store_dwordx2 v[0:1], v[2:3], off
.LBB269_2:
	s_endpgm
	.section	.rodata,"a",@progbits
	.p2align	6, 0x0
	.amdhsa_kernel _ZN7rocprim17ROCPRIM_400000_NS6detail17trampoline_kernelINS0_14default_configENS1_25transform_config_selectorIxLb0EEEZNS1_14transform_implILb0ES3_S5_NS0_18transform_iteratorINS0_17counting_iteratorImlEEZNS1_24adjacent_difference_implIS3_Lb1ELb0EPxSB_N6thrust23THRUST_200600_302600_NS5minusIxEEEE10hipError_tPvRmT2_T3_mT4_P12ihipStream_tbEUlmE_xEESB_NS0_8identityIvEEEESG_SJ_SK_mSL_SN_bEUlT_E_NS1_11comp_targetILNS1_3genE2ELNS1_11target_archE906ELNS1_3gpuE6ELNS1_3repE0EEENS1_30default_config_static_selectorELNS0_4arch9wavefront6targetE1EEEvT1_
		.amdhsa_group_segment_fixed_size 0
		.amdhsa_private_segment_fixed_size 0
		.amdhsa_kernarg_size 312
		.amdhsa_user_sgpr_count 6
		.amdhsa_user_sgpr_private_segment_buffer 1
		.amdhsa_user_sgpr_dispatch_ptr 0
		.amdhsa_user_sgpr_queue_ptr 0
		.amdhsa_user_sgpr_kernarg_segment_ptr 1
		.amdhsa_user_sgpr_dispatch_id 0
		.amdhsa_user_sgpr_flat_scratch_init 0
		.amdhsa_user_sgpr_private_segment_size 0
		.amdhsa_uses_dynamic_stack 0
		.amdhsa_system_sgpr_private_segment_wavefront_offset 0
		.amdhsa_system_sgpr_workgroup_id_x 1
		.amdhsa_system_sgpr_workgroup_id_y 0
		.amdhsa_system_sgpr_workgroup_id_z 0
		.amdhsa_system_sgpr_workgroup_info 0
		.amdhsa_system_vgpr_workitem_id 0
		.amdhsa_next_free_vgpr 5
		.amdhsa_next_free_sgpr 12
		.amdhsa_reserve_vcc 1
		.amdhsa_reserve_flat_scratch 0
		.amdhsa_float_round_mode_32 0
		.amdhsa_float_round_mode_16_64 0
		.amdhsa_float_denorm_mode_32 3
		.amdhsa_float_denorm_mode_16_64 3
		.amdhsa_dx10_clamp 1
		.amdhsa_ieee_mode 1
		.amdhsa_fp16_overflow 0
		.amdhsa_exception_fp_ieee_invalid_op 0
		.amdhsa_exception_fp_denorm_src 0
		.amdhsa_exception_fp_ieee_div_zero 0
		.amdhsa_exception_fp_ieee_overflow 0
		.amdhsa_exception_fp_ieee_underflow 0
		.amdhsa_exception_fp_ieee_inexact 0
		.amdhsa_exception_int_div_zero 0
	.end_amdhsa_kernel
	.section	.text._ZN7rocprim17ROCPRIM_400000_NS6detail17trampoline_kernelINS0_14default_configENS1_25transform_config_selectorIxLb0EEEZNS1_14transform_implILb0ES3_S5_NS0_18transform_iteratorINS0_17counting_iteratorImlEEZNS1_24adjacent_difference_implIS3_Lb1ELb0EPxSB_N6thrust23THRUST_200600_302600_NS5minusIxEEEE10hipError_tPvRmT2_T3_mT4_P12ihipStream_tbEUlmE_xEESB_NS0_8identityIvEEEESG_SJ_SK_mSL_SN_bEUlT_E_NS1_11comp_targetILNS1_3genE2ELNS1_11target_archE906ELNS1_3gpuE6ELNS1_3repE0EEENS1_30default_config_static_selectorELNS0_4arch9wavefront6targetE1EEEvT1_,"axG",@progbits,_ZN7rocprim17ROCPRIM_400000_NS6detail17trampoline_kernelINS0_14default_configENS1_25transform_config_selectorIxLb0EEEZNS1_14transform_implILb0ES3_S5_NS0_18transform_iteratorINS0_17counting_iteratorImlEEZNS1_24adjacent_difference_implIS3_Lb1ELb0EPxSB_N6thrust23THRUST_200600_302600_NS5minusIxEEEE10hipError_tPvRmT2_T3_mT4_P12ihipStream_tbEUlmE_xEESB_NS0_8identityIvEEEESG_SJ_SK_mSL_SN_bEUlT_E_NS1_11comp_targetILNS1_3genE2ELNS1_11target_archE906ELNS1_3gpuE6ELNS1_3repE0EEENS1_30default_config_static_selectorELNS0_4arch9wavefront6targetE1EEEvT1_,comdat
.Lfunc_end269:
	.size	_ZN7rocprim17ROCPRIM_400000_NS6detail17trampoline_kernelINS0_14default_configENS1_25transform_config_selectorIxLb0EEEZNS1_14transform_implILb0ES3_S5_NS0_18transform_iteratorINS0_17counting_iteratorImlEEZNS1_24adjacent_difference_implIS3_Lb1ELb0EPxSB_N6thrust23THRUST_200600_302600_NS5minusIxEEEE10hipError_tPvRmT2_T3_mT4_P12ihipStream_tbEUlmE_xEESB_NS0_8identityIvEEEESG_SJ_SK_mSL_SN_bEUlT_E_NS1_11comp_targetILNS1_3genE2ELNS1_11target_archE906ELNS1_3gpuE6ELNS1_3repE0EEENS1_30default_config_static_selectorELNS0_4arch9wavefront6targetE1EEEvT1_, .Lfunc_end269-_ZN7rocprim17ROCPRIM_400000_NS6detail17trampoline_kernelINS0_14default_configENS1_25transform_config_selectorIxLb0EEEZNS1_14transform_implILb0ES3_S5_NS0_18transform_iteratorINS0_17counting_iteratorImlEEZNS1_24adjacent_difference_implIS3_Lb1ELb0EPxSB_N6thrust23THRUST_200600_302600_NS5minusIxEEEE10hipError_tPvRmT2_T3_mT4_P12ihipStream_tbEUlmE_xEESB_NS0_8identityIvEEEESG_SJ_SK_mSL_SN_bEUlT_E_NS1_11comp_targetILNS1_3genE2ELNS1_11target_archE906ELNS1_3gpuE6ELNS1_3repE0EEENS1_30default_config_static_selectorELNS0_4arch9wavefront6targetE1EEEvT1_
                                        ; -- End function
	.set _ZN7rocprim17ROCPRIM_400000_NS6detail17trampoline_kernelINS0_14default_configENS1_25transform_config_selectorIxLb0EEEZNS1_14transform_implILb0ES3_S5_NS0_18transform_iteratorINS0_17counting_iteratorImlEEZNS1_24adjacent_difference_implIS3_Lb1ELb0EPxSB_N6thrust23THRUST_200600_302600_NS5minusIxEEEE10hipError_tPvRmT2_T3_mT4_P12ihipStream_tbEUlmE_xEESB_NS0_8identityIvEEEESG_SJ_SK_mSL_SN_bEUlT_E_NS1_11comp_targetILNS1_3genE2ELNS1_11target_archE906ELNS1_3gpuE6ELNS1_3repE0EEENS1_30default_config_static_selectorELNS0_4arch9wavefront6targetE1EEEvT1_.num_vgpr, 5
	.set _ZN7rocprim17ROCPRIM_400000_NS6detail17trampoline_kernelINS0_14default_configENS1_25transform_config_selectorIxLb0EEEZNS1_14transform_implILb0ES3_S5_NS0_18transform_iteratorINS0_17counting_iteratorImlEEZNS1_24adjacent_difference_implIS3_Lb1ELb0EPxSB_N6thrust23THRUST_200600_302600_NS5minusIxEEEE10hipError_tPvRmT2_T3_mT4_P12ihipStream_tbEUlmE_xEESB_NS0_8identityIvEEEESG_SJ_SK_mSL_SN_bEUlT_E_NS1_11comp_targetILNS1_3genE2ELNS1_11target_archE906ELNS1_3gpuE6ELNS1_3repE0EEENS1_30default_config_static_selectorELNS0_4arch9wavefront6targetE1EEEvT1_.num_agpr, 0
	.set _ZN7rocprim17ROCPRIM_400000_NS6detail17trampoline_kernelINS0_14default_configENS1_25transform_config_selectorIxLb0EEEZNS1_14transform_implILb0ES3_S5_NS0_18transform_iteratorINS0_17counting_iteratorImlEEZNS1_24adjacent_difference_implIS3_Lb1ELb0EPxSB_N6thrust23THRUST_200600_302600_NS5minusIxEEEE10hipError_tPvRmT2_T3_mT4_P12ihipStream_tbEUlmE_xEESB_NS0_8identityIvEEEESG_SJ_SK_mSL_SN_bEUlT_E_NS1_11comp_targetILNS1_3genE2ELNS1_11target_archE906ELNS1_3gpuE6ELNS1_3repE0EEENS1_30default_config_static_selectorELNS0_4arch9wavefront6targetE1EEEvT1_.numbered_sgpr, 12
	.set _ZN7rocprim17ROCPRIM_400000_NS6detail17trampoline_kernelINS0_14default_configENS1_25transform_config_selectorIxLb0EEEZNS1_14transform_implILb0ES3_S5_NS0_18transform_iteratorINS0_17counting_iteratorImlEEZNS1_24adjacent_difference_implIS3_Lb1ELb0EPxSB_N6thrust23THRUST_200600_302600_NS5minusIxEEEE10hipError_tPvRmT2_T3_mT4_P12ihipStream_tbEUlmE_xEESB_NS0_8identityIvEEEESG_SJ_SK_mSL_SN_bEUlT_E_NS1_11comp_targetILNS1_3genE2ELNS1_11target_archE906ELNS1_3gpuE6ELNS1_3repE0EEENS1_30default_config_static_selectorELNS0_4arch9wavefront6targetE1EEEvT1_.num_named_barrier, 0
	.set _ZN7rocprim17ROCPRIM_400000_NS6detail17trampoline_kernelINS0_14default_configENS1_25transform_config_selectorIxLb0EEEZNS1_14transform_implILb0ES3_S5_NS0_18transform_iteratorINS0_17counting_iteratorImlEEZNS1_24adjacent_difference_implIS3_Lb1ELb0EPxSB_N6thrust23THRUST_200600_302600_NS5minusIxEEEE10hipError_tPvRmT2_T3_mT4_P12ihipStream_tbEUlmE_xEESB_NS0_8identityIvEEEESG_SJ_SK_mSL_SN_bEUlT_E_NS1_11comp_targetILNS1_3genE2ELNS1_11target_archE906ELNS1_3gpuE6ELNS1_3repE0EEENS1_30default_config_static_selectorELNS0_4arch9wavefront6targetE1EEEvT1_.private_seg_size, 0
	.set _ZN7rocprim17ROCPRIM_400000_NS6detail17trampoline_kernelINS0_14default_configENS1_25transform_config_selectorIxLb0EEEZNS1_14transform_implILb0ES3_S5_NS0_18transform_iteratorINS0_17counting_iteratorImlEEZNS1_24adjacent_difference_implIS3_Lb1ELb0EPxSB_N6thrust23THRUST_200600_302600_NS5minusIxEEEE10hipError_tPvRmT2_T3_mT4_P12ihipStream_tbEUlmE_xEESB_NS0_8identityIvEEEESG_SJ_SK_mSL_SN_bEUlT_E_NS1_11comp_targetILNS1_3genE2ELNS1_11target_archE906ELNS1_3gpuE6ELNS1_3repE0EEENS1_30default_config_static_selectorELNS0_4arch9wavefront6targetE1EEEvT1_.uses_vcc, 1
	.set _ZN7rocprim17ROCPRIM_400000_NS6detail17trampoline_kernelINS0_14default_configENS1_25transform_config_selectorIxLb0EEEZNS1_14transform_implILb0ES3_S5_NS0_18transform_iteratorINS0_17counting_iteratorImlEEZNS1_24adjacent_difference_implIS3_Lb1ELb0EPxSB_N6thrust23THRUST_200600_302600_NS5minusIxEEEE10hipError_tPvRmT2_T3_mT4_P12ihipStream_tbEUlmE_xEESB_NS0_8identityIvEEEESG_SJ_SK_mSL_SN_bEUlT_E_NS1_11comp_targetILNS1_3genE2ELNS1_11target_archE906ELNS1_3gpuE6ELNS1_3repE0EEENS1_30default_config_static_selectorELNS0_4arch9wavefront6targetE1EEEvT1_.uses_flat_scratch, 0
	.set _ZN7rocprim17ROCPRIM_400000_NS6detail17trampoline_kernelINS0_14default_configENS1_25transform_config_selectorIxLb0EEEZNS1_14transform_implILb0ES3_S5_NS0_18transform_iteratorINS0_17counting_iteratorImlEEZNS1_24adjacent_difference_implIS3_Lb1ELb0EPxSB_N6thrust23THRUST_200600_302600_NS5minusIxEEEE10hipError_tPvRmT2_T3_mT4_P12ihipStream_tbEUlmE_xEESB_NS0_8identityIvEEEESG_SJ_SK_mSL_SN_bEUlT_E_NS1_11comp_targetILNS1_3genE2ELNS1_11target_archE906ELNS1_3gpuE6ELNS1_3repE0EEENS1_30default_config_static_selectorELNS0_4arch9wavefront6targetE1EEEvT1_.has_dyn_sized_stack, 0
	.set _ZN7rocprim17ROCPRIM_400000_NS6detail17trampoline_kernelINS0_14default_configENS1_25transform_config_selectorIxLb0EEEZNS1_14transform_implILb0ES3_S5_NS0_18transform_iteratorINS0_17counting_iteratorImlEEZNS1_24adjacent_difference_implIS3_Lb1ELb0EPxSB_N6thrust23THRUST_200600_302600_NS5minusIxEEEE10hipError_tPvRmT2_T3_mT4_P12ihipStream_tbEUlmE_xEESB_NS0_8identityIvEEEESG_SJ_SK_mSL_SN_bEUlT_E_NS1_11comp_targetILNS1_3genE2ELNS1_11target_archE906ELNS1_3gpuE6ELNS1_3repE0EEENS1_30default_config_static_selectorELNS0_4arch9wavefront6targetE1EEEvT1_.has_recursion, 0
	.set _ZN7rocprim17ROCPRIM_400000_NS6detail17trampoline_kernelINS0_14default_configENS1_25transform_config_selectorIxLb0EEEZNS1_14transform_implILb0ES3_S5_NS0_18transform_iteratorINS0_17counting_iteratorImlEEZNS1_24adjacent_difference_implIS3_Lb1ELb0EPxSB_N6thrust23THRUST_200600_302600_NS5minusIxEEEE10hipError_tPvRmT2_T3_mT4_P12ihipStream_tbEUlmE_xEESB_NS0_8identityIvEEEESG_SJ_SK_mSL_SN_bEUlT_E_NS1_11comp_targetILNS1_3genE2ELNS1_11target_archE906ELNS1_3gpuE6ELNS1_3repE0EEENS1_30default_config_static_selectorELNS0_4arch9wavefront6targetE1EEEvT1_.has_indirect_call, 0
	.section	.AMDGPU.csdata,"",@progbits
; Kernel info:
; codeLenInByte = 232
; TotalNumSgprs: 16
; NumVgprs: 5
; ScratchSize: 0
; MemoryBound: 0
; FloatMode: 240
; IeeeMode: 1
; LDSByteSize: 0 bytes/workgroup (compile time only)
; SGPRBlocks: 1
; VGPRBlocks: 1
; NumSGPRsForWavesPerEU: 16
; NumVGPRsForWavesPerEU: 5
; Occupancy: 10
; WaveLimiterHint : 0
; COMPUTE_PGM_RSRC2:SCRATCH_EN: 0
; COMPUTE_PGM_RSRC2:USER_SGPR: 6
; COMPUTE_PGM_RSRC2:TRAP_HANDLER: 0
; COMPUTE_PGM_RSRC2:TGID_X_EN: 1
; COMPUTE_PGM_RSRC2:TGID_Y_EN: 0
; COMPUTE_PGM_RSRC2:TGID_Z_EN: 0
; COMPUTE_PGM_RSRC2:TIDIG_COMP_CNT: 0
	.section	.text._ZN7rocprim17ROCPRIM_400000_NS6detail17trampoline_kernelINS0_14default_configENS1_25transform_config_selectorIxLb0EEEZNS1_14transform_implILb0ES3_S5_NS0_18transform_iteratorINS0_17counting_iteratorImlEEZNS1_24adjacent_difference_implIS3_Lb1ELb0EPxSB_N6thrust23THRUST_200600_302600_NS5minusIxEEEE10hipError_tPvRmT2_T3_mT4_P12ihipStream_tbEUlmE_xEESB_NS0_8identityIvEEEESG_SJ_SK_mSL_SN_bEUlT_E_NS1_11comp_targetILNS1_3genE10ELNS1_11target_archE1201ELNS1_3gpuE5ELNS1_3repE0EEENS1_30default_config_static_selectorELNS0_4arch9wavefront6targetE1EEEvT1_,"axG",@progbits,_ZN7rocprim17ROCPRIM_400000_NS6detail17trampoline_kernelINS0_14default_configENS1_25transform_config_selectorIxLb0EEEZNS1_14transform_implILb0ES3_S5_NS0_18transform_iteratorINS0_17counting_iteratorImlEEZNS1_24adjacent_difference_implIS3_Lb1ELb0EPxSB_N6thrust23THRUST_200600_302600_NS5minusIxEEEE10hipError_tPvRmT2_T3_mT4_P12ihipStream_tbEUlmE_xEESB_NS0_8identityIvEEEESG_SJ_SK_mSL_SN_bEUlT_E_NS1_11comp_targetILNS1_3genE10ELNS1_11target_archE1201ELNS1_3gpuE5ELNS1_3repE0EEENS1_30default_config_static_selectorELNS0_4arch9wavefront6targetE1EEEvT1_,comdat
	.protected	_ZN7rocprim17ROCPRIM_400000_NS6detail17trampoline_kernelINS0_14default_configENS1_25transform_config_selectorIxLb0EEEZNS1_14transform_implILb0ES3_S5_NS0_18transform_iteratorINS0_17counting_iteratorImlEEZNS1_24adjacent_difference_implIS3_Lb1ELb0EPxSB_N6thrust23THRUST_200600_302600_NS5minusIxEEEE10hipError_tPvRmT2_T3_mT4_P12ihipStream_tbEUlmE_xEESB_NS0_8identityIvEEEESG_SJ_SK_mSL_SN_bEUlT_E_NS1_11comp_targetILNS1_3genE10ELNS1_11target_archE1201ELNS1_3gpuE5ELNS1_3repE0EEENS1_30default_config_static_selectorELNS0_4arch9wavefront6targetE1EEEvT1_ ; -- Begin function _ZN7rocprim17ROCPRIM_400000_NS6detail17trampoline_kernelINS0_14default_configENS1_25transform_config_selectorIxLb0EEEZNS1_14transform_implILb0ES3_S5_NS0_18transform_iteratorINS0_17counting_iteratorImlEEZNS1_24adjacent_difference_implIS3_Lb1ELb0EPxSB_N6thrust23THRUST_200600_302600_NS5minusIxEEEE10hipError_tPvRmT2_T3_mT4_P12ihipStream_tbEUlmE_xEESB_NS0_8identityIvEEEESG_SJ_SK_mSL_SN_bEUlT_E_NS1_11comp_targetILNS1_3genE10ELNS1_11target_archE1201ELNS1_3gpuE5ELNS1_3repE0EEENS1_30default_config_static_selectorELNS0_4arch9wavefront6targetE1EEEvT1_
	.globl	_ZN7rocprim17ROCPRIM_400000_NS6detail17trampoline_kernelINS0_14default_configENS1_25transform_config_selectorIxLb0EEEZNS1_14transform_implILb0ES3_S5_NS0_18transform_iteratorINS0_17counting_iteratorImlEEZNS1_24adjacent_difference_implIS3_Lb1ELb0EPxSB_N6thrust23THRUST_200600_302600_NS5minusIxEEEE10hipError_tPvRmT2_T3_mT4_P12ihipStream_tbEUlmE_xEESB_NS0_8identityIvEEEESG_SJ_SK_mSL_SN_bEUlT_E_NS1_11comp_targetILNS1_3genE10ELNS1_11target_archE1201ELNS1_3gpuE5ELNS1_3repE0EEENS1_30default_config_static_selectorELNS0_4arch9wavefront6targetE1EEEvT1_
	.p2align	8
	.type	_ZN7rocprim17ROCPRIM_400000_NS6detail17trampoline_kernelINS0_14default_configENS1_25transform_config_selectorIxLb0EEEZNS1_14transform_implILb0ES3_S5_NS0_18transform_iteratorINS0_17counting_iteratorImlEEZNS1_24adjacent_difference_implIS3_Lb1ELb0EPxSB_N6thrust23THRUST_200600_302600_NS5minusIxEEEE10hipError_tPvRmT2_T3_mT4_P12ihipStream_tbEUlmE_xEESB_NS0_8identityIvEEEESG_SJ_SK_mSL_SN_bEUlT_E_NS1_11comp_targetILNS1_3genE10ELNS1_11target_archE1201ELNS1_3gpuE5ELNS1_3repE0EEENS1_30default_config_static_selectorELNS0_4arch9wavefront6targetE1EEEvT1_,@function
_ZN7rocprim17ROCPRIM_400000_NS6detail17trampoline_kernelINS0_14default_configENS1_25transform_config_selectorIxLb0EEEZNS1_14transform_implILb0ES3_S5_NS0_18transform_iteratorINS0_17counting_iteratorImlEEZNS1_24adjacent_difference_implIS3_Lb1ELb0EPxSB_N6thrust23THRUST_200600_302600_NS5minusIxEEEE10hipError_tPvRmT2_T3_mT4_P12ihipStream_tbEUlmE_xEESB_NS0_8identityIvEEEESG_SJ_SK_mSL_SN_bEUlT_E_NS1_11comp_targetILNS1_3genE10ELNS1_11target_archE1201ELNS1_3gpuE5ELNS1_3repE0EEENS1_30default_config_static_selectorELNS0_4arch9wavefront6targetE1EEEvT1_: ; @_ZN7rocprim17ROCPRIM_400000_NS6detail17trampoline_kernelINS0_14default_configENS1_25transform_config_selectorIxLb0EEEZNS1_14transform_implILb0ES3_S5_NS0_18transform_iteratorINS0_17counting_iteratorImlEEZNS1_24adjacent_difference_implIS3_Lb1ELb0EPxSB_N6thrust23THRUST_200600_302600_NS5minusIxEEEE10hipError_tPvRmT2_T3_mT4_P12ihipStream_tbEUlmE_xEESB_NS0_8identityIvEEEESG_SJ_SK_mSL_SN_bEUlT_E_NS1_11comp_targetILNS1_3genE10ELNS1_11target_archE1201ELNS1_3gpuE5ELNS1_3repE0EEENS1_30default_config_static_selectorELNS0_4arch9wavefront6targetE1EEEvT1_
; %bb.0:
	.section	.rodata,"a",@progbits
	.p2align	6, 0x0
	.amdhsa_kernel _ZN7rocprim17ROCPRIM_400000_NS6detail17trampoline_kernelINS0_14default_configENS1_25transform_config_selectorIxLb0EEEZNS1_14transform_implILb0ES3_S5_NS0_18transform_iteratorINS0_17counting_iteratorImlEEZNS1_24adjacent_difference_implIS3_Lb1ELb0EPxSB_N6thrust23THRUST_200600_302600_NS5minusIxEEEE10hipError_tPvRmT2_T3_mT4_P12ihipStream_tbEUlmE_xEESB_NS0_8identityIvEEEESG_SJ_SK_mSL_SN_bEUlT_E_NS1_11comp_targetILNS1_3genE10ELNS1_11target_archE1201ELNS1_3gpuE5ELNS1_3repE0EEENS1_30default_config_static_selectorELNS0_4arch9wavefront6targetE1EEEvT1_
		.amdhsa_group_segment_fixed_size 0
		.amdhsa_private_segment_fixed_size 0
		.amdhsa_kernarg_size 56
		.amdhsa_user_sgpr_count 6
		.amdhsa_user_sgpr_private_segment_buffer 1
		.amdhsa_user_sgpr_dispatch_ptr 0
		.amdhsa_user_sgpr_queue_ptr 0
		.amdhsa_user_sgpr_kernarg_segment_ptr 1
		.amdhsa_user_sgpr_dispatch_id 0
		.amdhsa_user_sgpr_flat_scratch_init 0
		.amdhsa_user_sgpr_private_segment_size 0
		.amdhsa_uses_dynamic_stack 0
		.amdhsa_system_sgpr_private_segment_wavefront_offset 0
		.amdhsa_system_sgpr_workgroup_id_x 1
		.amdhsa_system_sgpr_workgroup_id_y 0
		.amdhsa_system_sgpr_workgroup_id_z 0
		.amdhsa_system_sgpr_workgroup_info 0
		.amdhsa_system_vgpr_workitem_id 0
		.amdhsa_next_free_vgpr 1
		.amdhsa_next_free_sgpr 0
		.amdhsa_reserve_vcc 0
		.amdhsa_reserve_flat_scratch 0
		.amdhsa_float_round_mode_32 0
		.amdhsa_float_round_mode_16_64 0
		.amdhsa_float_denorm_mode_32 3
		.amdhsa_float_denorm_mode_16_64 3
		.amdhsa_dx10_clamp 1
		.amdhsa_ieee_mode 1
		.amdhsa_fp16_overflow 0
		.amdhsa_exception_fp_ieee_invalid_op 0
		.amdhsa_exception_fp_denorm_src 0
		.amdhsa_exception_fp_ieee_div_zero 0
		.amdhsa_exception_fp_ieee_overflow 0
		.amdhsa_exception_fp_ieee_underflow 0
		.amdhsa_exception_fp_ieee_inexact 0
		.amdhsa_exception_int_div_zero 0
	.end_amdhsa_kernel
	.section	.text._ZN7rocprim17ROCPRIM_400000_NS6detail17trampoline_kernelINS0_14default_configENS1_25transform_config_selectorIxLb0EEEZNS1_14transform_implILb0ES3_S5_NS0_18transform_iteratorINS0_17counting_iteratorImlEEZNS1_24adjacent_difference_implIS3_Lb1ELb0EPxSB_N6thrust23THRUST_200600_302600_NS5minusIxEEEE10hipError_tPvRmT2_T3_mT4_P12ihipStream_tbEUlmE_xEESB_NS0_8identityIvEEEESG_SJ_SK_mSL_SN_bEUlT_E_NS1_11comp_targetILNS1_3genE10ELNS1_11target_archE1201ELNS1_3gpuE5ELNS1_3repE0EEENS1_30default_config_static_selectorELNS0_4arch9wavefront6targetE1EEEvT1_,"axG",@progbits,_ZN7rocprim17ROCPRIM_400000_NS6detail17trampoline_kernelINS0_14default_configENS1_25transform_config_selectorIxLb0EEEZNS1_14transform_implILb0ES3_S5_NS0_18transform_iteratorINS0_17counting_iteratorImlEEZNS1_24adjacent_difference_implIS3_Lb1ELb0EPxSB_N6thrust23THRUST_200600_302600_NS5minusIxEEEE10hipError_tPvRmT2_T3_mT4_P12ihipStream_tbEUlmE_xEESB_NS0_8identityIvEEEESG_SJ_SK_mSL_SN_bEUlT_E_NS1_11comp_targetILNS1_3genE10ELNS1_11target_archE1201ELNS1_3gpuE5ELNS1_3repE0EEENS1_30default_config_static_selectorELNS0_4arch9wavefront6targetE1EEEvT1_,comdat
.Lfunc_end270:
	.size	_ZN7rocprim17ROCPRIM_400000_NS6detail17trampoline_kernelINS0_14default_configENS1_25transform_config_selectorIxLb0EEEZNS1_14transform_implILb0ES3_S5_NS0_18transform_iteratorINS0_17counting_iteratorImlEEZNS1_24adjacent_difference_implIS3_Lb1ELb0EPxSB_N6thrust23THRUST_200600_302600_NS5minusIxEEEE10hipError_tPvRmT2_T3_mT4_P12ihipStream_tbEUlmE_xEESB_NS0_8identityIvEEEESG_SJ_SK_mSL_SN_bEUlT_E_NS1_11comp_targetILNS1_3genE10ELNS1_11target_archE1201ELNS1_3gpuE5ELNS1_3repE0EEENS1_30default_config_static_selectorELNS0_4arch9wavefront6targetE1EEEvT1_, .Lfunc_end270-_ZN7rocprim17ROCPRIM_400000_NS6detail17trampoline_kernelINS0_14default_configENS1_25transform_config_selectorIxLb0EEEZNS1_14transform_implILb0ES3_S5_NS0_18transform_iteratorINS0_17counting_iteratorImlEEZNS1_24adjacent_difference_implIS3_Lb1ELb0EPxSB_N6thrust23THRUST_200600_302600_NS5minusIxEEEE10hipError_tPvRmT2_T3_mT4_P12ihipStream_tbEUlmE_xEESB_NS0_8identityIvEEEESG_SJ_SK_mSL_SN_bEUlT_E_NS1_11comp_targetILNS1_3genE10ELNS1_11target_archE1201ELNS1_3gpuE5ELNS1_3repE0EEENS1_30default_config_static_selectorELNS0_4arch9wavefront6targetE1EEEvT1_
                                        ; -- End function
	.set _ZN7rocprim17ROCPRIM_400000_NS6detail17trampoline_kernelINS0_14default_configENS1_25transform_config_selectorIxLb0EEEZNS1_14transform_implILb0ES3_S5_NS0_18transform_iteratorINS0_17counting_iteratorImlEEZNS1_24adjacent_difference_implIS3_Lb1ELb0EPxSB_N6thrust23THRUST_200600_302600_NS5minusIxEEEE10hipError_tPvRmT2_T3_mT4_P12ihipStream_tbEUlmE_xEESB_NS0_8identityIvEEEESG_SJ_SK_mSL_SN_bEUlT_E_NS1_11comp_targetILNS1_3genE10ELNS1_11target_archE1201ELNS1_3gpuE5ELNS1_3repE0EEENS1_30default_config_static_selectorELNS0_4arch9wavefront6targetE1EEEvT1_.num_vgpr, 0
	.set _ZN7rocprim17ROCPRIM_400000_NS6detail17trampoline_kernelINS0_14default_configENS1_25transform_config_selectorIxLb0EEEZNS1_14transform_implILb0ES3_S5_NS0_18transform_iteratorINS0_17counting_iteratorImlEEZNS1_24adjacent_difference_implIS3_Lb1ELb0EPxSB_N6thrust23THRUST_200600_302600_NS5minusIxEEEE10hipError_tPvRmT2_T3_mT4_P12ihipStream_tbEUlmE_xEESB_NS0_8identityIvEEEESG_SJ_SK_mSL_SN_bEUlT_E_NS1_11comp_targetILNS1_3genE10ELNS1_11target_archE1201ELNS1_3gpuE5ELNS1_3repE0EEENS1_30default_config_static_selectorELNS0_4arch9wavefront6targetE1EEEvT1_.num_agpr, 0
	.set _ZN7rocprim17ROCPRIM_400000_NS6detail17trampoline_kernelINS0_14default_configENS1_25transform_config_selectorIxLb0EEEZNS1_14transform_implILb0ES3_S5_NS0_18transform_iteratorINS0_17counting_iteratorImlEEZNS1_24adjacent_difference_implIS3_Lb1ELb0EPxSB_N6thrust23THRUST_200600_302600_NS5minusIxEEEE10hipError_tPvRmT2_T3_mT4_P12ihipStream_tbEUlmE_xEESB_NS0_8identityIvEEEESG_SJ_SK_mSL_SN_bEUlT_E_NS1_11comp_targetILNS1_3genE10ELNS1_11target_archE1201ELNS1_3gpuE5ELNS1_3repE0EEENS1_30default_config_static_selectorELNS0_4arch9wavefront6targetE1EEEvT1_.numbered_sgpr, 0
	.set _ZN7rocprim17ROCPRIM_400000_NS6detail17trampoline_kernelINS0_14default_configENS1_25transform_config_selectorIxLb0EEEZNS1_14transform_implILb0ES3_S5_NS0_18transform_iteratorINS0_17counting_iteratorImlEEZNS1_24adjacent_difference_implIS3_Lb1ELb0EPxSB_N6thrust23THRUST_200600_302600_NS5minusIxEEEE10hipError_tPvRmT2_T3_mT4_P12ihipStream_tbEUlmE_xEESB_NS0_8identityIvEEEESG_SJ_SK_mSL_SN_bEUlT_E_NS1_11comp_targetILNS1_3genE10ELNS1_11target_archE1201ELNS1_3gpuE5ELNS1_3repE0EEENS1_30default_config_static_selectorELNS0_4arch9wavefront6targetE1EEEvT1_.num_named_barrier, 0
	.set _ZN7rocprim17ROCPRIM_400000_NS6detail17trampoline_kernelINS0_14default_configENS1_25transform_config_selectorIxLb0EEEZNS1_14transform_implILb0ES3_S5_NS0_18transform_iteratorINS0_17counting_iteratorImlEEZNS1_24adjacent_difference_implIS3_Lb1ELb0EPxSB_N6thrust23THRUST_200600_302600_NS5minusIxEEEE10hipError_tPvRmT2_T3_mT4_P12ihipStream_tbEUlmE_xEESB_NS0_8identityIvEEEESG_SJ_SK_mSL_SN_bEUlT_E_NS1_11comp_targetILNS1_3genE10ELNS1_11target_archE1201ELNS1_3gpuE5ELNS1_3repE0EEENS1_30default_config_static_selectorELNS0_4arch9wavefront6targetE1EEEvT1_.private_seg_size, 0
	.set _ZN7rocprim17ROCPRIM_400000_NS6detail17trampoline_kernelINS0_14default_configENS1_25transform_config_selectorIxLb0EEEZNS1_14transform_implILb0ES3_S5_NS0_18transform_iteratorINS0_17counting_iteratorImlEEZNS1_24adjacent_difference_implIS3_Lb1ELb0EPxSB_N6thrust23THRUST_200600_302600_NS5minusIxEEEE10hipError_tPvRmT2_T3_mT4_P12ihipStream_tbEUlmE_xEESB_NS0_8identityIvEEEESG_SJ_SK_mSL_SN_bEUlT_E_NS1_11comp_targetILNS1_3genE10ELNS1_11target_archE1201ELNS1_3gpuE5ELNS1_3repE0EEENS1_30default_config_static_selectorELNS0_4arch9wavefront6targetE1EEEvT1_.uses_vcc, 0
	.set _ZN7rocprim17ROCPRIM_400000_NS6detail17trampoline_kernelINS0_14default_configENS1_25transform_config_selectorIxLb0EEEZNS1_14transform_implILb0ES3_S5_NS0_18transform_iteratorINS0_17counting_iteratorImlEEZNS1_24adjacent_difference_implIS3_Lb1ELb0EPxSB_N6thrust23THRUST_200600_302600_NS5minusIxEEEE10hipError_tPvRmT2_T3_mT4_P12ihipStream_tbEUlmE_xEESB_NS0_8identityIvEEEESG_SJ_SK_mSL_SN_bEUlT_E_NS1_11comp_targetILNS1_3genE10ELNS1_11target_archE1201ELNS1_3gpuE5ELNS1_3repE0EEENS1_30default_config_static_selectorELNS0_4arch9wavefront6targetE1EEEvT1_.uses_flat_scratch, 0
	.set _ZN7rocprim17ROCPRIM_400000_NS6detail17trampoline_kernelINS0_14default_configENS1_25transform_config_selectorIxLb0EEEZNS1_14transform_implILb0ES3_S5_NS0_18transform_iteratorINS0_17counting_iteratorImlEEZNS1_24adjacent_difference_implIS3_Lb1ELb0EPxSB_N6thrust23THRUST_200600_302600_NS5minusIxEEEE10hipError_tPvRmT2_T3_mT4_P12ihipStream_tbEUlmE_xEESB_NS0_8identityIvEEEESG_SJ_SK_mSL_SN_bEUlT_E_NS1_11comp_targetILNS1_3genE10ELNS1_11target_archE1201ELNS1_3gpuE5ELNS1_3repE0EEENS1_30default_config_static_selectorELNS0_4arch9wavefront6targetE1EEEvT1_.has_dyn_sized_stack, 0
	.set _ZN7rocprim17ROCPRIM_400000_NS6detail17trampoline_kernelINS0_14default_configENS1_25transform_config_selectorIxLb0EEEZNS1_14transform_implILb0ES3_S5_NS0_18transform_iteratorINS0_17counting_iteratorImlEEZNS1_24adjacent_difference_implIS3_Lb1ELb0EPxSB_N6thrust23THRUST_200600_302600_NS5minusIxEEEE10hipError_tPvRmT2_T3_mT4_P12ihipStream_tbEUlmE_xEESB_NS0_8identityIvEEEESG_SJ_SK_mSL_SN_bEUlT_E_NS1_11comp_targetILNS1_3genE10ELNS1_11target_archE1201ELNS1_3gpuE5ELNS1_3repE0EEENS1_30default_config_static_selectorELNS0_4arch9wavefront6targetE1EEEvT1_.has_recursion, 0
	.set _ZN7rocprim17ROCPRIM_400000_NS6detail17trampoline_kernelINS0_14default_configENS1_25transform_config_selectorIxLb0EEEZNS1_14transform_implILb0ES3_S5_NS0_18transform_iteratorINS0_17counting_iteratorImlEEZNS1_24adjacent_difference_implIS3_Lb1ELb0EPxSB_N6thrust23THRUST_200600_302600_NS5minusIxEEEE10hipError_tPvRmT2_T3_mT4_P12ihipStream_tbEUlmE_xEESB_NS0_8identityIvEEEESG_SJ_SK_mSL_SN_bEUlT_E_NS1_11comp_targetILNS1_3genE10ELNS1_11target_archE1201ELNS1_3gpuE5ELNS1_3repE0EEENS1_30default_config_static_selectorELNS0_4arch9wavefront6targetE1EEEvT1_.has_indirect_call, 0
	.section	.AMDGPU.csdata,"",@progbits
; Kernel info:
; codeLenInByte = 0
; TotalNumSgprs: 4
; NumVgprs: 0
; ScratchSize: 0
; MemoryBound: 0
; FloatMode: 240
; IeeeMode: 1
; LDSByteSize: 0 bytes/workgroup (compile time only)
; SGPRBlocks: 0
; VGPRBlocks: 0
; NumSGPRsForWavesPerEU: 4
; NumVGPRsForWavesPerEU: 1
; Occupancy: 10
; WaveLimiterHint : 0
; COMPUTE_PGM_RSRC2:SCRATCH_EN: 0
; COMPUTE_PGM_RSRC2:USER_SGPR: 6
; COMPUTE_PGM_RSRC2:TRAP_HANDLER: 0
; COMPUTE_PGM_RSRC2:TGID_X_EN: 1
; COMPUTE_PGM_RSRC2:TGID_Y_EN: 0
; COMPUTE_PGM_RSRC2:TGID_Z_EN: 0
; COMPUTE_PGM_RSRC2:TIDIG_COMP_CNT: 0
	.section	.text._ZN7rocprim17ROCPRIM_400000_NS6detail17trampoline_kernelINS0_14default_configENS1_25transform_config_selectorIxLb0EEEZNS1_14transform_implILb0ES3_S5_NS0_18transform_iteratorINS0_17counting_iteratorImlEEZNS1_24adjacent_difference_implIS3_Lb1ELb0EPxSB_N6thrust23THRUST_200600_302600_NS5minusIxEEEE10hipError_tPvRmT2_T3_mT4_P12ihipStream_tbEUlmE_xEESB_NS0_8identityIvEEEESG_SJ_SK_mSL_SN_bEUlT_E_NS1_11comp_targetILNS1_3genE10ELNS1_11target_archE1200ELNS1_3gpuE4ELNS1_3repE0EEENS1_30default_config_static_selectorELNS0_4arch9wavefront6targetE1EEEvT1_,"axG",@progbits,_ZN7rocprim17ROCPRIM_400000_NS6detail17trampoline_kernelINS0_14default_configENS1_25transform_config_selectorIxLb0EEEZNS1_14transform_implILb0ES3_S5_NS0_18transform_iteratorINS0_17counting_iteratorImlEEZNS1_24adjacent_difference_implIS3_Lb1ELb0EPxSB_N6thrust23THRUST_200600_302600_NS5minusIxEEEE10hipError_tPvRmT2_T3_mT4_P12ihipStream_tbEUlmE_xEESB_NS0_8identityIvEEEESG_SJ_SK_mSL_SN_bEUlT_E_NS1_11comp_targetILNS1_3genE10ELNS1_11target_archE1200ELNS1_3gpuE4ELNS1_3repE0EEENS1_30default_config_static_selectorELNS0_4arch9wavefront6targetE1EEEvT1_,comdat
	.protected	_ZN7rocprim17ROCPRIM_400000_NS6detail17trampoline_kernelINS0_14default_configENS1_25transform_config_selectorIxLb0EEEZNS1_14transform_implILb0ES3_S5_NS0_18transform_iteratorINS0_17counting_iteratorImlEEZNS1_24adjacent_difference_implIS3_Lb1ELb0EPxSB_N6thrust23THRUST_200600_302600_NS5minusIxEEEE10hipError_tPvRmT2_T3_mT4_P12ihipStream_tbEUlmE_xEESB_NS0_8identityIvEEEESG_SJ_SK_mSL_SN_bEUlT_E_NS1_11comp_targetILNS1_3genE10ELNS1_11target_archE1200ELNS1_3gpuE4ELNS1_3repE0EEENS1_30default_config_static_selectorELNS0_4arch9wavefront6targetE1EEEvT1_ ; -- Begin function _ZN7rocprim17ROCPRIM_400000_NS6detail17trampoline_kernelINS0_14default_configENS1_25transform_config_selectorIxLb0EEEZNS1_14transform_implILb0ES3_S5_NS0_18transform_iteratorINS0_17counting_iteratorImlEEZNS1_24adjacent_difference_implIS3_Lb1ELb0EPxSB_N6thrust23THRUST_200600_302600_NS5minusIxEEEE10hipError_tPvRmT2_T3_mT4_P12ihipStream_tbEUlmE_xEESB_NS0_8identityIvEEEESG_SJ_SK_mSL_SN_bEUlT_E_NS1_11comp_targetILNS1_3genE10ELNS1_11target_archE1200ELNS1_3gpuE4ELNS1_3repE0EEENS1_30default_config_static_selectorELNS0_4arch9wavefront6targetE1EEEvT1_
	.globl	_ZN7rocprim17ROCPRIM_400000_NS6detail17trampoline_kernelINS0_14default_configENS1_25transform_config_selectorIxLb0EEEZNS1_14transform_implILb0ES3_S5_NS0_18transform_iteratorINS0_17counting_iteratorImlEEZNS1_24adjacent_difference_implIS3_Lb1ELb0EPxSB_N6thrust23THRUST_200600_302600_NS5minusIxEEEE10hipError_tPvRmT2_T3_mT4_P12ihipStream_tbEUlmE_xEESB_NS0_8identityIvEEEESG_SJ_SK_mSL_SN_bEUlT_E_NS1_11comp_targetILNS1_3genE10ELNS1_11target_archE1200ELNS1_3gpuE4ELNS1_3repE0EEENS1_30default_config_static_selectorELNS0_4arch9wavefront6targetE1EEEvT1_
	.p2align	8
	.type	_ZN7rocprim17ROCPRIM_400000_NS6detail17trampoline_kernelINS0_14default_configENS1_25transform_config_selectorIxLb0EEEZNS1_14transform_implILb0ES3_S5_NS0_18transform_iteratorINS0_17counting_iteratorImlEEZNS1_24adjacent_difference_implIS3_Lb1ELb0EPxSB_N6thrust23THRUST_200600_302600_NS5minusIxEEEE10hipError_tPvRmT2_T3_mT4_P12ihipStream_tbEUlmE_xEESB_NS0_8identityIvEEEESG_SJ_SK_mSL_SN_bEUlT_E_NS1_11comp_targetILNS1_3genE10ELNS1_11target_archE1200ELNS1_3gpuE4ELNS1_3repE0EEENS1_30default_config_static_selectorELNS0_4arch9wavefront6targetE1EEEvT1_,@function
_ZN7rocprim17ROCPRIM_400000_NS6detail17trampoline_kernelINS0_14default_configENS1_25transform_config_selectorIxLb0EEEZNS1_14transform_implILb0ES3_S5_NS0_18transform_iteratorINS0_17counting_iteratorImlEEZNS1_24adjacent_difference_implIS3_Lb1ELb0EPxSB_N6thrust23THRUST_200600_302600_NS5minusIxEEEE10hipError_tPvRmT2_T3_mT4_P12ihipStream_tbEUlmE_xEESB_NS0_8identityIvEEEESG_SJ_SK_mSL_SN_bEUlT_E_NS1_11comp_targetILNS1_3genE10ELNS1_11target_archE1200ELNS1_3gpuE4ELNS1_3repE0EEENS1_30default_config_static_selectorELNS0_4arch9wavefront6targetE1EEEvT1_: ; @_ZN7rocprim17ROCPRIM_400000_NS6detail17trampoline_kernelINS0_14default_configENS1_25transform_config_selectorIxLb0EEEZNS1_14transform_implILb0ES3_S5_NS0_18transform_iteratorINS0_17counting_iteratorImlEEZNS1_24adjacent_difference_implIS3_Lb1ELb0EPxSB_N6thrust23THRUST_200600_302600_NS5minusIxEEEE10hipError_tPvRmT2_T3_mT4_P12ihipStream_tbEUlmE_xEESB_NS0_8identityIvEEEESG_SJ_SK_mSL_SN_bEUlT_E_NS1_11comp_targetILNS1_3genE10ELNS1_11target_archE1200ELNS1_3gpuE4ELNS1_3repE0EEENS1_30default_config_static_selectorELNS0_4arch9wavefront6targetE1EEEvT1_
; %bb.0:
	.section	.rodata,"a",@progbits
	.p2align	6, 0x0
	.amdhsa_kernel _ZN7rocprim17ROCPRIM_400000_NS6detail17trampoline_kernelINS0_14default_configENS1_25transform_config_selectorIxLb0EEEZNS1_14transform_implILb0ES3_S5_NS0_18transform_iteratorINS0_17counting_iteratorImlEEZNS1_24adjacent_difference_implIS3_Lb1ELb0EPxSB_N6thrust23THRUST_200600_302600_NS5minusIxEEEE10hipError_tPvRmT2_T3_mT4_P12ihipStream_tbEUlmE_xEESB_NS0_8identityIvEEEESG_SJ_SK_mSL_SN_bEUlT_E_NS1_11comp_targetILNS1_3genE10ELNS1_11target_archE1200ELNS1_3gpuE4ELNS1_3repE0EEENS1_30default_config_static_selectorELNS0_4arch9wavefront6targetE1EEEvT1_
		.amdhsa_group_segment_fixed_size 0
		.amdhsa_private_segment_fixed_size 0
		.amdhsa_kernarg_size 56
		.amdhsa_user_sgpr_count 6
		.amdhsa_user_sgpr_private_segment_buffer 1
		.amdhsa_user_sgpr_dispatch_ptr 0
		.amdhsa_user_sgpr_queue_ptr 0
		.amdhsa_user_sgpr_kernarg_segment_ptr 1
		.amdhsa_user_sgpr_dispatch_id 0
		.amdhsa_user_sgpr_flat_scratch_init 0
		.amdhsa_user_sgpr_private_segment_size 0
		.amdhsa_uses_dynamic_stack 0
		.amdhsa_system_sgpr_private_segment_wavefront_offset 0
		.amdhsa_system_sgpr_workgroup_id_x 1
		.amdhsa_system_sgpr_workgroup_id_y 0
		.amdhsa_system_sgpr_workgroup_id_z 0
		.amdhsa_system_sgpr_workgroup_info 0
		.amdhsa_system_vgpr_workitem_id 0
		.amdhsa_next_free_vgpr 1
		.amdhsa_next_free_sgpr 0
		.amdhsa_reserve_vcc 0
		.amdhsa_reserve_flat_scratch 0
		.amdhsa_float_round_mode_32 0
		.amdhsa_float_round_mode_16_64 0
		.amdhsa_float_denorm_mode_32 3
		.amdhsa_float_denorm_mode_16_64 3
		.amdhsa_dx10_clamp 1
		.amdhsa_ieee_mode 1
		.amdhsa_fp16_overflow 0
		.amdhsa_exception_fp_ieee_invalid_op 0
		.amdhsa_exception_fp_denorm_src 0
		.amdhsa_exception_fp_ieee_div_zero 0
		.amdhsa_exception_fp_ieee_overflow 0
		.amdhsa_exception_fp_ieee_underflow 0
		.amdhsa_exception_fp_ieee_inexact 0
		.amdhsa_exception_int_div_zero 0
	.end_amdhsa_kernel
	.section	.text._ZN7rocprim17ROCPRIM_400000_NS6detail17trampoline_kernelINS0_14default_configENS1_25transform_config_selectorIxLb0EEEZNS1_14transform_implILb0ES3_S5_NS0_18transform_iteratorINS0_17counting_iteratorImlEEZNS1_24adjacent_difference_implIS3_Lb1ELb0EPxSB_N6thrust23THRUST_200600_302600_NS5minusIxEEEE10hipError_tPvRmT2_T3_mT4_P12ihipStream_tbEUlmE_xEESB_NS0_8identityIvEEEESG_SJ_SK_mSL_SN_bEUlT_E_NS1_11comp_targetILNS1_3genE10ELNS1_11target_archE1200ELNS1_3gpuE4ELNS1_3repE0EEENS1_30default_config_static_selectorELNS0_4arch9wavefront6targetE1EEEvT1_,"axG",@progbits,_ZN7rocprim17ROCPRIM_400000_NS6detail17trampoline_kernelINS0_14default_configENS1_25transform_config_selectorIxLb0EEEZNS1_14transform_implILb0ES3_S5_NS0_18transform_iteratorINS0_17counting_iteratorImlEEZNS1_24adjacent_difference_implIS3_Lb1ELb0EPxSB_N6thrust23THRUST_200600_302600_NS5minusIxEEEE10hipError_tPvRmT2_T3_mT4_P12ihipStream_tbEUlmE_xEESB_NS0_8identityIvEEEESG_SJ_SK_mSL_SN_bEUlT_E_NS1_11comp_targetILNS1_3genE10ELNS1_11target_archE1200ELNS1_3gpuE4ELNS1_3repE0EEENS1_30default_config_static_selectorELNS0_4arch9wavefront6targetE1EEEvT1_,comdat
.Lfunc_end271:
	.size	_ZN7rocprim17ROCPRIM_400000_NS6detail17trampoline_kernelINS0_14default_configENS1_25transform_config_selectorIxLb0EEEZNS1_14transform_implILb0ES3_S5_NS0_18transform_iteratorINS0_17counting_iteratorImlEEZNS1_24adjacent_difference_implIS3_Lb1ELb0EPxSB_N6thrust23THRUST_200600_302600_NS5minusIxEEEE10hipError_tPvRmT2_T3_mT4_P12ihipStream_tbEUlmE_xEESB_NS0_8identityIvEEEESG_SJ_SK_mSL_SN_bEUlT_E_NS1_11comp_targetILNS1_3genE10ELNS1_11target_archE1200ELNS1_3gpuE4ELNS1_3repE0EEENS1_30default_config_static_selectorELNS0_4arch9wavefront6targetE1EEEvT1_, .Lfunc_end271-_ZN7rocprim17ROCPRIM_400000_NS6detail17trampoline_kernelINS0_14default_configENS1_25transform_config_selectorIxLb0EEEZNS1_14transform_implILb0ES3_S5_NS0_18transform_iteratorINS0_17counting_iteratorImlEEZNS1_24adjacent_difference_implIS3_Lb1ELb0EPxSB_N6thrust23THRUST_200600_302600_NS5minusIxEEEE10hipError_tPvRmT2_T3_mT4_P12ihipStream_tbEUlmE_xEESB_NS0_8identityIvEEEESG_SJ_SK_mSL_SN_bEUlT_E_NS1_11comp_targetILNS1_3genE10ELNS1_11target_archE1200ELNS1_3gpuE4ELNS1_3repE0EEENS1_30default_config_static_selectorELNS0_4arch9wavefront6targetE1EEEvT1_
                                        ; -- End function
	.set _ZN7rocprim17ROCPRIM_400000_NS6detail17trampoline_kernelINS0_14default_configENS1_25transform_config_selectorIxLb0EEEZNS1_14transform_implILb0ES3_S5_NS0_18transform_iteratorINS0_17counting_iteratorImlEEZNS1_24adjacent_difference_implIS3_Lb1ELb0EPxSB_N6thrust23THRUST_200600_302600_NS5minusIxEEEE10hipError_tPvRmT2_T3_mT4_P12ihipStream_tbEUlmE_xEESB_NS0_8identityIvEEEESG_SJ_SK_mSL_SN_bEUlT_E_NS1_11comp_targetILNS1_3genE10ELNS1_11target_archE1200ELNS1_3gpuE4ELNS1_3repE0EEENS1_30default_config_static_selectorELNS0_4arch9wavefront6targetE1EEEvT1_.num_vgpr, 0
	.set _ZN7rocprim17ROCPRIM_400000_NS6detail17trampoline_kernelINS0_14default_configENS1_25transform_config_selectorIxLb0EEEZNS1_14transform_implILb0ES3_S5_NS0_18transform_iteratorINS0_17counting_iteratorImlEEZNS1_24adjacent_difference_implIS3_Lb1ELb0EPxSB_N6thrust23THRUST_200600_302600_NS5minusIxEEEE10hipError_tPvRmT2_T3_mT4_P12ihipStream_tbEUlmE_xEESB_NS0_8identityIvEEEESG_SJ_SK_mSL_SN_bEUlT_E_NS1_11comp_targetILNS1_3genE10ELNS1_11target_archE1200ELNS1_3gpuE4ELNS1_3repE0EEENS1_30default_config_static_selectorELNS0_4arch9wavefront6targetE1EEEvT1_.num_agpr, 0
	.set _ZN7rocprim17ROCPRIM_400000_NS6detail17trampoline_kernelINS0_14default_configENS1_25transform_config_selectorIxLb0EEEZNS1_14transform_implILb0ES3_S5_NS0_18transform_iteratorINS0_17counting_iteratorImlEEZNS1_24adjacent_difference_implIS3_Lb1ELb0EPxSB_N6thrust23THRUST_200600_302600_NS5minusIxEEEE10hipError_tPvRmT2_T3_mT4_P12ihipStream_tbEUlmE_xEESB_NS0_8identityIvEEEESG_SJ_SK_mSL_SN_bEUlT_E_NS1_11comp_targetILNS1_3genE10ELNS1_11target_archE1200ELNS1_3gpuE4ELNS1_3repE0EEENS1_30default_config_static_selectorELNS0_4arch9wavefront6targetE1EEEvT1_.numbered_sgpr, 0
	.set _ZN7rocprim17ROCPRIM_400000_NS6detail17trampoline_kernelINS0_14default_configENS1_25transform_config_selectorIxLb0EEEZNS1_14transform_implILb0ES3_S5_NS0_18transform_iteratorINS0_17counting_iteratorImlEEZNS1_24adjacent_difference_implIS3_Lb1ELb0EPxSB_N6thrust23THRUST_200600_302600_NS5minusIxEEEE10hipError_tPvRmT2_T3_mT4_P12ihipStream_tbEUlmE_xEESB_NS0_8identityIvEEEESG_SJ_SK_mSL_SN_bEUlT_E_NS1_11comp_targetILNS1_3genE10ELNS1_11target_archE1200ELNS1_3gpuE4ELNS1_3repE0EEENS1_30default_config_static_selectorELNS0_4arch9wavefront6targetE1EEEvT1_.num_named_barrier, 0
	.set _ZN7rocprim17ROCPRIM_400000_NS6detail17trampoline_kernelINS0_14default_configENS1_25transform_config_selectorIxLb0EEEZNS1_14transform_implILb0ES3_S5_NS0_18transform_iteratorINS0_17counting_iteratorImlEEZNS1_24adjacent_difference_implIS3_Lb1ELb0EPxSB_N6thrust23THRUST_200600_302600_NS5minusIxEEEE10hipError_tPvRmT2_T3_mT4_P12ihipStream_tbEUlmE_xEESB_NS0_8identityIvEEEESG_SJ_SK_mSL_SN_bEUlT_E_NS1_11comp_targetILNS1_3genE10ELNS1_11target_archE1200ELNS1_3gpuE4ELNS1_3repE0EEENS1_30default_config_static_selectorELNS0_4arch9wavefront6targetE1EEEvT1_.private_seg_size, 0
	.set _ZN7rocprim17ROCPRIM_400000_NS6detail17trampoline_kernelINS0_14default_configENS1_25transform_config_selectorIxLb0EEEZNS1_14transform_implILb0ES3_S5_NS0_18transform_iteratorINS0_17counting_iteratorImlEEZNS1_24adjacent_difference_implIS3_Lb1ELb0EPxSB_N6thrust23THRUST_200600_302600_NS5minusIxEEEE10hipError_tPvRmT2_T3_mT4_P12ihipStream_tbEUlmE_xEESB_NS0_8identityIvEEEESG_SJ_SK_mSL_SN_bEUlT_E_NS1_11comp_targetILNS1_3genE10ELNS1_11target_archE1200ELNS1_3gpuE4ELNS1_3repE0EEENS1_30default_config_static_selectorELNS0_4arch9wavefront6targetE1EEEvT1_.uses_vcc, 0
	.set _ZN7rocprim17ROCPRIM_400000_NS6detail17trampoline_kernelINS0_14default_configENS1_25transform_config_selectorIxLb0EEEZNS1_14transform_implILb0ES3_S5_NS0_18transform_iteratorINS0_17counting_iteratorImlEEZNS1_24adjacent_difference_implIS3_Lb1ELb0EPxSB_N6thrust23THRUST_200600_302600_NS5minusIxEEEE10hipError_tPvRmT2_T3_mT4_P12ihipStream_tbEUlmE_xEESB_NS0_8identityIvEEEESG_SJ_SK_mSL_SN_bEUlT_E_NS1_11comp_targetILNS1_3genE10ELNS1_11target_archE1200ELNS1_3gpuE4ELNS1_3repE0EEENS1_30default_config_static_selectorELNS0_4arch9wavefront6targetE1EEEvT1_.uses_flat_scratch, 0
	.set _ZN7rocprim17ROCPRIM_400000_NS6detail17trampoline_kernelINS0_14default_configENS1_25transform_config_selectorIxLb0EEEZNS1_14transform_implILb0ES3_S5_NS0_18transform_iteratorINS0_17counting_iteratorImlEEZNS1_24adjacent_difference_implIS3_Lb1ELb0EPxSB_N6thrust23THRUST_200600_302600_NS5minusIxEEEE10hipError_tPvRmT2_T3_mT4_P12ihipStream_tbEUlmE_xEESB_NS0_8identityIvEEEESG_SJ_SK_mSL_SN_bEUlT_E_NS1_11comp_targetILNS1_3genE10ELNS1_11target_archE1200ELNS1_3gpuE4ELNS1_3repE0EEENS1_30default_config_static_selectorELNS0_4arch9wavefront6targetE1EEEvT1_.has_dyn_sized_stack, 0
	.set _ZN7rocprim17ROCPRIM_400000_NS6detail17trampoline_kernelINS0_14default_configENS1_25transform_config_selectorIxLb0EEEZNS1_14transform_implILb0ES3_S5_NS0_18transform_iteratorINS0_17counting_iteratorImlEEZNS1_24adjacent_difference_implIS3_Lb1ELb0EPxSB_N6thrust23THRUST_200600_302600_NS5minusIxEEEE10hipError_tPvRmT2_T3_mT4_P12ihipStream_tbEUlmE_xEESB_NS0_8identityIvEEEESG_SJ_SK_mSL_SN_bEUlT_E_NS1_11comp_targetILNS1_3genE10ELNS1_11target_archE1200ELNS1_3gpuE4ELNS1_3repE0EEENS1_30default_config_static_selectorELNS0_4arch9wavefront6targetE1EEEvT1_.has_recursion, 0
	.set _ZN7rocprim17ROCPRIM_400000_NS6detail17trampoline_kernelINS0_14default_configENS1_25transform_config_selectorIxLb0EEEZNS1_14transform_implILb0ES3_S5_NS0_18transform_iteratorINS0_17counting_iteratorImlEEZNS1_24adjacent_difference_implIS3_Lb1ELb0EPxSB_N6thrust23THRUST_200600_302600_NS5minusIxEEEE10hipError_tPvRmT2_T3_mT4_P12ihipStream_tbEUlmE_xEESB_NS0_8identityIvEEEESG_SJ_SK_mSL_SN_bEUlT_E_NS1_11comp_targetILNS1_3genE10ELNS1_11target_archE1200ELNS1_3gpuE4ELNS1_3repE0EEENS1_30default_config_static_selectorELNS0_4arch9wavefront6targetE1EEEvT1_.has_indirect_call, 0
	.section	.AMDGPU.csdata,"",@progbits
; Kernel info:
; codeLenInByte = 0
; TotalNumSgprs: 4
; NumVgprs: 0
; ScratchSize: 0
; MemoryBound: 0
; FloatMode: 240
; IeeeMode: 1
; LDSByteSize: 0 bytes/workgroup (compile time only)
; SGPRBlocks: 0
; VGPRBlocks: 0
; NumSGPRsForWavesPerEU: 4
; NumVGPRsForWavesPerEU: 1
; Occupancy: 10
; WaveLimiterHint : 0
; COMPUTE_PGM_RSRC2:SCRATCH_EN: 0
; COMPUTE_PGM_RSRC2:USER_SGPR: 6
; COMPUTE_PGM_RSRC2:TRAP_HANDLER: 0
; COMPUTE_PGM_RSRC2:TGID_X_EN: 1
; COMPUTE_PGM_RSRC2:TGID_Y_EN: 0
; COMPUTE_PGM_RSRC2:TGID_Z_EN: 0
; COMPUTE_PGM_RSRC2:TIDIG_COMP_CNT: 0
	.section	.text._ZN7rocprim17ROCPRIM_400000_NS6detail17trampoline_kernelINS0_14default_configENS1_25transform_config_selectorIxLb0EEEZNS1_14transform_implILb0ES3_S5_NS0_18transform_iteratorINS0_17counting_iteratorImlEEZNS1_24adjacent_difference_implIS3_Lb1ELb0EPxSB_N6thrust23THRUST_200600_302600_NS5minusIxEEEE10hipError_tPvRmT2_T3_mT4_P12ihipStream_tbEUlmE_xEESB_NS0_8identityIvEEEESG_SJ_SK_mSL_SN_bEUlT_E_NS1_11comp_targetILNS1_3genE9ELNS1_11target_archE1100ELNS1_3gpuE3ELNS1_3repE0EEENS1_30default_config_static_selectorELNS0_4arch9wavefront6targetE1EEEvT1_,"axG",@progbits,_ZN7rocprim17ROCPRIM_400000_NS6detail17trampoline_kernelINS0_14default_configENS1_25transform_config_selectorIxLb0EEEZNS1_14transform_implILb0ES3_S5_NS0_18transform_iteratorINS0_17counting_iteratorImlEEZNS1_24adjacent_difference_implIS3_Lb1ELb0EPxSB_N6thrust23THRUST_200600_302600_NS5minusIxEEEE10hipError_tPvRmT2_T3_mT4_P12ihipStream_tbEUlmE_xEESB_NS0_8identityIvEEEESG_SJ_SK_mSL_SN_bEUlT_E_NS1_11comp_targetILNS1_3genE9ELNS1_11target_archE1100ELNS1_3gpuE3ELNS1_3repE0EEENS1_30default_config_static_selectorELNS0_4arch9wavefront6targetE1EEEvT1_,comdat
	.protected	_ZN7rocprim17ROCPRIM_400000_NS6detail17trampoline_kernelINS0_14default_configENS1_25transform_config_selectorIxLb0EEEZNS1_14transform_implILb0ES3_S5_NS0_18transform_iteratorINS0_17counting_iteratorImlEEZNS1_24adjacent_difference_implIS3_Lb1ELb0EPxSB_N6thrust23THRUST_200600_302600_NS5minusIxEEEE10hipError_tPvRmT2_T3_mT4_P12ihipStream_tbEUlmE_xEESB_NS0_8identityIvEEEESG_SJ_SK_mSL_SN_bEUlT_E_NS1_11comp_targetILNS1_3genE9ELNS1_11target_archE1100ELNS1_3gpuE3ELNS1_3repE0EEENS1_30default_config_static_selectorELNS0_4arch9wavefront6targetE1EEEvT1_ ; -- Begin function _ZN7rocprim17ROCPRIM_400000_NS6detail17trampoline_kernelINS0_14default_configENS1_25transform_config_selectorIxLb0EEEZNS1_14transform_implILb0ES3_S5_NS0_18transform_iteratorINS0_17counting_iteratorImlEEZNS1_24adjacent_difference_implIS3_Lb1ELb0EPxSB_N6thrust23THRUST_200600_302600_NS5minusIxEEEE10hipError_tPvRmT2_T3_mT4_P12ihipStream_tbEUlmE_xEESB_NS0_8identityIvEEEESG_SJ_SK_mSL_SN_bEUlT_E_NS1_11comp_targetILNS1_3genE9ELNS1_11target_archE1100ELNS1_3gpuE3ELNS1_3repE0EEENS1_30default_config_static_selectorELNS0_4arch9wavefront6targetE1EEEvT1_
	.globl	_ZN7rocprim17ROCPRIM_400000_NS6detail17trampoline_kernelINS0_14default_configENS1_25transform_config_selectorIxLb0EEEZNS1_14transform_implILb0ES3_S5_NS0_18transform_iteratorINS0_17counting_iteratorImlEEZNS1_24adjacent_difference_implIS3_Lb1ELb0EPxSB_N6thrust23THRUST_200600_302600_NS5minusIxEEEE10hipError_tPvRmT2_T3_mT4_P12ihipStream_tbEUlmE_xEESB_NS0_8identityIvEEEESG_SJ_SK_mSL_SN_bEUlT_E_NS1_11comp_targetILNS1_3genE9ELNS1_11target_archE1100ELNS1_3gpuE3ELNS1_3repE0EEENS1_30default_config_static_selectorELNS0_4arch9wavefront6targetE1EEEvT1_
	.p2align	8
	.type	_ZN7rocprim17ROCPRIM_400000_NS6detail17trampoline_kernelINS0_14default_configENS1_25transform_config_selectorIxLb0EEEZNS1_14transform_implILb0ES3_S5_NS0_18transform_iteratorINS0_17counting_iteratorImlEEZNS1_24adjacent_difference_implIS3_Lb1ELb0EPxSB_N6thrust23THRUST_200600_302600_NS5minusIxEEEE10hipError_tPvRmT2_T3_mT4_P12ihipStream_tbEUlmE_xEESB_NS0_8identityIvEEEESG_SJ_SK_mSL_SN_bEUlT_E_NS1_11comp_targetILNS1_3genE9ELNS1_11target_archE1100ELNS1_3gpuE3ELNS1_3repE0EEENS1_30default_config_static_selectorELNS0_4arch9wavefront6targetE1EEEvT1_,@function
_ZN7rocprim17ROCPRIM_400000_NS6detail17trampoline_kernelINS0_14default_configENS1_25transform_config_selectorIxLb0EEEZNS1_14transform_implILb0ES3_S5_NS0_18transform_iteratorINS0_17counting_iteratorImlEEZNS1_24adjacent_difference_implIS3_Lb1ELb0EPxSB_N6thrust23THRUST_200600_302600_NS5minusIxEEEE10hipError_tPvRmT2_T3_mT4_P12ihipStream_tbEUlmE_xEESB_NS0_8identityIvEEEESG_SJ_SK_mSL_SN_bEUlT_E_NS1_11comp_targetILNS1_3genE9ELNS1_11target_archE1100ELNS1_3gpuE3ELNS1_3repE0EEENS1_30default_config_static_selectorELNS0_4arch9wavefront6targetE1EEEvT1_: ; @_ZN7rocprim17ROCPRIM_400000_NS6detail17trampoline_kernelINS0_14default_configENS1_25transform_config_selectorIxLb0EEEZNS1_14transform_implILb0ES3_S5_NS0_18transform_iteratorINS0_17counting_iteratorImlEEZNS1_24adjacent_difference_implIS3_Lb1ELb0EPxSB_N6thrust23THRUST_200600_302600_NS5minusIxEEEE10hipError_tPvRmT2_T3_mT4_P12ihipStream_tbEUlmE_xEESB_NS0_8identityIvEEEESG_SJ_SK_mSL_SN_bEUlT_E_NS1_11comp_targetILNS1_3genE9ELNS1_11target_archE1100ELNS1_3gpuE3ELNS1_3repE0EEENS1_30default_config_static_selectorELNS0_4arch9wavefront6targetE1EEEvT1_
; %bb.0:
	.section	.rodata,"a",@progbits
	.p2align	6, 0x0
	.amdhsa_kernel _ZN7rocprim17ROCPRIM_400000_NS6detail17trampoline_kernelINS0_14default_configENS1_25transform_config_selectorIxLb0EEEZNS1_14transform_implILb0ES3_S5_NS0_18transform_iteratorINS0_17counting_iteratorImlEEZNS1_24adjacent_difference_implIS3_Lb1ELb0EPxSB_N6thrust23THRUST_200600_302600_NS5minusIxEEEE10hipError_tPvRmT2_T3_mT4_P12ihipStream_tbEUlmE_xEESB_NS0_8identityIvEEEESG_SJ_SK_mSL_SN_bEUlT_E_NS1_11comp_targetILNS1_3genE9ELNS1_11target_archE1100ELNS1_3gpuE3ELNS1_3repE0EEENS1_30default_config_static_selectorELNS0_4arch9wavefront6targetE1EEEvT1_
		.amdhsa_group_segment_fixed_size 0
		.amdhsa_private_segment_fixed_size 0
		.amdhsa_kernarg_size 56
		.amdhsa_user_sgpr_count 6
		.amdhsa_user_sgpr_private_segment_buffer 1
		.amdhsa_user_sgpr_dispatch_ptr 0
		.amdhsa_user_sgpr_queue_ptr 0
		.amdhsa_user_sgpr_kernarg_segment_ptr 1
		.amdhsa_user_sgpr_dispatch_id 0
		.amdhsa_user_sgpr_flat_scratch_init 0
		.amdhsa_user_sgpr_private_segment_size 0
		.amdhsa_uses_dynamic_stack 0
		.amdhsa_system_sgpr_private_segment_wavefront_offset 0
		.amdhsa_system_sgpr_workgroup_id_x 1
		.amdhsa_system_sgpr_workgroup_id_y 0
		.amdhsa_system_sgpr_workgroup_id_z 0
		.amdhsa_system_sgpr_workgroup_info 0
		.amdhsa_system_vgpr_workitem_id 0
		.amdhsa_next_free_vgpr 1
		.amdhsa_next_free_sgpr 0
		.amdhsa_reserve_vcc 0
		.amdhsa_reserve_flat_scratch 0
		.amdhsa_float_round_mode_32 0
		.amdhsa_float_round_mode_16_64 0
		.amdhsa_float_denorm_mode_32 3
		.amdhsa_float_denorm_mode_16_64 3
		.amdhsa_dx10_clamp 1
		.amdhsa_ieee_mode 1
		.amdhsa_fp16_overflow 0
		.amdhsa_exception_fp_ieee_invalid_op 0
		.amdhsa_exception_fp_denorm_src 0
		.amdhsa_exception_fp_ieee_div_zero 0
		.amdhsa_exception_fp_ieee_overflow 0
		.amdhsa_exception_fp_ieee_underflow 0
		.amdhsa_exception_fp_ieee_inexact 0
		.amdhsa_exception_int_div_zero 0
	.end_amdhsa_kernel
	.section	.text._ZN7rocprim17ROCPRIM_400000_NS6detail17trampoline_kernelINS0_14default_configENS1_25transform_config_selectorIxLb0EEEZNS1_14transform_implILb0ES3_S5_NS0_18transform_iteratorINS0_17counting_iteratorImlEEZNS1_24adjacent_difference_implIS3_Lb1ELb0EPxSB_N6thrust23THRUST_200600_302600_NS5minusIxEEEE10hipError_tPvRmT2_T3_mT4_P12ihipStream_tbEUlmE_xEESB_NS0_8identityIvEEEESG_SJ_SK_mSL_SN_bEUlT_E_NS1_11comp_targetILNS1_3genE9ELNS1_11target_archE1100ELNS1_3gpuE3ELNS1_3repE0EEENS1_30default_config_static_selectorELNS0_4arch9wavefront6targetE1EEEvT1_,"axG",@progbits,_ZN7rocprim17ROCPRIM_400000_NS6detail17trampoline_kernelINS0_14default_configENS1_25transform_config_selectorIxLb0EEEZNS1_14transform_implILb0ES3_S5_NS0_18transform_iteratorINS0_17counting_iteratorImlEEZNS1_24adjacent_difference_implIS3_Lb1ELb0EPxSB_N6thrust23THRUST_200600_302600_NS5minusIxEEEE10hipError_tPvRmT2_T3_mT4_P12ihipStream_tbEUlmE_xEESB_NS0_8identityIvEEEESG_SJ_SK_mSL_SN_bEUlT_E_NS1_11comp_targetILNS1_3genE9ELNS1_11target_archE1100ELNS1_3gpuE3ELNS1_3repE0EEENS1_30default_config_static_selectorELNS0_4arch9wavefront6targetE1EEEvT1_,comdat
.Lfunc_end272:
	.size	_ZN7rocprim17ROCPRIM_400000_NS6detail17trampoline_kernelINS0_14default_configENS1_25transform_config_selectorIxLb0EEEZNS1_14transform_implILb0ES3_S5_NS0_18transform_iteratorINS0_17counting_iteratorImlEEZNS1_24adjacent_difference_implIS3_Lb1ELb0EPxSB_N6thrust23THRUST_200600_302600_NS5minusIxEEEE10hipError_tPvRmT2_T3_mT4_P12ihipStream_tbEUlmE_xEESB_NS0_8identityIvEEEESG_SJ_SK_mSL_SN_bEUlT_E_NS1_11comp_targetILNS1_3genE9ELNS1_11target_archE1100ELNS1_3gpuE3ELNS1_3repE0EEENS1_30default_config_static_selectorELNS0_4arch9wavefront6targetE1EEEvT1_, .Lfunc_end272-_ZN7rocprim17ROCPRIM_400000_NS6detail17trampoline_kernelINS0_14default_configENS1_25transform_config_selectorIxLb0EEEZNS1_14transform_implILb0ES3_S5_NS0_18transform_iteratorINS0_17counting_iteratorImlEEZNS1_24adjacent_difference_implIS3_Lb1ELb0EPxSB_N6thrust23THRUST_200600_302600_NS5minusIxEEEE10hipError_tPvRmT2_T3_mT4_P12ihipStream_tbEUlmE_xEESB_NS0_8identityIvEEEESG_SJ_SK_mSL_SN_bEUlT_E_NS1_11comp_targetILNS1_3genE9ELNS1_11target_archE1100ELNS1_3gpuE3ELNS1_3repE0EEENS1_30default_config_static_selectorELNS0_4arch9wavefront6targetE1EEEvT1_
                                        ; -- End function
	.set _ZN7rocprim17ROCPRIM_400000_NS6detail17trampoline_kernelINS0_14default_configENS1_25transform_config_selectorIxLb0EEEZNS1_14transform_implILb0ES3_S5_NS0_18transform_iteratorINS0_17counting_iteratorImlEEZNS1_24adjacent_difference_implIS3_Lb1ELb0EPxSB_N6thrust23THRUST_200600_302600_NS5minusIxEEEE10hipError_tPvRmT2_T3_mT4_P12ihipStream_tbEUlmE_xEESB_NS0_8identityIvEEEESG_SJ_SK_mSL_SN_bEUlT_E_NS1_11comp_targetILNS1_3genE9ELNS1_11target_archE1100ELNS1_3gpuE3ELNS1_3repE0EEENS1_30default_config_static_selectorELNS0_4arch9wavefront6targetE1EEEvT1_.num_vgpr, 0
	.set _ZN7rocprim17ROCPRIM_400000_NS6detail17trampoline_kernelINS0_14default_configENS1_25transform_config_selectorIxLb0EEEZNS1_14transform_implILb0ES3_S5_NS0_18transform_iteratorINS0_17counting_iteratorImlEEZNS1_24adjacent_difference_implIS3_Lb1ELb0EPxSB_N6thrust23THRUST_200600_302600_NS5minusIxEEEE10hipError_tPvRmT2_T3_mT4_P12ihipStream_tbEUlmE_xEESB_NS0_8identityIvEEEESG_SJ_SK_mSL_SN_bEUlT_E_NS1_11comp_targetILNS1_3genE9ELNS1_11target_archE1100ELNS1_3gpuE3ELNS1_3repE0EEENS1_30default_config_static_selectorELNS0_4arch9wavefront6targetE1EEEvT1_.num_agpr, 0
	.set _ZN7rocprim17ROCPRIM_400000_NS6detail17trampoline_kernelINS0_14default_configENS1_25transform_config_selectorIxLb0EEEZNS1_14transform_implILb0ES3_S5_NS0_18transform_iteratorINS0_17counting_iteratorImlEEZNS1_24adjacent_difference_implIS3_Lb1ELb0EPxSB_N6thrust23THRUST_200600_302600_NS5minusIxEEEE10hipError_tPvRmT2_T3_mT4_P12ihipStream_tbEUlmE_xEESB_NS0_8identityIvEEEESG_SJ_SK_mSL_SN_bEUlT_E_NS1_11comp_targetILNS1_3genE9ELNS1_11target_archE1100ELNS1_3gpuE3ELNS1_3repE0EEENS1_30default_config_static_selectorELNS0_4arch9wavefront6targetE1EEEvT1_.numbered_sgpr, 0
	.set _ZN7rocprim17ROCPRIM_400000_NS6detail17trampoline_kernelINS0_14default_configENS1_25transform_config_selectorIxLb0EEEZNS1_14transform_implILb0ES3_S5_NS0_18transform_iteratorINS0_17counting_iteratorImlEEZNS1_24adjacent_difference_implIS3_Lb1ELb0EPxSB_N6thrust23THRUST_200600_302600_NS5minusIxEEEE10hipError_tPvRmT2_T3_mT4_P12ihipStream_tbEUlmE_xEESB_NS0_8identityIvEEEESG_SJ_SK_mSL_SN_bEUlT_E_NS1_11comp_targetILNS1_3genE9ELNS1_11target_archE1100ELNS1_3gpuE3ELNS1_3repE0EEENS1_30default_config_static_selectorELNS0_4arch9wavefront6targetE1EEEvT1_.num_named_barrier, 0
	.set _ZN7rocprim17ROCPRIM_400000_NS6detail17trampoline_kernelINS0_14default_configENS1_25transform_config_selectorIxLb0EEEZNS1_14transform_implILb0ES3_S5_NS0_18transform_iteratorINS0_17counting_iteratorImlEEZNS1_24adjacent_difference_implIS3_Lb1ELb0EPxSB_N6thrust23THRUST_200600_302600_NS5minusIxEEEE10hipError_tPvRmT2_T3_mT4_P12ihipStream_tbEUlmE_xEESB_NS0_8identityIvEEEESG_SJ_SK_mSL_SN_bEUlT_E_NS1_11comp_targetILNS1_3genE9ELNS1_11target_archE1100ELNS1_3gpuE3ELNS1_3repE0EEENS1_30default_config_static_selectorELNS0_4arch9wavefront6targetE1EEEvT1_.private_seg_size, 0
	.set _ZN7rocprim17ROCPRIM_400000_NS6detail17trampoline_kernelINS0_14default_configENS1_25transform_config_selectorIxLb0EEEZNS1_14transform_implILb0ES3_S5_NS0_18transform_iteratorINS0_17counting_iteratorImlEEZNS1_24adjacent_difference_implIS3_Lb1ELb0EPxSB_N6thrust23THRUST_200600_302600_NS5minusIxEEEE10hipError_tPvRmT2_T3_mT4_P12ihipStream_tbEUlmE_xEESB_NS0_8identityIvEEEESG_SJ_SK_mSL_SN_bEUlT_E_NS1_11comp_targetILNS1_3genE9ELNS1_11target_archE1100ELNS1_3gpuE3ELNS1_3repE0EEENS1_30default_config_static_selectorELNS0_4arch9wavefront6targetE1EEEvT1_.uses_vcc, 0
	.set _ZN7rocprim17ROCPRIM_400000_NS6detail17trampoline_kernelINS0_14default_configENS1_25transform_config_selectorIxLb0EEEZNS1_14transform_implILb0ES3_S5_NS0_18transform_iteratorINS0_17counting_iteratorImlEEZNS1_24adjacent_difference_implIS3_Lb1ELb0EPxSB_N6thrust23THRUST_200600_302600_NS5minusIxEEEE10hipError_tPvRmT2_T3_mT4_P12ihipStream_tbEUlmE_xEESB_NS0_8identityIvEEEESG_SJ_SK_mSL_SN_bEUlT_E_NS1_11comp_targetILNS1_3genE9ELNS1_11target_archE1100ELNS1_3gpuE3ELNS1_3repE0EEENS1_30default_config_static_selectorELNS0_4arch9wavefront6targetE1EEEvT1_.uses_flat_scratch, 0
	.set _ZN7rocprim17ROCPRIM_400000_NS6detail17trampoline_kernelINS0_14default_configENS1_25transform_config_selectorIxLb0EEEZNS1_14transform_implILb0ES3_S5_NS0_18transform_iteratorINS0_17counting_iteratorImlEEZNS1_24adjacent_difference_implIS3_Lb1ELb0EPxSB_N6thrust23THRUST_200600_302600_NS5minusIxEEEE10hipError_tPvRmT2_T3_mT4_P12ihipStream_tbEUlmE_xEESB_NS0_8identityIvEEEESG_SJ_SK_mSL_SN_bEUlT_E_NS1_11comp_targetILNS1_3genE9ELNS1_11target_archE1100ELNS1_3gpuE3ELNS1_3repE0EEENS1_30default_config_static_selectorELNS0_4arch9wavefront6targetE1EEEvT1_.has_dyn_sized_stack, 0
	.set _ZN7rocprim17ROCPRIM_400000_NS6detail17trampoline_kernelINS0_14default_configENS1_25transform_config_selectorIxLb0EEEZNS1_14transform_implILb0ES3_S5_NS0_18transform_iteratorINS0_17counting_iteratorImlEEZNS1_24adjacent_difference_implIS3_Lb1ELb0EPxSB_N6thrust23THRUST_200600_302600_NS5minusIxEEEE10hipError_tPvRmT2_T3_mT4_P12ihipStream_tbEUlmE_xEESB_NS0_8identityIvEEEESG_SJ_SK_mSL_SN_bEUlT_E_NS1_11comp_targetILNS1_3genE9ELNS1_11target_archE1100ELNS1_3gpuE3ELNS1_3repE0EEENS1_30default_config_static_selectorELNS0_4arch9wavefront6targetE1EEEvT1_.has_recursion, 0
	.set _ZN7rocprim17ROCPRIM_400000_NS6detail17trampoline_kernelINS0_14default_configENS1_25transform_config_selectorIxLb0EEEZNS1_14transform_implILb0ES3_S5_NS0_18transform_iteratorINS0_17counting_iteratorImlEEZNS1_24adjacent_difference_implIS3_Lb1ELb0EPxSB_N6thrust23THRUST_200600_302600_NS5minusIxEEEE10hipError_tPvRmT2_T3_mT4_P12ihipStream_tbEUlmE_xEESB_NS0_8identityIvEEEESG_SJ_SK_mSL_SN_bEUlT_E_NS1_11comp_targetILNS1_3genE9ELNS1_11target_archE1100ELNS1_3gpuE3ELNS1_3repE0EEENS1_30default_config_static_selectorELNS0_4arch9wavefront6targetE1EEEvT1_.has_indirect_call, 0
	.section	.AMDGPU.csdata,"",@progbits
; Kernel info:
; codeLenInByte = 0
; TotalNumSgprs: 4
; NumVgprs: 0
; ScratchSize: 0
; MemoryBound: 0
; FloatMode: 240
; IeeeMode: 1
; LDSByteSize: 0 bytes/workgroup (compile time only)
; SGPRBlocks: 0
; VGPRBlocks: 0
; NumSGPRsForWavesPerEU: 4
; NumVGPRsForWavesPerEU: 1
; Occupancy: 10
; WaveLimiterHint : 0
; COMPUTE_PGM_RSRC2:SCRATCH_EN: 0
; COMPUTE_PGM_RSRC2:USER_SGPR: 6
; COMPUTE_PGM_RSRC2:TRAP_HANDLER: 0
; COMPUTE_PGM_RSRC2:TGID_X_EN: 1
; COMPUTE_PGM_RSRC2:TGID_Y_EN: 0
; COMPUTE_PGM_RSRC2:TGID_Z_EN: 0
; COMPUTE_PGM_RSRC2:TIDIG_COMP_CNT: 0
	.section	.text._ZN7rocprim17ROCPRIM_400000_NS6detail17trampoline_kernelINS0_14default_configENS1_25transform_config_selectorIxLb0EEEZNS1_14transform_implILb0ES3_S5_NS0_18transform_iteratorINS0_17counting_iteratorImlEEZNS1_24adjacent_difference_implIS3_Lb1ELb0EPxSB_N6thrust23THRUST_200600_302600_NS5minusIxEEEE10hipError_tPvRmT2_T3_mT4_P12ihipStream_tbEUlmE_xEESB_NS0_8identityIvEEEESG_SJ_SK_mSL_SN_bEUlT_E_NS1_11comp_targetILNS1_3genE8ELNS1_11target_archE1030ELNS1_3gpuE2ELNS1_3repE0EEENS1_30default_config_static_selectorELNS0_4arch9wavefront6targetE1EEEvT1_,"axG",@progbits,_ZN7rocprim17ROCPRIM_400000_NS6detail17trampoline_kernelINS0_14default_configENS1_25transform_config_selectorIxLb0EEEZNS1_14transform_implILb0ES3_S5_NS0_18transform_iteratorINS0_17counting_iteratorImlEEZNS1_24adjacent_difference_implIS3_Lb1ELb0EPxSB_N6thrust23THRUST_200600_302600_NS5minusIxEEEE10hipError_tPvRmT2_T3_mT4_P12ihipStream_tbEUlmE_xEESB_NS0_8identityIvEEEESG_SJ_SK_mSL_SN_bEUlT_E_NS1_11comp_targetILNS1_3genE8ELNS1_11target_archE1030ELNS1_3gpuE2ELNS1_3repE0EEENS1_30default_config_static_selectorELNS0_4arch9wavefront6targetE1EEEvT1_,comdat
	.protected	_ZN7rocprim17ROCPRIM_400000_NS6detail17trampoline_kernelINS0_14default_configENS1_25transform_config_selectorIxLb0EEEZNS1_14transform_implILb0ES3_S5_NS0_18transform_iteratorINS0_17counting_iteratorImlEEZNS1_24adjacent_difference_implIS3_Lb1ELb0EPxSB_N6thrust23THRUST_200600_302600_NS5minusIxEEEE10hipError_tPvRmT2_T3_mT4_P12ihipStream_tbEUlmE_xEESB_NS0_8identityIvEEEESG_SJ_SK_mSL_SN_bEUlT_E_NS1_11comp_targetILNS1_3genE8ELNS1_11target_archE1030ELNS1_3gpuE2ELNS1_3repE0EEENS1_30default_config_static_selectorELNS0_4arch9wavefront6targetE1EEEvT1_ ; -- Begin function _ZN7rocprim17ROCPRIM_400000_NS6detail17trampoline_kernelINS0_14default_configENS1_25transform_config_selectorIxLb0EEEZNS1_14transform_implILb0ES3_S5_NS0_18transform_iteratorINS0_17counting_iteratorImlEEZNS1_24adjacent_difference_implIS3_Lb1ELb0EPxSB_N6thrust23THRUST_200600_302600_NS5minusIxEEEE10hipError_tPvRmT2_T3_mT4_P12ihipStream_tbEUlmE_xEESB_NS0_8identityIvEEEESG_SJ_SK_mSL_SN_bEUlT_E_NS1_11comp_targetILNS1_3genE8ELNS1_11target_archE1030ELNS1_3gpuE2ELNS1_3repE0EEENS1_30default_config_static_selectorELNS0_4arch9wavefront6targetE1EEEvT1_
	.globl	_ZN7rocprim17ROCPRIM_400000_NS6detail17trampoline_kernelINS0_14default_configENS1_25transform_config_selectorIxLb0EEEZNS1_14transform_implILb0ES3_S5_NS0_18transform_iteratorINS0_17counting_iteratorImlEEZNS1_24adjacent_difference_implIS3_Lb1ELb0EPxSB_N6thrust23THRUST_200600_302600_NS5minusIxEEEE10hipError_tPvRmT2_T3_mT4_P12ihipStream_tbEUlmE_xEESB_NS0_8identityIvEEEESG_SJ_SK_mSL_SN_bEUlT_E_NS1_11comp_targetILNS1_3genE8ELNS1_11target_archE1030ELNS1_3gpuE2ELNS1_3repE0EEENS1_30default_config_static_selectorELNS0_4arch9wavefront6targetE1EEEvT1_
	.p2align	8
	.type	_ZN7rocprim17ROCPRIM_400000_NS6detail17trampoline_kernelINS0_14default_configENS1_25transform_config_selectorIxLb0EEEZNS1_14transform_implILb0ES3_S5_NS0_18transform_iteratorINS0_17counting_iteratorImlEEZNS1_24adjacent_difference_implIS3_Lb1ELb0EPxSB_N6thrust23THRUST_200600_302600_NS5minusIxEEEE10hipError_tPvRmT2_T3_mT4_P12ihipStream_tbEUlmE_xEESB_NS0_8identityIvEEEESG_SJ_SK_mSL_SN_bEUlT_E_NS1_11comp_targetILNS1_3genE8ELNS1_11target_archE1030ELNS1_3gpuE2ELNS1_3repE0EEENS1_30default_config_static_selectorELNS0_4arch9wavefront6targetE1EEEvT1_,@function
_ZN7rocprim17ROCPRIM_400000_NS6detail17trampoline_kernelINS0_14default_configENS1_25transform_config_selectorIxLb0EEEZNS1_14transform_implILb0ES3_S5_NS0_18transform_iteratorINS0_17counting_iteratorImlEEZNS1_24adjacent_difference_implIS3_Lb1ELb0EPxSB_N6thrust23THRUST_200600_302600_NS5minusIxEEEE10hipError_tPvRmT2_T3_mT4_P12ihipStream_tbEUlmE_xEESB_NS0_8identityIvEEEESG_SJ_SK_mSL_SN_bEUlT_E_NS1_11comp_targetILNS1_3genE8ELNS1_11target_archE1030ELNS1_3gpuE2ELNS1_3repE0EEENS1_30default_config_static_selectorELNS0_4arch9wavefront6targetE1EEEvT1_: ; @_ZN7rocprim17ROCPRIM_400000_NS6detail17trampoline_kernelINS0_14default_configENS1_25transform_config_selectorIxLb0EEEZNS1_14transform_implILb0ES3_S5_NS0_18transform_iteratorINS0_17counting_iteratorImlEEZNS1_24adjacent_difference_implIS3_Lb1ELb0EPxSB_N6thrust23THRUST_200600_302600_NS5minusIxEEEE10hipError_tPvRmT2_T3_mT4_P12ihipStream_tbEUlmE_xEESB_NS0_8identityIvEEEESG_SJ_SK_mSL_SN_bEUlT_E_NS1_11comp_targetILNS1_3genE8ELNS1_11target_archE1030ELNS1_3gpuE2ELNS1_3repE0EEENS1_30default_config_static_selectorELNS0_4arch9wavefront6targetE1EEEvT1_
; %bb.0:
	.section	.rodata,"a",@progbits
	.p2align	6, 0x0
	.amdhsa_kernel _ZN7rocprim17ROCPRIM_400000_NS6detail17trampoline_kernelINS0_14default_configENS1_25transform_config_selectorIxLb0EEEZNS1_14transform_implILb0ES3_S5_NS0_18transform_iteratorINS0_17counting_iteratorImlEEZNS1_24adjacent_difference_implIS3_Lb1ELb0EPxSB_N6thrust23THRUST_200600_302600_NS5minusIxEEEE10hipError_tPvRmT2_T3_mT4_P12ihipStream_tbEUlmE_xEESB_NS0_8identityIvEEEESG_SJ_SK_mSL_SN_bEUlT_E_NS1_11comp_targetILNS1_3genE8ELNS1_11target_archE1030ELNS1_3gpuE2ELNS1_3repE0EEENS1_30default_config_static_selectorELNS0_4arch9wavefront6targetE1EEEvT1_
		.amdhsa_group_segment_fixed_size 0
		.amdhsa_private_segment_fixed_size 0
		.amdhsa_kernarg_size 56
		.amdhsa_user_sgpr_count 6
		.amdhsa_user_sgpr_private_segment_buffer 1
		.amdhsa_user_sgpr_dispatch_ptr 0
		.amdhsa_user_sgpr_queue_ptr 0
		.amdhsa_user_sgpr_kernarg_segment_ptr 1
		.amdhsa_user_sgpr_dispatch_id 0
		.amdhsa_user_sgpr_flat_scratch_init 0
		.amdhsa_user_sgpr_private_segment_size 0
		.amdhsa_uses_dynamic_stack 0
		.amdhsa_system_sgpr_private_segment_wavefront_offset 0
		.amdhsa_system_sgpr_workgroup_id_x 1
		.amdhsa_system_sgpr_workgroup_id_y 0
		.amdhsa_system_sgpr_workgroup_id_z 0
		.amdhsa_system_sgpr_workgroup_info 0
		.amdhsa_system_vgpr_workitem_id 0
		.amdhsa_next_free_vgpr 1
		.amdhsa_next_free_sgpr 0
		.amdhsa_reserve_vcc 0
		.amdhsa_reserve_flat_scratch 0
		.amdhsa_float_round_mode_32 0
		.amdhsa_float_round_mode_16_64 0
		.amdhsa_float_denorm_mode_32 3
		.amdhsa_float_denorm_mode_16_64 3
		.amdhsa_dx10_clamp 1
		.amdhsa_ieee_mode 1
		.amdhsa_fp16_overflow 0
		.amdhsa_exception_fp_ieee_invalid_op 0
		.amdhsa_exception_fp_denorm_src 0
		.amdhsa_exception_fp_ieee_div_zero 0
		.amdhsa_exception_fp_ieee_overflow 0
		.amdhsa_exception_fp_ieee_underflow 0
		.amdhsa_exception_fp_ieee_inexact 0
		.amdhsa_exception_int_div_zero 0
	.end_amdhsa_kernel
	.section	.text._ZN7rocprim17ROCPRIM_400000_NS6detail17trampoline_kernelINS0_14default_configENS1_25transform_config_selectorIxLb0EEEZNS1_14transform_implILb0ES3_S5_NS0_18transform_iteratorINS0_17counting_iteratorImlEEZNS1_24adjacent_difference_implIS3_Lb1ELb0EPxSB_N6thrust23THRUST_200600_302600_NS5minusIxEEEE10hipError_tPvRmT2_T3_mT4_P12ihipStream_tbEUlmE_xEESB_NS0_8identityIvEEEESG_SJ_SK_mSL_SN_bEUlT_E_NS1_11comp_targetILNS1_3genE8ELNS1_11target_archE1030ELNS1_3gpuE2ELNS1_3repE0EEENS1_30default_config_static_selectorELNS0_4arch9wavefront6targetE1EEEvT1_,"axG",@progbits,_ZN7rocprim17ROCPRIM_400000_NS6detail17trampoline_kernelINS0_14default_configENS1_25transform_config_selectorIxLb0EEEZNS1_14transform_implILb0ES3_S5_NS0_18transform_iteratorINS0_17counting_iteratorImlEEZNS1_24adjacent_difference_implIS3_Lb1ELb0EPxSB_N6thrust23THRUST_200600_302600_NS5minusIxEEEE10hipError_tPvRmT2_T3_mT4_P12ihipStream_tbEUlmE_xEESB_NS0_8identityIvEEEESG_SJ_SK_mSL_SN_bEUlT_E_NS1_11comp_targetILNS1_3genE8ELNS1_11target_archE1030ELNS1_3gpuE2ELNS1_3repE0EEENS1_30default_config_static_selectorELNS0_4arch9wavefront6targetE1EEEvT1_,comdat
.Lfunc_end273:
	.size	_ZN7rocprim17ROCPRIM_400000_NS6detail17trampoline_kernelINS0_14default_configENS1_25transform_config_selectorIxLb0EEEZNS1_14transform_implILb0ES3_S5_NS0_18transform_iteratorINS0_17counting_iteratorImlEEZNS1_24adjacent_difference_implIS3_Lb1ELb0EPxSB_N6thrust23THRUST_200600_302600_NS5minusIxEEEE10hipError_tPvRmT2_T3_mT4_P12ihipStream_tbEUlmE_xEESB_NS0_8identityIvEEEESG_SJ_SK_mSL_SN_bEUlT_E_NS1_11comp_targetILNS1_3genE8ELNS1_11target_archE1030ELNS1_3gpuE2ELNS1_3repE0EEENS1_30default_config_static_selectorELNS0_4arch9wavefront6targetE1EEEvT1_, .Lfunc_end273-_ZN7rocprim17ROCPRIM_400000_NS6detail17trampoline_kernelINS0_14default_configENS1_25transform_config_selectorIxLb0EEEZNS1_14transform_implILb0ES3_S5_NS0_18transform_iteratorINS0_17counting_iteratorImlEEZNS1_24adjacent_difference_implIS3_Lb1ELb0EPxSB_N6thrust23THRUST_200600_302600_NS5minusIxEEEE10hipError_tPvRmT2_T3_mT4_P12ihipStream_tbEUlmE_xEESB_NS0_8identityIvEEEESG_SJ_SK_mSL_SN_bEUlT_E_NS1_11comp_targetILNS1_3genE8ELNS1_11target_archE1030ELNS1_3gpuE2ELNS1_3repE0EEENS1_30default_config_static_selectorELNS0_4arch9wavefront6targetE1EEEvT1_
                                        ; -- End function
	.set _ZN7rocprim17ROCPRIM_400000_NS6detail17trampoline_kernelINS0_14default_configENS1_25transform_config_selectorIxLb0EEEZNS1_14transform_implILb0ES3_S5_NS0_18transform_iteratorINS0_17counting_iteratorImlEEZNS1_24adjacent_difference_implIS3_Lb1ELb0EPxSB_N6thrust23THRUST_200600_302600_NS5minusIxEEEE10hipError_tPvRmT2_T3_mT4_P12ihipStream_tbEUlmE_xEESB_NS0_8identityIvEEEESG_SJ_SK_mSL_SN_bEUlT_E_NS1_11comp_targetILNS1_3genE8ELNS1_11target_archE1030ELNS1_3gpuE2ELNS1_3repE0EEENS1_30default_config_static_selectorELNS0_4arch9wavefront6targetE1EEEvT1_.num_vgpr, 0
	.set _ZN7rocprim17ROCPRIM_400000_NS6detail17trampoline_kernelINS0_14default_configENS1_25transform_config_selectorIxLb0EEEZNS1_14transform_implILb0ES3_S5_NS0_18transform_iteratorINS0_17counting_iteratorImlEEZNS1_24adjacent_difference_implIS3_Lb1ELb0EPxSB_N6thrust23THRUST_200600_302600_NS5minusIxEEEE10hipError_tPvRmT2_T3_mT4_P12ihipStream_tbEUlmE_xEESB_NS0_8identityIvEEEESG_SJ_SK_mSL_SN_bEUlT_E_NS1_11comp_targetILNS1_3genE8ELNS1_11target_archE1030ELNS1_3gpuE2ELNS1_3repE0EEENS1_30default_config_static_selectorELNS0_4arch9wavefront6targetE1EEEvT1_.num_agpr, 0
	.set _ZN7rocprim17ROCPRIM_400000_NS6detail17trampoline_kernelINS0_14default_configENS1_25transform_config_selectorIxLb0EEEZNS1_14transform_implILb0ES3_S5_NS0_18transform_iteratorINS0_17counting_iteratorImlEEZNS1_24adjacent_difference_implIS3_Lb1ELb0EPxSB_N6thrust23THRUST_200600_302600_NS5minusIxEEEE10hipError_tPvRmT2_T3_mT4_P12ihipStream_tbEUlmE_xEESB_NS0_8identityIvEEEESG_SJ_SK_mSL_SN_bEUlT_E_NS1_11comp_targetILNS1_3genE8ELNS1_11target_archE1030ELNS1_3gpuE2ELNS1_3repE0EEENS1_30default_config_static_selectorELNS0_4arch9wavefront6targetE1EEEvT1_.numbered_sgpr, 0
	.set _ZN7rocprim17ROCPRIM_400000_NS6detail17trampoline_kernelINS0_14default_configENS1_25transform_config_selectorIxLb0EEEZNS1_14transform_implILb0ES3_S5_NS0_18transform_iteratorINS0_17counting_iteratorImlEEZNS1_24adjacent_difference_implIS3_Lb1ELb0EPxSB_N6thrust23THRUST_200600_302600_NS5minusIxEEEE10hipError_tPvRmT2_T3_mT4_P12ihipStream_tbEUlmE_xEESB_NS0_8identityIvEEEESG_SJ_SK_mSL_SN_bEUlT_E_NS1_11comp_targetILNS1_3genE8ELNS1_11target_archE1030ELNS1_3gpuE2ELNS1_3repE0EEENS1_30default_config_static_selectorELNS0_4arch9wavefront6targetE1EEEvT1_.num_named_barrier, 0
	.set _ZN7rocprim17ROCPRIM_400000_NS6detail17trampoline_kernelINS0_14default_configENS1_25transform_config_selectorIxLb0EEEZNS1_14transform_implILb0ES3_S5_NS0_18transform_iteratorINS0_17counting_iteratorImlEEZNS1_24adjacent_difference_implIS3_Lb1ELb0EPxSB_N6thrust23THRUST_200600_302600_NS5minusIxEEEE10hipError_tPvRmT2_T3_mT4_P12ihipStream_tbEUlmE_xEESB_NS0_8identityIvEEEESG_SJ_SK_mSL_SN_bEUlT_E_NS1_11comp_targetILNS1_3genE8ELNS1_11target_archE1030ELNS1_3gpuE2ELNS1_3repE0EEENS1_30default_config_static_selectorELNS0_4arch9wavefront6targetE1EEEvT1_.private_seg_size, 0
	.set _ZN7rocprim17ROCPRIM_400000_NS6detail17trampoline_kernelINS0_14default_configENS1_25transform_config_selectorIxLb0EEEZNS1_14transform_implILb0ES3_S5_NS0_18transform_iteratorINS0_17counting_iteratorImlEEZNS1_24adjacent_difference_implIS3_Lb1ELb0EPxSB_N6thrust23THRUST_200600_302600_NS5minusIxEEEE10hipError_tPvRmT2_T3_mT4_P12ihipStream_tbEUlmE_xEESB_NS0_8identityIvEEEESG_SJ_SK_mSL_SN_bEUlT_E_NS1_11comp_targetILNS1_3genE8ELNS1_11target_archE1030ELNS1_3gpuE2ELNS1_3repE0EEENS1_30default_config_static_selectorELNS0_4arch9wavefront6targetE1EEEvT1_.uses_vcc, 0
	.set _ZN7rocprim17ROCPRIM_400000_NS6detail17trampoline_kernelINS0_14default_configENS1_25transform_config_selectorIxLb0EEEZNS1_14transform_implILb0ES3_S5_NS0_18transform_iteratorINS0_17counting_iteratorImlEEZNS1_24adjacent_difference_implIS3_Lb1ELb0EPxSB_N6thrust23THRUST_200600_302600_NS5minusIxEEEE10hipError_tPvRmT2_T3_mT4_P12ihipStream_tbEUlmE_xEESB_NS0_8identityIvEEEESG_SJ_SK_mSL_SN_bEUlT_E_NS1_11comp_targetILNS1_3genE8ELNS1_11target_archE1030ELNS1_3gpuE2ELNS1_3repE0EEENS1_30default_config_static_selectorELNS0_4arch9wavefront6targetE1EEEvT1_.uses_flat_scratch, 0
	.set _ZN7rocprim17ROCPRIM_400000_NS6detail17trampoline_kernelINS0_14default_configENS1_25transform_config_selectorIxLb0EEEZNS1_14transform_implILb0ES3_S5_NS0_18transform_iteratorINS0_17counting_iteratorImlEEZNS1_24adjacent_difference_implIS3_Lb1ELb0EPxSB_N6thrust23THRUST_200600_302600_NS5minusIxEEEE10hipError_tPvRmT2_T3_mT4_P12ihipStream_tbEUlmE_xEESB_NS0_8identityIvEEEESG_SJ_SK_mSL_SN_bEUlT_E_NS1_11comp_targetILNS1_3genE8ELNS1_11target_archE1030ELNS1_3gpuE2ELNS1_3repE0EEENS1_30default_config_static_selectorELNS0_4arch9wavefront6targetE1EEEvT1_.has_dyn_sized_stack, 0
	.set _ZN7rocprim17ROCPRIM_400000_NS6detail17trampoline_kernelINS0_14default_configENS1_25transform_config_selectorIxLb0EEEZNS1_14transform_implILb0ES3_S5_NS0_18transform_iteratorINS0_17counting_iteratorImlEEZNS1_24adjacent_difference_implIS3_Lb1ELb0EPxSB_N6thrust23THRUST_200600_302600_NS5minusIxEEEE10hipError_tPvRmT2_T3_mT4_P12ihipStream_tbEUlmE_xEESB_NS0_8identityIvEEEESG_SJ_SK_mSL_SN_bEUlT_E_NS1_11comp_targetILNS1_3genE8ELNS1_11target_archE1030ELNS1_3gpuE2ELNS1_3repE0EEENS1_30default_config_static_selectorELNS0_4arch9wavefront6targetE1EEEvT1_.has_recursion, 0
	.set _ZN7rocprim17ROCPRIM_400000_NS6detail17trampoline_kernelINS0_14default_configENS1_25transform_config_selectorIxLb0EEEZNS1_14transform_implILb0ES3_S5_NS0_18transform_iteratorINS0_17counting_iteratorImlEEZNS1_24adjacent_difference_implIS3_Lb1ELb0EPxSB_N6thrust23THRUST_200600_302600_NS5minusIxEEEE10hipError_tPvRmT2_T3_mT4_P12ihipStream_tbEUlmE_xEESB_NS0_8identityIvEEEESG_SJ_SK_mSL_SN_bEUlT_E_NS1_11comp_targetILNS1_3genE8ELNS1_11target_archE1030ELNS1_3gpuE2ELNS1_3repE0EEENS1_30default_config_static_selectorELNS0_4arch9wavefront6targetE1EEEvT1_.has_indirect_call, 0
	.section	.AMDGPU.csdata,"",@progbits
; Kernel info:
; codeLenInByte = 0
; TotalNumSgprs: 4
; NumVgprs: 0
; ScratchSize: 0
; MemoryBound: 0
; FloatMode: 240
; IeeeMode: 1
; LDSByteSize: 0 bytes/workgroup (compile time only)
; SGPRBlocks: 0
; VGPRBlocks: 0
; NumSGPRsForWavesPerEU: 4
; NumVGPRsForWavesPerEU: 1
; Occupancy: 10
; WaveLimiterHint : 0
; COMPUTE_PGM_RSRC2:SCRATCH_EN: 0
; COMPUTE_PGM_RSRC2:USER_SGPR: 6
; COMPUTE_PGM_RSRC2:TRAP_HANDLER: 0
; COMPUTE_PGM_RSRC2:TGID_X_EN: 1
; COMPUTE_PGM_RSRC2:TGID_Y_EN: 0
; COMPUTE_PGM_RSRC2:TGID_Z_EN: 0
; COMPUTE_PGM_RSRC2:TIDIG_COMP_CNT: 0
	.section	.text._ZN7rocprim17ROCPRIM_400000_NS6detail17trampoline_kernelINS0_14default_configENS1_35adjacent_difference_config_selectorILb1ExEEZNS1_24adjacent_difference_implIS3_Lb1ELb0EPxS7_N6thrust23THRUST_200600_302600_NS5minusIxEEEE10hipError_tPvRmT2_T3_mT4_P12ihipStream_tbEUlT_E_NS1_11comp_targetILNS1_3genE0ELNS1_11target_archE4294967295ELNS1_3gpuE0ELNS1_3repE0EEENS1_30default_config_static_selectorELNS0_4arch9wavefront6targetE1EEEvT1_,"axG",@progbits,_ZN7rocprim17ROCPRIM_400000_NS6detail17trampoline_kernelINS0_14default_configENS1_35adjacent_difference_config_selectorILb1ExEEZNS1_24adjacent_difference_implIS3_Lb1ELb0EPxS7_N6thrust23THRUST_200600_302600_NS5minusIxEEEE10hipError_tPvRmT2_T3_mT4_P12ihipStream_tbEUlT_E_NS1_11comp_targetILNS1_3genE0ELNS1_11target_archE4294967295ELNS1_3gpuE0ELNS1_3repE0EEENS1_30default_config_static_selectorELNS0_4arch9wavefront6targetE1EEEvT1_,comdat
	.protected	_ZN7rocprim17ROCPRIM_400000_NS6detail17trampoline_kernelINS0_14default_configENS1_35adjacent_difference_config_selectorILb1ExEEZNS1_24adjacent_difference_implIS3_Lb1ELb0EPxS7_N6thrust23THRUST_200600_302600_NS5minusIxEEEE10hipError_tPvRmT2_T3_mT4_P12ihipStream_tbEUlT_E_NS1_11comp_targetILNS1_3genE0ELNS1_11target_archE4294967295ELNS1_3gpuE0ELNS1_3repE0EEENS1_30default_config_static_selectorELNS0_4arch9wavefront6targetE1EEEvT1_ ; -- Begin function _ZN7rocprim17ROCPRIM_400000_NS6detail17trampoline_kernelINS0_14default_configENS1_35adjacent_difference_config_selectorILb1ExEEZNS1_24adjacent_difference_implIS3_Lb1ELb0EPxS7_N6thrust23THRUST_200600_302600_NS5minusIxEEEE10hipError_tPvRmT2_T3_mT4_P12ihipStream_tbEUlT_E_NS1_11comp_targetILNS1_3genE0ELNS1_11target_archE4294967295ELNS1_3gpuE0ELNS1_3repE0EEENS1_30default_config_static_selectorELNS0_4arch9wavefront6targetE1EEEvT1_
	.globl	_ZN7rocprim17ROCPRIM_400000_NS6detail17trampoline_kernelINS0_14default_configENS1_35adjacent_difference_config_selectorILb1ExEEZNS1_24adjacent_difference_implIS3_Lb1ELb0EPxS7_N6thrust23THRUST_200600_302600_NS5minusIxEEEE10hipError_tPvRmT2_T3_mT4_P12ihipStream_tbEUlT_E_NS1_11comp_targetILNS1_3genE0ELNS1_11target_archE4294967295ELNS1_3gpuE0ELNS1_3repE0EEENS1_30default_config_static_selectorELNS0_4arch9wavefront6targetE1EEEvT1_
	.p2align	8
	.type	_ZN7rocprim17ROCPRIM_400000_NS6detail17trampoline_kernelINS0_14default_configENS1_35adjacent_difference_config_selectorILb1ExEEZNS1_24adjacent_difference_implIS3_Lb1ELb0EPxS7_N6thrust23THRUST_200600_302600_NS5minusIxEEEE10hipError_tPvRmT2_T3_mT4_P12ihipStream_tbEUlT_E_NS1_11comp_targetILNS1_3genE0ELNS1_11target_archE4294967295ELNS1_3gpuE0ELNS1_3repE0EEENS1_30default_config_static_selectorELNS0_4arch9wavefront6targetE1EEEvT1_,@function
_ZN7rocprim17ROCPRIM_400000_NS6detail17trampoline_kernelINS0_14default_configENS1_35adjacent_difference_config_selectorILb1ExEEZNS1_24adjacent_difference_implIS3_Lb1ELb0EPxS7_N6thrust23THRUST_200600_302600_NS5minusIxEEEE10hipError_tPvRmT2_T3_mT4_P12ihipStream_tbEUlT_E_NS1_11comp_targetILNS1_3genE0ELNS1_11target_archE4294967295ELNS1_3gpuE0ELNS1_3repE0EEENS1_30default_config_static_selectorELNS0_4arch9wavefront6targetE1EEEvT1_: ; @_ZN7rocprim17ROCPRIM_400000_NS6detail17trampoline_kernelINS0_14default_configENS1_35adjacent_difference_config_selectorILb1ExEEZNS1_24adjacent_difference_implIS3_Lb1ELb0EPxS7_N6thrust23THRUST_200600_302600_NS5minusIxEEEE10hipError_tPvRmT2_T3_mT4_P12ihipStream_tbEUlT_E_NS1_11comp_targetILNS1_3genE0ELNS1_11target_archE4294967295ELNS1_3gpuE0ELNS1_3repE0EEENS1_30default_config_static_selectorELNS0_4arch9wavefront6targetE1EEEvT1_
; %bb.0:
	.section	.rodata,"a",@progbits
	.p2align	6, 0x0
	.amdhsa_kernel _ZN7rocprim17ROCPRIM_400000_NS6detail17trampoline_kernelINS0_14default_configENS1_35adjacent_difference_config_selectorILb1ExEEZNS1_24adjacent_difference_implIS3_Lb1ELb0EPxS7_N6thrust23THRUST_200600_302600_NS5minusIxEEEE10hipError_tPvRmT2_T3_mT4_P12ihipStream_tbEUlT_E_NS1_11comp_targetILNS1_3genE0ELNS1_11target_archE4294967295ELNS1_3gpuE0ELNS1_3repE0EEENS1_30default_config_static_selectorELNS0_4arch9wavefront6targetE1EEEvT1_
		.amdhsa_group_segment_fixed_size 0
		.amdhsa_private_segment_fixed_size 0
		.amdhsa_kernarg_size 56
		.amdhsa_user_sgpr_count 6
		.amdhsa_user_sgpr_private_segment_buffer 1
		.amdhsa_user_sgpr_dispatch_ptr 0
		.amdhsa_user_sgpr_queue_ptr 0
		.amdhsa_user_sgpr_kernarg_segment_ptr 1
		.amdhsa_user_sgpr_dispatch_id 0
		.amdhsa_user_sgpr_flat_scratch_init 0
		.amdhsa_user_sgpr_private_segment_size 0
		.amdhsa_uses_dynamic_stack 0
		.amdhsa_system_sgpr_private_segment_wavefront_offset 0
		.amdhsa_system_sgpr_workgroup_id_x 1
		.amdhsa_system_sgpr_workgroup_id_y 0
		.amdhsa_system_sgpr_workgroup_id_z 0
		.amdhsa_system_sgpr_workgroup_info 0
		.amdhsa_system_vgpr_workitem_id 0
		.amdhsa_next_free_vgpr 1
		.amdhsa_next_free_sgpr 0
		.amdhsa_reserve_vcc 0
		.amdhsa_reserve_flat_scratch 0
		.amdhsa_float_round_mode_32 0
		.amdhsa_float_round_mode_16_64 0
		.amdhsa_float_denorm_mode_32 3
		.amdhsa_float_denorm_mode_16_64 3
		.amdhsa_dx10_clamp 1
		.amdhsa_ieee_mode 1
		.amdhsa_fp16_overflow 0
		.amdhsa_exception_fp_ieee_invalid_op 0
		.amdhsa_exception_fp_denorm_src 0
		.amdhsa_exception_fp_ieee_div_zero 0
		.amdhsa_exception_fp_ieee_overflow 0
		.amdhsa_exception_fp_ieee_underflow 0
		.amdhsa_exception_fp_ieee_inexact 0
		.amdhsa_exception_int_div_zero 0
	.end_amdhsa_kernel
	.section	.text._ZN7rocprim17ROCPRIM_400000_NS6detail17trampoline_kernelINS0_14default_configENS1_35adjacent_difference_config_selectorILb1ExEEZNS1_24adjacent_difference_implIS3_Lb1ELb0EPxS7_N6thrust23THRUST_200600_302600_NS5minusIxEEEE10hipError_tPvRmT2_T3_mT4_P12ihipStream_tbEUlT_E_NS1_11comp_targetILNS1_3genE0ELNS1_11target_archE4294967295ELNS1_3gpuE0ELNS1_3repE0EEENS1_30default_config_static_selectorELNS0_4arch9wavefront6targetE1EEEvT1_,"axG",@progbits,_ZN7rocprim17ROCPRIM_400000_NS6detail17trampoline_kernelINS0_14default_configENS1_35adjacent_difference_config_selectorILb1ExEEZNS1_24adjacent_difference_implIS3_Lb1ELb0EPxS7_N6thrust23THRUST_200600_302600_NS5minusIxEEEE10hipError_tPvRmT2_T3_mT4_P12ihipStream_tbEUlT_E_NS1_11comp_targetILNS1_3genE0ELNS1_11target_archE4294967295ELNS1_3gpuE0ELNS1_3repE0EEENS1_30default_config_static_selectorELNS0_4arch9wavefront6targetE1EEEvT1_,comdat
.Lfunc_end274:
	.size	_ZN7rocprim17ROCPRIM_400000_NS6detail17trampoline_kernelINS0_14default_configENS1_35adjacent_difference_config_selectorILb1ExEEZNS1_24adjacent_difference_implIS3_Lb1ELb0EPxS7_N6thrust23THRUST_200600_302600_NS5minusIxEEEE10hipError_tPvRmT2_T3_mT4_P12ihipStream_tbEUlT_E_NS1_11comp_targetILNS1_3genE0ELNS1_11target_archE4294967295ELNS1_3gpuE0ELNS1_3repE0EEENS1_30default_config_static_selectorELNS0_4arch9wavefront6targetE1EEEvT1_, .Lfunc_end274-_ZN7rocprim17ROCPRIM_400000_NS6detail17trampoline_kernelINS0_14default_configENS1_35adjacent_difference_config_selectorILb1ExEEZNS1_24adjacent_difference_implIS3_Lb1ELb0EPxS7_N6thrust23THRUST_200600_302600_NS5minusIxEEEE10hipError_tPvRmT2_T3_mT4_P12ihipStream_tbEUlT_E_NS1_11comp_targetILNS1_3genE0ELNS1_11target_archE4294967295ELNS1_3gpuE0ELNS1_3repE0EEENS1_30default_config_static_selectorELNS0_4arch9wavefront6targetE1EEEvT1_
                                        ; -- End function
	.set _ZN7rocprim17ROCPRIM_400000_NS6detail17trampoline_kernelINS0_14default_configENS1_35adjacent_difference_config_selectorILb1ExEEZNS1_24adjacent_difference_implIS3_Lb1ELb0EPxS7_N6thrust23THRUST_200600_302600_NS5minusIxEEEE10hipError_tPvRmT2_T3_mT4_P12ihipStream_tbEUlT_E_NS1_11comp_targetILNS1_3genE0ELNS1_11target_archE4294967295ELNS1_3gpuE0ELNS1_3repE0EEENS1_30default_config_static_selectorELNS0_4arch9wavefront6targetE1EEEvT1_.num_vgpr, 0
	.set _ZN7rocprim17ROCPRIM_400000_NS6detail17trampoline_kernelINS0_14default_configENS1_35adjacent_difference_config_selectorILb1ExEEZNS1_24adjacent_difference_implIS3_Lb1ELb0EPxS7_N6thrust23THRUST_200600_302600_NS5minusIxEEEE10hipError_tPvRmT2_T3_mT4_P12ihipStream_tbEUlT_E_NS1_11comp_targetILNS1_3genE0ELNS1_11target_archE4294967295ELNS1_3gpuE0ELNS1_3repE0EEENS1_30default_config_static_selectorELNS0_4arch9wavefront6targetE1EEEvT1_.num_agpr, 0
	.set _ZN7rocprim17ROCPRIM_400000_NS6detail17trampoline_kernelINS0_14default_configENS1_35adjacent_difference_config_selectorILb1ExEEZNS1_24adjacent_difference_implIS3_Lb1ELb0EPxS7_N6thrust23THRUST_200600_302600_NS5minusIxEEEE10hipError_tPvRmT2_T3_mT4_P12ihipStream_tbEUlT_E_NS1_11comp_targetILNS1_3genE0ELNS1_11target_archE4294967295ELNS1_3gpuE0ELNS1_3repE0EEENS1_30default_config_static_selectorELNS0_4arch9wavefront6targetE1EEEvT1_.numbered_sgpr, 0
	.set _ZN7rocprim17ROCPRIM_400000_NS6detail17trampoline_kernelINS0_14default_configENS1_35adjacent_difference_config_selectorILb1ExEEZNS1_24adjacent_difference_implIS3_Lb1ELb0EPxS7_N6thrust23THRUST_200600_302600_NS5minusIxEEEE10hipError_tPvRmT2_T3_mT4_P12ihipStream_tbEUlT_E_NS1_11comp_targetILNS1_3genE0ELNS1_11target_archE4294967295ELNS1_3gpuE0ELNS1_3repE0EEENS1_30default_config_static_selectorELNS0_4arch9wavefront6targetE1EEEvT1_.num_named_barrier, 0
	.set _ZN7rocprim17ROCPRIM_400000_NS6detail17trampoline_kernelINS0_14default_configENS1_35adjacent_difference_config_selectorILb1ExEEZNS1_24adjacent_difference_implIS3_Lb1ELb0EPxS7_N6thrust23THRUST_200600_302600_NS5minusIxEEEE10hipError_tPvRmT2_T3_mT4_P12ihipStream_tbEUlT_E_NS1_11comp_targetILNS1_3genE0ELNS1_11target_archE4294967295ELNS1_3gpuE0ELNS1_3repE0EEENS1_30default_config_static_selectorELNS0_4arch9wavefront6targetE1EEEvT1_.private_seg_size, 0
	.set _ZN7rocprim17ROCPRIM_400000_NS6detail17trampoline_kernelINS0_14default_configENS1_35adjacent_difference_config_selectorILb1ExEEZNS1_24adjacent_difference_implIS3_Lb1ELb0EPxS7_N6thrust23THRUST_200600_302600_NS5minusIxEEEE10hipError_tPvRmT2_T3_mT4_P12ihipStream_tbEUlT_E_NS1_11comp_targetILNS1_3genE0ELNS1_11target_archE4294967295ELNS1_3gpuE0ELNS1_3repE0EEENS1_30default_config_static_selectorELNS0_4arch9wavefront6targetE1EEEvT1_.uses_vcc, 0
	.set _ZN7rocprim17ROCPRIM_400000_NS6detail17trampoline_kernelINS0_14default_configENS1_35adjacent_difference_config_selectorILb1ExEEZNS1_24adjacent_difference_implIS3_Lb1ELb0EPxS7_N6thrust23THRUST_200600_302600_NS5minusIxEEEE10hipError_tPvRmT2_T3_mT4_P12ihipStream_tbEUlT_E_NS1_11comp_targetILNS1_3genE0ELNS1_11target_archE4294967295ELNS1_3gpuE0ELNS1_3repE0EEENS1_30default_config_static_selectorELNS0_4arch9wavefront6targetE1EEEvT1_.uses_flat_scratch, 0
	.set _ZN7rocprim17ROCPRIM_400000_NS6detail17trampoline_kernelINS0_14default_configENS1_35adjacent_difference_config_selectorILb1ExEEZNS1_24adjacent_difference_implIS3_Lb1ELb0EPxS7_N6thrust23THRUST_200600_302600_NS5minusIxEEEE10hipError_tPvRmT2_T3_mT4_P12ihipStream_tbEUlT_E_NS1_11comp_targetILNS1_3genE0ELNS1_11target_archE4294967295ELNS1_3gpuE0ELNS1_3repE0EEENS1_30default_config_static_selectorELNS0_4arch9wavefront6targetE1EEEvT1_.has_dyn_sized_stack, 0
	.set _ZN7rocprim17ROCPRIM_400000_NS6detail17trampoline_kernelINS0_14default_configENS1_35adjacent_difference_config_selectorILb1ExEEZNS1_24adjacent_difference_implIS3_Lb1ELb0EPxS7_N6thrust23THRUST_200600_302600_NS5minusIxEEEE10hipError_tPvRmT2_T3_mT4_P12ihipStream_tbEUlT_E_NS1_11comp_targetILNS1_3genE0ELNS1_11target_archE4294967295ELNS1_3gpuE0ELNS1_3repE0EEENS1_30default_config_static_selectorELNS0_4arch9wavefront6targetE1EEEvT1_.has_recursion, 0
	.set _ZN7rocprim17ROCPRIM_400000_NS6detail17trampoline_kernelINS0_14default_configENS1_35adjacent_difference_config_selectorILb1ExEEZNS1_24adjacent_difference_implIS3_Lb1ELb0EPxS7_N6thrust23THRUST_200600_302600_NS5minusIxEEEE10hipError_tPvRmT2_T3_mT4_P12ihipStream_tbEUlT_E_NS1_11comp_targetILNS1_3genE0ELNS1_11target_archE4294967295ELNS1_3gpuE0ELNS1_3repE0EEENS1_30default_config_static_selectorELNS0_4arch9wavefront6targetE1EEEvT1_.has_indirect_call, 0
	.section	.AMDGPU.csdata,"",@progbits
; Kernel info:
; codeLenInByte = 0
; TotalNumSgprs: 4
; NumVgprs: 0
; ScratchSize: 0
; MemoryBound: 0
; FloatMode: 240
; IeeeMode: 1
; LDSByteSize: 0 bytes/workgroup (compile time only)
; SGPRBlocks: 0
; VGPRBlocks: 0
; NumSGPRsForWavesPerEU: 4
; NumVGPRsForWavesPerEU: 1
; Occupancy: 10
; WaveLimiterHint : 0
; COMPUTE_PGM_RSRC2:SCRATCH_EN: 0
; COMPUTE_PGM_RSRC2:USER_SGPR: 6
; COMPUTE_PGM_RSRC2:TRAP_HANDLER: 0
; COMPUTE_PGM_RSRC2:TGID_X_EN: 1
; COMPUTE_PGM_RSRC2:TGID_Y_EN: 0
; COMPUTE_PGM_RSRC2:TGID_Z_EN: 0
; COMPUTE_PGM_RSRC2:TIDIG_COMP_CNT: 0
	.section	.text._ZN7rocprim17ROCPRIM_400000_NS6detail17trampoline_kernelINS0_14default_configENS1_35adjacent_difference_config_selectorILb1ExEEZNS1_24adjacent_difference_implIS3_Lb1ELb0EPxS7_N6thrust23THRUST_200600_302600_NS5minusIxEEEE10hipError_tPvRmT2_T3_mT4_P12ihipStream_tbEUlT_E_NS1_11comp_targetILNS1_3genE10ELNS1_11target_archE1201ELNS1_3gpuE5ELNS1_3repE0EEENS1_30default_config_static_selectorELNS0_4arch9wavefront6targetE1EEEvT1_,"axG",@progbits,_ZN7rocprim17ROCPRIM_400000_NS6detail17trampoline_kernelINS0_14default_configENS1_35adjacent_difference_config_selectorILb1ExEEZNS1_24adjacent_difference_implIS3_Lb1ELb0EPxS7_N6thrust23THRUST_200600_302600_NS5minusIxEEEE10hipError_tPvRmT2_T3_mT4_P12ihipStream_tbEUlT_E_NS1_11comp_targetILNS1_3genE10ELNS1_11target_archE1201ELNS1_3gpuE5ELNS1_3repE0EEENS1_30default_config_static_selectorELNS0_4arch9wavefront6targetE1EEEvT1_,comdat
	.protected	_ZN7rocprim17ROCPRIM_400000_NS6detail17trampoline_kernelINS0_14default_configENS1_35adjacent_difference_config_selectorILb1ExEEZNS1_24adjacent_difference_implIS3_Lb1ELb0EPxS7_N6thrust23THRUST_200600_302600_NS5minusIxEEEE10hipError_tPvRmT2_T3_mT4_P12ihipStream_tbEUlT_E_NS1_11comp_targetILNS1_3genE10ELNS1_11target_archE1201ELNS1_3gpuE5ELNS1_3repE0EEENS1_30default_config_static_selectorELNS0_4arch9wavefront6targetE1EEEvT1_ ; -- Begin function _ZN7rocprim17ROCPRIM_400000_NS6detail17trampoline_kernelINS0_14default_configENS1_35adjacent_difference_config_selectorILb1ExEEZNS1_24adjacent_difference_implIS3_Lb1ELb0EPxS7_N6thrust23THRUST_200600_302600_NS5minusIxEEEE10hipError_tPvRmT2_T3_mT4_P12ihipStream_tbEUlT_E_NS1_11comp_targetILNS1_3genE10ELNS1_11target_archE1201ELNS1_3gpuE5ELNS1_3repE0EEENS1_30default_config_static_selectorELNS0_4arch9wavefront6targetE1EEEvT1_
	.globl	_ZN7rocprim17ROCPRIM_400000_NS6detail17trampoline_kernelINS0_14default_configENS1_35adjacent_difference_config_selectorILb1ExEEZNS1_24adjacent_difference_implIS3_Lb1ELb0EPxS7_N6thrust23THRUST_200600_302600_NS5minusIxEEEE10hipError_tPvRmT2_T3_mT4_P12ihipStream_tbEUlT_E_NS1_11comp_targetILNS1_3genE10ELNS1_11target_archE1201ELNS1_3gpuE5ELNS1_3repE0EEENS1_30default_config_static_selectorELNS0_4arch9wavefront6targetE1EEEvT1_
	.p2align	8
	.type	_ZN7rocprim17ROCPRIM_400000_NS6detail17trampoline_kernelINS0_14default_configENS1_35adjacent_difference_config_selectorILb1ExEEZNS1_24adjacent_difference_implIS3_Lb1ELb0EPxS7_N6thrust23THRUST_200600_302600_NS5minusIxEEEE10hipError_tPvRmT2_T3_mT4_P12ihipStream_tbEUlT_E_NS1_11comp_targetILNS1_3genE10ELNS1_11target_archE1201ELNS1_3gpuE5ELNS1_3repE0EEENS1_30default_config_static_selectorELNS0_4arch9wavefront6targetE1EEEvT1_,@function
_ZN7rocprim17ROCPRIM_400000_NS6detail17trampoline_kernelINS0_14default_configENS1_35adjacent_difference_config_selectorILb1ExEEZNS1_24adjacent_difference_implIS3_Lb1ELb0EPxS7_N6thrust23THRUST_200600_302600_NS5minusIxEEEE10hipError_tPvRmT2_T3_mT4_P12ihipStream_tbEUlT_E_NS1_11comp_targetILNS1_3genE10ELNS1_11target_archE1201ELNS1_3gpuE5ELNS1_3repE0EEENS1_30default_config_static_selectorELNS0_4arch9wavefront6targetE1EEEvT1_: ; @_ZN7rocprim17ROCPRIM_400000_NS6detail17trampoline_kernelINS0_14default_configENS1_35adjacent_difference_config_selectorILb1ExEEZNS1_24adjacent_difference_implIS3_Lb1ELb0EPxS7_N6thrust23THRUST_200600_302600_NS5minusIxEEEE10hipError_tPvRmT2_T3_mT4_P12ihipStream_tbEUlT_E_NS1_11comp_targetILNS1_3genE10ELNS1_11target_archE1201ELNS1_3gpuE5ELNS1_3repE0EEENS1_30default_config_static_selectorELNS0_4arch9wavefront6targetE1EEEvT1_
; %bb.0:
	.section	.rodata,"a",@progbits
	.p2align	6, 0x0
	.amdhsa_kernel _ZN7rocprim17ROCPRIM_400000_NS6detail17trampoline_kernelINS0_14default_configENS1_35adjacent_difference_config_selectorILb1ExEEZNS1_24adjacent_difference_implIS3_Lb1ELb0EPxS7_N6thrust23THRUST_200600_302600_NS5minusIxEEEE10hipError_tPvRmT2_T3_mT4_P12ihipStream_tbEUlT_E_NS1_11comp_targetILNS1_3genE10ELNS1_11target_archE1201ELNS1_3gpuE5ELNS1_3repE0EEENS1_30default_config_static_selectorELNS0_4arch9wavefront6targetE1EEEvT1_
		.amdhsa_group_segment_fixed_size 0
		.amdhsa_private_segment_fixed_size 0
		.amdhsa_kernarg_size 56
		.amdhsa_user_sgpr_count 6
		.amdhsa_user_sgpr_private_segment_buffer 1
		.amdhsa_user_sgpr_dispatch_ptr 0
		.amdhsa_user_sgpr_queue_ptr 0
		.amdhsa_user_sgpr_kernarg_segment_ptr 1
		.amdhsa_user_sgpr_dispatch_id 0
		.amdhsa_user_sgpr_flat_scratch_init 0
		.amdhsa_user_sgpr_private_segment_size 0
		.amdhsa_uses_dynamic_stack 0
		.amdhsa_system_sgpr_private_segment_wavefront_offset 0
		.amdhsa_system_sgpr_workgroup_id_x 1
		.amdhsa_system_sgpr_workgroup_id_y 0
		.amdhsa_system_sgpr_workgroup_id_z 0
		.amdhsa_system_sgpr_workgroup_info 0
		.amdhsa_system_vgpr_workitem_id 0
		.amdhsa_next_free_vgpr 1
		.amdhsa_next_free_sgpr 0
		.amdhsa_reserve_vcc 0
		.amdhsa_reserve_flat_scratch 0
		.amdhsa_float_round_mode_32 0
		.amdhsa_float_round_mode_16_64 0
		.amdhsa_float_denorm_mode_32 3
		.amdhsa_float_denorm_mode_16_64 3
		.amdhsa_dx10_clamp 1
		.amdhsa_ieee_mode 1
		.amdhsa_fp16_overflow 0
		.amdhsa_exception_fp_ieee_invalid_op 0
		.amdhsa_exception_fp_denorm_src 0
		.amdhsa_exception_fp_ieee_div_zero 0
		.amdhsa_exception_fp_ieee_overflow 0
		.amdhsa_exception_fp_ieee_underflow 0
		.amdhsa_exception_fp_ieee_inexact 0
		.amdhsa_exception_int_div_zero 0
	.end_amdhsa_kernel
	.section	.text._ZN7rocprim17ROCPRIM_400000_NS6detail17trampoline_kernelINS0_14default_configENS1_35adjacent_difference_config_selectorILb1ExEEZNS1_24adjacent_difference_implIS3_Lb1ELb0EPxS7_N6thrust23THRUST_200600_302600_NS5minusIxEEEE10hipError_tPvRmT2_T3_mT4_P12ihipStream_tbEUlT_E_NS1_11comp_targetILNS1_3genE10ELNS1_11target_archE1201ELNS1_3gpuE5ELNS1_3repE0EEENS1_30default_config_static_selectorELNS0_4arch9wavefront6targetE1EEEvT1_,"axG",@progbits,_ZN7rocprim17ROCPRIM_400000_NS6detail17trampoline_kernelINS0_14default_configENS1_35adjacent_difference_config_selectorILb1ExEEZNS1_24adjacent_difference_implIS3_Lb1ELb0EPxS7_N6thrust23THRUST_200600_302600_NS5minusIxEEEE10hipError_tPvRmT2_T3_mT4_P12ihipStream_tbEUlT_E_NS1_11comp_targetILNS1_3genE10ELNS1_11target_archE1201ELNS1_3gpuE5ELNS1_3repE0EEENS1_30default_config_static_selectorELNS0_4arch9wavefront6targetE1EEEvT1_,comdat
.Lfunc_end275:
	.size	_ZN7rocprim17ROCPRIM_400000_NS6detail17trampoline_kernelINS0_14default_configENS1_35adjacent_difference_config_selectorILb1ExEEZNS1_24adjacent_difference_implIS3_Lb1ELb0EPxS7_N6thrust23THRUST_200600_302600_NS5minusIxEEEE10hipError_tPvRmT2_T3_mT4_P12ihipStream_tbEUlT_E_NS1_11comp_targetILNS1_3genE10ELNS1_11target_archE1201ELNS1_3gpuE5ELNS1_3repE0EEENS1_30default_config_static_selectorELNS0_4arch9wavefront6targetE1EEEvT1_, .Lfunc_end275-_ZN7rocprim17ROCPRIM_400000_NS6detail17trampoline_kernelINS0_14default_configENS1_35adjacent_difference_config_selectorILb1ExEEZNS1_24adjacent_difference_implIS3_Lb1ELb0EPxS7_N6thrust23THRUST_200600_302600_NS5minusIxEEEE10hipError_tPvRmT2_T3_mT4_P12ihipStream_tbEUlT_E_NS1_11comp_targetILNS1_3genE10ELNS1_11target_archE1201ELNS1_3gpuE5ELNS1_3repE0EEENS1_30default_config_static_selectorELNS0_4arch9wavefront6targetE1EEEvT1_
                                        ; -- End function
	.set _ZN7rocprim17ROCPRIM_400000_NS6detail17trampoline_kernelINS0_14default_configENS1_35adjacent_difference_config_selectorILb1ExEEZNS1_24adjacent_difference_implIS3_Lb1ELb0EPxS7_N6thrust23THRUST_200600_302600_NS5minusIxEEEE10hipError_tPvRmT2_T3_mT4_P12ihipStream_tbEUlT_E_NS1_11comp_targetILNS1_3genE10ELNS1_11target_archE1201ELNS1_3gpuE5ELNS1_3repE0EEENS1_30default_config_static_selectorELNS0_4arch9wavefront6targetE1EEEvT1_.num_vgpr, 0
	.set _ZN7rocprim17ROCPRIM_400000_NS6detail17trampoline_kernelINS0_14default_configENS1_35adjacent_difference_config_selectorILb1ExEEZNS1_24adjacent_difference_implIS3_Lb1ELb0EPxS7_N6thrust23THRUST_200600_302600_NS5minusIxEEEE10hipError_tPvRmT2_T3_mT4_P12ihipStream_tbEUlT_E_NS1_11comp_targetILNS1_3genE10ELNS1_11target_archE1201ELNS1_3gpuE5ELNS1_3repE0EEENS1_30default_config_static_selectorELNS0_4arch9wavefront6targetE1EEEvT1_.num_agpr, 0
	.set _ZN7rocprim17ROCPRIM_400000_NS6detail17trampoline_kernelINS0_14default_configENS1_35adjacent_difference_config_selectorILb1ExEEZNS1_24adjacent_difference_implIS3_Lb1ELb0EPxS7_N6thrust23THRUST_200600_302600_NS5minusIxEEEE10hipError_tPvRmT2_T3_mT4_P12ihipStream_tbEUlT_E_NS1_11comp_targetILNS1_3genE10ELNS1_11target_archE1201ELNS1_3gpuE5ELNS1_3repE0EEENS1_30default_config_static_selectorELNS0_4arch9wavefront6targetE1EEEvT1_.numbered_sgpr, 0
	.set _ZN7rocprim17ROCPRIM_400000_NS6detail17trampoline_kernelINS0_14default_configENS1_35adjacent_difference_config_selectorILb1ExEEZNS1_24adjacent_difference_implIS3_Lb1ELb0EPxS7_N6thrust23THRUST_200600_302600_NS5minusIxEEEE10hipError_tPvRmT2_T3_mT4_P12ihipStream_tbEUlT_E_NS1_11comp_targetILNS1_3genE10ELNS1_11target_archE1201ELNS1_3gpuE5ELNS1_3repE0EEENS1_30default_config_static_selectorELNS0_4arch9wavefront6targetE1EEEvT1_.num_named_barrier, 0
	.set _ZN7rocprim17ROCPRIM_400000_NS6detail17trampoline_kernelINS0_14default_configENS1_35adjacent_difference_config_selectorILb1ExEEZNS1_24adjacent_difference_implIS3_Lb1ELb0EPxS7_N6thrust23THRUST_200600_302600_NS5minusIxEEEE10hipError_tPvRmT2_T3_mT4_P12ihipStream_tbEUlT_E_NS1_11comp_targetILNS1_3genE10ELNS1_11target_archE1201ELNS1_3gpuE5ELNS1_3repE0EEENS1_30default_config_static_selectorELNS0_4arch9wavefront6targetE1EEEvT1_.private_seg_size, 0
	.set _ZN7rocprim17ROCPRIM_400000_NS6detail17trampoline_kernelINS0_14default_configENS1_35adjacent_difference_config_selectorILb1ExEEZNS1_24adjacent_difference_implIS3_Lb1ELb0EPxS7_N6thrust23THRUST_200600_302600_NS5minusIxEEEE10hipError_tPvRmT2_T3_mT4_P12ihipStream_tbEUlT_E_NS1_11comp_targetILNS1_3genE10ELNS1_11target_archE1201ELNS1_3gpuE5ELNS1_3repE0EEENS1_30default_config_static_selectorELNS0_4arch9wavefront6targetE1EEEvT1_.uses_vcc, 0
	.set _ZN7rocprim17ROCPRIM_400000_NS6detail17trampoline_kernelINS0_14default_configENS1_35adjacent_difference_config_selectorILb1ExEEZNS1_24adjacent_difference_implIS3_Lb1ELb0EPxS7_N6thrust23THRUST_200600_302600_NS5minusIxEEEE10hipError_tPvRmT2_T3_mT4_P12ihipStream_tbEUlT_E_NS1_11comp_targetILNS1_3genE10ELNS1_11target_archE1201ELNS1_3gpuE5ELNS1_3repE0EEENS1_30default_config_static_selectorELNS0_4arch9wavefront6targetE1EEEvT1_.uses_flat_scratch, 0
	.set _ZN7rocprim17ROCPRIM_400000_NS6detail17trampoline_kernelINS0_14default_configENS1_35adjacent_difference_config_selectorILb1ExEEZNS1_24adjacent_difference_implIS3_Lb1ELb0EPxS7_N6thrust23THRUST_200600_302600_NS5minusIxEEEE10hipError_tPvRmT2_T3_mT4_P12ihipStream_tbEUlT_E_NS1_11comp_targetILNS1_3genE10ELNS1_11target_archE1201ELNS1_3gpuE5ELNS1_3repE0EEENS1_30default_config_static_selectorELNS0_4arch9wavefront6targetE1EEEvT1_.has_dyn_sized_stack, 0
	.set _ZN7rocprim17ROCPRIM_400000_NS6detail17trampoline_kernelINS0_14default_configENS1_35adjacent_difference_config_selectorILb1ExEEZNS1_24adjacent_difference_implIS3_Lb1ELb0EPxS7_N6thrust23THRUST_200600_302600_NS5minusIxEEEE10hipError_tPvRmT2_T3_mT4_P12ihipStream_tbEUlT_E_NS1_11comp_targetILNS1_3genE10ELNS1_11target_archE1201ELNS1_3gpuE5ELNS1_3repE0EEENS1_30default_config_static_selectorELNS0_4arch9wavefront6targetE1EEEvT1_.has_recursion, 0
	.set _ZN7rocprim17ROCPRIM_400000_NS6detail17trampoline_kernelINS0_14default_configENS1_35adjacent_difference_config_selectorILb1ExEEZNS1_24adjacent_difference_implIS3_Lb1ELb0EPxS7_N6thrust23THRUST_200600_302600_NS5minusIxEEEE10hipError_tPvRmT2_T3_mT4_P12ihipStream_tbEUlT_E_NS1_11comp_targetILNS1_3genE10ELNS1_11target_archE1201ELNS1_3gpuE5ELNS1_3repE0EEENS1_30default_config_static_selectorELNS0_4arch9wavefront6targetE1EEEvT1_.has_indirect_call, 0
	.section	.AMDGPU.csdata,"",@progbits
; Kernel info:
; codeLenInByte = 0
; TotalNumSgprs: 4
; NumVgprs: 0
; ScratchSize: 0
; MemoryBound: 0
; FloatMode: 240
; IeeeMode: 1
; LDSByteSize: 0 bytes/workgroup (compile time only)
; SGPRBlocks: 0
; VGPRBlocks: 0
; NumSGPRsForWavesPerEU: 4
; NumVGPRsForWavesPerEU: 1
; Occupancy: 10
; WaveLimiterHint : 0
; COMPUTE_PGM_RSRC2:SCRATCH_EN: 0
; COMPUTE_PGM_RSRC2:USER_SGPR: 6
; COMPUTE_PGM_RSRC2:TRAP_HANDLER: 0
; COMPUTE_PGM_RSRC2:TGID_X_EN: 1
; COMPUTE_PGM_RSRC2:TGID_Y_EN: 0
; COMPUTE_PGM_RSRC2:TGID_Z_EN: 0
; COMPUTE_PGM_RSRC2:TIDIG_COMP_CNT: 0
	.section	.text._ZN7rocprim17ROCPRIM_400000_NS6detail17trampoline_kernelINS0_14default_configENS1_35adjacent_difference_config_selectorILb1ExEEZNS1_24adjacent_difference_implIS3_Lb1ELb0EPxS7_N6thrust23THRUST_200600_302600_NS5minusIxEEEE10hipError_tPvRmT2_T3_mT4_P12ihipStream_tbEUlT_E_NS1_11comp_targetILNS1_3genE5ELNS1_11target_archE942ELNS1_3gpuE9ELNS1_3repE0EEENS1_30default_config_static_selectorELNS0_4arch9wavefront6targetE1EEEvT1_,"axG",@progbits,_ZN7rocprim17ROCPRIM_400000_NS6detail17trampoline_kernelINS0_14default_configENS1_35adjacent_difference_config_selectorILb1ExEEZNS1_24adjacent_difference_implIS3_Lb1ELb0EPxS7_N6thrust23THRUST_200600_302600_NS5minusIxEEEE10hipError_tPvRmT2_T3_mT4_P12ihipStream_tbEUlT_E_NS1_11comp_targetILNS1_3genE5ELNS1_11target_archE942ELNS1_3gpuE9ELNS1_3repE0EEENS1_30default_config_static_selectorELNS0_4arch9wavefront6targetE1EEEvT1_,comdat
	.protected	_ZN7rocprim17ROCPRIM_400000_NS6detail17trampoline_kernelINS0_14default_configENS1_35adjacent_difference_config_selectorILb1ExEEZNS1_24adjacent_difference_implIS3_Lb1ELb0EPxS7_N6thrust23THRUST_200600_302600_NS5minusIxEEEE10hipError_tPvRmT2_T3_mT4_P12ihipStream_tbEUlT_E_NS1_11comp_targetILNS1_3genE5ELNS1_11target_archE942ELNS1_3gpuE9ELNS1_3repE0EEENS1_30default_config_static_selectorELNS0_4arch9wavefront6targetE1EEEvT1_ ; -- Begin function _ZN7rocprim17ROCPRIM_400000_NS6detail17trampoline_kernelINS0_14default_configENS1_35adjacent_difference_config_selectorILb1ExEEZNS1_24adjacent_difference_implIS3_Lb1ELb0EPxS7_N6thrust23THRUST_200600_302600_NS5minusIxEEEE10hipError_tPvRmT2_T3_mT4_P12ihipStream_tbEUlT_E_NS1_11comp_targetILNS1_3genE5ELNS1_11target_archE942ELNS1_3gpuE9ELNS1_3repE0EEENS1_30default_config_static_selectorELNS0_4arch9wavefront6targetE1EEEvT1_
	.globl	_ZN7rocprim17ROCPRIM_400000_NS6detail17trampoline_kernelINS0_14default_configENS1_35adjacent_difference_config_selectorILb1ExEEZNS1_24adjacent_difference_implIS3_Lb1ELb0EPxS7_N6thrust23THRUST_200600_302600_NS5minusIxEEEE10hipError_tPvRmT2_T3_mT4_P12ihipStream_tbEUlT_E_NS1_11comp_targetILNS1_3genE5ELNS1_11target_archE942ELNS1_3gpuE9ELNS1_3repE0EEENS1_30default_config_static_selectorELNS0_4arch9wavefront6targetE1EEEvT1_
	.p2align	8
	.type	_ZN7rocprim17ROCPRIM_400000_NS6detail17trampoline_kernelINS0_14default_configENS1_35adjacent_difference_config_selectorILb1ExEEZNS1_24adjacent_difference_implIS3_Lb1ELb0EPxS7_N6thrust23THRUST_200600_302600_NS5minusIxEEEE10hipError_tPvRmT2_T3_mT4_P12ihipStream_tbEUlT_E_NS1_11comp_targetILNS1_3genE5ELNS1_11target_archE942ELNS1_3gpuE9ELNS1_3repE0EEENS1_30default_config_static_selectorELNS0_4arch9wavefront6targetE1EEEvT1_,@function
_ZN7rocprim17ROCPRIM_400000_NS6detail17trampoline_kernelINS0_14default_configENS1_35adjacent_difference_config_selectorILb1ExEEZNS1_24adjacent_difference_implIS3_Lb1ELb0EPxS7_N6thrust23THRUST_200600_302600_NS5minusIxEEEE10hipError_tPvRmT2_T3_mT4_P12ihipStream_tbEUlT_E_NS1_11comp_targetILNS1_3genE5ELNS1_11target_archE942ELNS1_3gpuE9ELNS1_3repE0EEENS1_30default_config_static_selectorELNS0_4arch9wavefront6targetE1EEEvT1_: ; @_ZN7rocprim17ROCPRIM_400000_NS6detail17trampoline_kernelINS0_14default_configENS1_35adjacent_difference_config_selectorILb1ExEEZNS1_24adjacent_difference_implIS3_Lb1ELb0EPxS7_N6thrust23THRUST_200600_302600_NS5minusIxEEEE10hipError_tPvRmT2_T3_mT4_P12ihipStream_tbEUlT_E_NS1_11comp_targetILNS1_3genE5ELNS1_11target_archE942ELNS1_3gpuE9ELNS1_3repE0EEENS1_30default_config_static_selectorELNS0_4arch9wavefront6targetE1EEEvT1_
; %bb.0:
	.section	.rodata,"a",@progbits
	.p2align	6, 0x0
	.amdhsa_kernel _ZN7rocprim17ROCPRIM_400000_NS6detail17trampoline_kernelINS0_14default_configENS1_35adjacent_difference_config_selectorILb1ExEEZNS1_24adjacent_difference_implIS3_Lb1ELb0EPxS7_N6thrust23THRUST_200600_302600_NS5minusIxEEEE10hipError_tPvRmT2_T3_mT4_P12ihipStream_tbEUlT_E_NS1_11comp_targetILNS1_3genE5ELNS1_11target_archE942ELNS1_3gpuE9ELNS1_3repE0EEENS1_30default_config_static_selectorELNS0_4arch9wavefront6targetE1EEEvT1_
		.amdhsa_group_segment_fixed_size 0
		.amdhsa_private_segment_fixed_size 0
		.amdhsa_kernarg_size 56
		.amdhsa_user_sgpr_count 6
		.amdhsa_user_sgpr_private_segment_buffer 1
		.amdhsa_user_sgpr_dispatch_ptr 0
		.amdhsa_user_sgpr_queue_ptr 0
		.amdhsa_user_sgpr_kernarg_segment_ptr 1
		.amdhsa_user_sgpr_dispatch_id 0
		.amdhsa_user_sgpr_flat_scratch_init 0
		.amdhsa_user_sgpr_private_segment_size 0
		.amdhsa_uses_dynamic_stack 0
		.amdhsa_system_sgpr_private_segment_wavefront_offset 0
		.amdhsa_system_sgpr_workgroup_id_x 1
		.amdhsa_system_sgpr_workgroup_id_y 0
		.amdhsa_system_sgpr_workgroup_id_z 0
		.amdhsa_system_sgpr_workgroup_info 0
		.amdhsa_system_vgpr_workitem_id 0
		.amdhsa_next_free_vgpr 1
		.amdhsa_next_free_sgpr 0
		.amdhsa_reserve_vcc 0
		.amdhsa_reserve_flat_scratch 0
		.amdhsa_float_round_mode_32 0
		.amdhsa_float_round_mode_16_64 0
		.amdhsa_float_denorm_mode_32 3
		.amdhsa_float_denorm_mode_16_64 3
		.amdhsa_dx10_clamp 1
		.amdhsa_ieee_mode 1
		.amdhsa_fp16_overflow 0
		.amdhsa_exception_fp_ieee_invalid_op 0
		.amdhsa_exception_fp_denorm_src 0
		.amdhsa_exception_fp_ieee_div_zero 0
		.amdhsa_exception_fp_ieee_overflow 0
		.amdhsa_exception_fp_ieee_underflow 0
		.amdhsa_exception_fp_ieee_inexact 0
		.amdhsa_exception_int_div_zero 0
	.end_amdhsa_kernel
	.section	.text._ZN7rocprim17ROCPRIM_400000_NS6detail17trampoline_kernelINS0_14default_configENS1_35adjacent_difference_config_selectorILb1ExEEZNS1_24adjacent_difference_implIS3_Lb1ELb0EPxS7_N6thrust23THRUST_200600_302600_NS5minusIxEEEE10hipError_tPvRmT2_T3_mT4_P12ihipStream_tbEUlT_E_NS1_11comp_targetILNS1_3genE5ELNS1_11target_archE942ELNS1_3gpuE9ELNS1_3repE0EEENS1_30default_config_static_selectorELNS0_4arch9wavefront6targetE1EEEvT1_,"axG",@progbits,_ZN7rocprim17ROCPRIM_400000_NS6detail17trampoline_kernelINS0_14default_configENS1_35adjacent_difference_config_selectorILb1ExEEZNS1_24adjacent_difference_implIS3_Lb1ELb0EPxS7_N6thrust23THRUST_200600_302600_NS5minusIxEEEE10hipError_tPvRmT2_T3_mT4_P12ihipStream_tbEUlT_E_NS1_11comp_targetILNS1_3genE5ELNS1_11target_archE942ELNS1_3gpuE9ELNS1_3repE0EEENS1_30default_config_static_selectorELNS0_4arch9wavefront6targetE1EEEvT1_,comdat
.Lfunc_end276:
	.size	_ZN7rocprim17ROCPRIM_400000_NS6detail17trampoline_kernelINS0_14default_configENS1_35adjacent_difference_config_selectorILb1ExEEZNS1_24adjacent_difference_implIS3_Lb1ELb0EPxS7_N6thrust23THRUST_200600_302600_NS5minusIxEEEE10hipError_tPvRmT2_T3_mT4_P12ihipStream_tbEUlT_E_NS1_11comp_targetILNS1_3genE5ELNS1_11target_archE942ELNS1_3gpuE9ELNS1_3repE0EEENS1_30default_config_static_selectorELNS0_4arch9wavefront6targetE1EEEvT1_, .Lfunc_end276-_ZN7rocprim17ROCPRIM_400000_NS6detail17trampoline_kernelINS0_14default_configENS1_35adjacent_difference_config_selectorILb1ExEEZNS1_24adjacent_difference_implIS3_Lb1ELb0EPxS7_N6thrust23THRUST_200600_302600_NS5minusIxEEEE10hipError_tPvRmT2_T3_mT4_P12ihipStream_tbEUlT_E_NS1_11comp_targetILNS1_3genE5ELNS1_11target_archE942ELNS1_3gpuE9ELNS1_3repE0EEENS1_30default_config_static_selectorELNS0_4arch9wavefront6targetE1EEEvT1_
                                        ; -- End function
	.set _ZN7rocprim17ROCPRIM_400000_NS6detail17trampoline_kernelINS0_14default_configENS1_35adjacent_difference_config_selectorILb1ExEEZNS1_24adjacent_difference_implIS3_Lb1ELb0EPxS7_N6thrust23THRUST_200600_302600_NS5minusIxEEEE10hipError_tPvRmT2_T3_mT4_P12ihipStream_tbEUlT_E_NS1_11comp_targetILNS1_3genE5ELNS1_11target_archE942ELNS1_3gpuE9ELNS1_3repE0EEENS1_30default_config_static_selectorELNS0_4arch9wavefront6targetE1EEEvT1_.num_vgpr, 0
	.set _ZN7rocprim17ROCPRIM_400000_NS6detail17trampoline_kernelINS0_14default_configENS1_35adjacent_difference_config_selectorILb1ExEEZNS1_24adjacent_difference_implIS3_Lb1ELb0EPxS7_N6thrust23THRUST_200600_302600_NS5minusIxEEEE10hipError_tPvRmT2_T3_mT4_P12ihipStream_tbEUlT_E_NS1_11comp_targetILNS1_3genE5ELNS1_11target_archE942ELNS1_3gpuE9ELNS1_3repE0EEENS1_30default_config_static_selectorELNS0_4arch9wavefront6targetE1EEEvT1_.num_agpr, 0
	.set _ZN7rocprim17ROCPRIM_400000_NS6detail17trampoline_kernelINS0_14default_configENS1_35adjacent_difference_config_selectorILb1ExEEZNS1_24adjacent_difference_implIS3_Lb1ELb0EPxS7_N6thrust23THRUST_200600_302600_NS5minusIxEEEE10hipError_tPvRmT2_T3_mT4_P12ihipStream_tbEUlT_E_NS1_11comp_targetILNS1_3genE5ELNS1_11target_archE942ELNS1_3gpuE9ELNS1_3repE0EEENS1_30default_config_static_selectorELNS0_4arch9wavefront6targetE1EEEvT1_.numbered_sgpr, 0
	.set _ZN7rocprim17ROCPRIM_400000_NS6detail17trampoline_kernelINS0_14default_configENS1_35adjacent_difference_config_selectorILb1ExEEZNS1_24adjacent_difference_implIS3_Lb1ELb0EPxS7_N6thrust23THRUST_200600_302600_NS5minusIxEEEE10hipError_tPvRmT2_T3_mT4_P12ihipStream_tbEUlT_E_NS1_11comp_targetILNS1_3genE5ELNS1_11target_archE942ELNS1_3gpuE9ELNS1_3repE0EEENS1_30default_config_static_selectorELNS0_4arch9wavefront6targetE1EEEvT1_.num_named_barrier, 0
	.set _ZN7rocprim17ROCPRIM_400000_NS6detail17trampoline_kernelINS0_14default_configENS1_35adjacent_difference_config_selectorILb1ExEEZNS1_24adjacent_difference_implIS3_Lb1ELb0EPxS7_N6thrust23THRUST_200600_302600_NS5minusIxEEEE10hipError_tPvRmT2_T3_mT4_P12ihipStream_tbEUlT_E_NS1_11comp_targetILNS1_3genE5ELNS1_11target_archE942ELNS1_3gpuE9ELNS1_3repE0EEENS1_30default_config_static_selectorELNS0_4arch9wavefront6targetE1EEEvT1_.private_seg_size, 0
	.set _ZN7rocprim17ROCPRIM_400000_NS6detail17trampoline_kernelINS0_14default_configENS1_35adjacent_difference_config_selectorILb1ExEEZNS1_24adjacent_difference_implIS3_Lb1ELb0EPxS7_N6thrust23THRUST_200600_302600_NS5minusIxEEEE10hipError_tPvRmT2_T3_mT4_P12ihipStream_tbEUlT_E_NS1_11comp_targetILNS1_3genE5ELNS1_11target_archE942ELNS1_3gpuE9ELNS1_3repE0EEENS1_30default_config_static_selectorELNS0_4arch9wavefront6targetE1EEEvT1_.uses_vcc, 0
	.set _ZN7rocprim17ROCPRIM_400000_NS6detail17trampoline_kernelINS0_14default_configENS1_35adjacent_difference_config_selectorILb1ExEEZNS1_24adjacent_difference_implIS3_Lb1ELb0EPxS7_N6thrust23THRUST_200600_302600_NS5minusIxEEEE10hipError_tPvRmT2_T3_mT4_P12ihipStream_tbEUlT_E_NS1_11comp_targetILNS1_3genE5ELNS1_11target_archE942ELNS1_3gpuE9ELNS1_3repE0EEENS1_30default_config_static_selectorELNS0_4arch9wavefront6targetE1EEEvT1_.uses_flat_scratch, 0
	.set _ZN7rocprim17ROCPRIM_400000_NS6detail17trampoline_kernelINS0_14default_configENS1_35adjacent_difference_config_selectorILb1ExEEZNS1_24adjacent_difference_implIS3_Lb1ELb0EPxS7_N6thrust23THRUST_200600_302600_NS5minusIxEEEE10hipError_tPvRmT2_T3_mT4_P12ihipStream_tbEUlT_E_NS1_11comp_targetILNS1_3genE5ELNS1_11target_archE942ELNS1_3gpuE9ELNS1_3repE0EEENS1_30default_config_static_selectorELNS0_4arch9wavefront6targetE1EEEvT1_.has_dyn_sized_stack, 0
	.set _ZN7rocprim17ROCPRIM_400000_NS6detail17trampoline_kernelINS0_14default_configENS1_35adjacent_difference_config_selectorILb1ExEEZNS1_24adjacent_difference_implIS3_Lb1ELb0EPxS7_N6thrust23THRUST_200600_302600_NS5minusIxEEEE10hipError_tPvRmT2_T3_mT4_P12ihipStream_tbEUlT_E_NS1_11comp_targetILNS1_3genE5ELNS1_11target_archE942ELNS1_3gpuE9ELNS1_3repE0EEENS1_30default_config_static_selectorELNS0_4arch9wavefront6targetE1EEEvT1_.has_recursion, 0
	.set _ZN7rocprim17ROCPRIM_400000_NS6detail17trampoline_kernelINS0_14default_configENS1_35adjacent_difference_config_selectorILb1ExEEZNS1_24adjacent_difference_implIS3_Lb1ELb0EPxS7_N6thrust23THRUST_200600_302600_NS5minusIxEEEE10hipError_tPvRmT2_T3_mT4_P12ihipStream_tbEUlT_E_NS1_11comp_targetILNS1_3genE5ELNS1_11target_archE942ELNS1_3gpuE9ELNS1_3repE0EEENS1_30default_config_static_selectorELNS0_4arch9wavefront6targetE1EEEvT1_.has_indirect_call, 0
	.section	.AMDGPU.csdata,"",@progbits
; Kernel info:
; codeLenInByte = 0
; TotalNumSgprs: 4
; NumVgprs: 0
; ScratchSize: 0
; MemoryBound: 0
; FloatMode: 240
; IeeeMode: 1
; LDSByteSize: 0 bytes/workgroup (compile time only)
; SGPRBlocks: 0
; VGPRBlocks: 0
; NumSGPRsForWavesPerEU: 4
; NumVGPRsForWavesPerEU: 1
; Occupancy: 10
; WaveLimiterHint : 0
; COMPUTE_PGM_RSRC2:SCRATCH_EN: 0
; COMPUTE_PGM_RSRC2:USER_SGPR: 6
; COMPUTE_PGM_RSRC2:TRAP_HANDLER: 0
; COMPUTE_PGM_RSRC2:TGID_X_EN: 1
; COMPUTE_PGM_RSRC2:TGID_Y_EN: 0
; COMPUTE_PGM_RSRC2:TGID_Z_EN: 0
; COMPUTE_PGM_RSRC2:TIDIG_COMP_CNT: 0
	.section	.text._ZN7rocprim17ROCPRIM_400000_NS6detail17trampoline_kernelINS0_14default_configENS1_35adjacent_difference_config_selectorILb1ExEEZNS1_24adjacent_difference_implIS3_Lb1ELb0EPxS7_N6thrust23THRUST_200600_302600_NS5minusIxEEEE10hipError_tPvRmT2_T3_mT4_P12ihipStream_tbEUlT_E_NS1_11comp_targetILNS1_3genE4ELNS1_11target_archE910ELNS1_3gpuE8ELNS1_3repE0EEENS1_30default_config_static_selectorELNS0_4arch9wavefront6targetE1EEEvT1_,"axG",@progbits,_ZN7rocprim17ROCPRIM_400000_NS6detail17trampoline_kernelINS0_14default_configENS1_35adjacent_difference_config_selectorILb1ExEEZNS1_24adjacent_difference_implIS3_Lb1ELb0EPxS7_N6thrust23THRUST_200600_302600_NS5minusIxEEEE10hipError_tPvRmT2_T3_mT4_P12ihipStream_tbEUlT_E_NS1_11comp_targetILNS1_3genE4ELNS1_11target_archE910ELNS1_3gpuE8ELNS1_3repE0EEENS1_30default_config_static_selectorELNS0_4arch9wavefront6targetE1EEEvT1_,comdat
	.protected	_ZN7rocprim17ROCPRIM_400000_NS6detail17trampoline_kernelINS0_14default_configENS1_35adjacent_difference_config_selectorILb1ExEEZNS1_24adjacent_difference_implIS3_Lb1ELb0EPxS7_N6thrust23THRUST_200600_302600_NS5minusIxEEEE10hipError_tPvRmT2_T3_mT4_P12ihipStream_tbEUlT_E_NS1_11comp_targetILNS1_3genE4ELNS1_11target_archE910ELNS1_3gpuE8ELNS1_3repE0EEENS1_30default_config_static_selectorELNS0_4arch9wavefront6targetE1EEEvT1_ ; -- Begin function _ZN7rocprim17ROCPRIM_400000_NS6detail17trampoline_kernelINS0_14default_configENS1_35adjacent_difference_config_selectorILb1ExEEZNS1_24adjacent_difference_implIS3_Lb1ELb0EPxS7_N6thrust23THRUST_200600_302600_NS5minusIxEEEE10hipError_tPvRmT2_T3_mT4_P12ihipStream_tbEUlT_E_NS1_11comp_targetILNS1_3genE4ELNS1_11target_archE910ELNS1_3gpuE8ELNS1_3repE0EEENS1_30default_config_static_selectorELNS0_4arch9wavefront6targetE1EEEvT1_
	.globl	_ZN7rocprim17ROCPRIM_400000_NS6detail17trampoline_kernelINS0_14default_configENS1_35adjacent_difference_config_selectorILb1ExEEZNS1_24adjacent_difference_implIS3_Lb1ELb0EPxS7_N6thrust23THRUST_200600_302600_NS5minusIxEEEE10hipError_tPvRmT2_T3_mT4_P12ihipStream_tbEUlT_E_NS1_11comp_targetILNS1_3genE4ELNS1_11target_archE910ELNS1_3gpuE8ELNS1_3repE0EEENS1_30default_config_static_selectorELNS0_4arch9wavefront6targetE1EEEvT1_
	.p2align	8
	.type	_ZN7rocprim17ROCPRIM_400000_NS6detail17trampoline_kernelINS0_14default_configENS1_35adjacent_difference_config_selectorILb1ExEEZNS1_24adjacent_difference_implIS3_Lb1ELb0EPxS7_N6thrust23THRUST_200600_302600_NS5minusIxEEEE10hipError_tPvRmT2_T3_mT4_P12ihipStream_tbEUlT_E_NS1_11comp_targetILNS1_3genE4ELNS1_11target_archE910ELNS1_3gpuE8ELNS1_3repE0EEENS1_30default_config_static_selectorELNS0_4arch9wavefront6targetE1EEEvT1_,@function
_ZN7rocprim17ROCPRIM_400000_NS6detail17trampoline_kernelINS0_14default_configENS1_35adjacent_difference_config_selectorILb1ExEEZNS1_24adjacent_difference_implIS3_Lb1ELb0EPxS7_N6thrust23THRUST_200600_302600_NS5minusIxEEEE10hipError_tPvRmT2_T3_mT4_P12ihipStream_tbEUlT_E_NS1_11comp_targetILNS1_3genE4ELNS1_11target_archE910ELNS1_3gpuE8ELNS1_3repE0EEENS1_30default_config_static_selectorELNS0_4arch9wavefront6targetE1EEEvT1_: ; @_ZN7rocprim17ROCPRIM_400000_NS6detail17trampoline_kernelINS0_14default_configENS1_35adjacent_difference_config_selectorILb1ExEEZNS1_24adjacent_difference_implIS3_Lb1ELb0EPxS7_N6thrust23THRUST_200600_302600_NS5minusIxEEEE10hipError_tPvRmT2_T3_mT4_P12ihipStream_tbEUlT_E_NS1_11comp_targetILNS1_3genE4ELNS1_11target_archE910ELNS1_3gpuE8ELNS1_3repE0EEENS1_30default_config_static_selectorELNS0_4arch9wavefront6targetE1EEEvT1_
; %bb.0:
	.section	.rodata,"a",@progbits
	.p2align	6, 0x0
	.amdhsa_kernel _ZN7rocprim17ROCPRIM_400000_NS6detail17trampoline_kernelINS0_14default_configENS1_35adjacent_difference_config_selectorILb1ExEEZNS1_24adjacent_difference_implIS3_Lb1ELb0EPxS7_N6thrust23THRUST_200600_302600_NS5minusIxEEEE10hipError_tPvRmT2_T3_mT4_P12ihipStream_tbEUlT_E_NS1_11comp_targetILNS1_3genE4ELNS1_11target_archE910ELNS1_3gpuE8ELNS1_3repE0EEENS1_30default_config_static_selectorELNS0_4arch9wavefront6targetE1EEEvT1_
		.amdhsa_group_segment_fixed_size 0
		.amdhsa_private_segment_fixed_size 0
		.amdhsa_kernarg_size 56
		.amdhsa_user_sgpr_count 6
		.amdhsa_user_sgpr_private_segment_buffer 1
		.amdhsa_user_sgpr_dispatch_ptr 0
		.amdhsa_user_sgpr_queue_ptr 0
		.amdhsa_user_sgpr_kernarg_segment_ptr 1
		.amdhsa_user_sgpr_dispatch_id 0
		.amdhsa_user_sgpr_flat_scratch_init 0
		.amdhsa_user_sgpr_private_segment_size 0
		.amdhsa_uses_dynamic_stack 0
		.amdhsa_system_sgpr_private_segment_wavefront_offset 0
		.amdhsa_system_sgpr_workgroup_id_x 1
		.amdhsa_system_sgpr_workgroup_id_y 0
		.amdhsa_system_sgpr_workgroup_id_z 0
		.amdhsa_system_sgpr_workgroup_info 0
		.amdhsa_system_vgpr_workitem_id 0
		.amdhsa_next_free_vgpr 1
		.amdhsa_next_free_sgpr 0
		.amdhsa_reserve_vcc 0
		.amdhsa_reserve_flat_scratch 0
		.amdhsa_float_round_mode_32 0
		.amdhsa_float_round_mode_16_64 0
		.amdhsa_float_denorm_mode_32 3
		.amdhsa_float_denorm_mode_16_64 3
		.amdhsa_dx10_clamp 1
		.amdhsa_ieee_mode 1
		.amdhsa_fp16_overflow 0
		.amdhsa_exception_fp_ieee_invalid_op 0
		.amdhsa_exception_fp_denorm_src 0
		.amdhsa_exception_fp_ieee_div_zero 0
		.amdhsa_exception_fp_ieee_overflow 0
		.amdhsa_exception_fp_ieee_underflow 0
		.amdhsa_exception_fp_ieee_inexact 0
		.amdhsa_exception_int_div_zero 0
	.end_amdhsa_kernel
	.section	.text._ZN7rocprim17ROCPRIM_400000_NS6detail17trampoline_kernelINS0_14default_configENS1_35adjacent_difference_config_selectorILb1ExEEZNS1_24adjacent_difference_implIS3_Lb1ELb0EPxS7_N6thrust23THRUST_200600_302600_NS5minusIxEEEE10hipError_tPvRmT2_T3_mT4_P12ihipStream_tbEUlT_E_NS1_11comp_targetILNS1_3genE4ELNS1_11target_archE910ELNS1_3gpuE8ELNS1_3repE0EEENS1_30default_config_static_selectorELNS0_4arch9wavefront6targetE1EEEvT1_,"axG",@progbits,_ZN7rocprim17ROCPRIM_400000_NS6detail17trampoline_kernelINS0_14default_configENS1_35adjacent_difference_config_selectorILb1ExEEZNS1_24adjacent_difference_implIS3_Lb1ELb0EPxS7_N6thrust23THRUST_200600_302600_NS5minusIxEEEE10hipError_tPvRmT2_T3_mT4_P12ihipStream_tbEUlT_E_NS1_11comp_targetILNS1_3genE4ELNS1_11target_archE910ELNS1_3gpuE8ELNS1_3repE0EEENS1_30default_config_static_selectorELNS0_4arch9wavefront6targetE1EEEvT1_,comdat
.Lfunc_end277:
	.size	_ZN7rocprim17ROCPRIM_400000_NS6detail17trampoline_kernelINS0_14default_configENS1_35adjacent_difference_config_selectorILb1ExEEZNS1_24adjacent_difference_implIS3_Lb1ELb0EPxS7_N6thrust23THRUST_200600_302600_NS5minusIxEEEE10hipError_tPvRmT2_T3_mT4_P12ihipStream_tbEUlT_E_NS1_11comp_targetILNS1_3genE4ELNS1_11target_archE910ELNS1_3gpuE8ELNS1_3repE0EEENS1_30default_config_static_selectorELNS0_4arch9wavefront6targetE1EEEvT1_, .Lfunc_end277-_ZN7rocprim17ROCPRIM_400000_NS6detail17trampoline_kernelINS0_14default_configENS1_35adjacent_difference_config_selectorILb1ExEEZNS1_24adjacent_difference_implIS3_Lb1ELb0EPxS7_N6thrust23THRUST_200600_302600_NS5minusIxEEEE10hipError_tPvRmT2_T3_mT4_P12ihipStream_tbEUlT_E_NS1_11comp_targetILNS1_3genE4ELNS1_11target_archE910ELNS1_3gpuE8ELNS1_3repE0EEENS1_30default_config_static_selectorELNS0_4arch9wavefront6targetE1EEEvT1_
                                        ; -- End function
	.set _ZN7rocprim17ROCPRIM_400000_NS6detail17trampoline_kernelINS0_14default_configENS1_35adjacent_difference_config_selectorILb1ExEEZNS1_24adjacent_difference_implIS3_Lb1ELb0EPxS7_N6thrust23THRUST_200600_302600_NS5minusIxEEEE10hipError_tPvRmT2_T3_mT4_P12ihipStream_tbEUlT_E_NS1_11comp_targetILNS1_3genE4ELNS1_11target_archE910ELNS1_3gpuE8ELNS1_3repE0EEENS1_30default_config_static_selectorELNS0_4arch9wavefront6targetE1EEEvT1_.num_vgpr, 0
	.set _ZN7rocprim17ROCPRIM_400000_NS6detail17trampoline_kernelINS0_14default_configENS1_35adjacent_difference_config_selectorILb1ExEEZNS1_24adjacent_difference_implIS3_Lb1ELb0EPxS7_N6thrust23THRUST_200600_302600_NS5minusIxEEEE10hipError_tPvRmT2_T3_mT4_P12ihipStream_tbEUlT_E_NS1_11comp_targetILNS1_3genE4ELNS1_11target_archE910ELNS1_3gpuE8ELNS1_3repE0EEENS1_30default_config_static_selectorELNS0_4arch9wavefront6targetE1EEEvT1_.num_agpr, 0
	.set _ZN7rocprim17ROCPRIM_400000_NS6detail17trampoline_kernelINS0_14default_configENS1_35adjacent_difference_config_selectorILb1ExEEZNS1_24adjacent_difference_implIS3_Lb1ELb0EPxS7_N6thrust23THRUST_200600_302600_NS5minusIxEEEE10hipError_tPvRmT2_T3_mT4_P12ihipStream_tbEUlT_E_NS1_11comp_targetILNS1_3genE4ELNS1_11target_archE910ELNS1_3gpuE8ELNS1_3repE0EEENS1_30default_config_static_selectorELNS0_4arch9wavefront6targetE1EEEvT1_.numbered_sgpr, 0
	.set _ZN7rocprim17ROCPRIM_400000_NS6detail17trampoline_kernelINS0_14default_configENS1_35adjacent_difference_config_selectorILb1ExEEZNS1_24adjacent_difference_implIS3_Lb1ELb0EPxS7_N6thrust23THRUST_200600_302600_NS5minusIxEEEE10hipError_tPvRmT2_T3_mT4_P12ihipStream_tbEUlT_E_NS1_11comp_targetILNS1_3genE4ELNS1_11target_archE910ELNS1_3gpuE8ELNS1_3repE0EEENS1_30default_config_static_selectorELNS0_4arch9wavefront6targetE1EEEvT1_.num_named_barrier, 0
	.set _ZN7rocprim17ROCPRIM_400000_NS6detail17trampoline_kernelINS0_14default_configENS1_35adjacent_difference_config_selectorILb1ExEEZNS1_24adjacent_difference_implIS3_Lb1ELb0EPxS7_N6thrust23THRUST_200600_302600_NS5minusIxEEEE10hipError_tPvRmT2_T3_mT4_P12ihipStream_tbEUlT_E_NS1_11comp_targetILNS1_3genE4ELNS1_11target_archE910ELNS1_3gpuE8ELNS1_3repE0EEENS1_30default_config_static_selectorELNS0_4arch9wavefront6targetE1EEEvT1_.private_seg_size, 0
	.set _ZN7rocprim17ROCPRIM_400000_NS6detail17trampoline_kernelINS0_14default_configENS1_35adjacent_difference_config_selectorILb1ExEEZNS1_24adjacent_difference_implIS3_Lb1ELb0EPxS7_N6thrust23THRUST_200600_302600_NS5minusIxEEEE10hipError_tPvRmT2_T3_mT4_P12ihipStream_tbEUlT_E_NS1_11comp_targetILNS1_3genE4ELNS1_11target_archE910ELNS1_3gpuE8ELNS1_3repE0EEENS1_30default_config_static_selectorELNS0_4arch9wavefront6targetE1EEEvT1_.uses_vcc, 0
	.set _ZN7rocprim17ROCPRIM_400000_NS6detail17trampoline_kernelINS0_14default_configENS1_35adjacent_difference_config_selectorILb1ExEEZNS1_24adjacent_difference_implIS3_Lb1ELb0EPxS7_N6thrust23THRUST_200600_302600_NS5minusIxEEEE10hipError_tPvRmT2_T3_mT4_P12ihipStream_tbEUlT_E_NS1_11comp_targetILNS1_3genE4ELNS1_11target_archE910ELNS1_3gpuE8ELNS1_3repE0EEENS1_30default_config_static_selectorELNS0_4arch9wavefront6targetE1EEEvT1_.uses_flat_scratch, 0
	.set _ZN7rocprim17ROCPRIM_400000_NS6detail17trampoline_kernelINS0_14default_configENS1_35adjacent_difference_config_selectorILb1ExEEZNS1_24adjacent_difference_implIS3_Lb1ELb0EPxS7_N6thrust23THRUST_200600_302600_NS5minusIxEEEE10hipError_tPvRmT2_T3_mT4_P12ihipStream_tbEUlT_E_NS1_11comp_targetILNS1_3genE4ELNS1_11target_archE910ELNS1_3gpuE8ELNS1_3repE0EEENS1_30default_config_static_selectorELNS0_4arch9wavefront6targetE1EEEvT1_.has_dyn_sized_stack, 0
	.set _ZN7rocprim17ROCPRIM_400000_NS6detail17trampoline_kernelINS0_14default_configENS1_35adjacent_difference_config_selectorILb1ExEEZNS1_24adjacent_difference_implIS3_Lb1ELb0EPxS7_N6thrust23THRUST_200600_302600_NS5minusIxEEEE10hipError_tPvRmT2_T3_mT4_P12ihipStream_tbEUlT_E_NS1_11comp_targetILNS1_3genE4ELNS1_11target_archE910ELNS1_3gpuE8ELNS1_3repE0EEENS1_30default_config_static_selectorELNS0_4arch9wavefront6targetE1EEEvT1_.has_recursion, 0
	.set _ZN7rocprim17ROCPRIM_400000_NS6detail17trampoline_kernelINS0_14default_configENS1_35adjacent_difference_config_selectorILb1ExEEZNS1_24adjacent_difference_implIS3_Lb1ELb0EPxS7_N6thrust23THRUST_200600_302600_NS5minusIxEEEE10hipError_tPvRmT2_T3_mT4_P12ihipStream_tbEUlT_E_NS1_11comp_targetILNS1_3genE4ELNS1_11target_archE910ELNS1_3gpuE8ELNS1_3repE0EEENS1_30default_config_static_selectorELNS0_4arch9wavefront6targetE1EEEvT1_.has_indirect_call, 0
	.section	.AMDGPU.csdata,"",@progbits
; Kernel info:
; codeLenInByte = 0
; TotalNumSgprs: 4
; NumVgprs: 0
; ScratchSize: 0
; MemoryBound: 0
; FloatMode: 240
; IeeeMode: 1
; LDSByteSize: 0 bytes/workgroup (compile time only)
; SGPRBlocks: 0
; VGPRBlocks: 0
; NumSGPRsForWavesPerEU: 4
; NumVGPRsForWavesPerEU: 1
; Occupancy: 10
; WaveLimiterHint : 0
; COMPUTE_PGM_RSRC2:SCRATCH_EN: 0
; COMPUTE_PGM_RSRC2:USER_SGPR: 6
; COMPUTE_PGM_RSRC2:TRAP_HANDLER: 0
; COMPUTE_PGM_RSRC2:TGID_X_EN: 1
; COMPUTE_PGM_RSRC2:TGID_Y_EN: 0
; COMPUTE_PGM_RSRC2:TGID_Z_EN: 0
; COMPUTE_PGM_RSRC2:TIDIG_COMP_CNT: 0
	.section	.text._ZN7rocprim17ROCPRIM_400000_NS6detail17trampoline_kernelINS0_14default_configENS1_35adjacent_difference_config_selectorILb1ExEEZNS1_24adjacent_difference_implIS3_Lb1ELb0EPxS7_N6thrust23THRUST_200600_302600_NS5minusIxEEEE10hipError_tPvRmT2_T3_mT4_P12ihipStream_tbEUlT_E_NS1_11comp_targetILNS1_3genE3ELNS1_11target_archE908ELNS1_3gpuE7ELNS1_3repE0EEENS1_30default_config_static_selectorELNS0_4arch9wavefront6targetE1EEEvT1_,"axG",@progbits,_ZN7rocprim17ROCPRIM_400000_NS6detail17trampoline_kernelINS0_14default_configENS1_35adjacent_difference_config_selectorILb1ExEEZNS1_24adjacent_difference_implIS3_Lb1ELb0EPxS7_N6thrust23THRUST_200600_302600_NS5minusIxEEEE10hipError_tPvRmT2_T3_mT4_P12ihipStream_tbEUlT_E_NS1_11comp_targetILNS1_3genE3ELNS1_11target_archE908ELNS1_3gpuE7ELNS1_3repE0EEENS1_30default_config_static_selectorELNS0_4arch9wavefront6targetE1EEEvT1_,comdat
	.protected	_ZN7rocprim17ROCPRIM_400000_NS6detail17trampoline_kernelINS0_14default_configENS1_35adjacent_difference_config_selectorILb1ExEEZNS1_24adjacent_difference_implIS3_Lb1ELb0EPxS7_N6thrust23THRUST_200600_302600_NS5minusIxEEEE10hipError_tPvRmT2_T3_mT4_P12ihipStream_tbEUlT_E_NS1_11comp_targetILNS1_3genE3ELNS1_11target_archE908ELNS1_3gpuE7ELNS1_3repE0EEENS1_30default_config_static_selectorELNS0_4arch9wavefront6targetE1EEEvT1_ ; -- Begin function _ZN7rocprim17ROCPRIM_400000_NS6detail17trampoline_kernelINS0_14default_configENS1_35adjacent_difference_config_selectorILb1ExEEZNS1_24adjacent_difference_implIS3_Lb1ELb0EPxS7_N6thrust23THRUST_200600_302600_NS5minusIxEEEE10hipError_tPvRmT2_T3_mT4_P12ihipStream_tbEUlT_E_NS1_11comp_targetILNS1_3genE3ELNS1_11target_archE908ELNS1_3gpuE7ELNS1_3repE0EEENS1_30default_config_static_selectorELNS0_4arch9wavefront6targetE1EEEvT1_
	.globl	_ZN7rocprim17ROCPRIM_400000_NS6detail17trampoline_kernelINS0_14default_configENS1_35adjacent_difference_config_selectorILb1ExEEZNS1_24adjacent_difference_implIS3_Lb1ELb0EPxS7_N6thrust23THRUST_200600_302600_NS5minusIxEEEE10hipError_tPvRmT2_T3_mT4_P12ihipStream_tbEUlT_E_NS1_11comp_targetILNS1_3genE3ELNS1_11target_archE908ELNS1_3gpuE7ELNS1_3repE0EEENS1_30default_config_static_selectorELNS0_4arch9wavefront6targetE1EEEvT1_
	.p2align	8
	.type	_ZN7rocprim17ROCPRIM_400000_NS6detail17trampoline_kernelINS0_14default_configENS1_35adjacent_difference_config_selectorILb1ExEEZNS1_24adjacent_difference_implIS3_Lb1ELb0EPxS7_N6thrust23THRUST_200600_302600_NS5minusIxEEEE10hipError_tPvRmT2_T3_mT4_P12ihipStream_tbEUlT_E_NS1_11comp_targetILNS1_3genE3ELNS1_11target_archE908ELNS1_3gpuE7ELNS1_3repE0EEENS1_30default_config_static_selectorELNS0_4arch9wavefront6targetE1EEEvT1_,@function
_ZN7rocprim17ROCPRIM_400000_NS6detail17trampoline_kernelINS0_14default_configENS1_35adjacent_difference_config_selectorILb1ExEEZNS1_24adjacent_difference_implIS3_Lb1ELb0EPxS7_N6thrust23THRUST_200600_302600_NS5minusIxEEEE10hipError_tPvRmT2_T3_mT4_P12ihipStream_tbEUlT_E_NS1_11comp_targetILNS1_3genE3ELNS1_11target_archE908ELNS1_3gpuE7ELNS1_3repE0EEENS1_30default_config_static_selectorELNS0_4arch9wavefront6targetE1EEEvT1_: ; @_ZN7rocprim17ROCPRIM_400000_NS6detail17trampoline_kernelINS0_14default_configENS1_35adjacent_difference_config_selectorILb1ExEEZNS1_24adjacent_difference_implIS3_Lb1ELb0EPxS7_N6thrust23THRUST_200600_302600_NS5minusIxEEEE10hipError_tPvRmT2_T3_mT4_P12ihipStream_tbEUlT_E_NS1_11comp_targetILNS1_3genE3ELNS1_11target_archE908ELNS1_3gpuE7ELNS1_3repE0EEENS1_30default_config_static_selectorELNS0_4arch9wavefront6targetE1EEEvT1_
; %bb.0:
	.section	.rodata,"a",@progbits
	.p2align	6, 0x0
	.amdhsa_kernel _ZN7rocprim17ROCPRIM_400000_NS6detail17trampoline_kernelINS0_14default_configENS1_35adjacent_difference_config_selectorILb1ExEEZNS1_24adjacent_difference_implIS3_Lb1ELb0EPxS7_N6thrust23THRUST_200600_302600_NS5minusIxEEEE10hipError_tPvRmT2_T3_mT4_P12ihipStream_tbEUlT_E_NS1_11comp_targetILNS1_3genE3ELNS1_11target_archE908ELNS1_3gpuE7ELNS1_3repE0EEENS1_30default_config_static_selectorELNS0_4arch9wavefront6targetE1EEEvT1_
		.amdhsa_group_segment_fixed_size 0
		.amdhsa_private_segment_fixed_size 0
		.amdhsa_kernarg_size 56
		.amdhsa_user_sgpr_count 6
		.amdhsa_user_sgpr_private_segment_buffer 1
		.amdhsa_user_sgpr_dispatch_ptr 0
		.amdhsa_user_sgpr_queue_ptr 0
		.amdhsa_user_sgpr_kernarg_segment_ptr 1
		.amdhsa_user_sgpr_dispatch_id 0
		.amdhsa_user_sgpr_flat_scratch_init 0
		.amdhsa_user_sgpr_private_segment_size 0
		.amdhsa_uses_dynamic_stack 0
		.amdhsa_system_sgpr_private_segment_wavefront_offset 0
		.amdhsa_system_sgpr_workgroup_id_x 1
		.amdhsa_system_sgpr_workgroup_id_y 0
		.amdhsa_system_sgpr_workgroup_id_z 0
		.amdhsa_system_sgpr_workgroup_info 0
		.amdhsa_system_vgpr_workitem_id 0
		.amdhsa_next_free_vgpr 1
		.amdhsa_next_free_sgpr 0
		.amdhsa_reserve_vcc 0
		.amdhsa_reserve_flat_scratch 0
		.amdhsa_float_round_mode_32 0
		.amdhsa_float_round_mode_16_64 0
		.amdhsa_float_denorm_mode_32 3
		.amdhsa_float_denorm_mode_16_64 3
		.amdhsa_dx10_clamp 1
		.amdhsa_ieee_mode 1
		.amdhsa_fp16_overflow 0
		.amdhsa_exception_fp_ieee_invalid_op 0
		.amdhsa_exception_fp_denorm_src 0
		.amdhsa_exception_fp_ieee_div_zero 0
		.amdhsa_exception_fp_ieee_overflow 0
		.amdhsa_exception_fp_ieee_underflow 0
		.amdhsa_exception_fp_ieee_inexact 0
		.amdhsa_exception_int_div_zero 0
	.end_amdhsa_kernel
	.section	.text._ZN7rocprim17ROCPRIM_400000_NS6detail17trampoline_kernelINS0_14default_configENS1_35adjacent_difference_config_selectorILb1ExEEZNS1_24adjacent_difference_implIS3_Lb1ELb0EPxS7_N6thrust23THRUST_200600_302600_NS5minusIxEEEE10hipError_tPvRmT2_T3_mT4_P12ihipStream_tbEUlT_E_NS1_11comp_targetILNS1_3genE3ELNS1_11target_archE908ELNS1_3gpuE7ELNS1_3repE0EEENS1_30default_config_static_selectorELNS0_4arch9wavefront6targetE1EEEvT1_,"axG",@progbits,_ZN7rocprim17ROCPRIM_400000_NS6detail17trampoline_kernelINS0_14default_configENS1_35adjacent_difference_config_selectorILb1ExEEZNS1_24adjacent_difference_implIS3_Lb1ELb0EPxS7_N6thrust23THRUST_200600_302600_NS5minusIxEEEE10hipError_tPvRmT2_T3_mT4_P12ihipStream_tbEUlT_E_NS1_11comp_targetILNS1_3genE3ELNS1_11target_archE908ELNS1_3gpuE7ELNS1_3repE0EEENS1_30default_config_static_selectorELNS0_4arch9wavefront6targetE1EEEvT1_,comdat
.Lfunc_end278:
	.size	_ZN7rocprim17ROCPRIM_400000_NS6detail17trampoline_kernelINS0_14default_configENS1_35adjacent_difference_config_selectorILb1ExEEZNS1_24adjacent_difference_implIS3_Lb1ELb0EPxS7_N6thrust23THRUST_200600_302600_NS5minusIxEEEE10hipError_tPvRmT2_T3_mT4_P12ihipStream_tbEUlT_E_NS1_11comp_targetILNS1_3genE3ELNS1_11target_archE908ELNS1_3gpuE7ELNS1_3repE0EEENS1_30default_config_static_selectorELNS0_4arch9wavefront6targetE1EEEvT1_, .Lfunc_end278-_ZN7rocprim17ROCPRIM_400000_NS6detail17trampoline_kernelINS0_14default_configENS1_35adjacent_difference_config_selectorILb1ExEEZNS1_24adjacent_difference_implIS3_Lb1ELb0EPxS7_N6thrust23THRUST_200600_302600_NS5minusIxEEEE10hipError_tPvRmT2_T3_mT4_P12ihipStream_tbEUlT_E_NS1_11comp_targetILNS1_3genE3ELNS1_11target_archE908ELNS1_3gpuE7ELNS1_3repE0EEENS1_30default_config_static_selectorELNS0_4arch9wavefront6targetE1EEEvT1_
                                        ; -- End function
	.set _ZN7rocprim17ROCPRIM_400000_NS6detail17trampoline_kernelINS0_14default_configENS1_35adjacent_difference_config_selectorILb1ExEEZNS1_24adjacent_difference_implIS3_Lb1ELb0EPxS7_N6thrust23THRUST_200600_302600_NS5minusIxEEEE10hipError_tPvRmT2_T3_mT4_P12ihipStream_tbEUlT_E_NS1_11comp_targetILNS1_3genE3ELNS1_11target_archE908ELNS1_3gpuE7ELNS1_3repE0EEENS1_30default_config_static_selectorELNS0_4arch9wavefront6targetE1EEEvT1_.num_vgpr, 0
	.set _ZN7rocprim17ROCPRIM_400000_NS6detail17trampoline_kernelINS0_14default_configENS1_35adjacent_difference_config_selectorILb1ExEEZNS1_24adjacent_difference_implIS3_Lb1ELb0EPxS7_N6thrust23THRUST_200600_302600_NS5minusIxEEEE10hipError_tPvRmT2_T3_mT4_P12ihipStream_tbEUlT_E_NS1_11comp_targetILNS1_3genE3ELNS1_11target_archE908ELNS1_3gpuE7ELNS1_3repE0EEENS1_30default_config_static_selectorELNS0_4arch9wavefront6targetE1EEEvT1_.num_agpr, 0
	.set _ZN7rocprim17ROCPRIM_400000_NS6detail17trampoline_kernelINS0_14default_configENS1_35adjacent_difference_config_selectorILb1ExEEZNS1_24adjacent_difference_implIS3_Lb1ELb0EPxS7_N6thrust23THRUST_200600_302600_NS5minusIxEEEE10hipError_tPvRmT2_T3_mT4_P12ihipStream_tbEUlT_E_NS1_11comp_targetILNS1_3genE3ELNS1_11target_archE908ELNS1_3gpuE7ELNS1_3repE0EEENS1_30default_config_static_selectorELNS0_4arch9wavefront6targetE1EEEvT1_.numbered_sgpr, 0
	.set _ZN7rocprim17ROCPRIM_400000_NS6detail17trampoline_kernelINS0_14default_configENS1_35adjacent_difference_config_selectorILb1ExEEZNS1_24adjacent_difference_implIS3_Lb1ELb0EPxS7_N6thrust23THRUST_200600_302600_NS5minusIxEEEE10hipError_tPvRmT2_T3_mT4_P12ihipStream_tbEUlT_E_NS1_11comp_targetILNS1_3genE3ELNS1_11target_archE908ELNS1_3gpuE7ELNS1_3repE0EEENS1_30default_config_static_selectorELNS0_4arch9wavefront6targetE1EEEvT1_.num_named_barrier, 0
	.set _ZN7rocprim17ROCPRIM_400000_NS6detail17trampoline_kernelINS0_14default_configENS1_35adjacent_difference_config_selectorILb1ExEEZNS1_24adjacent_difference_implIS3_Lb1ELb0EPxS7_N6thrust23THRUST_200600_302600_NS5minusIxEEEE10hipError_tPvRmT2_T3_mT4_P12ihipStream_tbEUlT_E_NS1_11comp_targetILNS1_3genE3ELNS1_11target_archE908ELNS1_3gpuE7ELNS1_3repE0EEENS1_30default_config_static_selectorELNS0_4arch9wavefront6targetE1EEEvT1_.private_seg_size, 0
	.set _ZN7rocprim17ROCPRIM_400000_NS6detail17trampoline_kernelINS0_14default_configENS1_35adjacent_difference_config_selectorILb1ExEEZNS1_24adjacent_difference_implIS3_Lb1ELb0EPxS7_N6thrust23THRUST_200600_302600_NS5minusIxEEEE10hipError_tPvRmT2_T3_mT4_P12ihipStream_tbEUlT_E_NS1_11comp_targetILNS1_3genE3ELNS1_11target_archE908ELNS1_3gpuE7ELNS1_3repE0EEENS1_30default_config_static_selectorELNS0_4arch9wavefront6targetE1EEEvT1_.uses_vcc, 0
	.set _ZN7rocprim17ROCPRIM_400000_NS6detail17trampoline_kernelINS0_14default_configENS1_35adjacent_difference_config_selectorILb1ExEEZNS1_24adjacent_difference_implIS3_Lb1ELb0EPxS7_N6thrust23THRUST_200600_302600_NS5minusIxEEEE10hipError_tPvRmT2_T3_mT4_P12ihipStream_tbEUlT_E_NS1_11comp_targetILNS1_3genE3ELNS1_11target_archE908ELNS1_3gpuE7ELNS1_3repE0EEENS1_30default_config_static_selectorELNS0_4arch9wavefront6targetE1EEEvT1_.uses_flat_scratch, 0
	.set _ZN7rocprim17ROCPRIM_400000_NS6detail17trampoline_kernelINS0_14default_configENS1_35adjacent_difference_config_selectorILb1ExEEZNS1_24adjacent_difference_implIS3_Lb1ELb0EPxS7_N6thrust23THRUST_200600_302600_NS5minusIxEEEE10hipError_tPvRmT2_T3_mT4_P12ihipStream_tbEUlT_E_NS1_11comp_targetILNS1_3genE3ELNS1_11target_archE908ELNS1_3gpuE7ELNS1_3repE0EEENS1_30default_config_static_selectorELNS0_4arch9wavefront6targetE1EEEvT1_.has_dyn_sized_stack, 0
	.set _ZN7rocprim17ROCPRIM_400000_NS6detail17trampoline_kernelINS0_14default_configENS1_35adjacent_difference_config_selectorILb1ExEEZNS1_24adjacent_difference_implIS3_Lb1ELb0EPxS7_N6thrust23THRUST_200600_302600_NS5minusIxEEEE10hipError_tPvRmT2_T3_mT4_P12ihipStream_tbEUlT_E_NS1_11comp_targetILNS1_3genE3ELNS1_11target_archE908ELNS1_3gpuE7ELNS1_3repE0EEENS1_30default_config_static_selectorELNS0_4arch9wavefront6targetE1EEEvT1_.has_recursion, 0
	.set _ZN7rocprim17ROCPRIM_400000_NS6detail17trampoline_kernelINS0_14default_configENS1_35adjacent_difference_config_selectorILb1ExEEZNS1_24adjacent_difference_implIS3_Lb1ELb0EPxS7_N6thrust23THRUST_200600_302600_NS5minusIxEEEE10hipError_tPvRmT2_T3_mT4_P12ihipStream_tbEUlT_E_NS1_11comp_targetILNS1_3genE3ELNS1_11target_archE908ELNS1_3gpuE7ELNS1_3repE0EEENS1_30default_config_static_selectorELNS0_4arch9wavefront6targetE1EEEvT1_.has_indirect_call, 0
	.section	.AMDGPU.csdata,"",@progbits
; Kernel info:
; codeLenInByte = 0
; TotalNumSgprs: 4
; NumVgprs: 0
; ScratchSize: 0
; MemoryBound: 0
; FloatMode: 240
; IeeeMode: 1
; LDSByteSize: 0 bytes/workgroup (compile time only)
; SGPRBlocks: 0
; VGPRBlocks: 0
; NumSGPRsForWavesPerEU: 4
; NumVGPRsForWavesPerEU: 1
; Occupancy: 10
; WaveLimiterHint : 0
; COMPUTE_PGM_RSRC2:SCRATCH_EN: 0
; COMPUTE_PGM_RSRC2:USER_SGPR: 6
; COMPUTE_PGM_RSRC2:TRAP_HANDLER: 0
; COMPUTE_PGM_RSRC2:TGID_X_EN: 1
; COMPUTE_PGM_RSRC2:TGID_Y_EN: 0
; COMPUTE_PGM_RSRC2:TGID_Z_EN: 0
; COMPUTE_PGM_RSRC2:TIDIG_COMP_CNT: 0
	.section	.text._ZN7rocprim17ROCPRIM_400000_NS6detail17trampoline_kernelINS0_14default_configENS1_35adjacent_difference_config_selectorILb1ExEEZNS1_24adjacent_difference_implIS3_Lb1ELb0EPxS7_N6thrust23THRUST_200600_302600_NS5minusIxEEEE10hipError_tPvRmT2_T3_mT4_P12ihipStream_tbEUlT_E_NS1_11comp_targetILNS1_3genE2ELNS1_11target_archE906ELNS1_3gpuE6ELNS1_3repE0EEENS1_30default_config_static_selectorELNS0_4arch9wavefront6targetE1EEEvT1_,"axG",@progbits,_ZN7rocprim17ROCPRIM_400000_NS6detail17trampoline_kernelINS0_14default_configENS1_35adjacent_difference_config_selectorILb1ExEEZNS1_24adjacent_difference_implIS3_Lb1ELb0EPxS7_N6thrust23THRUST_200600_302600_NS5minusIxEEEE10hipError_tPvRmT2_T3_mT4_P12ihipStream_tbEUlT_E_NS1_11comp_targetILNS1_3genE2ELNS1_11target_archE906ELNS1_3gpuE6ELNS1_3repE0EEENS1_30default_config_static_selectorELNS0_4arch9wavefront6targetE1EEEvT1_,comdat
	.protected	_ZN7rocprim17ROCPRIM_400000_NS6detail17trampoline_kernelINS0_14default_configENS1_35adjacent_difference_config_selectorILb1ExEEZNS1_24adjacent_difference_implIS3_Lb1ELb0EPxS7_N6thrust23THRUST_200600_302600_NS5minusIxEEEE10hipError_tPvRmT2_T3_mT4_P12ihipStream_tbEUlT_E_NS1_11comp_targetILNS1_3genE2ELNS1_11target_archE906ELNS1_3gpuE6ELNS1_3repE0EEENS1_30default_config_static_selectorELNS0_4arch9wavefront6targetE1EEEvT1_ ; -- Begin function _ZN7rocprim17ROCPRIM_400000_NS6detail17trampoline_kernelINS0_14default_configENS1_35adjacent_difference_config_selectorILb1ExEEZNS1_24adjacent_difference_implIS3_Lb1ELb0EPxS7_N6thrust23THRUST_200600_302600_NS5minusIxEEEE10hipError_tPvRmT2_T3_mT4_P12ihipStream_tbEUlT_E_NS1_11comp_targetILNS1_3genE2ELNS1_11target_archE906ELNS1_3gpuE6ELNS1_3repE0EEENS1_30default_config_static_selectorELNS0_4arch9wavefront6targetE1EEEvT1_
	.globl	_ZN7rocprim17ROCPRIM_400000_NS6detail17trampoline_kernelINS0_14default_configENS1_35adjacent_difference_config_selectorILb1ExEEZNS1_24adjacent_difference_implIS3_Lb1ELb0EPxS7_N6thrust23THRUST_200600_302600_NS5minusIxEEEE10hipError_tPvRmT2_T3_mT4_P12ihipStream_tbEUlT_E_NS1_11comp_targetILNS1_3genE2ELNS1_11target_archE906ELNS1_3gpuE6ELNS1_3repE0EEENS1_30default_config_static_selectorELNS0_4arch9wavefront6targetE1EEEvT1_
	.p2align	8
	.type	_ZN7rocprim17ROCPRIM_400000_NS6detail17trampoline_kernelINS0_14default_configENS1_35adjacent_difference_config_selectorILb1ExEEZNS1_24adjacent_difference_implIS3_Lb1ELb0EPxS7_N6thrust23THRUST_200600_302600_NS5minusIxEEEE10hipError_tPvRmT2_T3_mT4_P12ihipStream_tbEUlT_E_NS1_11comp_targetILNS1_3genE2ELNS1_11target_archE906ELNS1_3gpuE6ELNS1_3repE0EEENS1_30default_config_static_selectorELNS0_4arch9wavefront6targetE1EEEvT1_,@function
_ZN7rocprim17ROCPRIM_400000_NS6detail17trampoline_kernelINS0_14default_configENS1_35adjacent_difference_config_selectorILb1ExEEZNS1_24adjacent_difference_implIS3_Lb1ELb0EPxS7_N6thrust23THRUST_200600_302600_NS5minusIxEEEE10hipError_tPvRmT2_T3_mT4_P12ihipStream_tbEUlT_E_NS1_11comp_targetILNS1_3genE2ELNS1_11target_archE906ELNS1_3gpuE6ELNS1_3repE0EEENS1_30default_config_static_selectorELNS0_4arch9wavefront6targetE1EEEvT1_: ; @_ZN7rocprim17ROCPRIM_400000_NS6detail17trampoline_kernelINS0_14default_configENS1_35adjacent_difference_config_selectorILb1ExEEZNS1_24adjacent_difference_implIS3_Lb1ELb0EPxS7_N6thrust23THRUST_200600_302600_NS5minusIxEEEE10hipError_tPvRmT2_T3_mT4_P12ihipStream_tbEUlT_E_NS1_11comp_targetILNS1_3genE2ELNS1_11target_archE906ELNS1_3gpuE6ELNS1_3repE0EEENS1_30default_config_static_selectorELNS0_4arch9wavefront6targetE1EEEvT1_
; %bb.0:
	s_load_dwordx8 s[8:15], s[4:5], 0x0
	s_load_dwordx4 s[16:19], s[4:5], 0x28
	s_mul_i32 s4, s6, 0x580
	s_mov_b32 s7, 0
	s_mov_b64 s[22:23], -1
	s_waitcnt lgkmcnt(0)
	s_lshl_b64 s[10:11], s[10:11], 3
	s_add_u32 s26, s8, s10
	s_addc_u32 s27, s9, s11
	s_mul_i32 s3, s15, 0xba2e8ba3
	s_mul_hi_u32 s5, s14, 0xba2e8ba3
	s_mul_hi_u32 s2, s15, 0xba2e8ba3
	s_add_u32 s3, s3, s5
	s_mul_i32 s1, s14, 0x2e8ba2e8
	s_addc_u32 s2, s2, 0
	s_mul_hi_u32 s0, s14, 0x2e8ba2e8
	s_add_u32 s1, s1, s3
	s_addc_u32 s0, s0, 0
	s_add_u32 s0, s2, s0
	s_addc_u32 s1, 0, 0
	s_mul_i32 s3, s15, 0x2e8ba2e8
	s_mul_hi_u32 s2, s15, 0x2e8ba2e8
	s_add_u32 s0, s3, s0
	s_addc_u32 s1, s2, s1
	s_lshr_b64 s[2:3], s[0:1], 8
	s_lshr_b32 s0, s1, 8
	s_mulk_i32 s0, 0x580
	s_mul_hi_u32 s1, s2, 0x580
	s_add_i32 s1, s1, s0
	s_mul_i32 s0, s2, 0x580
	s_sub_u32 s0, s14, s0
	s_subb_u32 s1, s15, s1
	s_cmp_lg_u64 s[0:1], 0
	s_cselect_b64 s[0:1], -1, 0
	v_cndmask_b32_e64 v1, 0, 1, s[0:1]
	v_readfirstlane_b32 s0, v1
	s_add_u32 s2, s2, s0
	s_addc_u32 s3, s3, 0
	s_add_u32 s8, s18, s6
	s_addc_u32 s9, s19, 0
	s_add_u32 s20, s2, -1
	s_addc_u32 s21, s3, -1
	v_mov_b32_e32 v1, s20
	v_mov_b32_e32 v2, s21
	v_cmp_ge_u64_e64 s[0:1], s[8:9], v[1:2]
	s_mul_i32 s15, s20, 0xfffffa80
	s_and_b64 vcc, exec, s[0:1]
	s_cbranch_vccz .LBB279_24
; %bb.1:
	s_mov_b32 s5, s7
	s_add_i32 s28, s15, s14
	s_lshl_b64 s[22:23], s[4:5], 3
	s_add_u32 s22, s26, s22
	s_addc_u32 s23, s27, s23
	v_cmp_gt_u32_e32 vcc, s28, v0
                                        ; implicit-def: $vgpr1_vgpr2
	s_and_saveexec_b64 s[24:25], vcc
	s_cbranch_execz .LBB279_3
; %bb.2:
	v_lshlrev_b32_e32 v1, 3, v0
	global_load_dwordx2 v[1:2], v1, s[22:23]
.LBB279_3:
	s_or_b64 exec, exec, s[24:25]
	v_or_b32_e32 v3, 0x80, v0
	v_cmp_gt_u32_e32 vcc, s28, v3
                                        ; implicit-def: $vgpr3_vgpr4
	s_and_saveexec_b64 s[24:25], vcc
	s_cbranch_execz .LBB279_5
; %bb.4:
	v_lshlrev_b32_e32 v3, 3, v0
	global_load_dwordx2 v[3:4], v3, s[22:23] offset:1024
.LBB279_5:
	s_or_b64 exec, exec, s[24:25]
	v_or_b32_e32 v5, 0x100, v0
	v_cmp_gt_u32_e32 vcc, s28, v5
                                        ; implicit-def: $vgpr5_vgpr6
	s_and_saveexec_b64 s[24:25], vcc
	s_cbranch_execz .LBB279_7
; %bb.6:
	v_lshlrev_b32_e32 v5, 3, v0
	global_load_dwordx2 v[5:6], v5, s[22:23] offset:2048
.LBB279_7:
	s_or_b64 exec, exec, s[24:25]
	v_or_b32_e32 v7, 0x180, v0
	v_cmp_gt_u32_e32 vcc, s28, v7
                                        ; implicit-def: $vgpr7_vgpr8
	s_and_saveexec_b64 s[24:25], vcc
	s_cbranch_execz .LBB279_9
; %bb.8:
	v_lshlrev_b32_e32 v7, 3, v0
	global_load_dwordx2 v[7:8], v7, s[22:23] offset:3072
.LBB279_9:
	s_or_b64 exec, exec, s[24:25]
	v_or_b32_e32 v11, 0x200, v0
	v_cmp_gt_u32_e32 vcc, s28, v11
                                        ; implicit-def: $vgpr9_vgpr10
	s_and_saveexec_b64 s[24:25], vcc
	s_cbranch_execz .LBB279_11
; %bb.10:
	v_lshlrev_b32_e32 v9, 3, v11
	global_load_dwordx2 v[9:10], v9, s[22:23]
.LBB279_11:
	s_or_b64 exec, exec, s[24:25]
	v_or_b32_e32 v13, 0x280, v0
	v_cmp_gt_u32_e32 vcc, s28, v13
                                        ; implicit-def: $vgpr11_vgpr12
	s_and_saveexec_b64 s[24:25], vcc
	s_cbranch_execz .LBB279_13
; %bb.12:
	v_lshlrev_b32_e32 v11, 3, v13
	global_load_dwordx2 v[11:12], v11, s[22:23]
.LBB279_13:
	s_or_b64 exec, exec, s[24:25]
	v_or_b32_e32 v15, 0x300, v0
	v_cmp_gt_u32_e32 vcc, s28, v15
                                        ; implicit-def: $vgpr13_vgpr14
	s_and_saveexec_b64 s[24:25], vcc
	s_cbranch_execz .LBB279_15
; %bb.14:
	v_lshlrev_b32_e32 v13, 3, v15
	global_load_dwordx2 v[13:14], v13, s[22:23]
.LBB279_15:
	s_or_b64 exec, exec, s[24:25]
	v_or_b32_e32 v17, 0x380, v0
	v_cmp_gt_u32_e32 vcc, s28, v17
                                        ; implicit-def: $vgpr15_vgpr16
	s_and_saveexec_b64 s[24:25], vcc
	s_cbranch_execz .LBB279_17
; %bb.16:
	v_lshlrev_b32_e32 v15, 3, v17
	global_load_dwordx2 v[15:16], v15, s[22:23]
.LBB279_17:
	s_or_b64 exec, exec, s[24:25]
	v_or_b32_e32 v19, 0x400, v0
	v_cmp_gt_u32_e32 vcc, s28, v19
                                        ; implicit-def: $vgpr17_vgpr18
	s_and_saveexec_b64 s[24:25], vcc
	s_cbranch_execz .LBB279_19
; %bb.18:
	v_lshlrev_b32_e32 v17, 3, v19
	global_load_dwordx2 v[17:18], v17, s[22:23]
.LBB279_19:
	s_or_b64 exec, exec, s[24:25]
	v_or_b32_e32 v21, 0x480, v0
	v_cmp_gt_u32_e32 vcc, s28, v21
                                        ; implicit-def: $vgpr19_vgpr20
	s_and_saveexec_b64 s[24:25], vcc
	s_cbranch_execz .LBB279_21
; %bb.20:
	v_lshlrev_b32_e32 v19, 3, v21
	global_load_dwordx2 v[19:20], v19, s[22:23]
.LBB279_21:
	s_or_b64 exec, exec, s[24:25]
	v_or_b32_e32 v23, 0x500, v0
	v_cmp_gt_u32_e32 vcc, s28, v23
                                        ; implicit-def: $vgpr21_vgpr22
	s_and_saveexec_b64 s[24:25], vcc
	s_cbranch_execz .LBB279_23
; %bb.22:
	v_lshlrev_b32_e32 v21, 3, v23
	global_load_dwordx2 v[21:22], v21, s[22:23]
.LBB279_23:
	s_or_b64 exec, exec, s[24:25]
	v_lshlrev_b32_e32 v23, 3, v0
	s_mov_b64 s[22:23], 0
	s_waitcnt vmcnt(0)
	ds_write2st64_b64 v23, v[1:2], v[3:4] offset1:2
	ds_write2st64_b64 v23, v[5:6], v[7:8] offset0:4 offset1:6
	ds_write2st64_b64 v23, v[9:10], v[11:12] offset0:8 offset1:10
	;; [unrolled: 1-line block ×4, first 2 shown]
	ds_write_b64 v23, v[21:22] offset:10240
	s_waitcnt lgkmcnt(0)
	s_barrier
.LBB279_24:
	s_and_b64 vcc, exec, s[22:23]
	v_lshlrev_b32_e32 v45, 3, v0
	s_cbranch_vccz .LBB279_26
; %bb.25:
	s_mov_b32 s5, 0
	s_lshl_b64 s[22:23], s[4:5], 3
	s_add_u32 s22, s26, s22
	s_addc_u32 s23, s27, s23
	v_mov_b32_e32 v1, s23
	v_add_co_u32_e32 v19, vcc, s22, v45
	v_addc_co_u32_e32 v20, vcc, 0, v1, vcc
	v_add_co_u32_e32 v9, vcc, 0x1000, v19
	v_addc_co_u32_e32 v10, vcc, 0, v20, vcc
	global_load_dwordx2 v[1:2], v45, s[22:23]
	global_load_dwordx2 v[3:4], v45, s[22:23] offset:1024
	global_load_dwordx2 v[5:6], v45, s[22:23] offset:2048
	;; [unrolled: 1-line block ×3, first 2 shown]
	global_load_dwordx2 v[11:12], v[9:10], off
	global_load_dwordx2 v[13:14], v[9:10], off offset:1024
	global_load_dwordx2 v[15:16], v[9:10], off offset:2048
	;; [unrolled: 1-line block ×3, first 2 shown]
	v_add_co_u32_e32 v9, vcc, 0x2000, v19
	v_addc_co_u32_e32 v10, vcc, 0, v20, vcc
	global_load_dwordx2 v[19:20], v[9:10], off
	global_load_dwordx2 v[21:22], v[9:10], off offset:1024
	global_load_dwordx2 v[23:24], v[9:10], off offset:2048
	s_waitcnt vmcnt(9)
	ds_write2st64_b64 v45, v[1:2], v[3:4] offset1:2
	s_waitcnt vmcnt(7)
	ds_write2st64_b64 v45, v[5:6], v[7:8] offset0:4 offset1:6
	s_waitcnt vmcnt(5)
	ds_write2st64_b64 v45, v[11:12], v[13:14] offset0:8 offset1:10
	;; [unrolled: 2-line block ×4, first 2 shown]
	s_waitcnt vmcnt(0)
	ds_write_b64 v45, v[23:24] offset:10240
	s_waitcnt lgkmcnt(0)
	s_barrier
.LBB279_26:
	v_mul_u32_u24_e32 v17, 0x58, v0
	ds_read_b64 v[21:22], v17 offset:80
	ds_read2_b64 v[1:4], v17 offset0:8 offset1:9
	ds_read2_b64 v[9:12], v17 offset1:1
	ds_read2_b64 v[13:16], v17 offset0:2 offset1:3
	ds_read2_b64 v[5:8], v17 offset0:6 offset1:7
	;; [unrolled: 1-line block ×3, first 2 shown]
	s_cmp_eq_u64 s[8:9], 0
	s_waitcnt lgkmcnt(0)
	s_barrier
	s_cbranch_scc1 .LBB279_31
; %bb.27:
	s_lshl_b64 s[18:19], s[18:19], 3
	s_add_u32 s5, s16, s18
	s_addc_u32 s16, s17, s19
	s_lshl_b64 s[6:7], s[6:7], 3
	s_add_u32 s5, s5, s6
	s_addc_u32 s7, s16, s7
	s_add_u32 s6, s5, -8
	s_addc_u32 s7, s7, -1
	s_load_dwordx2 s[6:7], s[6:7], 0x0
	s_cmp_eq_u64 s[8:9], s[20:21]
	s_cbranch_scc1 .LBB279_32
; %bb.28:
	s_waitcnt lgkmcnt(0)
	v_mov_b32_e32 v24, s7
	v_cmp_ne_u32_e32 vcc, 0, v0
	v_mov_b32_e32 v23, s6
	ds_write_b64 v45, v[21:22]
	s_waitcnt lgkmcnt(0)
	s_barrier
	s_and_saveexec_b64 s[16:17], vcc
; %bb.29:
	v_add_u32_e32 v23, -8, v45
	ds_read_b64 v[23:24], v23
; %bb.30:
	s_or_b64 exec, exec, s[16:17]
	s_waitcnt lgkmcnt(0)
	v_sub_co_u32_e32 v23, vcc, v9, v23
	v_subb_co_u32_e32 v24, vcc, v10, v24, vcc
	s_mov_b64 s[16:17], 0
	s_branch .LBB279_33
.LBB279_31:
                                        ; implicit-def: $vgpr23_vgpr24
                                        ; implicit-def: $vgpr43_vgpr44
                                        ; implicit-def: $vgpr35_vgpr36
                                        ; implicit-def: $vgpr41_vgpr42
                                        ; implicit-def: $vgpr33_vgpr34
                                        ; implicit-def: $vgpr39_vgpr40
                                        ; implicit-def: $vgpr31_vgpr32
                                        ; implicit-def: $vgpr37_vgpr38
                                        ; implicit-def: $vgpr29_vgpr30
                                        ; implicit-def: $vgpr27_vgpr28
                                        ; implicit-def: $vgpr25_vgpr26
	s_branch .LBB279_38
.LBB279_32:
	s_mov_b64 s[16:17], -1
                                        ; implicit-def: $vgpr23_vgpr24
.LBB279_33:
	v_mov_b32_e32 v44, v10
	v_mov_b32_e32 v36, v12
	v_mov_b32_e32 v42, v14
	v_mov_b32_e32 v34, v16
	v_mov_b32_e32 v40, v18
	v_mov_b32_e32 v32, v20
	v_mov_b32_e32 v38, v6
	v_mov_b32_e32 v30, v8
	v_mov_b32_e32 v28, v2
	v_mov_b32_e32 v26, v4
	s_and_b64 vcc, exec, s[16:17]
	v_mov_b32_e32 v43, v9
	v_mov_b32_e32 v35, v11
	;; [unrolled: 1-line block ×10, first 2 shown]
	s_cbranch_vccz .LBB279_37
; %bb.34:
	s_waitcnt lgkmcnt(0)
	v_mov_b32_e32 v24, s7
	v_mul_u32_u24_e32 v46, 11, v0
	v_cmp_ne_u32_e32 vcc, 0, v0
	v_mov_b32_e32 v23, s6
	ds_write_b64 v45, v[21:22]
	s_waitcnt lgkmcnt(0)
	s_barrier
	s_and_saveexec_b64 s[6:7], vcc
; %bb.35:
	v_add_u32_e32 v23, -8, v45
	ds_read_b64 v[23:24], v23
; %bb.36:
	s_or_b64 exec, exec, s[6:7]
	s_mul_i32 s5, s8, 0xfffffa80
	s_add_i32 s5, s5, s14
	v_add_u32_e32 v25, 10, v46
	v_cmp_gt_u32_e32 vcc, s5, v25
	v_add_u32_e32 v27, 9, v46
	v_cndmask_b32_e32 v26, 0, v4, vcc
	v_cndmask_b32_e32 v25, 0, v3, vcc
	v_cmp_gt_u32_e32 vcc, s5, v27
	v_add_u32_e32 v29, 8, v46
	v_cndmask_b32_e32 v28, 0, v2, vcc
	v_cndmask_b32_e32 v27, 0, v1, vcc
	;; [unrolled: 4-line block ×9, first 2 shown]
	v_cmp_gt_u32_e32 vcc, s5, v43
	v_cndmask_b32_e32 v44, 0, v10, vcc
	v_cndmask_b32_e32 v43, 0, v9, vcc
	v_cmp_gt_u32_e32 vcc, s5, v46
	s_waitcnt lgkmcnt(0)
	v_cndmask_b32_e32 v23, 0, v23, vcc
	v_cndmask_b32_e32 v24, 0, v24, vcc
	v_sub_co_u32_e32 v23, vcc, v9, v23
	v_subb_co_u32_e32 v24, vcc, v10, v24, vcc
.LBB279_37:
	s_waitcnt lgkmcnt(0)
	s_cbranch_execnz .LBB279_48
.LBB279_38:
	s_cmp_eq_u64 s[2:3], 1
	v_cmp_ne_u32_e32 vcc, 0, v0
	s_cbranch_scc1 .LBB279_43
; %bb.39:
	v_mov_b32_e32 v24, v10
	v_mov_b32_e32 v23, v9
	ds_write_b64 v45, v[21:22]
	s_waitcnt lgkmcnt(0)
	s_barrier
	s_and_saveexec_b64 s[2:3], vcc
	s_cbranch_execz .LBB279_41
; %bb.40:
	v_add_u32_e32 v23, -8, v45
	ds_read_b64 v[23:24], v23
	s_waitcnt lgkmcnt(0)
	v_sub_co_u32_e32 v23, vcc, v9, v23
	v_subb_co_u32_e32 v24, vcc, v10, v24, vcc
.LBB279_41:
	s_or_b64 exec, exec, s[2:3]
	s_cbranch_execz .LBB279_44
; %bb.42:
	v_mov_b32_e32 v36, v12
	v_mov_b32_e32 v42, v14
	;; [unrolled: 1-line block ×18, first 2 shown]
	s_branch .LBB279_47
.LBB279_43:
                                        ; implicit-def: $vgpr23_vgpr24
.LBB279_44:
	v_mul_u32_u24_e32 v23, 11, v0
	v_add_u32_e32 v24, 10, v23
	v_cmp_gt_u32_e32 vcc, s14, v24
	v_add_u32_e32 v24, 9, v23
	v_cndmask_b32_e32 v26, 0, v4, vcc
	v_cndmask_b32_e32 v25, 0, v3, vcc
	v_cmp_gt_u32_e32 vcc, s14, v24
	v_add_u32_e32 v24, 8, v23
	v_cndmask_b32_e32 v28, 0, v2, vcc
	v_cndmask_b32_e32 v27, 0, v1, vcc
	;; [unrolled: 4-line block ×9, first 2 shown]
	v_cmp_gt_u32_e32 vcc, s14, v24
	v_cndmask_b32_e32 v44, 0, v10, vcc
	v_cndmask_b32_e32 v43, 0, v9, vcc
	v_cmp_ne_u32_e32 vcc, 0, v0
	v_cmp_gt_u32_e64 s[2:3], s14, v23
	s_and_b64 s[6:7], vcc, s[2:3]
	ds_write_b64 v45, v[21:22]
	s_waitcnt lgkmcnt(0)
	s_barrier
	s_and_saveexec_b64 s[2:3], s[6:7]
	s_cbranch_execz .LBB279_46
; %bb.45:
	v_add_u32_e32 v23, -8, v45
	ds_read_b64 v[23:24], v23
	s_waitcnt lgkmcnt(0)
	v_sub_co_u32_e32 v9, vcc, v9, v23
	v_subb_co_u32_e32 v10, vcc, v10, v24, vcc
.LBB279_46:
	s_or_b64 exec, exec, s[2:3]
	v_mov_b32_e32 v24, v10
	v_mov_b32_e32 v23, v9
	;; [unrolled: 1-line block ×4, first 2 shown]
.LBB279_47:
	v_mov_b32_e32 v44, v10
	v_mov_b32_e32 v43, v9
.LBB279_48:
	v_sub_co_u32_e32 v43, vcc, v11, v43
	v_subb_co_u32_e32 v44, vcc, v12, v44, vcc
	v_sub_co_u32_e32 v35, vcc, v13, v35
	v_subb_co_u32_e32 v36, vcc, v14, v36, vcc
	;; [unrolled: 2-line block ×9, first 2 shown]
	v_sub_co_u32_e32 v21, vcc, v21, v25
	s_add_u32 s6, s12, s10
	v_subb_co_u32_e32 v22, vcc, v22, v26, vcc
	s_addc_u32 s7, s13, s11
	s_and_b64 vcc, exec, s[0:1]
	s_barrier
	s_cbranch_vccz .LBB279_70
; %bb.49:
	s_movk_i32 s2, 0x58
	v_mul_i32_i24_e32 v47, 0xffffffb0, v0
	v_mul_u32_u24_e32 v46, 0x58, v0
	v_mad_u32_u24 v1, v0, s2, v47
	ds_write2_b64 v46, v[23:24], v[43:44] offset1:1
	ds_write2_b64 v46, v[35:36], v[41:42] offset0:2 offset1:3
	ds_write2_b64 v46, v[33:34], v[39:40] offset0:4 offset1:5
	;; [unrolled: 1-line block ×4, first 2 shown]
	ds_write_b64 v46, v[21:22] offset:80
	s_waitcnt lgkmcnt(0)
	s_barrier
	ds_read2st64_b64 v[17:20], v1 offset0:2 offset1:4
	ds_read2st64_b64 v[13:16], v1 offset0:6 offset1:8
	;; [unrolled: 1-line block ×5, first 2 shown]
	s_mov_b32 s5, 0
	s_add_i32 s15, s15, s14
	s_lshl_b64 s[0:1], s[4:5], 3
	s_add_u32 s0, s6, s0
	s_addc_u32 s1, s7, s1
	v_mov_b32_e32 v26, s1
	v_add_co_u32_e32 v25, vcc, s0, v45
	v_addc_co_u32_e32 v26, vcc, 0, v26, vcc
	v_cmp_gt_u32_e32 vcc, s15, v0
	s_and_saveexec_b64 s[0:1], vcc
	s_cbranch_execz .LBB279_51
; %bb.50:
	v_add_u32_e32 v46, v46, v47
	ds_read_b64 v[46:47], v46
	s_waitcnt lgkmcnt(0)
	global_store_dwordx2 v[25:26], v[46:47], off
.LBB279_51:
	s_or_b64 exec, exec, s[0:1]
	v_or_b32_e32 v46, 0x80, v0
	v_cmp_gt_u32_e32 vcc, s15, v46
	s_and_saveexec_b64 s[0:1], vcc
	s_cbranch_execz .LBB279_53
; %bb.52:
	s_waitcnt lgkmcnt(4)
	global_store_dwordx2 v[25:26], v[17:18], off offset:1024
.LBB279_53:
	s_or_b64 exec, exec, s[0:1]
	s_waitcnt lgkmcnt(4)
	v_or_b32_e32 v17, 0x100, v0
	v_cmp_gt_u32_e32 vcc, s15, v17
	s_and_saveexec_b64 s[0:1], vcc
	s_cbranch_execz .LBB279_55
; %bb.54:
	global_store_dwordx2 v[25:26], v[19:20], off offset:2048
.LBB279_55:
	s_or_b64 exec, exec, s[0:1]
	v_or_b32_e32 v17, 0x180, v0
	v_cmp_gt_u32_e32 vcc, s15, v17
	s_and_saveexec_b64 s[0:1], vcc
	s_cbranch_execz .LBB279_57
; %bb.56:
	s_waitcnt lgkmcnt(3)
	global_store_dwordx2 v[25:26], v[13:14], off offset:3072
.LBB279_57:
	s_or_b64 exec, exec, s[0:1]
	s_waitcnt lgkmcnt(3)
	v_or_b32_e32 v13, 0x200, v0
	v_cmp_gt_u32_e32 vcc, s15, v13
	s_and_saveexec_b64 s[0:1], vcc
	s_cbranch_execz .LBB279_59
; %bb.58:
	v_add_co_u32_e32 v13, vcc, 0x1000, v25
	v_addc_co_u32_e32 v14, vcc, 0, v26, vcc
	global_store_dwordx2 v[13:14], v[15:16], off
.LBB279_59:
	s_or_b64 exec, exec, s[0:1]
	v_or_b32_e32 v13, 0x280, v0
	v_cmp_gt_u32_e32 vcc, s15, v13
	s_and_saveexec_b64 s[0:1], vcc
	s_cbranch_execz .LBB279_61
; %bb.60:
	v_add_co_u32_e32 v13, vcc, 0x1000, v25
	v_addc_co_u32_e32 v14, vcc, 0, v26, vcc
	s_waitcnt lgkmcnt(2)
	global_store_dwordx2 v[13:14], v[9:10], off offset:1024
.LBB279_61:
	s_or_b64 exec, exec, s[0:1]
	s_waitcnt lgkmcnt(2)
	v_or_b32_e32 v9, 0x300, v0
	v_cmp_gt_u32_e32 vcc, s15, v9
	s_and_saveexec_b64 s[0:1], vcc
	s_cbranch_execz .LBB279_63
; %bb.62:
	v_add_co_u32_e32 v9, vcc, 0x1000, v25
	v_addc_co_u32_e32 v10, vcc, 0, v26, vcc
	global_store_dwordx2 v[9:10], v[11:12], off offset:2048
.LBB279_63:
	s_or_b64 exec, exec, s[0:1]
	v_or_b32_e32 v9, 0x380, v0
	v_cmp_gt_u32_e32 vcc, s15, v9
	s_and_saveexec_b64 s[0:1], vcc
	s_cbranch_execz .LBB279_65
; %bb.64:
	v_add_co_u32_e32 v9, vcc, 0x1000, v25
	v_addc_co_u32_e32 v10, vcc, 0, v26, vcc
	s_waitcnt lgkmcnt(1)
	global_store_dwordx2 v[9:10], v[5:6], off offset:3072
.LBB279_65:
	s_or_b64 exec, exec, s[0:1]
	s_waitcnt lgkmcnt(1)
	v_or_b32_e32 v5, 0x400, v0
	v_cmp_gt_u32_e32 vcc, s15, v5
	s_and_saveexec_b64 s[0:1], vcc
	s_cbranch_execz .LBB279_67
; %bb.66:
	v_add_co_u32_e32 v5, vcc, 0x2000, v25
	v_addc_co_u32_e32 v6, vcc, 0, v26, vcc
	global_store_dwordx2 v[5:6], v[7:8], off
.LBB279_67:
	s_or_b64 exec, exec, s[0:1]
	v_or_b32_e32 v5, 0x480, v0
	v_cmp_gt_u32_e32 vcc, s15, v5
	s_and_saveexec_b64 s[0:1], vcc
	s_cbranch_execz .LBB279_69
; %bb.68:
	v_add_co_u32_e32 v5, vcc, 0x2000, v25
	v_addc_co_u32_e32 v6, vcc, 0, v26, vcc
	s_waitcnt lgkmcnt(0)
	global_store_dwordx2 v[5:6], v[1:2], off offset:1024
.LBB279_69:
	s_or_b64 exec, exec, s[0:1]
	s_waitcnt lgkmcnt(0)
	v_or_b32_e32 v1, 0x500, v0
	v_cmp_gt_u32_e64 s[0:1], s15, v1
	s_branch .LBB279_72
.LBB279_70:
	s_mov_b64 s[0:1], 0
                                        ; implicit-def: $vgpr3_vgpr4
                                        ; implicit-def: $vgpr25_vgpr26
	s_cbranch_execz .LBB279_72
; %bb.71:
	s_mov_b32 s5, 0
	s_lshl_b64 s[2:3], s[4:5], 3
	v_mul_u32_u24_e32 v1, 0x58, v0
	s_add_u32 s2, s6, s2
	s_movk_i32 s4, 0x58
	ds_write2_b64 v1, v[23:24], v[43:44] offset1:1
	ds_write2_b64 v1, v[35:36], v[41:42] offset0:2 offset1:3
	ds_write2_b64 v1, v[33:34], v[39:40] offset0:4 offset1:5
	;; [unrolled: 1-line block ×4, first 2 shown]
	ds_write_b64 v1, v[21:22] offset:80
	v_mul_i32_i24_e32 v1, 0xffffffb0, v0
	s_addc_u32 s3, s7, s3
	v_mad_u32_u24 v0, v0, s4, v1
	s_waitcnt vmcnt(0) lgkmcnt(0)
	s_barrier
	ds_read2st64_b64 v[5:8], v0 offset1:2
	ds_read2st64_b64 v[9:12], v0 offset0:4 offset1:6
	ds_read2st64_b64 v[13:16], v0 offset0:8 offset1:10
	;; [unrolled: 1-line block ×4, first 2 shown]
	ds_read_b64 v[3:4], v0 offset:10240
	v_mov_b32_e32 v0, s3
	v_add_co_u32_e32 v25, vcc, s2, v45
	v_addc_co_u32_e32 v26, vcc, 0, v0, vcc
	s_waitcnt lgkmcnt(5)
	global_store_dwordx2 v45, v[5:6], s[2:3]
	global_store_dwordx2 v45, v[7:8], s[2:3] offset:1024
	s_waitcnt lgkmcnt(4)
	global_store_dwordx2 v45, v[9:10], s[2:3] offset:2048
	global_store_dwordx2 v45, v[11:12], s[2:3] offset:3072
	s_movk_i32 s2, 0x1000
	v_add_co_u32_e32 v0, vcc, s2, v25
	v_addc_co_u32_e32 v1, vcc, 0, v26, vcc
	s_waitcnt lgkmcnt(3)
	global_store_dwordx2 v[0:1], v[13:14], off
	global_store_dwordx2 v[0:1], v[15:16], off offset:1024
	s_waitcnt lgkmcnt(2)
	global_store_dwordx2 v[0:1], v[17:18], off offset:2048
	global_store_dwordx2 v[0:1], v[19:20], off offset:3072
	v_add_co_u32_e32 v0, vcc, 0x2000, v25
	v_addc_co_u32_e32 v1, vcc, 0, v26, vcc
	s_or_b64 s[0:1], s[0:1], exec
	s_waitcnt lgkmcnt(1)
	global_store_dwordx2 v[0:1], v[21:22], off
	global_store_dwordx2 v[0:1], v[23:24], off offset:1024
.LBB279_72:
	s_and_saveexec_b64 s[2:3], s[0:1]
	s_cbranch_execnz .LBB279_74
; %bb.73:
	s_endpgm
.LBB279_74:
	v_add_co_u32_e32 v0, vcc, 0x2000, v25
	v_addc_co_u32_e32 v1, vcc, 0, v26, vcc
	s_waitcnt lgkmcnt(0)
	global_store_dwordx2 v[0:1], v[3:4], off offset:2048
	s_endpgm
	.section	.rodata,"a",@progbits
	.p2align	6, 0x0
	.amdhsa_kernel _ZN7rocprim17ROCPRIM_400000_NS6detail17trampoline_kernelINS0_14default_configENS1_35adjacent_difference_config_selectorILb1ExEEZNS1_24adjacent_difference_implIS3_Lb1ELb0EPxS7_N6thrust23THRUST_200600_302600_NS5minusIxEEEE10hipError_tPvRmT2_T3_mT4_P12ihipStream_tbEUlT_E_NS1_11comp_targetILNS1_3genE2ELNS1_11target_archE906ELNS1_3gpuE6ELNS1_3repE0EEENS1_30default_config_static_selectorELNS0_4arch9wavefront6targetE1EEEvT1_
		.amdhsa_group_segment_fixed_size 11264
		.amdhsa_private_segment_fixed_size 0
		.amdhsa_kernarg_size 56
		.amdhsa_user_sgpr_count 6
		.amdhsa_user_sgpr_private_segment_buffer 1
		.amdhsa_user_sgpr_dispatch_ptr 0
		.amdhsa_user_sgpr_queue_ptr 0
		.amdhsa_user_sgpr_kernarg_segment_ptr 1
		.amdhsa_user_sgpr_dispatch_id 0
		.amdhsa_user_sgpr_flat_scratch_init 0
		.amdhsa_user_sgpr_private_segment_size 0
		.amdhsa_uses_dynamic_stack 0
		.amdhsa_system_sgpr_private_segment_wavefront_offset 0
		.amdhsa_system_sgpr_workgroup_id_x 1
		.amdhsa_system_sgpr_workgroup_id_y 0
		.amdhsa_system_sgpr_workgroup_id_z 0
		.amdhsa_system_sgpr_workgroup_info 0
		.amdhsa_system_vgpr_workitem_id 0
		.amdhsa_next_free_vgpr 65
		.amdhsa_next_free_sgpr 98
		.amdhsa_reserve_vcc 1
		.amdhsa_reserve_flat_scratch 0
		.amdhsa_float_round_mode_32 0
		.amdhsa_float_round_mode_16_64 0
		.amdhsa_float_denorm_mode_32 3
		.amdhsa_float_denorm_mode_16_64 3
		.amdhsa_dx10_clamp 1
		.amdhsa_ieee_mode 1
		.amdhsa_fp16_overflow 0
		.amdhsa_exception_fp_ieee_invalid_op 0
		.amdhsa_exception_fp_denorm_src 0
		.amdhsa_exception_fp_ieee_div_zero 0
		.amdhsa_exception_fp_ieee_overflow 0
		.amdhsa_exception_fp_ieee_underflow 0
		.amdhsa_exception_fp_ieee_inexact 0
		.amdhsa_exception_int_div_zero 0
	.end_amdhsa_kernel
	.section	.text._ZN7rocprim17ROCPRIM_400000_NS6detail17trampoline_kernelINS0_14default_configENS1_35adjacent_difference_config_selectorILb1ExEEZNS1_24adjacent_difference_implIS3_Lb1ELb0EPxS7_N6thrust23THRUST_200600_302600_NS5minusIxEEEE10hipError_tPvRmT2_T3_mT4_P12ihipStream_tbEUlT_E_NS1_11comp_targetILNS1_3genE2ELNS1_11target_archE906ELNS1_3gpuE6ELNS1_3repE0EEENS1_30default_config_static_selectorELNS0_4arch9wavefront6targetE1EEEvT1_,"axG",@progbits,_ZN7rocprim17ROCPRIM_400000_NS6detail17trampoline_kernelINS0_14default_configENS1_35adjacent_difference_config_selectorILb1ExEEZNS1_24adjacent_difference_implIS3_Lb1ELb0EPxS7_N6thrust23THRUST_200600_302600_NS5minusIxEEEE10hipError_tPvRmT2_T3_mT4_P12ihipStream_tbEUlT_E_NS1_11comp_targetILNS1_3genE2ELNS1_11target_archE906ELNS1_3gpuE6ELNS1_3repE0EEENS1_30default_config_static_selectorELNS0_4arch9wavefront6targetE1EEEvT1_,comdat
.Lfunc_end279:
	.size	_ZN7rocprim17ROCPRIM_400000_NS6detail17trampoline_kernelINS0_14default_configENS1_35adjacent_difference_config_selectorILb1ExEEZNS1_24adjacent_difference_implIS3_Lb1ELb0EPxS7_N6thrust23THRUST_200600_302600_NS5minusIxEEEE10hipError_tPvRmT2_T3_mT4_P12ihipStream_tbEUlT_E_NS1_11comp_targetILNS1_3genE2ELNS1_11target_archE906ELNS1_3gpuE6ELNS1_3repE0EEENS1_30default_config_static_selectorELNS0_4arch9wavefront6targetE1EEEvT1_, .Lfunc_end279-_ZN7rocprim17ROCPRIM_400000_NS6detail17trampoline_kernelINS0_14default_configENS1_35adjacent_difference_config_selectorILb1ExEEZNS1_24adjacent_difference_implIS3_Lb1ELb0EPxS7_N6thrust23THRUST_200600_302600_NS5minusIxEEEE10hipError_tPvRmT2_T3_mT4_P12ihipStream_tbEUlT_E_NS1_11comp_targetILNS1_3genE2ELNS1_11target_archE906ELNS1_3gpuE6ELNS1_3repE0EEENS1_30default_config_static_selectorELNS0_4arch9wavefront6targetE1EEEvT1_
                                        ; -- End function
	.set _ZN7rocprim17ROCPRIM_400000_NS6detail17trampoline_kernelINS0_14default_configENS1_35adjacent_difference_config_selectorILb1ExEEZNS1_24adjacent_difference_implIS3_Lb1ELb0EPxS7_N6thrust23THRUST_200600_302600_NS5minusIxEEEE10hipError_tPvRmT2_T3_mT4_P12ihipStream_tbEUlT_E_NS1_11comp_targetILNS1_3genE2ELNS1_11target_archE906ELNS1_3gpuE6ELNS1_3repE0EEENS1_30default_config_static_selectorELNS0_4arch9wavefront6targetE1EEEvT1_.num_vgpr, 48
	.set _ZN7rocprim17ROCPRIM_400000_NS6detail17trampoline_kernelINS0_14default_configENS1_35adjacent_difference_config_selectorILb1ExEEZNS1_24adjacent_difference_implIS3_Lb1ELb0EPxS7_N6thrust23THRUST_200600_302600_NS5minusIxEEEE10hipError_tPvRmT2_T3_mT4_P12ihipStream_tbEUlT_E_NS1_11comp_targetILNS1_3genE2ELNS1_11target_archE906ELNS1_3gpuE6ELNS1_3repE0EEENS1_30default_config_static_selectorELNS0_4arch9wavefront6targetE1EEEvT1_.num_agpr, 0
	.set _ZN7rocprim17ROCPRIM_400000_NS6detail17trampoline_kernelINS0_14default_configENS1_35adjacent_difference_config_selectorILb1ExEEZNS1_24adjacent_difference_implIS3_Lb1ELb0EPxS7_N6thrust23THRUST_200600_302600_NS5minusIxEEEE10hipError_tPvRmT2_T3_mT4_P12ihipStream_tbEUlT_E_NS1_11comp_targetILNS1_3genE2ELNS1_11target_archE906ELNS1_3gpuE6ELNS1_3repE0EEENS1_30default_config_static_selectorELNS0_4arch9wavefront6targetE1EEEvT1_.numbered_sgpr, 29
	.set _ZN7rocprim17ROCPRIM_400000_NS6detail17trampoline_kernelINS0_14default_configENS1_35adjacent_difference_config_selectorILb1ExEEZNS1_24adjacent_difference_implIS3_Lb1ELb0EPxS7_N6thrust23THRUST_200600_302600_NS5minusIxEEEE10hipError_tPvRmT2_T3_mT4_P12ihipStream_tbEUlT_E_NS1_11comp_targetILNS1_3genE2ELNS1_11target_archE906ELNS1_3gpuE6ELNS1_3repE0EEENS1_30default_config_static_selectorELNS0_4arch9wavefront6targetE1EEEvT1_.num_named_barrier, 0
	.set _ZN7rocprim17ROCPRIM_400000_NS6detail17trampoline_kernelINS0_14default_configENS1_35adjacent_difference_config_selectorILb1ExEEZNS1_24adjacent_difference_implIS3_Lb1ELb0EPxS7_N6thrust23THRUST_200600_302600_NS5minusIxEEEE10hipError_tPvRmT2_T3_mT4_P12ihipStream_tbEUlT_E_NS1_11comp_targetILNS1_3genE2ELNS1_11target_archE906ELNS1_3gpuE6ELNS1_3repE0EEENS1_30default_config_static_selectorELNS0_4arch9wavefront6targetE1EEEvT1_.private_seg_size, 0
	.set _ZN7rocprim17ROCPRIM_400000_NS6detail17trampoline_kernelINS0_14default_configENS1_35adjacent_difference_config_selectorILb1ExEEZNS1_24adjacent_difference_implIS3_Lb1ELb0EPxS7_N6thrust23THRUST_200600_302600_NS5minusIxEEEE10hipError_tPvRmT2_T3_mT4_P12ihipStream_tbEUlT_E_NS1_11comp_targetILNS1_3genE2ELNS1_11target_archE906ELNS1_3gpuE6ELNS1_3repE0EEENS1_30default_config_static_selectorELNS0_4arch9wavefront6targetE1EEEvT1_.uses_vcc, 1
	.set _ZN7rocprim17ROCPRIM_400000_NS6detail17trampoline_kernelINS0_14default_configENS1_35adjacent_difference_config_selectorILb1ExEEZNS1_24adjacent_difference_implIS3_Lb1ELb0EPxS7_N6thrust23THRUST_200600_302600_NS5minusIxEEEE10hipError_tPvRmT2_T3_mT4_P12ihipStream_tbEUlT_E_NS1_11comp_targetILNS1_3genE2ELNS1_11target_archE906ELNS1_3gpuE6ELNS1_3repE0EEENS1_30default_config_static_selectorELNS0_4arch9wavefront6targetE1EEEvT1_.uses_flat_scratch, 0
	.set _ZN7rocprim17ROCPRIM_400000_NS6detail17trampoline_kernelINS0_14default_configENS1_35adjacent_difference_config_selectorILb1ExEEZNS1_24adjacent_difference_implIS3_Lb1ELb0EPxS7_N6thrust23THRUST_200600_302600_NS5minusIxEEEE10hipError_tPvRmT2_T3_mT4_P12ihipStream_tbEUlT_E_NS1_11comp_targetILNS1_3genE2ELNS1_11target_archE906ELNS1_3gpuE6ELNS1_3repE0EEENS1_30default_config_static_selectorELNS0_4arch9wavefront6targetE1EEEvT1_.has_dyn_sized_stack, 0
	.set _ZN7rocprim17ROCPRIM_400000_NS6detail17trampoline_kernelINS0_14default_configENS1_35adjacent_difference_config_selectorILb1ExEEZNS1_24adjacent_difference_implIS3_Lb1ELb0EPxS7_N6thrust23THRUST_200600_302600_NS5minusIxEEEE10hipError_tPvRmT2_T3_mT4_P12ihipStream_tbEUlT_E_NS1_11comp_targetILNS1_3genE2ELNS1_11target_archE906ELNS1_3gpuE6ELNS1_3repE0EEENS1_30default_config_static_selectorELNS0_4arch9wavefront6targetE1EEEvT1_.has_recursion, 0
	.set _ZN7rocprim17ROCPRIM_400000_NS6detail17trampoline_kernelINS0_14default_configENS1_35adjacent_difference_config_selectorILb1ExEEZNS1_24adjacent_difference_implIS3_Lb1ELb0EPxS7_N6thrust23THRUST_200600_302600_NS5minusIxEEEE10hipError_tPvRmT2_T3_mT4_P12ihipStream_tbEUlT_E_NS1_11comp_targetILNS1_3genE2ELNS1_11target_archE906ELNS1_3gpuE6ELNS1_3repE0EEENS1_30default_config_static_selectorELNS0_4arch9wavefront6targetE1EEEvT1_.has_indirect_call, 0
	.section	.AMDGPU.csdata,"",@progbits
; Kernel info:
; codeLenInByte = 2968
; TotalNumSgprs: 33
; NumVgprs: 48
; ScratchSize: 0
; MemoryBound: 0
; FloatMode: 240
; IeeeMode: 1
; LDSByteSize: 11264 bytes/workgroup (compile time only)
; SGPRBlocks: 12
; VGPRBlocks: 16
; NumSGPRsForWavesPerEU: 102
; NumVGPRsForWavesPerEU: 65
; Occupancy: 3
; WaveLimiterHint : 1
; COMPUTE_PGM_RSRC2:SCRATCH_EN: 0
; COMPUTE_PGM_RSRC2:USER_SGPR: 6
; COMPUTE_PGM_RSRC2:TRAP_HANDLER: 0
; COMPUTE_PGM_RSRC2:TGID_X_EN: 1
; COMPUTE_PGM_RSRC2:TGID_Y_EN: 0
; COMPUTE_PGM_RSRC2:TGID_Z_EN: 0
; COMPUTE_PGM_RSRC2:TIDIG_COMP_CNT: 0
	.section	.text._ZN7rocprim17ROCPRIM_400000_NS6detail17trampoline_kernelINS0_14default_configENS1_35adjacent_difference_config_selectorILb1ExEEZNS1_24adjacent_difference_implIS3_Lb1ELb0EPxS7_N6thrust23THRUST_200600_302600_NS5minusIxEEEE10hipError_tPvRmT2_T3_mT4_P12ihipStream_tbEUlT_E_NS1_11comp_targetILNS1_3genE9ELNS1_11target_archE1100ELNS1_3gpuE3ELNS1_3repE0EEENS1_30default_config_static_selectorELNS0_4arch9wavefront6targetE1EEEvT1_,"axG",@progbits,_ZN7rocprim17ROCPRIM_400000_NS6detail17trampoline_kernelINS0_14default_configENS1_35adjacent_difference_config_selectorILb1ExEEZNS1_24adjacent_difference_implIS3_Lb1ELb0EPxS7_N6thrust23THRUST_200600_302600_NS5minusIxEEEE10hipError_tPvRmT2_T3_mT4_P12ihipStream_tbEUlT_E_NS1_11comp_targetILNS1_3genE9ELNS1_11target_archE1100ELNS1_3gpuE3ELNS1_3repE0EEENS1_30default_config_static_selectorELNS0_4arch9wavefront6targetE1EEEvT1_,comdat
	.protected	_ZN7rocprim17ROCPRIM_400000_NS6detail17trampoline_kernelINS0_14default_configENS1_35adjacent_difference_config_selectorILb1ExEEZNS1_24adjacent_difference_implIS3_Lb1ELb0EPxS7_N6thrust23THRUST_200600_302600_NS5minusIxEEEE10hipError_tPvRmT2_T3_mT4_P12ihipStream_tbEUlT_E_NS1_11comp_targetILNS1_3genE9ELNS1_11target_archE1100ELNS1_3gpuE3ELNS1_3repE0EEENS1_30default_config_static_selectorELNS0_4arch9wavefront6targetE1EEEvT1_ ; -- Begin function _ZN7rocprim17ROCPRIM_400000_NS6detail17trampoline_kernelINS0_14default_configENS1_35adjacent_difference_config_selectorILb1ExEEZNS1_24adjacent_difference_implIS3_Lb1ELb0EPxS7_N6thrust23THRUST_200600_302600_NS5minusIxEEEE10hipError_tPvRmT2_T3_mT4_P12ihipStream_tbEUlT_E_NS1_11comp_targetILNS1_3genE9ELNS1_11target_archE1100ELNS1_3gpuE3ELNS1_3repE0EEENS1_30default_config_static_selectorELNS0_4arch9wavefront6targetE1EEEvT1_
	.globl	_ZN7rocprim17ROCPRIM_400000_NS6detail17trampoline_kernelINS0_14default_configENS1_35adjacent_difference_config_selectorILb1ExEEZNS1_24adjacent_difference_implIS3_Lb1ELb0EPxS7_N6thrust23THRUST_200600_302600_NS5minusIxEEEE10hipError_tPvRmT2_T3_mT4_P12ihipStream_tbEUlT_E_NS1_11comp_targetILNS1_3genE9ELNS1_11target_archE1100ELNS1_3gpuE3ELNS1_3repE0EEENS1_30default_config_static_selectorELNS0_4arch9wavefront6targetE1EEEvT1_
	.p2align	8
	.type	_ZN7rocprim17ROCPRIM_400000_NS6detail17trampoline_kernelINS0_14default_configENS1_35adjacent_difference_config_selectorILb1ExEEZNS1_24adjacent_difference_implIS3_Lb1ELb0EPxS7_N6thrust23THRUST_200600_302600_NS5minusIxEEEE10hipError_tPvRmT2_T3_mT4_P12ihipStream_tbEUlT_E_NS1_11comp_targetILNS1_3genE9ELNS1_11target_archE1100ELNS1_3gpuE3ELNS1_3repE0EEENS1_30default_config_static_selectorELNS0_4arch9wavefront6targetE1EEEvT1_,@function
_ZN7rocprim17ROCPRIM_400000_NS6detail17trampoline_kernelINS0_14default_configENS1_35adjacent_difference_config_selectorILb1ExEEZNS1_24adjacent_difference_implIS3_Lb1ELb0EPxS7_N6thrust23THRUST_200600_302600_NS5minusIxEEEE10hipError_tPvRmT2_T3_mT4_P12ihipStream_tbEUlT_E_NS1_11comp_targetILNS1_3genE9ELNS1_11target_archE1100ELNS1_3gpuE3ELNS1_3repE0EEENS1_30default_config_static_selectorELNS0_4arch9wavefront6targetE1EEEvT1_: ; @_ZN7rocprim17ROCPRIM_400000_NS6detail17trampoline_kernelINS0_14default_configENS1_35adjacent_difference_config_selectorILb1ExEEZNS1_24adjacent_difference_implIS3_Lb1ELb0EPxS7_N6thrust23THRUST_200600_302600_NS5minusIxEEEE10hipError_tPvRmT2_T3_mT4_P12ihipStream_tbEUlT_E_NS1_11comp_targetILNS1_3genE9ELNS1_11target_archE1100ELNS1_3gpuE3ELNS1_3repE0EEENS1_30default_config_static_selectorELNS0_4arch9wavefront6targetE1EEEvT1_
; %bb.0:
	.section	.rodata,"a",@progbits
	.p2align	6, 0x0
	.amdhsa_kernel _ZN7rocprim17ROCPRIM_400000_NS6detail17trampoline_kernelINS0_14default_configENS1_35adjacent_difference_config_selectorILb1ExEEZNS1_24adjacent_difference_implIS3_Lb1ELb0EPxS7_N6thrust23THRUST_200600_302600_NS5minusIxEEEE10hipError_tPvRmT2_T3_mT4_P12ihipStream_tbEUlT_E_NS1_11comp_targetILNS1_3genE9ELNS1_11target_archE1100ELNS1_3gpuE3ELNS1_3repE0EEENS1_30default_config_static_selectorELNS0_4arch9wavefront6targetE1EEEvT1_
		.amdhsa_group_segment_fixed_size 0
		.amdhsa_private_segment_fixed_size 0
		.amdhsa_kernarg_size 56
		.amdhsa_user_sgpr_count 6
		.amdhsa_user_sgpr_private_segment_buffer 1
		.amdhsa_user_sgpr_dispatch_ptr 0
		.amdhsa_user_sgpr_queue_ptr 0
		.amdhsa_user_sgpr_kernarg_segment_ptr 1
		.amdhsa_user_sgpr_dispatch_id 0
		.amdhsa_user_sgpr_flat_scratch_init 0
		.amdhsa_user_sgpr_private_segment_size 0
		.amdhsa_uses_dynamic_stack 0
		.amdhsa_system_sgpr_private_segment_wavefront_offset 0
		.amdhsa_system_sgpr_workgroup_id_x 1
		.amdhsa_system_sgpr_workgroup_id_y 0
		.amdhsa_system_sgpr_workgroup_id_z 0
		.amdhsa_system_sgpr_workgroup_info 0
		.amdhsa_system_vgpr_workitem_id 0
		.amdhsa_next_free_vgpr 1
		.amdhsa_next_free_sgpr 0
		.amdhsa_reserve_vcc 0
		.amdhsa_reserve_flat_scratch 0
		.amdhsa_float_round_mode_32 0
		.amdhsa_float_round_mode_16_64 0
		.amdhsa_float_denorm_mode_32 3
		.amdhsa_float_denorm_mode_16_64 3
		.amdhsa_dx10_clamp 1
		.amdhsa_ieee_mode 1
		.amdhsa_fp16_overflow 0
		.amdhsa_exception_fp_ieee_invalid_op 0
		.amdhsa_exception_fp_denorm_src 0
		.amdhsa_exception_fp_ieee_div_zero 0
		.amdhsa_exception_fp_ieee_overflow 0
		.amdhsa_exception_fp_ieee_underflow 0
		.amdhsa_exception_fp_ieee_inexact 0
		.amdhsa_exception_int_div_zero 0
	.end_amdhsa_kernel
	.section	.text._ZN7rocprim17ROCPRIM_400000_NS6detail17trampoline_kernelINS0_14default_configENS1_35adjacent_difference_config_selectorILb1ExEEZNS1_24adjacent_difference_implIS3_Lb1ELb0EPxS7_N6thrust23THRUST_200600_302600_NS5minusIxEEEE10hipError_tPvRmT2_T3_mT4_P12ihipStream_tbEUlT_E_NS1_11comp_targetILNS1_3genE9ELNS1_11target_archE1100ELNS1_3gpuE3ELNS1_3repE0EEENS1_30default_config_static_selectorELNS0_4arch9wavefront6targetE1EEEvT1_,"axG",@progbits,_ZN7rocprim17ROCPRIM_400000_NS6detail17trampoline_kernelINS0_14default_configENS1_35adjacent_difference_config_selectorILb1ExEEZNS1_24adjacent_difference_implIS3_Lb1ELb0EPxS7_N6thrust23THRUST_200600_302600_NS5minusIxEEEE10hipError_tPvRmT2_T3_mT4_P12ihipStream_tbEUlT_E_NS1_11comp_targetILNS1_3genE9ELNS1_11target_archE1100ELNS1_3gpuE3ELNS1_3repE0EEENS1_30default_config_static_selectorELNS0_4arch9wavefront6targetE1EEEvT1_,comdat
.Lfunc_end280:
	.size	_ZN7rocprim17ROCPRIM_400000_NS6detail17trampoline_kernelINS0_14default_configENS1_35adjacent_difference_config_selectorILb1ExEEZNS1_24adjacent_difference_implIS3_Lb1ELb0EPxS7_N6thrust23THRUST_200600_302600_NS5minusIxEEEE10hipError_tPvRmT2_T3_mT4_P12ihipStream_tbEUlT_E_NS1_11comp_targetILNS1_3genE9ELNS1_11target_archE1100ELNS1_3gpuE3ELNS1_3repE0EEENS1_30default_config_static_selectorELNS0_4arch9wavefront6targetE1EEEvT1_, .Lfunc_end280-_ZN7rocprim17ROCPRIM_400000_NS6detail17trampoline_kernelINS0_14default_configENS1_35adjacent_difference_config_selectorILb1ExEEZNS1_24adjacent_difference_implIS3_Lb1ELb0EPxS7_N6thrust23THRUST_200600_302600_NS5minusIxEEEE10hipError_tPvRmT2_T3_mT4_P12ihipStream_tbEUlT_E_NS1_11comp_targetILNS1_3genE9ELNS1_11target_archE1100ELNS1_3gpuE3ELNS1_3repE0EEENS1_30default_config_static_selectorELNS0_4arch9wavefront6targetE1EEEvT1_
                                        ; -- End function
	.set _ZN7rocprim17ROCPRIM_400000_NS6detail17trampoline_kernelINS0_14default_configENS1_35adjacent_difference_config_selectorILb1ExEEZNS1_24adjacent_difference_implIS3_Lb1ELb0EPxS7_N6thrust23THRUST_200600_302600_NS5minusIxEEEE10hipError_tPvRmT2_T3_mT4_P12ihipStream_tbEUlT_E_NS1_11comp_targetILNS1_3genE9ELNS1_11target_archE1100ELNS1_3gpuE3ELNS1_3repE0EEENS1_30default_config_static_selectorELNS0_4arch9wavefront6targetE1EEEvT1_.num_vgpr, 0
	.set _ZN7rocprim17ROCPRIM_400000_NS6detail17trampoline_kernelINS0_14default_configENS1_35adjacent_difference_config_selectorILb1ExEEZNS1_24adjacent_difference_implIS3_Lb1ELb0EPxS7_N6thrust23THRUST_200600_302600_NS5minusIxEEEE10hipError_tPvRmT2_T3_mT4_P12ihipStream_tbEUlT_E_NS1_11comp_targetILNS1_3genE9ELNS1_11target_archE1100ELNS1_3gpuE3ELNS1_3repE0EEENS1_30default_config_static_selectorELNS0_4arch9wavefront6targetE1EEEvT1_.num_agpr, 0
	.set _ZN7rocprim17ROCPRIM_400000_NS6detail17trampoline_kernelINS0_14default_configENS1_35adjacent_difference_config_selectorILb1ExEEZNS1_24adjacent_difference_implIS3_Lb1ELb0EPxS7_N6thrust23THRUST_200600_302600_NS5minusIxEEEE10hipError_tPvRmT2_T3_mT4_P12ihipStream_tbEUlT_E_NS1_11comp_targetILNS1_3genE9ELNS1_11target_archE1100ELNS1_3gpuE3ELNS1_3repE0EEENS1_30default_config_static_selectorELNS0_4arch9wavefront6targetE1EEEvT1_.numbered_sgpr, 0
	.set _ZN7rocprim17ROCPRIM_400000_NS6detail17trampoline_kernelINS0_14default_configENS1_35adjacent_difference_config_selectorILb1ExEEZNS1_24adjacent_difference_implIS3_Lb1ELb0EPxS7_N6thrust23THRUST_200600_302600_NS5minusIxEEEE10hipError_tPvRmT2_T3_mT4_P12ihipStream_tbEUlT_E_NS1_11comp_targetILNS1_3genE9ELNS1_11target_archE1100ELNS1_3gpuE3ELNS1_3repE0EEENS1_30default_config_static_selectorELNS0_4arch9wavefront6targetE1EEEvT1_.num_named_barrier, 0
	.set _ZN7rocprim17ROCPRIM_400000_NS6detail17trampoline_kernelINS0_14default_configENS1_35adjacent_difference_config_selectorILb1ExEEZNS1_24adjacent_difference_implIS3_Lb1ELb0EPxS7_N6thrust23THRUST_200600_302600_NS5minusIxEEEE10hipError_tPvRmT2_T3_mT4_P12ihipStream_tbEUlT_E_NS1_11comp_targetILNS1_3genE9ELNS1_11target_archE1100ELNS1_3gpuE3ELNS1_3repE0EEENS1_30default_config_static_selectorELNS0_4arch9wavefront6targetE1EEEvT1_.private_seg_size, 0
	.set _ZN7rocprim17ROCPRIM_400000_NS6detail17trampoline_kernelINS0_14default_configENS1_35adjacent_difference_config_selectorILb1ExEEZNS1_24adjacent_difference_implIS3_Lb1ELb0EPxS7_N6thrust23THRUST_200600_302600_NS5minusIxEEEE10hipError_tPvRmT2_T3_mT4_P12ihipStream_tbEUlT_E_NS1_11comp_targetILNS1_3genE9ELNS1_11target_archE1100ELNS1_3gpuE3ELNS1_3repE0EEENS1_30default_config_static_selectorELNS0_4arch9wavefront6targetE1EEEvT1_.uses_vcc, 0
	.set _ZN7rocprim17ROCPRIM_400000_NS6detail17trampoline_kernelINS0_14default_configENS1_35adjacent_difference_config_selectorILb1ExEEZNS1_24adjacent_difference_implIS3_Lb1ELb0EPxS7_N6thrust23THRUST_200600_302600_NS5minusIxEEEE10hipError_tPvRmT2_T3_mT4_P12ihipStream_tbEUlT_E_NS1_11comp_targetILNS1_3genE9ELNS1_11target_archE1100ELNS1_3gpuE3ELNS1_3repE0EEENS1_30default_config_static_selectorELNS0_4arch9wavefront6targetE1EEEvT1_.uses_flat_scratch, 0
	.set _ZN7rocprim17ROCPRIM_400000_NS6detail17trampoline_kernelINS0_14default_configENS1_35adjacent_difference_config_selectorILb1ExEEZNS1_24adjacent_difference_implIS3_Lb1ELb0EPxS7_N6thrust23THRUST_200600_302600_NS5minusIxEEEE10hipError_tPvRmT2_T3_mT4_P12ihipStream_tbEUlT_E_NS1_11comp_targetILNS1_3genE9ELNS1_11target_archE1100ELNS1_3gpuE3ELNS1_3repE0EEENS1_30default_config_static_selectorELNS0_4arch9wavefront6targetE1EEEvT1_.has_dyn_sized_stack, 0
	.set _ZN7rocprim17ROCPRIM_400000_NS6detail17trampoline_kernelINS0_14default_configENS1_35adjacent_difference_config_selectorILb1ExEEZNS1_24adjacent_difference_implIS3_Lb1ELb0EPxS7_N6thrust23THRUST_200600_302600_NS5minusIxEEEE10hipError_tPvRmT2_T3_mT4_P12ihipStream_tbEUlT_E_NS1_11comp_targetILNS1_3genE9ELNS1_11target_archE1100ELNS1_3gpuE3ELNS1_3repE0EEENS1_30default_config_static_selectorELNS0_4arch9wavefront6targetE1EEEvT1_.has_recursion, 0
	.set _ZN7rocprim17ROCPRIM_400000_NS6detail17trampoline_kernelINS0_14default_configENS1_35adjacent_difference_config_selectorILb1ExEEZNS1_24adjacent_difference_implIS3_Lb1ELb0EPxS7_N6thrust23THRUST_200600_302600_NS5minusIxEEEE10hipError_tPvRmT2_T3_mT4_P12ihipStream_tbEUlT_E_NS1_11comp_targetILNS1_3genE9ELNS1_11target_archE1100ELNS1_3gpuE3ELNS1_3repE0EEENS1_30default_config_static_selectorELNS0_4arch9wavefront6targetE1EEEvT1_.has_indirect_call, 0
	.section	.AMDGPU.csdata,"",@progbits
; Kernel info:
; codeLenInByte = 0
; TotalNumSgprs: 4
; NumVgprs: 0
; ScratchSize: 0
; MemoryBound: 0
; FloatMode: 240
; IeeeMode: 1
; LDSByteSize: 0 bytes/workgroup (compile time only)
; SGPRBlocks: 0
; VGPRBlocks: 0
; NumSGPRsForWavesPerEU: 4
; NumVGPRsForWavesPerEU: 1
; Occupancy: 10
; WaveLimiterHint : 0
; COMPUTE_PGM_RSRC2:SCRATCH_EN: 0
; COMPUTE_PGM_RSRC2:USER_SGPR: 6
; COMPUTE_PGM_RSRC2:TRAP_HANDLER: 0
; COMPUTE_PGM_RSRC2:TGID_X_EN: 1
; COMPUTE_PGM_RSRC2:TGID_Y_EN: 0
; COMPUTE_PGM_RSRC2:TGID_Z_EN: 0
; COMPUTE_PGM_RSRC2:TIDIG_COMP_CNT: 0
	.section	.text._ZN7rocprim17ROCPRIM_400000_NS6detail17trampoline_kernelINS0_14default_configENS1_35adjacent_difference_config_selectorILb1ExEEZNS1_24adjacent_difference_implIS3_Lb1ELb0EPxS7_N6thrust23THRUST_200600_302600_NS5minusIxEEEE10hipError_tPvRmT2_T3_mT4_P12ihipStream_tbEUlT_E_NS1_11comp_targetILNS1_3genE8ELNS1_11target_archE1030ELNS1_3gpuE2ELNS1_3repE0EEENS1_30default_config_static_selectorELNS0_4arch9wavefront6targetE1EEEvT1_,"axG",@progbits,_ZN7rocprim17ROCPRIM_400000_NS6detail17trampoline_kernelINS0_14default_configENS1_35adjacent_difference_config_selectorILb1ExEEZNS1_24adjacent_difference_implIS3_Lb1ELb0EPxS7_N6thrust23THRUST_200600_302600_NS5minusIxEEEE10hipError_tPvRmT2_T3_mT4_P12ihipStream_tbEUlT_E_NS1_11comp_targetILNS1_3genE8ELNS1_11target_archE1030ELNS1_3gpuE2ELNS1_3repE0EEENS1_30default_config_static_selectorELNS0_4arch9wavefront6targetE1EEEvT1_,comdat
	.protected	_ZN7rocprim17ROCPRIM_400000_NS6detail17trampoline_kernelINS0_14default_configENS1_35adjacent_difference_config_selectorILb1ExEEZNS1_24adjacent_difference_implIS3_Lb1ELb0EPxS7_N6thrust23THRUST_200600_302600_NS5minusIxEEEE10hipError_tPvRmT2_T3_mT4_P12ihipStream_tbEUlT_E_NS1_11comp_targetILNS1_3genE8ELNS1_11target_archE1030ELNS1_3gpuE2ELNS1_3repE0EEENS1_30default_config_static_selectorELNS0_4arch9wavefront6targetE1EEEvT1_ ; -- Begin function _ZN7rocprim17ROCPRIM_400000_NS6detail17trampoline_kernelINS0_14default_configENS1_35adjacent_difference_config_selectorILb1ExEEZNS1_24adjacent_difference_implIS3_Lb1ELb0EPxS7_N6thrust23THRUST_200600_302600_NS5minusIxEEEE10hipError_tPvRmT2_T3_mT4_P12ihipStream_tbEUlT_E_NS1_11comp_targetILNS1_3genE8ELNS1_11target_archE1030ELNS1_3gpuE2ELNS1_3repE0EEENS1_30default_config_static_selectorELNS0_4arch9wavefront6targetE1EEEvT1_
	.globl	_ZN7rocprim17ROCPRIM_400000_NS6detail17trampoline_kernelINS0_14default_configENS1_35adjacent_difference_config_selectorILb1ExEEZNS1_24adjacent_difference_implIS3_Lb1ELb0EPxS7_N6thrust23THRUST_200600_302600_NS5minusIxEEEE10hipError_tPvRmT2_T3_mT4_P12ihipStream_tbEUlT_E_NS1_11comp_targetILNS1_3genE8ELNS1_11target_archE1030ELNS1_3gpuE2ELNS1_3repE0EEENS1_30default_config_static_selectorELNS0_4arch9wavefront6targetE1EEEvT1_
	.p2align	8
	.type	_ZN7rocprim17ROCPRIM_400000_NS6detail17trampoline_kernelINS0_14default_configENS1_35adjacent_difference_config_selectorILb1ExEEZNS1_24adjacent_difference_implIS3_Lb1ELb0EPxS7_N6thrust23THRUST_200600_302600_NS5minusIxEEEE10hipError_tPvRmT2_T3_mT4_P12ihipStream_tbEUlT_E_NS1_11comp_targetILNS1_3genE8ELNS1_11target_archE1030ELNS1_3gpuE2ELNS1_3repE0EEENS1_30default_config_static_selectorELNS0_4arch9wavefront6targetE1EEEvT1_,@function
_ZN7rocprim17ROCPRIM_400000_NS6detail17trampoline_kernelINS0_14default_configENS1_35adjacent_difference_config_selectorILb1ExEEZNS1_24adjacent_difference_implIS3_Lb1ELb0EPxS7_N6thrust23THRUST_200600_302600_NS5minusIxEEEE10hipError_tPvRmT2_T3_mT4_P12ihipStream_tbEUlT_E_NS1_11comp_targetILNS1_3genE8ELNS1_11target_archE1030ELNS1_3gpuE2ELNS1_3repE0EEENS1_30default_config_static_selectorELNS0_4arch9wavefront6targetE1EEEvT1_: ; @_ZN7rocprim17ROCPRIM_400000_NS6detail17trampoline_kernelINS0_14default_configENS1_35adjacent_difference_config_selectorILb1ExEEZNS1_24adjacent_difference_implIS3_Lb1ELb0EPxS7_N6thrust23THRUST_200600_302600_NS5minusIxEEEE10hipError_tPvRmT2_T3_mT4_P12ihipStream_tbEUlT_E_NS1_11comp_targetILNS1_3genE8ELNS1_11target_archE1030ELNS1_3gpuE2ELNS1_3repE0EEENS1_30default_config_static_selectorELNS0_4arch9wavefront6targetE1EEEvT1_
; %bb.0:
	.section	.rodata,"a",@progbits
	.p2align	6, 0x0
	.amdhsa_kernel _ZN7rocprim17ROCPRIM_400000_NS6detail17trampoline_kernelINS0_14default_configENS1_35adjacent_difference_config_selectorILb1ExEEZNS1_24adjacent_difference_implIS3_Lb1ELb0EPxS7_N6thrust23THRUST_200600_302600_NS5minusIxEEEE10hipError_tPvRmT2_T3_mT4_P12ihipStream_tbEUlT_E_NS1_11comp_targetILNS1_3genE8ELNS1_11target_archE1030ELNS1_3gpuE2ELNS1_3repE0EEENS1_30default_config_static_selectorELNS0_4arch9wavefront6targetE1EEEvT1_
		.amdhsa_group_segment_fixed_size 0
		.amdhsa_private_segment_fixed_size 0
		.amdhsa_kernarg_size 56
		.amdhsa_user_sgpr_count 6
		.amdhsa_user_sgpr_private_segment_buffer 1
		.amdhsa_user_sgpr_dispatch_ptr 0
		.amdhsa_user_sgpr_queue_ptr 0
		.amdhsa_user_sgpr_kernarg_segment_ptr 1
		.amdhsa_user_sgpr_dispatch_id 0
		.amdhsa_user_sgpr_flat_scratch_init 0
		.amdhsa_user_sgpr_private_segment_size 0
		.amdhsa_uses_dynamic_stack 0
		.amdhsa_system_sgpr_private_segment_wavefront_offset 0
		.amdhsa_system_sgpr_workgroup_id_x 1
		.amdhsa_system_sgpr_workgroup_id_y 0
		.amdhsa_system_sgpr_workgroup_id_z 0
		.amdhsa_system_sgpr_workgroup_info 0
		.amdhsa_system_vgpr_workitem_id 0
		.amdhsa_next_free_vgpr 1
		.amdhsa_next_free_sgpr 0
		.amdhsa_reserve_vcc 0
		.amdhsa_reserve_flat_scratch 0
		.amdhsa_float_round_mode_32 0
		.amdhsa_float_round_mode_16_64 0
		.amdhsa_float_denorm_mode_32 3
		.amdhsa_float_denorm_mode_16_64 3
		.amdhsa_dx10_clamp 1
		.amdhsa_ieee_mode 1
		.amdhsa_fp16_overflow 0
		.amdhsa_exception_fp_ieee_invalid_op 0
		.amdhsa_exception_fp_denorm_src 0
		.amdhsa_exception_fp_ieee_div_zero 0
		.amdhsa_exception_fp_ieee_overflow 0
		.amdhsa_exception_fp_ieee_underflow 0
		.amdhsa_exception_fp_ieee_inexact 0
		.amdhsa_exception_int_div_zero 0
	.end_amdhsa_kernel
	.section	.text._ZN7rocprim17ROCPRIM_400000_NS6detail17trampoline_kernelINS0_14default_configENS1_35adjacent_difference_config_selectorILb1ExEEZNS1_24adjacent_difference_implIS3_Lb1ELb0EPxS7_N6thrust23THRUST_200600_302600_NS5minusIxEEEE10hipError_tPvRmT2_T3_mT4_P12ihipStream_tbEUlT_E_NS1_11comp_targetILNS1_3genE8ELNS1_11target_archE1030ELNS1_3gpuE2ELNS1_3repE0EEENS1_30default_config_static_selectorELNS0_4arch9wavefront6targetE1EEEvT1_,"axG",@progbits,_ZN7rocprim17ROCPRIM_400000_NS6detail17trampoline_kernelINS0_14default_configENS1_35adjacent_difference_config_selectorILb1ExEEZNS1_24adjacent_difference_implIS3_Lb1ELb0EPxS7_N6thrust23THRUST_200600_302600_NS5minusIxEEEE10hipError_tPvRmT2_T3_mT4_P12ihipStream_tbEUlT_E_NS1_11comp_targetILNS1_3genE8ELNS1_11target_archE1030ELNS1_3gpuE2ELNS1_3repE0EEENS1_30default_config_static_selectorELNS0_4arch9wavefront6targetE1EEEvT1_,comdat
.Lfunc_end281:
	.size	_ZN7rocprim17ROCPRIM_400000_NS6detail17trampoline_kernelINS0_14default_configENS1_35adjacent_difference_config_selectorILb1ExEEZNS1_24adjacent_difference_implIS3_Lb1ELb0EPxS7_N6thrust23THRUST_200600_302600_NS5minusIxEEEE10hipError_tPvRmT2_T3_mT4_P12ihipStream_tbEUlT_E_NS1_11comp_targetILNS1_3genE8ELNS1_11target_archE1030ELNS1_3gpuE2ELNS1_3repE0EEENS1_30default_config_static_selectorELNS0_4arch9wavefront6targetE1EEEvT1_, .Lfunc_end281-_ZN7rocprim17ROCPRIM_400000_NS6detail17trampoline_kernelINS0_14default_configENS1_35adjacent_difference_config_selectorILb1ExEEZNS1_24adjacent_difference_implIS3_Lb1ELb0EPxS7_N6thrust23THRUST_200600_302600_NS5minusIxEEEE10hipError_tPvRmT2_T3_mT4_P12ihipStream_tbEUlT_E_NS1_11comp_targetILNS1_3genE8ELNS1_11target_archE1030ELNS1_3gpuE2ELNS1_3repE0EEENS1_30default_config_static_selectorELNS0_4arch9wavefront6targetE1EEEvT1_
                                        ; -- End function
	.set _ZN7rocprim17ROCPRIM_400000_NS6detail17trampoline_kernelINS0_14default_configENS1_35adjacent_difference_config_selectorILb1ExEEZNS1_24adjacent_difference_implIS3_Lb1ELb0EPxS7_N6thrust23THRUST_200600_302600_NS5minusIxEEEE10hipError_tPvRmT2_T3_mT4_P12ihipStream_tbEUlT_E_NS1_11comp_targetILNS1_3genE8ELNS1_11target_archE1030ELNS1_3gpuE2ELNS1_3repE0EEENS1_30default_config_static_selectorELNS0_4arch9wavefront6targetE1EEEvT1_.num_vgpr, 0
	.set _ZN7rocprim17ROCPRIM_400000_NS6detail17trampoline_kernelINS0_14default_configENS1_35adjacent_difference_config_selectorILb1ExEEZNS1_24adjacent_difference_implIS3_Lb1ELb0EPxS7_N6thrust23THRUST_200600_302600_NS5minusIxEEEE10hipError_tPvRmT2_T3_mT4_P12ihipStream_tbEUlT_E_NS1_11comp_targetILNS1_3genE8ELNS1_11target_archE1030ELNS1_3gpuE2ELNS1_3repE0EEENS1_30default_config_static_selectorELNS0_4arch9wavefront6targetE1EEEvT1_.num_agpr, 0
	.set _ZN7rocprim17ROCPRIM_400000_NS6detail17trampoline_kernelINS0_14default_configENS1_35adjacent_difference_config_selectorILb1ExEEZNS1_24adjacent_difference_implIS3_Lb1ELb0EPxS7_N6thrust23THRUST_200600_302600_NS5minusIxEEEE10hipError_tPvRmT2_T3_mT4_P12ihipStream_tbEUlT_E_NS1_11comp_targetILNS1_3genE8ELNS1_11target_archE1030ELNS1_3gpuE2ELNS1_3repE0EEENS1_30default_config_static_selectorELNS0_4arch9wavefront6targetE1EEEvT1_.numbered_sgpr, 0
	.set _ZN7rocprim17ROCPRIM_400000_NS6detail17trampoline_kernelINS0_14default_configENS1_35adjacent_difference_config_selectorILb1ExEEZNS1_24adjacent_difference_implIS3_Lb1ELb0EPxS7_N6thrust23THRUST_200600_302600_NS5minusIxEEEE10hipError_tPvRmT2_T3_mT4_P12ihipStream_tbEUlT_E_NS1_11comp_targetILNS1_3genE8ELNS1_11target_archE1030ELNS1_3gpuE2ELNS1_3repE0EEENS1_30default_config_static_selectorELNS0_4arch9wavefront6targetE1EEEvT1_.num_named_barrier, 0
	.set _ZN7rocprim17ROCPRIM_400000_NS6detail17trampoline_kernelINS0_14default_configENS1_35adjacent_difference_config_selectorILb1ExEEZNS1_24adjacent_difference_implIS3_Lb1ELb0EPxS7_N6thrust23THRUST_200600_302600_NS5minusIxEEEE10hipError_tPvRmT2_T3_mT4_P12ihipStream_tbEUlT_E_NS1_11comp_targetILNS1_3genE8ELNS1_11target_archE1030ELNS1_3gpuE2ELNS1_3repE0EEENS1_30default_config_static_selectorELNS0_4arch9wavefront6targetE1EEEvT1_.private_seg_size, 0
	.set _ZN7rocprim17ROCPRIM_400000_NS6detail17trampoline_kernelINS0_14default_configENS1_35adjacent_difference_config_selectorILb1ExEEZNS1_24adjacent_difference_implIS3_Lb1ELb0EPxS7_N6thrust23THRUST_200600_302600_NS5minusIxEEEE10hipError_tPvRmT2_T3_mT4_P12ihipStream_tbEUlT_E_NS1_11comp_targetILNS1_3genE8ELNS1_11target_archE1030ELNS1_3gpuE2ELNS1_3repE0EEENS1_30default_config_static_selectorELNS0_4arch9wavefront6targetE1EEEvT1_.uses_vcc, 0
	.set _ZN7rocprim17ROCPRIM_400000_NS6detail17trampoline_kernelINS0_14default_configENS1_35adjacent_difference_config_selectorILb1ExEEZNS1_24adjacent_difference_implIS3_Lb1ELb0EPxS7_N6thrust23THRUST_200600_302600_NS5minusIxEEEE10hipError_tPvRmT2_T3_mT4_P12ihipStream_tbEUlT_E_NS1_11comp_targetILNS1_3genE8ELNS1_11target_archE1030ELNS1_3gpuE2ELNS1_3repE0EEENS1_30default_config_static_selectorELNS0_4arch9wavefront6targetE1EEEvT1_.uses_flat_scratch, 0
	.set _ZN7rocprim17ROCPRIM_400000_NS6detail17trampoline_kernelINS0_14default_configENS1_35adjacent_difference_config_selectorILb1ExEEZNS1_24adjacent_difference_implIS3_Lb1ELb0EPxS7_N6thrust23THRUST_200600_302600_NS5minusIxEEEE10hipError_tPvRmT2_T3_mT4_P12ihipStream_tbEUlT_E_NS1_11comp_targetILNS1_3genE8ELNS1_11target_archE1030ELNS1_3gpuE2ELNS1_3repE0EEENS1_30default_config_static_selectorELNS0_4arch9wavefront6targetE1EEEvT1_.has_dyn_sized_stack, 0
	.set _ZN7rocprim17ROCPRIM_400000_NS6detail17trampoline_kernelINS0_14default_configENS1_35adjacent_difference_config_selectorILb1ExEEZNS1_24adjacent_difference_implIS3_Lb1ELb0EPxS7_N6thrust23THRUST_200600_302600_NS5minusIxEEEE10hipError_tPvRmT2_T3_mT4_P12ihipStream_tbEUlT_E_NS1_11comp_targetILNS1_3genE8ELNS1_11target_archE1030ELNS1_3gpuE2ELNS1_3repE0EEENS1_30default_config_static_selectorELNS0_4arch9wavefront6targetE1EEEvT1_.has_recursion, 0
	.set _ZN7rocprim17ROCPRIM_400000_NS6detail17trampoline_kernelINS0_14default_configENS1_35adjacent_difference_config_selectorILb1ExEEZNS1_24adjacent_difference_implIS3_Lb1ELb0EPxS7_N6thrust23THRUST_200600_302600_NS5minusIxEEEE10hipError_tPvRmT2_T3_mT4_P12ihipStream_tbEUlT_E_NS1_11comp_targetILNS1_3genE8ELNS1_11target_archE1030ELNS1_3gpuE2ELNS1_3repE0EEENS1_30default_config_static_selectorELNS0_4arch9wavefront6targetE1EEEvT1_.has_indirect_call, 0
	.section	.AMDGPU.csdata,"",@progbits
; Kernel info:
; codeLenInByte = 0
; TotalNumSgprs: 4
; NumVgprs: 0
; ScratchSize: 0
; MemoryBound: 0
; FloatMode: 240
; IeeeMode: 1
; LDSByteSize: 0 bytes/workgroup (compile time only)
; SGPRBlocks: 0
; VGPRBlocks: 0
; NumSGPRsForWavesPerEU: 4
; NumVGPRsForWavesPerEU: 1
; Occupancy: 10
; WaveLimiterHint : 0
; COMPUTE_PGM_RSRC2:SCRATCH_EN: 0
; COMPUTE_PGM_RSRC2:USER_SGPR: 6
; COMPUTE_PGM_RSRC2:TRAP_HANDLER: 0
; COMPUTE_PGM_RSRC2:TGID_X_EN: 1
; COMPUTE_PGM_RSRC2:TGID_Y_EN: 0
; COMPUTE_PGM_RSRC2:TGID_Z_EN: 0
; COMPUTE_PGM_RSRC2:TIDIG_COMP_CNT: 0
	.section	.text._ZN7rocprim17ROCPRIM_400000_NS6detail17trampoline_kernelINS0_14default_configENS1_35adjacent_difference_config_selectorILb0ExEEZNS1_24adjacent_difference_implIS3_Lb0ELb0EPxS7_N6thrust23THRUST_200600_302600_NS4plusIxEEEE10hipError_tPvRmT2_T3_mT4_P12ihipStream_tbEUlT_E_NS1_11comp_targetILNS1_3genE0ELNS1_11target_archE4294967295ELNS1_3gpuE0ELNS1_3repE0EEENS1_30default_config_static_selectorELNS0_4arch9wavefront6targetE1EEEvT1_,"axG",@progbits,_ZN7rocprim17ROCPRIM_400000_NS6detail17trampoline_kernelINS0_14default_configENS1_35adjacent_difference_config_selectorILb0ExEEZNS1_24adjacent_difference_implIS3_Lb0ELb0EPxS7_N6thrust23THRUST_200600_302600_NS4plusIxEEEE10hipError_tPvRmT2_T3_mT4_P12ihipStream_tbEUlT_E_NS1_11comp_targetILNS1_3genE0ELNS1_11target_archE4294967295ELNS1_3gpuE0ELNS1_3repE0EEENS1_30default_config_static_selectorELNS0_4arch9wavefront6targetE1EEEvT1_,comdat
	.protected	_ZN7rocprim17ROCPRIM_400000_NS6detail17trampoline_kernelINS0_14default_configENS1_35adjacent_difference_config_selectorILb0ExEEZNS1_24adjacent_difference_implIS3_Lb0ELb0EPxS7_N6thrust23THRUST_200600_302600_NS4plusIxEEEE10hipError_tPvRmT2_T3_mT4_P12ihipStream_tbEUlT_E_NS1_11comp_targetILNS1_3genE0ELNS1_11target_archE4294967295ELNS1_3gpuE0ELNS1_3repE0EEENS1_30default_config_static_selectorELNS0_4arch9wavefront6targetE1EEEvT1_ ; -- Begin function _ZN7rocprim17ROCPRIM_400000_NS6detail17trampoline_kernelINS0_14default_configENS1_35adjacent_difference_config_selectorILb0ExEEZNS1_24adjacent_difference_implIS3_Lb0ELb0EPxS7_N6thrust23THRUST_200600_302600_NS4plusIxEEEE10hipError_tPvRmT2_T3_mT4_P12ihipStream_tbEUlT_E_NS1_11comp_targetILNS1_3genE0ELNS1_11target_archE4294967295ELNS1_3gpuE0ELNS1_3repE0EEENS1_30default_config_static_selectorELNS0_4arch9wavefront6targetE1EEEvT1_
	.globl	_ZN7rocprim17ROCPRIM_400000_NS6detail17trampoline_kernelINS0_14default_configENS1_35adjacent_difference_config_selectorILb0ExEEZNS1_24adjacent_difference_implIS3_Lb0ELb0EPxS7_N6thrust23THRUST_200600_302600_NS4plusIxEEEE10hipError_tPvRmT2_T3_mT4_P12ihipStream_tbEUlT_E_NS1_11comp_targetILNS1_3genE0ELNS1_11target_archE4294967295ELNS1_3gpuE0ELNS1_3repE0EEENS1_30default_config_static_selectorELNS0_4arch9wavefront6targetE1EEEvT1_
	.p2align	8
	.type	_ZN7rocprim17ROCPRIM_400000_NS6detail17trampoline_kernelINS0_14default_configENS1_35adjacent_difference_config_selectorILb0ExEEZNS1_24adjacent_difference_implIS3_Lb0ELb0EPxS7_N6thrust23THRUST_200600_302600_NS4plusIxEEEE10hipError_tPvRmT2_T3_mT4_P12ihipStream_tbEUlT_E_NS1_11comp_targetILNS1_3genE0ELNS1_11target_archE4294967295ELNS1_3gpuE0ELNS1_3repE0EEENS1_30default_config_static_selectorELNS0_4arch9wavefront6targetE1EEEvT1_,@function
_ZN7rocprim17ROCPRIM_400000_NS6detail17trampoline_kernelINS0_14default_configENS1_35adjacent_difference_config_selectorILb0ExEEZNS1_24adjacent_difference_implIS3_Lb0ELb0EPxS7_N6thrust23THRUST_200600_302600_NS4plusIxEEEE10hipError_tPvRmT2_T3_mT4_P12ihipStream_tbEUlT_E_NS1_11comp_targetILNS1_3genE0ELNS1_11target_archE4294967295ELNS1_3gpuE0ELNS1_3repE0EEENS1_30default_config_static_selectorELNS0_4arch9wavefront6targetE1EEEvT1_: ; @_ZN7rocprim17ROCPRIM_400000_NS6detail17trampoline_kernelINS0_14default_configENS1_35adjacent_difference_config_selectorILb0ExEEZNS1_24adjacent_difference_implIS3_Lb0ELb0EPxS7_N6thrust23THRUST_200600_302600_NS4plusIxEEEE10hipError_tPvRmT2_T3_mT4_P12ihipStream_tbEUlT_E_NS1_11comp_targetILNS1_3genE0ELNS1_11target_archE4294967295ELNS1_3gpuE0ELNS1_3repE0EEENS1_30default_config_static_selectorELNS0_4arch9wavefront6targetE1EEEvT1_
; %bb.0:
	.section	.rodata,"a",@progbits
	.p2align	6, 0x0
	.amdhsa_kernel _ZN7rocprim17ROCPRIM_400000_NS6detail17trampoline_kernelINS0_14default_configENS1_35adjacent_difference_config_selectorILb0ExEEZNS1_24adjacent_difference_implIS3_Lb0ELb0EPxS7_N6thrust23THRUST_200600_302600_NS4plusIxEEEE10hipError_tPvRmT2_T3_mT4_P12ihipStream_tbEUlT_E_NS1_11comp_targetILNS1_3genE0ELNS1_11target_archE4294967295ELNS1_3gpuE0ELNS1_3repE0EEENS1_30default_config_static_selectorELNS0_4arch9wavefront6targetE1EEEvT1_
		.amdhsa_group_segment_fixed_size 0
		.amdhsa_private_segment_fixed_size 0
		.amdhsa_kernarg_size 56
		.amdhsa_user_sgpr_count 6
		.amdhsa_user_sgpr_private_segment_buffer 1
		.amdhsa_user_sgpr_dispatch_ptr 0
		.amdhsa_user_sgpr_queue_ptr 0
		.amdhsa_user_sgpr_kernarg_segment_ptr 1
		.amdhsa_user_sgpr_dispatch_id 0
		.amdhsa_user_sgpr_flat_scratch_init 0
		.amdhsa_user_sgpr_private_segment_size 0
		.amdhsa_uses_dynamic_stack 0
		.amdhsa_system_sgpr_private_segment_wavefront_offset 0
		.amdhsa_system_sgpr_workgroup_id_x 1
		.amdhsa_system_sgpr_workgroup_id_y 0
		.amdhsa_system_sgpr_workgroup_id_z 0
		.amdhsa_system_sgpr_workgroup_info 0
		.amdhsa_system_vgpr_workitem_id 0
		.amdhsa_next_free_vgpr 1
		.amdhsa_next_free_sgpr 0
		.amdhsa_reserve_vcc 0
		.amdhsa_reserve_flat_scratch 0
		.amdhsa_float_round_mode_32 0
		.amdhsa_float_round_mode_16_64 0
		.amdhsa_float_denorm_mode_32 3
		.amdhsa_float_denorm_mode_16_64 3
		.amdhsa_dx10_clamp 1
		.amdhsa_ieee_mode 1
		.amdhsa_fp16_overflow 0
		.amdhsa_exception_fp_ieee_invalid_op 0
		.amdhsa_exception_fp_denorm_src 0
		.amdhsa_exception_fp_ieee_div_zero 0
		.amdhsa_exception_fp_ieee_overflow 0
		.amdhsa_exception_fp_ieee_underflow 0
		.amdhsa_exception_fp_ieee_inexact 0
		.amdhsa_exception_int_div_zero 0
	.end_amdhsa_kernel
	.section	.text._ZN7rocprim17ROCPRIM_400000_NS6detail17trampoline_kernelINS0_14default_configENS1_35adjacent_difference_config_selectorILb0ExEEZNS1_24adjacent_difference_implIS3_Lb0ELb0EPxS7_N6thrust23THRUST_200600_302600_NS4plusIxEEEE10hipError_tPvRmT2_T3_mT4_P12ihipStream_tbEUlT_E_NS1_11comp_targetILNS1_3genE0ELNS1_11target_archE4294967295ELNS1_3gpuE0ELNS1_3repE0EEENS1_30default_config_static_selectorELNS0_4arch9wavefront6targetE1EEEvT1_,"axG",@progbits,_ZN7rocprim17ROCPRIM_400000_NS6detail17trampoline_kernelINS0_14default_configENS1_35adjacent_difference_config_selectorILb0ExEEZNS1_24adjacent_difference_implIS3_Lb0ELb0EPxS7_N6thrust23THRUST_200600_302600_NS4plusIxEEEE10hipError_tPvRmT2_T3_mT4_P12ihipStream_tbEUlT_E_NS1_11comp_targetILNS1_3genE0ELNS1_11target_archE4294967295ELNS1_3gpuE0ELNS1_3repE0EEENS1_30default_config_static_selectorELNS0_4arch9wavefront6targetE1EEEvT1_,comdat
.Lfunc_end282:
	.size	_ZN7rocprim17ROCPRIM_400000_NS6detail17trampoline_kernelINS0_14default_configENS1_35adjacent_difference_config_selectorILb0ExEEZNS1_24adjacent_difference_implIS3_Lb0ELb0EPxS7_N6thrust23THRUST_200600_302600_NS4plusIxEEEE10hipError_tPvRmT2_T3_mT4_P12ihipStream_tbEUlT_E_NS1_11comp_targetILNS1_3genE0ELNS1_11target_archE4294967295ELNS1_3gpuE0ELNS1_3repE0EEENS1_30default_config_static_selectorELNS0_4arch9wavefront6targetE1EEEvT1_, .Lfunc_end282-_ZN7rocprim17ROCPRIM_400000_NS6detail17trampoline_kernelINS0_14default_configENS1_35adjacent_difference_config_selectorILb0ExEEZNS1_24adjacent_difference_implIS3_Lb0ELb0EPxS7_N6thrust23THRUST_200600_302600_NS4plusIxEEEE10hipError_tPvRmT2_T3_mT4_P12ihipStream_tbEUlT_E_NS1_11comp_targetILNS1_3genE0ELNS1_11target_archE4294967295ELNS1_3gpuE0ELNS1_3repE0EEENS1_30default_config_static_selectorELNS0_4arch9wavefront6targetE1EEEvT1_
                                        ; -- End function
	.set _ZN7rocprim17ROCPRIM_400000_NS6detail17trampoline_kernelINS0_14default_configENS1_35adjacent_difference_config_selectorILb0ExEEZNS1_24adjacent_difference_implIS3_Lb0ELb0EPxS7_N6thrust23THRUST_200600_302600_NS4plusIxEEEE10hipError_tPvRmT2_T3_mT4_P12ihipStream_tbEUlT_E_NS1_11comp_targetILNS1_3genE0ELNS1_11target_archE4294967295ELNS1_3gpuE0ELNS1_3repE0EEENS1_30default_config_static_selectorELNS0_4arch9wavefront6targetE1EEEvT1_.num_vgpr, 0
	.set _ZN7rocprim17ROCPRIM_400000_NS6detail17trampoline_kernelINS0_14default_configENS1_35adjacent_difference_config_selectorILb0ExEEZNS1_24adjacent_difference_implIS3_Lb0ELb0EPxS7_N6thrust23THRUST_200600_302600_NS4plusIxEEEE10hipError_tPvRmT2_T3_mT4_P12ihipStream_tbEUlT_E_NS1_11comp_targetILNS1_3genE0ELNS1_11target_archE4294967295ELNS1_3gpuE0ELNS1_3repE0EEENS1_30default_config_static_selectorELNS0_4arch9wavefront6targetE1EEEvT1_.num_agpr, 0
	.set _ZN7rocprim17ROCPRIM_400000_NS6detail17trampoline_kernelINS0_14default_configENS1_35adjacent_difference_config_selectorILb0ExEEZNS1_24adjacent_difference_implIS3_Lb0ELb0EPxS7_N6thrust23THRUST_200600_302600_NS4plusIxEEEE10hipError_tPvRmT2_T3_mT4_P12ihipStream_tbEUlT_E_NS1_11comp_targetILNS1_3genE0ELNS1_11target_archE4294967295ELNS1_3gpuE0ELNS1_3repE0EEENS1_30default_config_static_selectorELNS0_4arch9wavefront6targetE1EEEvT1_.numbered_sgpr, 0
	.set _ZN7rocprim17ROCPRIM_400000_NS6detail17trampoline_kernelINS0_14default_configENS1_35adjacent_difference_config_selectorILb0ExEEZNS1_24adjacent_difference_implIS3_Lb0ELb0EPxS7_N6thrust23THRUST_200600_302600_NS4plusIxEEEE10hipError_tPvRmT2_T3_mT4_P12ihipStream_tbEUlT_E_NS1_11comp_targetILNS1_3genE0ELNS1_11target_archE4294967295ELNS1_3gpuE0ELNS1_3repE0EEENS1_30default_config_static_selectorELNS0_4arch9wavefront6targetE1EEEvT1_.num_named_barrier, 0
	.set _ZN7rocprim17ROCPRIM_400000_NS6detail17trampoline_kernelINS0_14default_configENS1_35adjacent_difference_config_selectorILb0ExEEZNS1_24adjacent_difference_implIS3_Lb0ELb0EPxS7_N6thrust23THRUST_200600_302600_NS4plusIxEEEE10hipError_tPvRmT2_T3_mT4_P12ihipStream_tbEUlT_E_NS1_11comp_targetILNS1_3genE0ELNS1_11target_archE4294967295ELNS1_3gpuE0ELNS1_3repE0EEENS1_30default_config_static_selectorELNS0_4arch9wavefront6targetE1EEEvT1_.private_seg_size, 0
	.set _ZN7rocprim17ROCPRIM_400000_NS6detail17trampoline_kernelINS0_14default_configENS1_35adjacent_difference_config_selectorILb0ExEEZNS1_24adjacent_difference_implIS3_Lb0ELb0EPxS7_N6thrust23THRUST_200600_302600_NS4plusIxEEEE10hipError_tPvRmT2_T3_mT4_P12ihipStream_tbEUlT_E_NS1_11comp_targetILNS1_3genE0ELNS1_11target_archE4294967295ELNS1_3gpuE0ELNS1_3repE0EEENS1_30default_config_static_selectorELNS0_4arch9wavefront6targetE1EEEvT1_.uses_vcc, 0
	.set _ZN7rocprim17ROCPRIM_400000_NS6detail17trampoline_kernelINS0_14default_configENS1_35adjacent_difference_config_selectorILb0ExEEZNS1_24adjacent_difference_implIS3_Lb0ELb0EPxS7_N6thrust23THRUST_200600_302600_NS4plusIxEEEE10hipError_tPvRmT2_T3_mT4_P12ihipStream_tbEUlT_E_NS1_11comp_targetILNS1_3genE0ELNS1_11target_archE4294967295ELNS1_3gpuE0ELNS1_3repE0EEENS1_30default_config_static_selectorELNS0_4arch9wavefront6targetE1EEEvT1_.uses_flat_scratch, 0
	.set _ZN7rocprim17ROCPRIM_400000_NS6detail17trampoline_kernelINS0_14default_configENS1_35adjacent_difference_config_selectorILb0ExEEZNS1_24adjacent_difference_implIS3_Lb0ELb0EPxS7_N6thrust23THRUST_200600_302600_NS4plusIxEEEE10hipError_tPvRmT2_T3_mT4_P12ihipStream_tbEUlT_E_NS1_11comp_targetILNS1_3genE0ELNS1_11target_archE4294967295ELNS1_3gpuE0ELNS1_3repE0EEENS1_30default_config_static_selectorELNS0_4arch9wavefront6targetE1EEEvT1_.has_dyn_sized_stack, 0
	.set _ZN7rocprim17ROCPRIM_400000_NS6detail17trampoline_kernelINS0_14default_configENS1_35adjacent_difference_config_selectorILb0ExEEZNS1_24adjacent_difference_implIS3_Lb0ELb0EPxS7_N6thrust23THRUST_200600_302600_NS4plusIxEEEE10hipError_tPvRmT2_T3_mT4_P12ihipStream_tbEUlT_E_NS1_11comp_targetILNS1_3genE0ELNS1_11target_archE4294967295ELNS1_3gpuE0ELNS1_3repE0EEENS1_30default_config_static_selectorELNS0_4arch9wavefront6targetE1EEEvT1_.has_recursion, 0
	.set _ZN7rocprim17ROCPRIM_400000_NS6detail17trampoline_kernelINS0_14default_configENS1_35adjacent_difference_config_selectorILb0ExEEZNS1_24adjacent_difference_implIS3_Lb0ELb0EPxS7_N6thrust23THRUST_200600_302600_NS4plusIxEEEE10hipError_tPvRmT2_T3_mT4_P12ihipStream_tbEUlT_E_NS1_11comp_targetILNS1_3genE0ELNS1_11target_archE4294967295ELNS1_3gpuE0ELNS1_3repE0EEENS1_30default_config_static_selectorELNS0_4arch9wavefront6targetE1EEEvT1_.has_indirect_call, 0
	.section	.AMDGPU.csdata,"",@progbits
; Kernel info:
; codeLenInByte = 0
; TotalNumSgprs: 4
; NumVgprs: 0
; ScratchSize: 0
; MemoryBound: 0
; FloatMode: 240
; IeeeMode: 1
; LDSByteSize: 0 bytes/workgroup (compile time only)
; SGPRBlocks: 0
; VGPRBlocks: 0
; NumSGPRsForWavesPerEU: 4
; NumVGPRsForWavesPerEU: 1
; Occupancy: 10
; WaveLimiterHint : 0
; COMPUTE_PGM_RSRC2:SCRATCH_EN: 0
; COMPUTE_PGM_RSRC2:USER_SGPR: 6
; COMPUTE_PGM_RSRC2:TRAP_HANDLER: 0
; COMPUTE_PGM_RSRC2:TGID_X_EN: 1
; COMPUTE_PGM_RSRC2:TGID_Y_EN: 0
; COMPUTE_PGM_RSRC2:TGID_Z_EN: 0
; COMPUTE_PGM_RSRC2:TIDIG_COMP_CNT: 0
	.section	.text._ZN7rocprim17ROCPRIM_400000_NS6detail17trampoline_kernelINS0_14default_configENS1_35adjacent_difference_config_selectorILb0ExEEZNS1_24adjacent_difference_implIS3_Lb0ELb0EPxS7_N6thrust23THRUST_200600_302600_NS4plusIxEEEE10hipError_tPvRmT2_T3_mT4_P12ihipStream_tbEUlT_E_NS1_11comp_targetILNS1_3genE10ELNS1_11target_archE1201ELNS1_3gpuE5ELNS1_3repE0EEENS1_30default_config_static_selectorELNS0_4arch9wavefront6targetE1EEEvT1_,"axG",@progbits,_ZN7rocprim17ROCPRIM_400000_NS6detail17trampoline_kernelINS0_14default_configENS1_35adjacent_difference_config_selectorILb0ExEEZNS1_24adjacent_difference_implIS3_Lb0ELb0EPxS7_N6thrust23THRUST_200600_302600_NS4plusIxEEEE10hipError_tPvRmT2_T3_mT4_P12ihipStream_tbEUlT_E_NS1_11comp_targetILNS1_3genE10ELNS1_11target_archE1201ELNS1_3gpuE5ELNS1_3repE0EEENS1_30default_config_static_selectorELNS0_4arch9wavefront6targetE1EEEvT1_,comdat
	.protected	_ZN7rocprim17ROCPRIM_400000_NS6detail17trampoline_kernelINS0_14default_configENS1_35adjacent_difference_config_selectorILb0ExEEZNS1_24adjacent_difference_implIS3_Lb0ELb0EPxS7_N6thrust23THRUST_200600_302600_NS4plusIxEEEE10hipError_tPvRmT2_T3_mT4_P12ihipStream_tbEUlT_E_NS1_11comp_targetILNS1_3genE10ELNS1_11target_archE1201ELNS1_3gpuE5ELNS1_3repE0EEENS1_30default_config_static_selectorELNS0_4arch9wavefront6targetE1EEEvT1_ ; -- Begin function _ZN7rocprim17ROCPRIM_400000_NS6detail17trampoline_kernelINS0_14default_configENS1_35adjacent_difference_config_selectorILb0ExEEZNS1_24adjacent_difference_implIS3_Lb0ELb0EPxS7_N6thrust23THRUST_200600_302600_NS4plusIxEEEE10hipError_tPvRmT2_T3_mT4_P12ihipStream_tbEUlT_E_NS1_11comp_targetILNS1_3genE10ELNS1_11target_archE1201ELNS1_3gpuE5ELNS1_3repE0EEENS1_30default_config_static_selectorELNS0_4arch9wavefront6targetE1EEEvT1_
	.globl	_ZN7rocprim17ROCPRIM_400000_NS6detail17trampoline_kernelINS0_14default_configENS1_35adjacent_difference_config_selectorILb0ExEEZNS1_24adjacent_difference_implIS3_Lb0ELb0EPxS7_N6thrust23THRUST_200600_302600_NS4plusIxEEEE10hipError_tPvRmT2_T3_mT4_P12ihipStream_tbEUlT_E_NS1_11comp_targetILNS1_3genE10ELNS1_11target_archE1201ELNS1_3gpuE5ELNS1_3repE0EEENS1_30default_config_static_selectorELNS0_4arch9wavefront6targetE1EEEvT1_
	.p2align	8
	.type	_ZN7rocprim17ROCPRIM_400000_NS6detail17trampoline_kernelINS0_14default_configENS1_35adjacent_difference_config_selectorILb0ExEEZNS1_24adjacent_difference_implIS3_Lb0ELb0EPxS7_N6thrust23THRUST_200600_302600_NS4plusIxEEEE10hipError_tPvRmT2_T3_mT4_P12ihipStream_tbEUlT_E_NS1_11comp_targetILNS1_3genE10ELNS1_11target_archE1201ELNS1_3gpuE5ELNS1_3repE0EEENS1_30default_config_static_selectorELNS0_4arch9wavefront6targetE1EEEvT1_,@function
_ZN7rocprim17ROCPRIM_400000_NS6detail17trampoline_kernelINS0_14default_configENS1_35adjacent_difference_config_selectorILb0ExEEZNS1_24adjacent_difference_implIS3_Lb0ELb0EPxS7_N6thrust23THRUST_200600_302600_NS4plusIxEEEE10hipError_tPvRmT2_T3_mT4_P12ihipStream_tbEUlT_E_NS1_11comp_targetILNS1_3genE10ELNS1_11target_archE1201ELNS1_3gpuE5ELNS1_3repE0EEENS1_30default_config_static_selectorELNS0_4arch9wavefront6targetE1EEEvT1_: ; @_ZN7rocprim17ROCPRIM_400000_NS6detail17trampoline_kernelINS0_14default_configENS1_35adjacent_difference_config_selectorILb0ExEEZNS1_24adjacent_difference_implIS3_Lb0ELb0EPxS7_N6thrust23THRUST_200600_302600_NS4plusIxEEEE10hipError_tPvRmT2_T3_mT4_P12ihipStream_tbEUlT_E_NS1_11comp_targetILNS1_3genE10ELNS1_11target_archE1201ELNS1_3gpuE5ELNS1_3repE0EEENS1_30default_config_static_selectorELNS0_4arch9wavefront6targetE1EEEvT1_
; %bb.0:
	.section	.rodata,"a",@progbits
	.p2align	6, 0x0
	.amdhsa_kernel _ZN7rocprim17ROCPRIM_400000_NS6detail17trampoline_kernelINS0_14default_configENS1_35adjacent_difference_config_selectorILb0ExEEZNS1_24adjacent_difference_implIS3_Lb0ELb0EPxS7_N6thrust23THRUST_200600_302600_NS4plusIxEEEE10hipError_tPvRmT2_T3_mT4_P12ihipStream_tbEUlT_E_NS1_11comp_targetILNS1_3genE10ELNS1_11target_archE1201ELNS1_3gpuE5ELNS1_3repE0EEENS1_30default_config_static_selectorELNS0_4arch9wavefront6targetE1EEEvT1_
		.amdhsa_group_segment_fixed_size 0
		.amdhsa_private_segment_fixed_size 0
		.amdhsa_kernarg_size 56
		.amdhsa_user_sgpr_count 6
		.amdhsa_user_sgpr_private_segment_buffer 1
		.amdhsa_user_sgpr_dispatch_ptr 0
		.amdhsa_user_sgpr_queue_ptr 0
		.amdhsa_user_sgpr_kernarg_segment_ptr 1
		.amdhsa_user_sgpr_dispatch_id 0
		.amdhsa_user_sgpr_flat_scratch_init 0
		.amdhsa_user_sgpr_private_segment_size 0
		.amdhsa_uses_dynamic_stack 0
		.amdhsa_system_sgpr_private_segment_wavefront_offset 0
		.amdhsa_system_sgpr_workgroup_id_x 1
		.amdhsa_system_sgpr_workgroup_id_y 0
		.amdhsa_system_sgpr_workgroup_id_z 0
		.amdhsa_system_sgpr_workgroup_info 0
		.amdhsa_system_vgpr_workitem_id 0
		.amdhsa_next_free_vgpr 1
		.amdhsa_next_free_sgpr 0
		.amdhsa_reserve_vcc 0
		.amdhsa_reserve_flat_scratch 0
		.amdhsa_float_round_mode_32 0
		.amdhsa_float_round_mode_16_64 0
		.amdhsa_float_denorm_mode_32 3
		.amdhsa_float_denorm_mode_16_64 3
		.amdhsa_dx10_clamp 1
		.amdhsa_ieee_mode 1
		.amdhsa_fp16_overflow 0
		.amdhsa_exception_fp_ieee_invalid_op 0
		.amdhsa_exception_fp_denorm_src 0
		.amdhsa_exception_fp_ieee_div_zero 0
		.amdhsa_exception_fp_ieee_overflow 0
		.amdhsa_exception_fp_ieee_underflow 0
		.amdhsa_exception_fp_ieee_inexact 0
		.amdhsa_exception_int_div_zero 0
	.end_amdhsa_kernel
	.section	.text._ZN7rocprim17ROCPRIM_400000_NS6detail17trampoline_kernelINS0_14default_configENS1_35adjacent_difference_config_selectorILb0ExEEZNS1_24adjacent_difference_implIS3_Lb0ELb0EPxS7_N6thrust23THRUST_200600_302600_NS4plusIxEEEE10hipError_tPvRmT2_T3_mT4_P12ihipStream_tbEUlT_E_NS1_11comp_targetILNS1_3genE10ELNS1_11target_archE1201ELNS1_3gpuE5ELNS1_3repE0EEENS1_30default_config_static_selectorELNS0_4arch9wavefront6targetE1EEEvT1_,"axG",@progbits,_ZN7rocprim17ROCPRIM_400000_NS6detail17trampoline_kernelINS0_14default_configENS1_35adjacent_difference_config_selectorILb0ExEEZNS1_24adjacent_difference_implIS3_Lb0ELb0EPxS7_N6thrust23THRUST_200600_302600_NS4plusIxEEEE10hipError_tPvRmT2_T3_mT4_P12ihipStream_tbEUlT_E_NS1_11comp_targetILNS1_3genE10ELNS1_11target_archE1201ELNS1_3gpuE5ELNS1_3repE0EEENS1_30default_config_static_selectorELNS0_4arch9wavefront6targetE1EEEvT1_,comdat
.Lfunc_end283:
	.size	_ZN7rocprim17ROCPRIM_400000_NS6detail17trampoline_kernelINS0_14default_configENS1_35adjacent_difference_config_selectorILb0ExEEZNS1_24adjacent_difference_implIS3_Lb0ELb0EPxS7_N6thrust23THRUST_200600_302600_NS4plusIxEEEE10hipError_tPvRmT2_T3_mT4_P12ihipStream_tbEUlT_E_NS1_11comp_targetILNS1_3genE10ELNS1_11target_archE1201ELNS1_3gpuE5ELNS1_3repE0EEENS1_30default_config_static_selectorELNS0_4arch9wavefront6targetE1EEEvT1_, .Lfunc_end283-_ZN7rocprim17ROCPRIM_400000_NS6detail17trampoline_kernelINS0_14default_configENS1_35adjacent_difference_config_selectorILb0ExEEZNS1_24adjacent_difference_implIS3_Lb0ELb0EPxS7_N6thrust23THRUST_200600_302600_NS4plusIxEEEE10hipError_tPvRmT2_T3_mT4_P12ihipStream_tbEUlT_E_NS1_11comp_targetILNS1_3genE10ELNS1_11target_archE1201ELNS1_3gpuE5ELNS1_3repE0EEENS1_30default_config_static_selectorELNS0_4arch9wavefront6targetE1EEEvT1_
                                        ; -- End function
	.set _ZN7rocprim17ROCPRIM_400000_NS6detail17trampoline_kernelINS0_14default_configENS1_35adjacent_difference_config_selectorILb0ExEEZNS1_24adjacent_difference_implIS3_Lb0ELb0EPxS7_N6thrust23THRUST_200600_302600_NS4plusIxEEEE10hipError_tPvRmT2_T3_mT4_P12ihipStream_tbEUlT_E_NS1_11comp_targetILNS1_3genE10ELNS1_11target_archE1201ELNS1_3gpuE5ELNS1_3repE0EEENS1_30default_config_static_selectorELNS0_4arch9wavefront6targetE1EEEvT1_.num_vgpr, 0
	.set _ZN7rocprim17ROCPRIM_400000_NS6detail17trampoline_kernelINS0_14default_configENS1_35adjacent_difference_config_selectorILb0ExEEZNS1_24adjacent_difference_implIS3_Lb0ELb0EPxS7_N6thrust23THRUST_200600_302600_NS4plusIxEEEE10hipError_tPvRmT2_T3_mT4_P12ihipStream_tbEUlT_E_NS1_11comp_targetILNS1_3genE10ELNS1_11target_archE1201ELNS1_3gpuE5ELNS1_3repE0EEENS1_30default_config_static_selectorELNS0_4arch9wavefront6targetE1EEEvT1_.num_agpr, 0
	.set _ZN7rocprim17ROCPRIM_400000_NS6detail17trampoline_kernelINS0_14default_configENS1_35adjacent_difference_config_selectorILb0ExEEZNS1_24adjacent_difference_implIS3_Lb0ELb0EPxS7_N6thrust23THRUST_200600_302600_NS4plusIxEEEE10hipError_tPvRmT2_T3_mT4_P12ihipStream_tbEUlT_E_NS1_11comp_targetILNS1_3genE10ELNS1_11target_archE1201ELNS1_3gpuE5ELNS1_3repE0EEENS1_30default_config_static_selectorELNS0_4arch9wavefront6targetE1EEEvT1_.numbered_sgpr, 0
	.set _ZN7rocprim17ROCPRIM_400000_NS6detail17trampoline_kernelINS0_14default_configENS1_35adjacent_difference_config_selectorILb0ExEEZNS1_24adjacent_difference_implIS3_Lb0ELb0EPxS7_N6thrust23THRUST_200600_302600_NS4plusIxEEEE10hipError_tPvRmT2_T3_mT4_P12ihipStream_tbEUlT_E_NS1_11comp_targetILNS1_3genE10ELNS1_11target_archE1201ELNS1_3gpuE5ELNS1_3repE0EEENS1_30default_config_static_selectorELNS0_4arch9wavefront6targetE1EEEvT1_.num_named_barrier, 0
	.set _ZN7rocprim17ROCPRIM_400000_NS6detail17trampoline_kernelINS0_14default_configENS1_35adjacent_difference_config_selectorILb0ExEEZNS1_24adjacent_difference_implIS3_Lb0ELb0EPxS7_N6thrust23THRUST_200600_302600_NS4plusIxEEEE10hipError_tPvRmT2_T3_mT4_P12ihipStream_tbEUlT_E_NS1_11comp_targetILNS1_3genE10ELNS1_11target_archE1201ELNS1_3gpuE5ELNS1_3repE0EEENS1_30default_config_static_selectorELNS0_4arch9wavefront6targetE1EEEvT1_.private_seg_size, 0
	.set _ZN7rocprim17ROCPRIM_400000_NS6detail17trampoline_kernelINS0_14default_configENS1_35adjacent_difference_config_selectorILb0ExEEZNS1_24adjacent_difference_implIS3_Lb0ELb0EPxS7_N6thrust23THRUST_200600_302600_NS4plusIxEEEE10hipError_tPvRmT2_T3_mT4_P12ihipStream_tbEUlT_E_NS1_11comp_targetILNS1_3genE10ELNS1_11target_archE1201ELNS1_3gpuE5ELNS1_3repE0EEENS1_30default_config_static_selectorELNS0_4arch9wavefront6targetE1EEEvT1_.uses_vcc, 0
	.set _ZN7rocprim17ROCPRIM_400000_NS6detail17trampoline_kernelINS0_14default_configENS1_35adjacent_difference_config_selectorILb0ExEEZNS1_24adjacent_difference_implIS3_Lb0ELb0EPxS7_N6thrust23THRUST_200600_302600_NS4plusIxEEEE10hipError_tPvRmT2_T3_mT4_P12ihipStream_tbEUlT_E_NS1_11comp_targetILNS1_3genE10ELNS1_11target_archE1201ELNS1_3gpuE5ELNS1_3repE0EEENS1_30default_config_static_selectorELNS0_4arch9wavefront6targetE1EEEvT1_.uses_flat_scratch, 0
	.set _ZN7rocprim17ROCPRIM_400000_NS6detail17trampoline_kernelINS0_14default_configENS1_35adjacent_difference_config_selectorILb0ExEEZNS1_24adjacent_difference_implIS3_Lb0ELb0EPxS7_N6thrust23THRUST_200600_302600_NS4plusIxEEEE10hipError_tPvRmT2_T3_mT4_P12ihipStream_tbEUlT_E_NS1_11comp_targetILNS1_3genE10ELNS1_11target_archE1201ELNS1_3gpuE5ELNS1_3repE0EEENS1_30default_config_static_selectorELNS0_4arch9wavefront6targetE1EEEvT1_.has_dyn_sized_stack, 0
	.set _ZN7rocprim17ROCPRIM_400000_NS6detail17trampoline_kernelINS0_14default_configENS1_35adjacent_difference_config_selectorILb0ExEEZNS1_24adjacent_difference_implIS3_Lb0ELb0EPxS7_N6thrust23THRUST_200600_302600_NS4plusIxEEEE10hipError_tPvRmT2_T3_mT4_P12ihipStream_tbEUlT_E_NS1_11comp_targetILNS1_3genE10ELNS1_11target_archE1201ELNS1_3gpuE5ELNS1_3repE0EEENS1_30default_config_static_selectorELNS0_4arch9wavefront6targetE1EEEvT1_.has_recursion, 0
	.set _ZN7rocprim17ROCPRIM_400000_NS6detail17trampoline_kernelINS0_14default_configENS1_35adjacent_difference_config_selectorILb0ExEEZNS1_24adjacent_difference_implIS3_Lb0ELb0EPxS7_N6thrust23THRUST_200600_302600_NS4plusIxEEEE10hipError_tPvRmT2_T3_mT4_P12ihipStream_tbEUlT_E_NS1_11comp_targetILNS1_3genE10ELNS1_11target_archE1201ELNS1_3gpuE5ELNS1_3repE0EEENS1_30default_config_static_selectorELNS0_4arch9wavefront6targetE1EEEvT1_.has_indirect_call, 0
	.section	.AMDGPU.csdata,"",@progbits
; Kernel info:
; codeLenInByte = 0
; TotalNumSgprs: 4
; NumVgprs: 0
; ScratchSize: 0
; MemoryBound: 0
; FloatMode: 240
; IeeeMode: 1
; LDSByteSize: 0 bytes/workgroup (compile time only)
; SGPRBlocks: 0
; VGPRBlocks: 0
; NumSGPRsForWavesPerEU: 4
; NumVGPRsForWavesPerEU: 1
; Occupancy: 10
; WaveLimiterHint : 0
; COMPUTE_PGM_RSRC2:SCRATCH_EN: 0
; COMPUTE_PGM_RSRC2:USER_SGPR: 6
; COMPUTE_PGM_RSRC2:TRAP_HANDLER: 0
; COMPUTE_PGM_RSRC2:TGID_X_EN: 1
; COMPUTE_PGM_RSRC2:TGID_Y_EN: 0
; COMPUTE_PGM_RSRC2:TGID_Z_EN: 0
; COMPUTE_PGM_RSRC2:TIDIG_COMP_CNT: 0
	.section	.text._ZN7rocprim17ROCPRIM_400000_NS6detail17trampoline_kernelINS0_14default_configENS1_35adjacent_difference_config_selectorILb0ExEEZNS1_24adjacent_difference_implIS3_Lb0ELb0EPxS7_N6thrust23THRUST_200600_302600_NS4plusIxEEEE10hipError_tPvRmT2_T3_mT4_P12ihipStream_tbEUlT_E_NS1_11comp_targetILNS1_3genE5ELNS1_11target_archE942ELNS1_3gpuE9ELNS1_3repE0EEENS1_30default_config_static_selectorELNS0_4arch9wavefront6targetE1EEEvT1_,"axG",@progbits,_ZN7rocprim17ROCPRIM_400000_NS6detail17trampoline_kernelINS0_14default_configENS1_35adjacent_difference_config_selectorILb0ExEEZNS1_24adjacent_difference_implIS3_Lb0ELb0EPxS7_N6thrust23THRUST_200600_302600_NS4plusIxEEEE10hipError_tPvRmT2_T3_mT4_P12ihipStream_tbEUlT_E_NS1_11comp_targetILNS1_3genE5ELNS1_11target_archE942ELNS1_3gpuE9ELNS1_3repE0EEENS1_30default_config_static_selectorELNS0_4arch9wavefront6targetE1EEEvT1_,comdat
	.protected	_ZN7rocprim17ROCPRIM_400000_NS6detail17trampoline_kernelINS0_14default_configENS1_35adjacent_difference_config_selectorILb0ExEEZNS1_24adjacent_difference_implIS3_Lb0ELb0EPxS7_N6thrust23THRUST_200600_302600_NS4plusIxEEEE10hipError_tPvRmT2_T3_mT4_P12ihipStream_tbEUlT_E_NS1_11comp_targetILNS1_3genE5ELNS1_11target_archE942ELNS1_3gpuE9ELNS1_3repE0EEENS1_30default_config_static_selectorELNS0_4arch9wavefront6targetE1EEEvT1_ ; -- Begin function _ZN7rocprim17ROCPRIM_400000_NS6detail17trampoline_kernelINS0_14default_configENS1_35adjacent_difference_config_selectorILb0ExEEZNS1_24adjacent_difference_implIS3_Lb0ELb0EPxS7_N6thrust23THRUST_200600_302600_NS4plusIxEEEE10hipError_tPvRmT2_T3_mT4_P12ihipStream_tbEUlT_E_NS1_11comp_targetILNS1_3genE5ELNS1_11target_archE942ELNS1_3gpuE9ELNS1_3repE0EEENS1_30default_config_static_selectorELNS0_4arch9wavefront6targetE1EEEvT1_
	.globl	_ZN7rocprim17ROCPRIM_400000_NS6detail17trampoline_kernelINS0_14default_configENS1_35adjacent_difference_config_selectorILb0ExEEZNS1_24adjacent_difference_implIS3_Lb0ELb0EPxS7_N6thrust23THRUST_200600_302600_NS4plusIxEEEE10hipError_tPvRmT2_T3_mT4_P12ihipStream_tbEUlT_E_NS1_11comp_targetILNS1_3genE5ELNS1_11target_archE942ELNS1_3gpuE9ELNS1_3repE0EEENS1_30default_config_static_selectorELNS0_4arch9wavefront6targetE1EEEvT1_
	.p2align	8
	.type	_ZN7rocprim17ROCPRIM_400000_NS6detail17trampoline_kernelINS0_14default_configENS1_35adjacent_difference_config_selectorILb0ExEEZNS1_24adjacent_difference_implIS3_Lb0ELb0EPxS7_N6thrust23THRUST_200600_302600_NS4plusIxEEEE10hipError_tPvRmT2_T3_mT4_P12ihipStream_tbEUlT_E_NS1_11comp_targetILNS1_3genE5ELNS1_11target_archE942ELNS1_3gpuE9ELNS1_3repE0EEENS1_30default_config_static_selectorELNS0_4arch9wavefront6targetE1EEEvT1_,@function
_ZN7rocprim17ROCPRIM_400000_NS6detail17trampoline_kernelINS0_14default_configENS1_35adjacent_difference_config_selectorILb0ExEEZNS1_24adjacent_difference_implIS3_Lb0ELb0EPxS7_N6thrust23THRUST_200600_302600_NS4plusIxEEEE10hipError_tPvRmT2_T3_mT4_P12ihipStream_tbEUlT_E_NS1_11comp_targetILNS1_3genE5ELNS1_11target_archE942ELNS1_3gpuE9ELNS1_3repE0EEENS1_30default_config_static_selectorELNS0_4arch9wavefront6targetE1EEEvT1_: ; @_ZN7rocprim17ROCPRIM_400000_NS6detail17trampoline_kernelINS0_14default_configENS1_35adjacent_difference_config_selectorILb0ExEEZNS1_24adjacent_difference_implIS3_Lb0ELb0EPxS7_N6thrust23THRUST_200600_302600_NS4plusIxEEEE10hipError_tPvRmT2_T3_mT4_P12ihipStream_tbEUlT_E_NS1_11comp_targetILNS1_3genE5ELNS1_11target_archE942ELNS1_3gpuE9ELNS1_3repE0EEENS1_30default_config_static_selectorELNS0_4arch9wavefront6targetE1EEEvT1_
; %bb.0:
	.section	.rodata,"a",@progbits
	.p2align	6, 0x0
	.amdhsa_kernel _ZN7rocprim17ROCPRIM_400000_NS6detail17trampoline_kernelINS0_14default_configENS1_35adjacent_difference_config_selectorILb0ExEEZNS1_24adjacent_difference_implIS3_Lb0ELb0EPxS7_N6thrust23THRUST_200600_302600_NS4plusIxEEEE10hipError_tPvRmT2_T3_mT4_P12ihipStream_tbEUlT_E_NS1_11comp_targetILNS1_3genE5ELNS1_11target_archE942ELNS1_3gpuE9ELNS1_3repE0EEENS1_30default_config_static_selectorELNS0_4arch9wavefront6targetE1EEEvT1_
		.amdhsa_group_segment_fixed_size 0
		.amdhsa_private_segment_fixed_size 0
		.amdhsa_kernarg_size 56
		.amdhsa_user_sgpr_count 6
		.amdhsa_user_sgpr_private_segment_buffer 1
		.amdhsa_user_sgpr_dispatch_ptr 0
		.amdhsa_user_sgpr_queue_ptr 0
		.amdhsa_user_sgpr_kernarg_segment_ptr 1
		.amdhsa_user_sgpr_dispatch_id 0
		.amdhsa_user_sgpr_flat_scratch_init 0
		.amdhsa_user_sgpr_private_segment_size 0
		.amdhsa_uses_dynamic_stack 0
		.amdhsa_system_sgpr_private_segment_wavefront_offset 0
		.amdhsa_system_sgpr_workgroup_id_x 1
		.amdhsa_system_sgpr_workgroup_id_y 0
		.amdhsa_system_sgpr_workgroup_id_z 0
		.amdhsa_system_sgpr_workgroup_info 0
		.amdhsa_system_vgpr_workitem_id 0
		.amdhsa_next_free_vgpr 1
		.amdhsa_next_free_sgpr 0
		.amdhsa_reserve_vcc 0
		.amdhsa_reserve_flat_scratch 0
		.amdhsa_float_round_mode_32 0
		.amdhsa_float_round_mode_16_64 0
		.amdhsa_float_denorm_mode_32 3
		.amdhsa_float_denorm_mode_16_64 3
		.amdhsa_dx10_clamp 1
		.amdhsa_ieee_mode 1
		.amdhsa_fp16_overflow 0
		.amdhsa_exception_fp_ieee_invalid_op 0
		.amdhsa_exception_fp_denorm_src 0
		.amdhsa_exception_fp_ieee_div_zero 0
		.amdhsa_exception_fp_ieee_overflow 0
		.amdhsa_exception_fp_ieee_underflow 0
		.amdhsa_exception_fp_ieee_inexact 0
		.amdhsa_exception_int_div_zero 0
	.end_amdhsa_kernel
	.section	.text._ZN7rocprim17ROCPRIM_400000_NS6detail17trampoline_kernelINS0_14default_configENS1_35adjacent_difference_config_selectorILb0ExEEZNS1_24adjacent_difference_implIS3_Lb0ELb0EPxS7_N6thrust23THRUST_200600_302600_NS4plusIxEEEE10hipError_tPvRmT2_T3_mT4_P12ihipStream_tbEUlT_E_NS1_11comp_targetILNS1_3genE5ELNS1_11target_archE942ELNS1_3gpuE9ELNS1_3repE0EEENS1_30default_config_static_selectorELNS0_4arch9wavefront6targetE1EEEvT1_,"axG",@progbits,_ZN7rocprim17ROCPRIM_400000_NS6detail17trampoline_kernelINS0_14default_configENS1_35adjacent_difference_config_selectorILb0ExEEZNS1_24adjacent_difference_implIS3_Lb0ELb0EPxS7_N6thrust23THRUST_200600_302600_NS4plusIxEEEE10hipError_tPvRmT2_T3_mT4_P12ihipStream_tbEUlT_E_NS1_11comp_targetILNS1_3genE5ELNS1_11target_archE942ELNS1_3gpuE9ELNS1_3repE0EEENS1_30default_config_static_selectorELNS0_4arch9wavefront6targetE1EEEvT1_,comdat
.Lfunc_end284:
	.size	_ZN7rocprim17ROCPRIM_400000_NS6detail17trampoline_kernelINS0_14default_configENS1_35adjacent_difference_config_selectorILb0ExEEZNS1_24adjacent_difference_implIS3_Lb0ELb0EPxS7_N6thrust23THRUST_200600_302600_NS4plusIxEEEE10hipError_tPvRmT2_T3_mT4_P12ihipStream_tbEUlT_E_NS1_11comp_targetILNS1_3genE5ELNS1_11target_archE942ELNS1_3gpuE9ELNS1_3repE0EEENS1_30default_config_static_selectorELNS0_4arch9wavefront6targetE1EEEvT1_, .Lfunc_end284-_ZN7rocprim17ROCPRIM_400000_NS6detail17trampoline_kernelINS0_14default_configENS1_35adjacent_difference_config_selectorILb0ExEEZNS1_24adjacent_difference_implIS3_Lb0ELb0EPxS7_N6thrust23THRUST_200600_302600_NS4plusIxEEEE10hipError_tPvRmT2_T3_mT4_P12ihipStream_tbEUlT_E_NS1_11comp_targetILNS1_3genE5ELNS1_11target_archE942ELNS1_3gpuE9ELNS1_3repE0EEENS1_30default_config_static_selectorELNS0_4arch9wavefront6targetE1EEEvT1_
                                        ; -- End function
	.set _ZN7rocprim17ROCPRIM_400000_NS6detail17trampoline_kernelINS0_14default_configENS1_35adjacent_difference_config_selectorILb0ExEEZNS1_24adjacent_difference_implIS3_Lb0ELb0EPxS7_N6thrust23THRUST_200600_302600_NS4plusIxEEEE10hipError_tPvRmT2_T3_mT4_P12ihipStream_tbEUlT_E_NS1_11comp_targetILNS1_3genE5ELNS1_11target_archE942ELNS1_3gpuE9ELNS1_3repE0EEENS1_30default_config_static_selectorELNS0_4arch9wavefront6targetE1EEEvT1_.num_vgpr, 0
	.set _ZN7rocprim17ROCPRIM_400000_NS6detail17trampoline_kernelINS0_14default_configENS1_35adjacent_difference_config_selectorILb0ExEEZNS1_24adjacent_difference_implIS3_Lb0ELb0EPxS7_N6thrust23THRUST_200600_302600_NS4plusIxEEEE10hipError_tPvRmT2_T3_mT4_P12ihipStream_tbEUlT_E_NS1_11comp_targetILNS1_3genE5ELNS1_11target_archE942ELNS1_3gpuE9ELNS1_3repE0EEENS1_30default_config_static_selectorELNS0_4arch9wavefront6targetE1EEEvT1_.num_agpr, 0
	.set _ZN7rocprim17ROCPRIM_400000_NS6detail17trampoline_kernelINS0_14default_configENS1_35adjacent_difference_config_selectorILb0ExEEZNS1_24adjacent_difference_implIS3_Lb0ELb0EPxS7_N6thrust23THRUST_200600_302600_NS4plusIxEEEE10hipError_tPvRmT2_T3_mT4_P12ihipStream_tbEUlT_E_NS1_11comp_targetILNS1_3genE5ELNS1_11target_archE942ELNS1_3gpuE9ELNS1_3repE0EEENS1_30default_config_static_selectorELNS0_4arch9wavefront6targetE1EEEvT1_.numbered_sgpr, 0
	.set _ZN7rocprim17ROCPRIM_400000_NS6detail17trampoline_kernelINS0_14default_configENS1_35adjacent_difference_config_selectorILb0ExEEZNS1_24adjacent_difference_implIS3_Lb0ELb0EPxS7_N6thrust23THRUST_200600_302600_NS4plusIxEEEE10hipError_tPvRmT2_T3_mT4_P12ihipStream_tbEUlT_E_NS1_11comp_targetILNS1_3genE5ELNS1_11target_archE942ELNS1_3gpuE9ELNS1_3repE0EEENS1_30default_config_static_selectorELNS0_4arch9wavefront6targetE1EEEvT1_.num_named_barrier, 0
	.set _ZN7rocprim17ROCPRIM_400000_NS6detail17trampoline_kernelINS0_14default_configENS1_35adjacent_difference_config_selectorILb0ExEEZNS1_24adjacent_difference_implIS3_Lb0ELb0EPxS7_N6thrust23THRUST_200600_302600_NS4plusIxEEEE10hipError_tPvRmT2_T3_mT4_P12ihipStream_tbEUlT_E_NS1_11comp_targetILNS1_3genE5ELNS1_11target_archE942ELNS1_3gpuE9ELNS1_3repE0EEENS1_30default_config_static_selectorELNS0_4arch9wavefront6targetE1EEEvT1_.private_seg_size, 0
	.set _ZN7rocprim17ROCPRIM_400000_NS6detail17trampoline_kernelINS0_14default_configENS1_35adjacent_difference_config_selectorILb0ExEEZNS1_24adjacent_difference_implIS3_Lb0ELb0EPxS7_N6thrust23THRUST_200600_302600_NS4plusIxEEEE10hipError_tPvRmT2_T3_mT4_P12ihipStream_tbEUlT_E_NS1_11comp_targetILNS1_3genE5ELNS1_11target_archE942ELNS1_3gpuE9ELNS1_3repE0EEENS1_30default_config_static_selectorELNS0_4arch9wavefront6targetE1EEEvT1_.uses_vcc, 0
	.set _ZN7rocprim17ROCPRIM_400000_NS6detail17trampoline_kernelINS0_14default_configENS1_35adjacent_difference_config_selectorILb0ExEEZNS1_24adjacent_difference_implIS3_Lb0ELb0EPxS7_N6thrust23THRUST_200600_302600_NS4plusIxEEEE10hipError_tPvRmT2_T3_mT4_P12ihipStream_tbEUlT_E_NS1_11comp_targetILNS1_3genE5ELNS1_11target_archE942ELNS1_3gpuE9ELNS1_3repE0EEENS1_30default_config_static_selectorELNS0_4arch9wavefront6targetE1EEEvT1_.uses_flat_scratch, 0
	.set _ZN7rocprim17ROCPRIM_400000_NS6detail17trampoline_kernelINS0_14default_configENS1_35adjacent_difference_config_selectorILb0ExEEZNS1_24adjacent_difference_implIS3_Lb0ELb0EPxS7_N6thrust23THRUST_200600_302600_NS4plusIxEEEE10hipError_tPvRmT2_T3_mT4_P12ihipStream_tbEUlT_E_NS1_11comp_targetILNS1_3genE5ELNS1_11target_archE942ELNS1_3gpuE9ELNS1_3repE0EEENS1_30default_config_static_selectorELNS0_4arch9wavefront6targetE1EEEvT1_.has_dyn_sized_stack, 0
	.set _ZN7rocprim17ROCPRIM_400000_NS6detail17trampoline_kernelINS0_14default_configENS1_35adjacent_difference_config_selectorILb0ExEEZNS1_24adjacent_difference_implIS3_Lb0ELb0EPxS7_N6thrust23THRUST_200600_302600_NS4plusIxEEEE10hipError_tPvRmT2_T3_mT4_P12ihipStream_tbEUlT_E_NS1_11comp_targetILNS1_3genE5ELNS1_11target_archE942ELNS1_3gpuE9ELNS1_3repE0EEENS1_30default_config_static_selectorELNS0_4arch9wavefront6targetE1EEEvT1_.has_recursion, 0
	.set _ZN7rocprim17ROCPRIM_400000_NS6detail17trampoline_kernelINS0_14default_configENS1_35adjacent_difference_config_selectorILb0ExEEZNS1_24adjacent_difference_implIS3_Lb0ELb0EPxS7_N6thrust23THRUST_200600_302600_NS4plusIxEEEE10hipError_tPvRmT2_T3_mT4_P12ihipStream_tbEUlT_E_NS1_11comp_targetILNS1_3genE5ELNS1_11target_archE942ELNS1_3gpuE9ELNS1_3repE0EEENS1_30default_config_static_selectorELNS0_4arch9wavefront6targetE1EEEvT1_.has_indirect_call, 0
	.section	.AMDGPU.csdata,"",@progbits
; Kernel info:
; codeLenInByte = 0
; TotalNumSgprs: 4
; NumVgprs: 0
; ScratchSize: 0
; MemoryBound: 0
; FloatMode: 240
; IeeeMode: 1
; LDSByteSize: 0 bytes/workgroup (compile time only)
; SGPRBlocks: 0
; VGPRBlocks: 0
; NumSGPRsForWavesPerEU: 4
; NumVGPRsForWavesPerEU: 1
; Occupancy: 10
; WaveLimiterHint : 0
; COMPUTE_PGM_RSRC2:SCRATCH_EN: 0
; COMPUTE_PGM_RSRC2:USER_SGPR: 6
; COMPUTE_PGM_RSRC2:TRAP_HANDLER: 0
; COMPUTE_PGM_RSRC2:TGID_X_EN: 1
; COMPUTE_PGM_RSRC2:TGID_Y_EN: 0
; COMPUTE_PGM_RSRC2:TGID_Z_EN: 0
; COMPUTE_PGM_RSRC2:TIDIG_COMP_CNT: 0
	.section	.text._ZN7rocprim17ROCPRIM_400000_NS6detail17trampoline_kernelINS0_14default_configENS1_35adjacent_difference_config_selectorILb0ExEEZNS1_24adjacent_difference_implIS3_Lb0ELb0EPxS7_N6thrust23THRUST_200600_302600_NS4plusIxEEEE10hipError_tPvRmT2_T3_mT4_P12ihipStream_tbEUlT_E_NS1_11comp_targetILNS1_3genE4ELNS1_11target_archE910ELNS1_3gpuE8ELNS1_3repE0EEENS1_30default_config_static_selectorELNS0_4arch9wavefront6targetE1EEEvT1_,"axG",@progbits,_ZN7rocprim17ROCPRIM_400000_NS6detail17trampoline_kernelINS0_14default_configENS1_35adjacent_difference_config_selectorILb0ExEEZNS1_24adjacent_difference_implIS3_Lb0ELb0EPxS7_N6thrust23THRUST_200600_302600_NS4plusIxEEEE10hipError_tPvRmT2_T3_mT4_P12ihipStream_tbEUlT_E_NS1_11comp_targetILNS1_3genE4ELNS1_11target_archE910ELNS1_3gpuE8ELNS1_3repE0EEENS1_30default_config_static_selectorELNS0_4arch9wavefront6targetE1EEEvT1_,comdat
	.protected	_ZN7rocprim17ROCPRIM_400000_NS6detail17trampoline_kernelINS0_14default_configENS1_35adjacent_difference_config_selectorILb0ExEEZNS1_24adjacent_difference_implIS3_Lb0ELb0EPxS7_N6thrust23THRUST_200600_302600_NS4plusIxEEEE10hipError_tPvRmT2_T3_mT4_P12ihipStream_tbEUlT_E_NS1_11comp_targetILNS1_3genE4ELNS1_11target_archE910ELNS1_3gpuE8ELNS1_3repE0EEENS1_30default_config_static_selectorELNS0_4arch9wavefront6targetE1EEEvT1_ ; -- Begin function _ZN7rocprim17ROCPRIM_400000_NS6detail17trampoline_kernelINS0_14default_configENS1_35adjacent_difference_config_selectorILb0ExEEZNS1_24adjacent_difference_implIS3_Lb0ELb0EPxS7_N6thrust23THRUST_200600_302600_NS4plusIxEEEE10hipError_tPvRmT2_T3_mT4_P12ihipStream_tbEUlT_E_NS1_11comp_targetILNS1_3genE4ELNS1_11target_archE910ELNS1_3gpuE8ELNS1_3repE0EEENS1_30default_config_static_selectorELNS0_4arch9wavefront6targetE1EEEvT1_
	.globl	_ZN7rocprim17ROCPRIM_400000_NS6detail17trampoline_kernelINS0_14default_configENS1_35adjacent_difference_config_selectorILb0ExEEZNS1_24adjacent_difference_implIS3_Lb0ELb0EPxS7_N6thrust23THRUST_200600_302600_NS4plusIxEEEE10hipError_tPvRmT2_T3_mT4_P12ihipStream_tbEUlT_E_NS1_11comp_targetILNS1_3genE4ELNS1_11target_archE910ELNS1_3gpuE8ELNS1_3repE0EEENS1_30default_config_static_selectorELNS0_4arch9wavefront6targetE1EEEvT1_
	.p2align	8
	.type	_ZN7rocprim17ROCPRIM_400000_NS6detail17trampoline_kernelINS0_14default_configENS1_35adjacent_difference_config_selectorILb0ExEEZNS1_24adjacent_difference_implIS3_Lb0ELb0EPxS7_N6thrust23THRUST_200600_302600_NS4plusIxEEEE10hipError_tPvRmT2_T3_mT4_P12ihipStream_tbEUlT_E_NS1_11comp_targetILNS1_3genE4ELNS1_11target_archE910ELNS1_3gpuE8ELNS1_3repE0EEENS1_30default_config_static_selectorELNS0_4arch9wavefront6targetE1EEEvT1_,@function
_ZN7rocprim17ROCPRIM_400000_NS6detail17trampoline_kernelINS0_14default_configENS1_35adjacent_difference_config_selectorILb0ExEEZNS1_24adjacent_difference_implIS3_Lb0ELb0EPxS7_N6thrust23THRUST_200600_302600_NS4plusIxEEEE10hipError_tPvRmT2_T3_mT4_P12ihipStream_tbEUlT_E_NS1_11comp_targetILNS1_3genE4ELNS1_11target_archE910ELNS1_3gpuE8ELNS1_3repE0EEENS1_30default_config_static_selectorELNS0_4arch9wavefront6targetE1EEEvT1_: ; @_ZN7rocprim17ROCPRIM_400000_NS6detail17trampoline_kernelINS0_14default_configENS1_35adjacent_difference_config_selectorILb0ExEEZNS1_24adjacent_difference_implIS3_Lb0ELb0EPxS7_N6thrust23THRUST_200600_302600_NS4plusIxEEEE10hipError_tPvRmT2_T3_mT4_P12ihipStream_tbEUlT_E_NS1_11comp_targetILNS1_3genE4ELNS1_11target_archE910ELNS1_3gpuE8ELNS1_3repE0EEENS1_30default_config_static_selectorELNS0_4arch9wavefront6targetE1EEEvT1_
; %bb.0:
	.section	.rodata,"a",@progbits
	.p2align	6, 0x0
	.amdhsa_kernel _ZN7rocprim17ROCPRIM_400000_NS6detail17trampoline_kernelINS0_14default_configENS1_35adjacent_difference_config_selectorILb0ExEEZNS1_24adjacent_difference_implIS3_Lb0ELb0EPxS7_N6thrust23THRUST_200600_302600_NS4plusIxEEEE10hipError_tPvRmT2_T3_mT4_P12ihipStream_tbEUlT_E_NS1_11comp_targetILNS1_3genE4ELNS1_11target_archE910ELNS1_3gpuE8ELNS1_3repE0EEENS1_30default_config_static_selectorELNS0_4arch9wavefront6targetE1EEEvT1_
		.amdhsa_group_segment_fixed_size 0
		.amdhsa_private_segment_fixed_size 0
		.amdhsa_kernarg_size 56
		.amdhsa_user_sgpr_count 6
		.amdhsa_user_sgpr_private_segment_buffer 1
		.amdhsa_user_sgpr_dispatch_ptr 0
		.amdhsa_user_sgpr_queue_ptr 0
		.amdhsa_user_sgpr_kernarg_segment_ptr 1
		.amdhsa_user_sgpr_dispatch_id 0
		.amdhsa_user_sgpr_flat_scratch_init 0
		.amdhsa_user_sgpr_private_segment_size 0
		.amdhsa_uses_dynamic_stack 0
		.amdhsa_system_sgpr_private_segment_wavefront_offset 0
		.amdhsa_system_sgpr_workgroup_id_x 1
		.amdhsa_system_sgpr_workgroup_id_y 0
		.amdhsa_system_sgpr_workgroup_id_z 0
		.amdhsa_system_sgpr_workgroup_info 0
		.amdhsa_system_vgpr_workitem_id 0
		.amdhsa_next_free_vgpr 1
		.amdhsa_next_free_sgpr 0
		.amdhsa_reserve_vcc 0
		.amdhsa_reserve_flat_scratch 0
		.amdhsa_float_round_mode_32 0
		.amdhsa_float_round_mode_16_64 0
		.amdhsa_float_denorm_mode_32 3
		.amdhsa_float_denorm_mode_16_64 3
		.amdhsa_dx10_clamp 1
		.amdhsa_ieee_mode 1
		.amdhsa_fp16_overflow 0
		.amdhsa_exception_fp_ieee_invalid_op 0
		.amdhsa_exception_fp_denorm_src 0
		.amdhsa_exception_fp_ieee_div_zero 0
		.amdhsa_exception_fp_ieee_overflow 0
		.amdhsa_exception_fp_ieee_underflow 0
		.amdhsa_exception_fp_ieee_inexact 0
		.amdhsa_exception_int_div_zero 0
	.end_amdhsa_kernel
	.section	.text._ZN7rocprim17ROCPRIM_400000_NS6detail17trampoline_kernelINS0_14default_configENS1_35adjacent_difference_config_selectorILb0ExEEZNS1_24adjacent_difference_implIS3_Lb0ELb0EPxS7_N6thrust23THRUST_200600_302600_NS4plusIxEEEE10hipError_tPvRmT2_T3_mT4_P12ihipStream_tbEUlT_E_NS1_11comp_targetILNS1_3genE4ELNS1_11target_archE910ELNS1_3gpuE8ELNS1_3repE0EEENS1_30default_config_static_selectorELNS0_4arch9wavefront6targetE1EEEvT1_,"axG",@progbits,_ZN7rocprim17ROCPRIM_400000_NS6detail17trampoline_kernelINS0_14default_configENS1_35adjacent_difference_config_selectorILb0ExEEZNS1_24adjacent_difference_implIS3_Lb0ELb0EPxS7_N6thrust23THRUST_200600_302600_NS4plusIxEEEE10hipError_tPvRmT2_T3_mT4_P12ihipStream_tbEUlT_E_NS1_11comp_targetILNS1_3genE4ELNS1_11target_archE910ELNS1_3gpuE8ELNS1_3repE0EEENS1_30default_config_static_selectorELNS0_4arch9wavefront6targetE1EEEvT1_,comdat
.Lfunc_end285:
	.size	_ZN7rocprim17ROCPRIM_400000_NS6detail17trampoline_kernelINS0_14default_configENS1_35adjacent_difference_config_selectorILb0ExEEZNS1_24adjacent_difference_implIS3_Lb0ELb0EPxS7_N6thrust23THRUST_200600_302600_NS4plusIxEEEE10hipError_tPvRmT2_T3_mT4_P12ihipStream_tbEUlT_E_NS1_11comp_targetILNS1_3genE4ELNS1_11target_archE910ELNS1_3gpuE8ELNS1_3repE0EEENS1_30default_config_static_selectorELNS0_4arch9wavefront6targetE1EEEvT1_, .Lfunc_end285-_ZN7rocprim17ROCPRIM_400000_NS6detail17trampoline_kernelINS0_14default_configENS1_35adjacent_difference_config_selectorILb0ExEEZNS1_24adjacent_difference_implIS3_Lb0ELb0EPxS7_N6thrust23THRUST_200600_302600_NS4plusIxEEEE10hipError_tPvRmT2_T3_mT4_P12ihipStream_tbEUlT_E_NS1_11comp_targetILNS1_3genE4ELNS1_11target_archE910ELNS1_3gpuE8ELNS1_3repE0EEENS1_30default_config_static_selectorELNS0_4arch9wavefront6targetE1EEEvT1_
                                        ; -- End function
	.set _ZN7rocprim17ROCPRIM_400000_NS6detail17trampoline_kernelINS0_14default_configENS1_35adjacent_difference_config_selectorILb0ExEEZNS1_24adjacent_difference_implIS3_Lb0ELb0EPxS7_N6thrust23THRUST_200600_302600_NS4plusIxEEEE10hipError_tPvRmT2_T3_mT4_P12ihipStream_tbEUlT_E_NS1_11comp_targetILNS1_3genE4ELNS1_11target_archE910ELNS1_3gpuE8ELNS1_3repE0EEENS1_30default_config_static_selectorELNS0_4arch9wavefront6targetE1EEEvT1_.num_vgpr, 0
	.set _ZN7rocprim17ROCPRIM_400000_NS6detail17trampoline_kernelINS0_14default_configENS1_35adjacent_difference_config_selectorILb0ExEEZNS1_24adjacent_difference_implIS3_Lb0ELb0EPxS7_N6thrust23THRUST_200600_302600_NS4plusIxEEEE10hipError_tPvRmT2_T3_mT4_P12ihipStream_tbEUlT_E_NS1_11comp_targetILNS1_3genE4ELNS1_11target_archE910ELNS1_3gpuE8ELNS1_3repE0EEENS1_30default_config_static_selectorELNS0_4arch9wavefront6targetE1EEEvT1_.num_agpr, 0
	.set _ZN7rocprim17ROCPRIM_400000_NS6detail17trampoline_kernelINS0_14default_configENS1_35adjacent_difference_config_selectorILb0ExEEZNS1_24adjacent_difference_implIS3_Lb0ELb0EPxS7_N6thrust23THRUST_200600_302600_NS4plusIxEEEE10hipError_tPvRmT2_T3_mT4_P12ihipStream_tbEUlT_E_NS1_11comp_targetILNS1_3genE4ELNS1_11target_archE910ELNS1_3gpuE8ELNS1_3repE0EEENS1_30default_config_static_selectorELNS0_4arch9wavefront6targetE1EEEvT1_.numbered_sgpr, 0
	.set _ZN7rocprim17ROCPRIM_400000_NS6detail17trampoline_kernelINS0_14default_configENS1_35adjacent_difference_config_selectorILb0ExEEZNS1_24adjacent_difference_implIS3_Lb0ELb0EPxS7_N6thrust23THRUST_200600_302600_NS4plusIxEEEE10hipError_tPvRmT2_T3_mT4_P12ihipStream_tbEUlT_E_NS1_11comp_targetILNS1_3genE4ELNS1_11target_archE910ELNS1_3gpuE8ELNS1_3repE0EEENS1_30default_config_static_selectorELNS0_4arch9wavefront6targetE1EEEvT1_.num_named_barrier, 0
	.set _ZN7rocprim17ROCPRIM_400000_NS6detail17trampoline_kernelINS0_14default_configENS1_35adjacent_difference_config_selectorILb0ExEEZNS1_24adjacent_difference_implIS3_Lb0ELb0EPxS7_N6thrust23THRUST_200600_302600_NS4plusIxEEEE10hipError_tPvRmT2_T3_mT4_P12ihipStream_tbEUlT_E_NS1_11comp_targetILNS1_3genE4ELNS1_11target_archE910ELNS1_3gpuE8ELNS1_3repE0EEENS1_30default_config_static_selectorELNS0_4arch9wavefront6targetE1EEEvT1_.private_seg_size, 0
	.set _ZN7rocprim17ROCPRIM_400000_NS6detail17trampoline_kernelINS0_14default_configENS1_35adjacent_difference_config_selectorILb0ExEEZNS1_24adjacent_difference_implIS3_Lb0ELb0EPxS7_N6thrust23THRUST_200600_302600_NS4plusIxEEEE10hipError_tPvRmT2_T3_mT4_P12ihipStream_tbEUlT_E_NS1_11comp_targetILNS1_3genE4ELNS1_11target_archE910ELNS1_3gpuE8ELNS1_3repE0EEENS1_30default_config_static_selectorELNS0_4arch9wavefront6targetE1EEEvT1_.uses_vcc, 0
	.set _ZN7rocprim17ROCPRIM_400000_NS6detail17trampoline_kernelINS0_14default_configENS1_35adjacent_difference_config_selectorILb0ExEEZNS1_24adjacent_difference_implIS3_Lb0ELb0EPxS7_N6thrust23THRUST_200600_302600_NS4plusIxEEEE10hipError_tPvRmT2_T3_mT4_P12ihipStream_tbEUlT_E_NS1_11comp_targetILNS1_3genE4ELNS1_11target_archE910ELNS1_3gpuE8ELNS1_3repE0EEENS1_30default_config_static_selectorELNS0_4arch9wavefront6targetE1EEEvT1_.uses_flat_scratch, 0
	.set _ZN7rocprim17ROCPRIM_400000_NS6detail17trampoline_kernelINS0_14default_configENS1_35adjacent_difference_config_selectorILb0ExEEZNS1_24adjacent_difference_implIS3_Lb0ELb0EPxS7_N6thrust23THRUST_200600_302600_NS4plusIxEEEE10hipError_tPvRmT2_T3_mT4_P12ihipStream_tbEUlT_E_NS1_11comp_targetILNS1_3genE4ELNS1_11target_archE910ELNS1_3gpuE8ELNS1_3repE0EEENS1_30default_config_static_selectorELNS0_4arch9wavefront6targetE1EEEvT1_.has_dyn_sized_stack, 0
	.set _ZN7rocprim17ROCPRIM_400000_NS6detail17trampoline_kernelINS0_14default_configENS1_35adjacent_difference_config_selectorILb0ExEEZNS1_24adjacent_difference_implIS3_Lb0ELb0EPxS7_N6thrust23THRUST_200600_302600_NS4plusIxEEEE10hipError_tPvRmT2_T3_mT4_P12ihipStream_tbEUlT_E_NS1_11comp_targetILNS1_3genE4ELNS1_11target_archE910ELNS1_3gpuE8ELNS1_3repE0EEENS1_30default_config_static_selectorELNS0_4arch9wavefront6targetE1EEEvT1_.has_recursion, 0
	.set _ZN7rocprim17ROCPRIM_400000_NS6detail17trampoline_kernelINS0_14default_configENS1_35adjacent_difference_config_selectorILb0ExEEZNS1_24adjacent_difference_implIS3_Lb0ELb0EPxS7_N6thrust23THRUST_200600_302600_NS4plusIxEEEE10hipError_tPvRmT2_T3_mT4_P12ihipStream_tbEUlT_E_NS1_11comp_targetILNS1_3genE4ELNS1_11target_archE910ELNS1_3gpuE8ELNS1_3repE0EEENS1_30default_config_static_selectorELNS0_4arch9wavefront6targetE1EEEvT1_.has_indirect_call, 0
	.section	.AMDGPU.csdata,"",@progbits
; Kernel info:
; codeLenInByte = 0
; TotalNumSgprs: 4
; NumVgprs: 0
; ScratchSize: 0
; MemoryBound: 0
; FloatMode: 240
; IeeeMode: 1
; LDSByteSize: 0 bytes/workgroup (compile time only)
; SGPRBlocks: 0
; VGPRBlocks: 0
; NumSGPRsForWavesPerEU: 4
; NumVGPRsForWavesPerEU: 1
; Occupancy: 10
; WaveLimiterHint : 0
; COMPUTE_PGM_RSRC2:SCRATCH_EN: 0
; COMPUTE_PGM_RSRC2:USER_SGPR: 6
; COMPUTE_PGM_RSRC2:TRAP_HANDLER: 0
; COMPUTE_PGM_RSRC2:TGID_X_EN: 1
; COMPUTE_PGM_RSRC2:TGID_Y_EN: 0
; COMPUTE_PGM_RSRC2:TGID_Z_EN: 0
; COMPUTE_PGM_RSRC2:TIDIG_COMP_CNT: 0
	.section	.text._ZN7rocprim17ROCPRIM_400000_NS6detail17trampoline_kernelINS0_14default_configENS1_35adjacent_difference_config_selectorILb0ExEEZNS1_24adjacent_difference_implIS3_Lb0ELb0EPxS7_N6thrust23THRUST_200600_302600_NS4plusIxEEEE10hipError_tPvRmT2_T3_mT4_P12ihipStream_tbEUlT_E_NS1_11comp_targetILNS1_3genE3ELNS1_11target_archE908ELNS1_3gpuE7ELNS1_3repE0EEENS1_30default_config_static_selectorELNS0_4arch9wavefront6targetE1EEEvT1_,"axG",@progbits,_ZN7rocprim17ROCPRIM_400000_NS6detail17trampoline_kernelINS0_14default_configENS1_35adjacent_difference_config_selectorILb0ExEEZNS1_24adjacent_difference_implIS3_Lb0ELb0EPxS7_N6thrust23THRUST_200600_302600_NS4plusIxEEEE10hipError_tPvRmT2_T3_mT4_P12ihipStream_tbEUlT_E_NS1_11comp_targetILNS1_3genE3ELNS1_11target_archE908ELNS1_3gpuE7ELNS1_3repE0EEENS1_30default_config_static_selectorELNS0_4arch9wavefront6targetE1EEEvT1_,comdat
	.protected	_ZN7rocprim17ROCPRIM_400000_NS6detail17trampoline_kernelINS0_14default_configENS1_35adjacent_difference_config_selectorILb0ExEEZNS1_24adjacent_difference_implIS3_Lb0ELb0EPxS7_N6thrust23THRUST_200600_302600_NS4plusIxEEEE10hipError_tPvRmT2_T3_mT4_P12ihipStream_tbEUlT_E_NS1_11comp_targetILNS1_3genE3ELNS1_11target_archE908ELNS1_3gpuE7ELNS1_3repE0EEENS1_30default_config_static_selectorELNS0_4arch9wavefront6targetE1EEEvT1_ ; -- Begin function _ZN7rocprim17ROCPRIM_400000_NS6detail17trampoline_kernelINS0_14default_configENS1_35adjacent_difference_config_selectorILb0ExEEZNS1_24adjacent_difference_implIS3_Lb0ELb0EPxS7_N6thrust23THRUST_200600_302600_NS4plusIxEEEE10hipError_tPvRmT2_T3_mT4_P12ihipStream_tbEUlT_E_NS1_11comp_targetILNS1_3genE3ELNS1_11target_archE908ELNS1_3gpuE7ELNS1_3repE0EEENS1_30default_config_static_selectorELNS0_4arch9wavefront6targetE1EEEvT1_
	.globl	_ZN7rocprim17ROCPRIM_400000_NS6detail17trampoline_kernelINS0_14default_configENS1_35adjacent_difference_config_selectorILb0ExEEZNS1_24adjacent_difference_implIS3_Lb0ELb0EPxS7_N6thrust23THRUST_200600_302600_NS4plusIxEEEE10hipError_tPvRmT2_T3_mT4_P12ihipStream_tbEUlT_E_NS1_11comp_targetILNS1_3genE3ELNS1_11target_archE908ELNS1_3gpuE7ELNS1_3repE0EEENS1_30default_config_static_selectorELNS0_4arch9wavefront6targetE1EEEvT1_
	.p2align	8
	.type	_ZN7rocprim17ROCPRIM_400000_NS6detail17trampoline_kernelINS0_14default_configENS1_35adjacent_difference_config_selectorILb0ExEEZNS1_24adjacent_difference_implIS3_Lb0ELb0EPxS7_N6thrust23THRUST_200600_302600_NS4plusIxEEEE10hipError_tPvRmT2_T3_mT4_P12ihipStream_tbEUlT_E_NS1_11comp_targetILNS1_3genE3ELNS1_11target_archE908ELNS1_3gpuE7ELNS1_3repE0EEENS1_30default_config_static_selectorELNS0_4arch9wavefront6targetE1EEEvT1_,@function
_ZN7rocprim17ROCPRIM_400000_NS6detail17trampoline_kernelINS0_14default_configENS1_35adjacent_difference_config_selectorILb0ExEEZNS1_24adjacent_difference_implIS3_Lb0ELb0EPxS7_N6thrust23THRUST_200600_302600_NS4plusIxEEEE10hipError_tPvRmT2_T3_mT4_P12ihipStream_tbEUlT_E_NS1_11comp_targetILNS1_3genE3ELNS1_11target_archE908ELNS1_3gpuE7ELNS1_3repE0EEENS1_30default_config_static_selectorELNS0_4arch9wavefront6targetE1EEEvT1_: ; @_ZN7rocprim17ROCPRIM_400000_NS6detail17trampoline_kernelINS0_14default_configENS1_35adjacent_difference_config_selectorILb0ExEEZNS1_24adjacent_difference_implIS3_Lb0ELb0EPxS7_N6thrust23THRUST_200600_302600_NS4plusIxEEEE10hipError_tPvRmT2_T3_mT4_P12ihipStream_tbEUlT_E_NS1_11comp_targetILNS1_3genE3ELNS1_11target_archE908ELNS1_3gpuE7ELNS1_3repE0EEENS1_30default_config_static_selectorELNS0_4arch9wavefront6targetE1EEEvT1_
; %bb.0:
	.section	.rodata,"a",@progbits
	.p2align	6, 0x0
	.amdhsa_kernel _ZN7rocprim17ROCPRIM_400000_NS6detail17trampoline_kernelINS0_14default_configENS1_35adjacent_difference_config_selectorILb0ExEEZNS1_24adjacent_difference_implIS3_Lb0ELb0EPxS7_N6thrust23THRUST_200600_302600_NS4plusIxEEEE10hipError_tPvRmT2_T3_mT4_P12ihipStream_tbEUlT_E_NS1_11comp_targetILNS1_3genE3ELNS1_11target_archE908ELNS1_3gpuE7ELNS1_3repE0EEENS1_30default_config_static_selectorELNS0_4arch9wavefront6targetE1EEEvT1_
		.amdhsa_group_segment_fixed_size 0
		.amdhsa_private_segment_fixed_size 0
		.amdhsa_kernarg_size 56
		.amdhsa_user_sgpr_count 6
		.amdhsa_user_sgpr_private_segment_buffer 1
		.amdhsa_user_sgpr_dispatch_ptr 0
		.amdhsa_user_sgpr_queue_ptr 0
		.amdhsa_user_sgpr_kernarg_segment_ptr 1
		.amdhsa_user_sgpr_dispatch_id 0
		.amdhsa_user_sgpr_flat_scratch_init 0
		.amdhsa_user_sgpr_private_segment_size 0
		.amdhsa_uses_dynamic_stack 0
		.amdhsa_system_sgpr_private_segment_wavefront_offset 0
		.amdhsa_system_sgpr_workgroup_id_x 1
		.amdhsa_system_sgpr_workgroup_id_y 0
		.amdhsa_system_sgpr_workgroup_id_z 0
		.amdhsa_system_sgpr_workgroup_info 0
		.amdhsa_system_vgpr_workitem_id 0
		.amdhsa_next_free_vgpr 1
		.amdhsa_next_free_sgpr 0
		.amdhsa_reserve_vcc 0
		.amdhsa_reserve_flat_scratch 0
		.amdhsa_float_round_mode_32 0
		.amdhsa_float_round_mode_16_64 0
		.amdhsa_float_denorm_mode_32 3
		.amdhsa_float_denorm_mode_16_64 3
		.amdhsa_dx10_clamp 1
		.amdhsa_ieee_mode 1
		.amdhsa_fp16_overflow 0
		.amdhsa_exception_fp_ieee_invalid_op 0
		.amdhsa_exception_fp_denorm_src 0
		.amdhsa_exception_fp_ieee_div_zero 0
		.amdhsa_exception_fp_ieee_overflow 0
		.amdhsa_exception_fp_ieee_underflow 0
		.amdhsa_exception_fp_ieee_inexact 0
		.amdhsa_exception_int_div_zero 0
	.end_amdhsa_kernel
	.section	.text._ZN7rocprim17ROCPRIM_400000_NS6detail17trampoline_kernelINS0_14default_configENS1_35adjacent_difference_config_selectorILb0ExEEZNS1_24adjacent_difference_implIS3_Lb0ELb0EPxS7_N6thrust23THRUST_200600_302600_NS4plusIxEEEE10hipError_tPvRmT2_T3_mT4_P12ihipStream_tbEUlT_E_NS1_11comp_targetILNS1_3genE3ELNS1_11target_archE908ELNS1_3gpuE7ELNS1_3repE0EEENS1_30default_config_static_selectorELNS0_4arch9wavefront6targetE1EEEvT1_,"axG",@progbits,_ZN7rocprim17ROCPRIM_400000_NS6detail17trampoline_kernelINS0_14default_configENS1_35adjacent_difference_config_selectorILb0ExEEZNS1_24adjacent_difference_implIS3_Lb0ELb0EPxS7_N6thrust23THRUST_200600_302600_NS4plusIxEEEE10hipError_tPvRmT2_T3_mT4_P12ihipStream_tbEUlT_E_NS1_11comp_targetILNS1_3genE3ELNS1_11target_archE908ELNS1_3gpuE7ELNS1_3repE0EEENS1_30default_config_static_selectorELNS0_4arch9wavefront6targetE1EEEvT1_,comdat
.Lfunc_end286:
	.size	_ZN7rocprim17ROCPRIM_400000_NS6detail17trampoline_kernelINS0_14default_configENS1_35adjacent_difference_config_selectorILb0ExEEZNS1_24adjacent_difference_implIS3_Lb0ELb0EPxS7_N6thrust23THRUST_200600_302600_NS4plusIxEEEE10hipError_tPvRmT2_T3_mT4_P12ihipStream_tbEUlT_E_NS1_11comp_targetILNS1_3genE3ELNS1_11target_archE908ELNS1_3gpuE7ELNS1_3repE0EEENS1_30default_config_static_selectorELNS0_4arch9wavefront6targetE1EEEvT1_, .Lfunc_end286-_ZN7rocprim17ROCPRIM_400000_NS6detail17trampoline_kernelINS0_14default_configENS1_35adjacent_difference_config_selectorILb0ExEEZNS1_24adjacent_difference_implIS3_Lb0ELb0EPxS7_N6thrust23THRUST_200600_302600_NS4plusIxEEEE10hipError_tPvRmT2_T3_mT4_P12ihipStream_tbEUlT_E_NS1_11comp_targetILNS1_3genE3ELNS1_11target_archE908ELNS1_3gpuE7ELNS1_3repE0EEENS1_30default_config_static_selectorELNS0_4arch9wavefront6targetE1EEEvT1_
                                        ; -- End function
	.set _ZN7rocprim17ROCPRIM_400000_NS6detail17trampoline_kernelINS0_14default_configENS1_35adjacent_difference_config_selectorILb0ExEEZNS1_24adjacent_difference_implIS3_Lb0ELb0EPxS7_N6thrust23THRUST_200600_302600_NS4plusIxEEEE10hipError_tPvRmT2_T3_mT4_P12ihipStream_tbEUlT_E_NS1_11comp_targetILNS1_3genE3ELNS1_11target_archE908ELNS1_3gpuE7ELNS1_3repE0EEENS1_30default_config_static_selectorELNS0_4arch9wavefront6targetE1EEEvT1_.num_vgpr, 0
	.set _ZN7rocprim17ROCPRIM_400000_NS6detail17trampoline_kernelINS0_14default_configENS1_35adjacent_difference_config_selectorILb0ExEEZNS1_24adjacent_difference_implIS3_Lb0ELb0EPxS7_N6thrust23THRUST_200600_302600_NS4plusIxEEEE10hipError_tPvRmT2_T3_mT4_P12ihipStream_tbEUlT_E_NS1_11comp_targetILNS1_3genE3ELNS1_11target_archE908ELNS1_3gpuE7ELNS1_3repE0EEENS1_30default_config_static_selectorELNS0_4arch9wavefront6targetE1EEEvT1_.num_agpr, 0
	.set _ZN7rocprim17ROCPRIM_400000_NS6detail17trampoline_kernelINS0_14default_configENS1_35adjacent_difference_config_selectorILb0ExEEZNS1_24adjacent_difference_implIS3_Lb0ELb0EPxS7_N6thrust23THRUST_200600_302600_NS4plusIxEEEE10hipError_tPvRmT2_T3_mT4_P12ihipStream_tbEUlT_E_NS1_11comp_targetILNS1_3genE3ELNS1_11target_archE908ELNS1_3gpuE7ELNS1_3repE0EEENS1_30default_config_static_selectorELNS0_4arch9wavefront6targetE1EEEvT1_.numbered_sgpr, 0
	.set _ZN7rocprim17ROCPRIM_400000_NS6detail17trampoline_kernelINS0_14default_configENS1_35adjacent_difference_config_selectorILb0ExEEZNS1_24adjacent_difference_implIS3_Lb0ELb0EPxS7_N6thrust23THRUST_200600_302600_NS4plusIxEEEE10hipError_tPvRmT2_T3_mT4_P12ihipStream_tbEUlT_E_NS1_11comp_targetILNS1_3genE3ELNS1_11target_archE908ELNS1_3gpuE7ELNS1_3repE0EEENS1_30default_config_static_selectorELNS0_4arch9wavefront6targetE1EEEvT1_.num_named_barrier, 0
	.set _ZN7rocprim17ROCPRIM_400000_NS6detail17trampoline_kernelINS0_14default_configENS1_35adjacent_difference_config_selectorILb0ExEEZNS1_24adjacent_difference_implIS3_Lb0ELb0EPxS7_N6thrust23THRUST_200600_302600_NS4plusIxEEEE10hipError_tPvRmT2_T3_mT4_P12ihipStream_tbEUlT_E_NS1_11comp_targetILNS1_3genE3ELNS1_11target_archE908ELNS1_3gpuE7ELNS1_3repE0EEENS1_30default_config_static_selectorELNS0_4arch9wavefront6targetE1EEEvT1_.private_seg_size, 0
	.set _ZN7rocprim17ROCPRIM_400000_NS6detail17trampoline_kernelINS0_14default_configENS1_35adjacent_difference_config_selectorILb0ExEEZNS1_24adjacent_difference_implIS3_Lb0ELb0EPxS7_N6thrust23THRUST_200600_302600_NS4plusIxEEEE10hipError_tPvRmT2_T3_mT4_P12ihipStream_tbEUlT_E_NS1_11comp_targetILNS1_3genE3ELNS1_11target_archE908ELNS1_3gpuE7ELNS1_3repE0EEENS1_30default_config_static_selectorELNS0_4arch9wavefront6targetE1EEEvT1_.uses_vcc, 0
	.set _ZN7rocprim17ROCPRIM_400000_NS6detail17trampoline_kernelINS0_14default_configENS1_35adjacent_difference_config_selectorILb0ExEEZNS1_24adjacent_difference_implIS3_Lb0ELb0EPxS7_N6thrust23THRUST_200600_302600_NS4plusIxEEEE10hipError_tPvRmT2_T3_mT4_P12ihipStream_tbEUlT_E_NS1_11comp_targetILNS1_3genE3ELNS1_11target_archE908ELNS1_3gpuE7ELNS1_3repE0EEENS1_30default_config_static_selectorELNS0_4arch9wavefront6targetE1EEEvT1_.uses_flat_scratch, 0
	.set _ZN7rocprim17ROCPRIM_400000_NS6detail17trampoline_kernelINS0_14default_configENS1_35adjacent_difference_config_selectorILb0ExEEZNS1_24adjacent_difference_implIS3_Lb0ELb0EPxS7_N6thrust23THRUST_200600_302600_NS4plusIxEEEE10hipError_tPvRmT2_T3_mT4_P12ihipStream_tbEUlT_E_NS1_11comp_targetILNS1_3genE3ELNS1_11target_archE908ELNS1_3gpuE7ELNS1_3repE0EEENS1_30default_config_static_selectorELNS0_4arch9wavefront6targetE1EEEvT1_.has_dyn_sized_stack, 0
	.set _ZN7rocprim17ROCPRIM_400000_NS6detail17trampoline_kernelINS0_14default_configENS1_35adjacent_difference_config_selectorILb0ExEEZNS1_24adjacent_difference_implIS3_Lb0ELb0EPxS7_N6thrust23THRUST_200600_302600_NS4plusIxEEEE10hipError_tPvRmT2_T3_mT4_P12ihipStream_tbEUlT_E_NS1_11comp_targetILNS1_3genE3ELNS1_11target_archE908ELNS1_3gpuE7ELNS1_3repE0EEENS1_30default_config_static_selectorELNS0_4arch9wavefront6targetE1EEEvT1_.has_recursion, 0
	.set _ZN7rocprim17ROCPRIM_400000_NS6detail17trampoline_kernelINS0_14default_configENS1_35adjacent_difference_config_selectorILb0ExEEZNS1_24adjacent_difference_implIS3_Lb0ELb0EPxS7_N6thrust23THRUST_200600_302600_NS4plusIxEEEE10hipError_tPvRmT2_T3_mT4_P12ihipStream_tbEUlT_E_NS1_11comp_targetILNS1_3genE3ELNS1_11target_archE908ELNS1_3gpuE7ELNS1_3repE0EEENS1_30default_config_static_selectorELNS0_4arch9wavefront6targetE1EEEvT1_.has_indirect_call, 0
	.section	.AMDGPU.csdata,"",@progbits
; Kernel info:
; codeLenInByte = 0
; TotalNumSgprs: 4
; NumVgprs: 0
; ScratchSize: 0
; MemoryBound: 0
; FloatMode: 240
; IeeeMode: 1
; LDSByteSize: 0 bytes/workgroup (compile time only)
; SGPRBlocks: 0
; VGPRBlocks: 0
; NumSGPRsForWavesPerEU: 4
; NumVGPRsForWavesPerEU: 1
; Occupancy: 10
; WaveLimiterHint : 0
; COMPUTE_PGM_RSRC2:SCRATCH_EN: 0
; COMPUTE_PGM_RSRC2:USER_SGPR: 6
; COMPUTE_PGM_RSRC2:TRAP_HANDLER: 0
; COMPUTE_PGM_RSRC2:TGID_X_EN: 1
; COMPUTE_PGM_RSRC2:TGID_Y_EN: 0
; COMPUTE_PGM_RSRC2:TGID_Z_EN: 0
; COMPUTE_PGM_RSRC2:TIDIG_COMP_CNT: 0
	.section	.text._ZN7rocprim17ROCPRIM_400000_NS6detail17trampoline_kernelINS0_14default_configENS1_35adjacent_difference_config_selectorILb0ExEEZNS1_24adjacent_difference_implIS3_Lb0ELb0EPxS7_N6thrust23THRUST_200600_302600_NS4plusIxEEEE10hipError_tPvRmT2_T3_mT4_P12ihipStream_tbEUlT_E_NS1_11comp_targetILNS1_3genE2ELNS1_11target_archE906ELNS1_3gpuE6ELNS1_3repE0EEENS1_30default_config_static_selectorELNS0_4arch9wavefront6targetE1EEEvT1_,"axG",@progbits,_ZN7rocprim17ROCPRIM_400000_NS6detail17trampoline_kernelINS0_14default_configENS1_35adjacent_difference_config_selectorILb0ExEEZNS1_24adjacent_difference_implIS3_Lb0ELb0EPxS7_N6thrust23THRUST_200600_302600_NS4plusIxEEEE10hipError_tPvRmT2_T3_mT4_P12ihipStream_tbEUlT_E_NS1_11comp_targetILNS1_3genE2ELNS1_11target_archE906ELNS1_3gpuE6ELNS1_3repE0EEENS1_30default_config_static_selectorELNS0_4arch9wavefront6targetE1EEEvT1_,comdat
	.protected	_ZN7rocprim17ROCPRIM_400000_NS6detail17trampoline_kernelINS0_14default_configENS1_35adjacent_difference_config_selectorILb0ExEEZNS1_24adjacent_difference_implIS3_Lb0ELb0EPxS7_N6thrust23THRUST_200600_302600_NS4plusIxEEEE10hipError_tPvRmT2_T3_mT4_P12ihipStream_tbEUlT_E_NS1_11comp_targetILNS1_3genE2ELNS1_11target_archE906ELNS1_3gpuE6ELNS1_3repE0EEENS1_30default_config_static_selectorELNS0_4arch9wavefront6targetE1EEEvT1_ ; -- Begin function _ZN7rocprim17ROCPRIM_400000_NS6detail17trampoline_kernelINS0_14default_configENS1_35adjacent_difference_config_selectorILb0ExEEZNS1_24adjacent_difference_implIS3_Lb0ELb0EPxS7_N6thrust23THRUST_200600_302600_NS4plusIxEEEE10hipError_tPvRmT2_T3_mT4_P12ihipStream_tbEUlT_E_NS1_11comp_targetILNS1_3genE2ELNS1_11target_archE906ELNS1_3gpuE6ELNS1_3repE0EEENS1_30default_config_static_selectorELNS0_4arch9wavefront6targetE1EEEvT1_
	.globl	_ZN7rocprim17ROCPRIM_400000_NS6detail17trampoline_kernelINS0_14default_configENS1_35adjacent_difference_config_selectorILb0ExEEZNS1_24adjacent_difference_implIS3_Lb0ELb0EPxS7_N6thrust23THRUST_200600_302600_NS4plusIxEEEE10hipError_tPvRmT2_T3_mT4_P12ihipStream_tbEUlT_E_NS1_11comp_targetILNS1_3genE2ELNS1_11target_archE906ELNS1_3gpuE6ELNS1_3repE0EEENS1_30default_config_static_selectorELNS0_4arch9wavefront6targetE1EEEvT1_
	.p2align	8
	.type	_ZN7rocprim17ROCPRIM_400000_NS6detail17trampoline_kernelINS0_14default_configENS1_35adjacent_difference_config_selectorILb0ExEEZNS1_24adjacent_difference_implIS3_Lb0ELb0EPxS7_N6thrust23THRUST_200600_302600_NS4plusIxEEEE10hipError_tPvRmT2_T3_mT4_P12ihipStream_tbEUlT_E_NS1_11comp_targetILNS1_3genE2ELNS1_11target_archE906ELNS1_3gpuE6ELNS1_3repE0EEENS1_30default_config_static_selectorELNS0_4arch9wavefront6targetE1EEEvT1_,@function
_ZN7rocprim17ROCPRIM_400000_NS6detail17trampoline_kernelINS0_14default_configENS1_35adjacent_difference_config_selectorILb0ExEEZNS1_24adjacent_difference_implIS3_Lb0ELb0EPxS7_N6thrust23THRUST_200600_302600_NS4plusIxEEEE10hipError_tPvRmT2_T3_mT4_P12ihipStream_tbEUlT_E_NS1_11comp_targetILNS1_3genE2ELNS1_11target_archE906ELNS1_3gpuE6ELNS1_3repE0EEENS1_30default_config_static_selectorELNS0_4arch9wavefront6targetE1EEEvT1_: ; @_ZN7rocprim17ROCPRIM_400000_NS6detail17trampoline_kernelINS0_14default_configENS1_35adjacent_difference_config_selectorILb0ExEEZNS1_24adjacent_difference_implIS3_Lb0ELb0EPxS7_N6thrust23THRUST_200600_302600_NS4plusIxEEEE10hipError_tPvRmT2_T3_mT4_P12ihipStream_tbEUlT_E_NS1_11comp_targetILNS1_3genE2ELNS1_11target_archE906ELNS1_3gpuE6ELNS1_3repE0EEENS1_30default_config_static_selectorELNS0_4arch9wavefront6targetE1EEEvT1_
; %bb.0:
	s_load_dwordx8 s[8:15], s[4:5], 0x0
	s_load_dwordx2 s[0:1], s[4:5], 0x30
	s_mov_b32 s5, 0
	s_mov_b64 s[16:17], -1
	s_waitcnt lgkmcnt(0)
	s_lshl_b64 s[10:11], s[10:11], 3
	s_add_u32 s20, s8, s10
	s_addc_u32 s21, s9, s11
	s_lshl_b32 s4, s6, 8
	s_lshr_b64 s[2:3], s[14:15], 8
	s_and_b32 s8, s14, 0xff
	s_mov_b32 s9, s5
	s_cmp_lg_u64 s[8:9], 0
	s_cselect_b64 s[8:9], -1, 0
	v_cndmask_b32_e64 v1, 0, 1, s[8:9]
	v_readfirstlane_b32 s7, v1
	s_add_u32 s2, s2, s7
	s_addc_u32 s3, s3, 0
	s_add_u32 s8, s0, s6
	s_addc_u32 s9, s1, 0
	s_add_u32 s6, s2, -1
	s_addc_u32 s7, s3, -1
	v_mov_b32_e32 v1, s6
	v_mov_b32_e32 v2, s7
	v_cmp_ge_u64_e64 s[0:1], s[8:9], v[1:2]
	s_and_b64 vcc, exec, s[0:1]
	s_cbranch_vccz .LBB287_6
; %bb.1:
	s_lshl_b32 s15, s6, 8
	s_sub_i32 s15, s14, s15
	s_lshl_b64 s[16:17], s[4:5], 3
	s_add_u32 s16, s20, s16
	v_mov_b32_e32 v1, 0
	s_addc_u32 s17, s21, s17
	v_cmp_gt_u32_e32 vcc, s15, v0
	v_mov_b32_e32 v2, v1
	v_mov_b32_e32 v3, v1
	;; [unrolled: 1-line block ×3, first 2 shown]
	s_and_saveexec_b64 s[18:19], vcc
	s_cbranch_execz .LBB287_3
; %bb.2:
	v_lshlrev_b32_e32 v2, 3, v0
	global_load_dwordx2 v[2:3], v2, s[16:17]
	v_mov_b32_e32 v4, v1
	v_mov_b32_e32 v5, v1
	s_waitcnt vmcnt(0)
	v_mov_b32_e32 v1, v2
	v_mov_b32_e32 v2, v3
	v_mov_b32_e32 v3, v4
	v_mov_b32_e32 v4, v5
.LBB287_3:
	s_or_b64 exec, exec, s[18:19]
	v_or_b32_e32 v5, 0x80, v0
	v_cmp_gt_u32_e32 vcc, s15, v5
	s_and_saveexec_b64 s[18:19], vcc
	s_cbranch_execz .LBB287_5
; %bb.4:
	v_lshlrev_b32_e32 v3, 3, v0
	global_load_dwordx2 v[3:4], v3, s[16:17] offset:1024
.LBB287_5:
	s_or_b64 exec, exec, s[18:19]
	v_lshrrev_b32_e32 v6, 2, v0
	v_and_b32_e32 v6, 24, v6
	v_lshlrev_b32_e32 v7, 3, v0
	v_add_u32_e32 v6, v6, v7
	ds_write_b64 v6, v[1:2]
	v_lshrrev_b32_e32 v1, 2, v5
	v_and_b32_e32 v1, 56, v1
	v_add_u32_e32 v1, v1, v7
	s_mov_b64 s[16:17], 0
	s_waitcnt vmcnt(0)
	ds_write_b64 v1, v[3:4] offset:1024
	s_waitcnt lgkmcnt(0)
	s_barrier
.LBB287_6:
	s_and_b64 vcc, exec, s[16:17]
	v_lshlrev_b32_e32 v9, 3, v0
	v_lshrrev_b32_e32 v10, 2, v0
	s_cbranch_vccz .LBB287_8
; %bb.7:
	s_lshl_b64 s[16:17], s[4:5], 3
	s_add_u32 s16, s20, s16
	s_addc_u32 s17, s21, s17
	global_load_dwordx2 v[1:2], v9, s[16:17]
	global_load_dwordx2 v[3:4], v9, s[16:17] offset:1024
	v_or_b32_e32 v6, 0x80, v0
	v_and_b32_e32 v5, 24, v10
	v_lshrrev_b32_e32 v6, 2, v6
	v_add_u32_e32 v5, v5, v9
	v_and_b32_e32 v6, 56, v6
	v_add_u32_e32 v6, v6, v9
	s_waitcnt vmcnt(1)
	ds_write_b64 v5, v[1:2]
	s_waitcnt vmcnt(0)
	ds_write_b64 v6, v[3:4] offset:1024
	s_waitcnt lgkmcnt(0)
	s_barrier
.LBB287_8:
	v_lshrrev_b32_e32 v1, 1, v0
	v_and_b32_e32 v1, 56, v1
	v_lshl_add_u32 v11, v0, 4, v1
	ds_read2_b64 v[1:4], v11 offset1:1
	s_cmp_eq_u64 s[8:9], 0
	s_waitcnt lgkmcnt(0)
	s_barrier
	s_cbranch_scc1 .LBB287_13
; %bb.9:
	s_lshl_b64 s[16:17], s[4:5], 3
	s_add_u32 s5, s20, s16
	s_addc_u32 s15, s21, s17
	s_add_u32 s16, s5, -8
	s_addc_u32 s17, s15, -1
	s_load_dwordx2 s[16:17], s[16:17], 0x0
	s_cmp_eq_u64 s[8:9], s[6:7]
	s_cbranch_scc1 .LBB287_14
; %bb.10:
	v_add_co_u32_e32 v5, vcc, v3, v1
	v_addc_co_u32_e32 v6, vcc, v4, v2, vcc
	s_waitcnt lgkmcnt(0)
	v_mov_b32_e32 v7, s16
	v_cmp_ne_u32_e32 vcc, 0, v0
	v_mov_b32_e32 v8, s17
	ds_write_b64 v9, v[3:4]
	s_waitcnt lgkmcnt(0)
	s_barrier
	s_and_saveexec_b64 s[18:19], vcc
; %bb.11:
	v_add_u32_e32 v7, -8, v9
	ds_read_b64 v[7:8], v7
; %bb.12:
	s_or_b64 exec, exec, s[18:19]
	s_cbranch_execz .LBB287_15
	s_branch .LBB287_18
.LBB287_13:
	s_mov_b64 s[8:9], 0
                                        ; implicit-def: $vgpr7_vgpr8
                                        ; implicit-def: $vgpr5_vgpr6
	s_branch .LBB287_19
.LBB287_14:
                                        ; implicit-def: $vgpr5_vgpr6
                                        ; implicit-def: $vgpr7_vgpr8
.LBB287_15:
	s_lshl_b32 s5, s8, 8
	v_lshlrev_b32_e32 v12, 1, v0
	s_sub_i32 s5, s14, s5
	v_or_b32_e32 v5, 1, v12
	v_cmp_gt_u32_e32 vcc, s5, v5
	v_cndmask_b32_e32 v5, 0, v1, vcc
	v_cndmask_b32_e32 v6, 0, v2, vcc
	v_add_co_u32_e32 v5, vcc, v5, v3
	v_addc_co_u32_e32 v6, vcc, v6, v4, vcc
	s_waitcnt lgkmcnt(0)
	v_mov_b32_e32 v7, s16
	v_cmp_ne_u32_e32 vcc, 0, v0
	v_mov_b32_e32 v8, s17
	ds_write_b64 v9, v[3:4]
	s_waitcnt lgkmcnt(0)
	s_barrier
	s_and_saveexec_b64 s[8:9], vcc
; %bb.16:
	v_add_u32_e32 v7, -8, v9
	ds_read_b64 v[7:8], v7
; %bb.17:
	s_or_b64 exec, exec, s[8:9]
	v_cmp_gt_u32_e32 vcc, s5, v12
	s_waitcnt lgkmcnt(0)
	v_cndmask_b32_e32 v8, 0, v8, vcc
	v_cndmask_b32_e32 v7, 0, v7, vcc
.LBB287_18:
	s_waitcnt lgkmcnt(0)
	s_mov_b64 s[8:9], -1
	s_cbranch_execnz .LBB287_27
.LBB287_19:
	s_cmp_lg_u64 s[2:3], 1
	v_cmp_ne_u32_e32 vcc, 0, v0
	s_cbranch_scc0 .LBB287_23
; %bb.20:
	v_add_co_u32_e64 v5, s[2:3], v3, v1
	v_addc_co_u32_e64 v6, s[2:3], v4, v2, s[2:3]
	ds_write_b64 v9, v[3:4]
	s_waitcnt lgkmcnt(0)
	s_barrier
                                        ; implicit-def: $vgpr7_vgpr8
	s_and_saveexec_b64 s[2:3], vcc
; %bb.21:
	v_add_u32_e32 v7, -8, v9
	ds_read_b64 v[7:8], v7
	s_or_b64 s[8:9], s[8:9], exec
; %bb.22:
	s_or_b64 exec, exec, s[2:3]
	s_branch .LBB287_27
.LBB287_23:
                                        ; implicit-def: $vgpr5_vgpr6
                                        ; implicit-def: $vgpr7_vgpr8
	s_cbranch_execz .LBB287_27
; %bb.24:
	s_waitcnt lgkmcnt(0)
	v_lshlrev_b32_e32 v7, 1, v0
	v_or_b32_e32 v5, 1, v7
	v_cmp_gt_u32_e32 vcc, s14, v5
	v_cndmask_b32_e32 v5, 0, v1, vcc
	v_cndmask_b32_e32 v6, 0, v2, vcc
	v_add_co_u32_e32 v5, vcc, v5, v3
	v_addc_co_u32_e32 v6, vcc, v6, v4, vcc
	v_cmp_ne_u32_e32 vcc, 0, v0
	v_cmp_gt_u32_e64 s[2:3], s14, v7
	s_and_b64 s[16:17], vcc, s[2:3]
	ds_write_b64 v9, v[3:4]
	s_waitcnt lgkmcnt(0)
	s_barrier
                                        ; implicit-def: $vgpr7_vgpr8
	s_and_saveexec_b64 s[2:3], s[16:17]
; %bb.25:
	v_add_u32_e32 v3, -8, v9
	ds_read_b64 v[7:8], v3
	s_or_b64 s[8:9], s[8:9], exec
; %bb.26:
	s_or_b64 exec, exec, s[2:3]
.LBB287_27:
	s_and_saveexec_b64 s[2:3], s[8:9]
	s_cbranch_execz .LBB287_29
; %bb.28:
	s_waitcnt lgkmcnt(0)
	v_add_co_u32_e32 v1, vcc, v7, v1
	v_addc_co_u32_e32 v2, vcc, v8, v2, vcc
.LBB287_29:
	s_or_b64 exec, exec, s[2:3]
	s_add_u32 s7, s12, s10
	s_addc_u32 s8, s13, s11
	s_and_b64 vcc, exec, s[0:1]
	s_waitcnt lgkmcnt(0)
	s_barrier
	s_cbranch_vccz .LBB287_33
; %bb.30:
	v_mov_b32_e32 v3, v5
	v_mov_b32_e32 v4, v6
	v_or_b32_e32 v12, 0x80, v0
	ds_write2_b64 v11, v[1:2], v[3:4] offset1:1
	v_lshrrev_b32_e32 v3, 2, v12
	s_lshl_b32 s0, s6, 8
	s_mov_b32 s5, 0
	v_and_b32_e32 v3, 56, v3
	s_sub_i32 s2, s14, s0
	s_lshl_b64 s[0:1], s[4:5], 3
	v_add_u32_e32 v3, v3, v9
	s_add_u32 s0, s7, s0
	s_waitcnt lgkmcnt(0)
	s_barrier
	ds_read_b64 v[3:4], v3 offset:1024
	s_addc_u32 s1, s8, s1
	v_mov_b32_e32 v8, s1
	v_add_co_u32_e32 v7, vcc, s0, v9
	v_addc_co_u32_e32 v8, vcc, 0, v8, vcc
	v_cmp_gt_u32_e32 vcc, s2, v0
	s_and_saveexec_b64 s[0:1], vcc
	s_cbranch_execz .LBB287_32
; %bb.31:
	v_and_b32_e32 v13, 24, v10
	v_lshl_add_u32 v13, v0, 3, v13
	ds_read_b64 v[13:14], v13
	s_waitcnt lgkmcnt(0)
	global_store_dwordx2 v[7:8], v[13:14], off
.LBB287_32:
	s_or_b64 exec, exec, s[0:1]
	v_cmp_gt_u32_e64 s[0:1], s2, v12
	s_branch .LBB287_35
.LBB287_33:
	s_mov_b64 s[0:1], 0
                                        ; implicit-def: $vgpr3_vgpr4
                                        ; implicit-def: $vgpr7_vgpr8
	s_cbranch_execz .LBB287_35
; %bb.34:
	v_or_b32_e32 v0, 0x80, v0
	s_mov_b32 s5, 0
	ds_write2_b64 v11, v[1:2], v[5:6] offset1:1
	v_and_b32_e32 v1, 24, v10
	v_lshrrev_b32_e32 v0, 2, v0
	s_lshl_b64 s[2:3], s[4:5], 3
	v_add_u32_e32 v1, v1, v9
	v_and_b32_e32 v0, 56, v0
	s_add_u32 s2, s7, s2
	s_waitcnt vmcnt(0) lgkmcnt(0)
	s_barrier
	v_add_u32_e32 v2, v0, v9
	ds_read_b64 v[0:1], v1
	ds_read_b64 v[3:4], v2 offset:1024
	s_addc_u32 s3, s8, s3
	v_mov_b32_e32 v2, s3
	v_add_co_u32_e32 v7, vcc, s2, v9
	v_addc_co_u32_e32 v8, vcc, 0, v2, vcc
	s_or_b64 s[0:1], s[0:1], exec
	s_waitcnt lgkmcnt(1)
	global_store_dwordx2 v9, v[0:1], s[2:3]
.LBB287_35:
	s_and_saveexec_b64 s[2:3], s[0:1]
	s_cbranch_execnz .LBB287_37
; %bb.36:
	s_endpgm
.LBB287_37:
	s_waitcnt lgkmcnt(0)
	global_store_dwordx2 v[7:8], v[3:4], off offset:1024
	s_endpgm
	.section	.rodata,"a",@progbits
	.p2align	6, 0x0
	.amdhsa_kernel _ZN7rocprim17ROCPRIM_400000_NS6detail17trampoline_kernelINS0_14default_configENS1_35adjacent_difference_config_selectorILb0ExEEZNS1_24adjacent_difference_implIS3_Lb0ELb0EPxS7_N6thrust23THRUST_200600_302600_NS4plusIxEEEE10hipError_tPvRmT2_T3_mT4_P12ihipStream_tbEUlT_E_NS1_11comp_targetILNS1_3genE2ELNS1_11target_archE906ELNS1_3gpuE6ELNS1_3repE0EEENS1_30default_config_static_selectorELNS0_4arch9wavefront6targetE1EEEvT1_
		.amdhsa_group_segment_fixed_size 2112
		.amdhsa_private_segment_fixed_size 0
		.amdhsa_kernarg_size 56
		.amdhsa_user_sgpr_count 6
		.amdhsa_user_sgpr_private_segment_buffer 1
		.amdhsa_user_sgpr_dispatch_ptr 0
		.amdhsa_user_sgpr_queue_ptr 0
		.amdhsa_user_sgpr_kernarg_segment_ptr 1
		.amdhsa_user_sgpr_dispatch_id 0
		.amdhsa_user_sgpr_flat_scratch_init 0
		.amdhsa_user_sgpr_private_segment_size 0
		.amdhsa_uses_dynamic_stack 0
		.amdhsa_system_sgpr_private_segment_wavefront_offset 0
		.amdhsa_system_sgpr_workgroup_id_x 1
		.amdhsa_system_sgpr_workgroup_id_y 0
		.amdhsa_system_sgpr_workgroup_id_z 0
		.amdhsa_system_sgpr_workgroup_info 0
		.amdhsa_system_vgpr_workitem_id 0
		.amdhsa_next_free_vgpr 29
		.amdhsa_next_free_sgpr 61
		.amdhsa_reserve_vcc 1
		.amdhsa_reserve_flat_scratch 0
		.amdhsa_float_round_mode_32 0
		.amdhsa_float_round_mode_16_64 0
		.amdhsa_float_denorm_mode_32 3
		.amdhsa_float_denorm_mode_16_64 3
		.amdhsa_dx10_clamp 1
		.amdhsa_ieee_mode 1
		.amdhsa_fp16_overflow 0
		.amdhsa_exception_fp_ieee_invalid_op 0
		.amdhsa_exception_fp_denorm_src 0
		.amdhsa_exception_fp_ieee_div_zero 0
		.amdhsa_exception_fp_ieee_overflow 0
		.amdhsa_exception_fp_ieee_underflow 0
		.amdhsa_exception_fp_ieee_inexact 0
		.amdhsa_exception_int_div_zero 0
	.end_amdhsa_kernel
	.section	.text._ZN7rocprim17ROCPRIM_400000_NS6detail17trampoline_kernelINS0_14default_configENS1_35adjacent_difference_config_selectorILb0ExEEZNS1_24adjacent_difference_implIS3_Lb0ELb0EPxS7_N6thrust23THRUST_200600_302600_NS4plusIxEEEE10hipError_tPvRmT2_T3_mT4_P12ihipStream_tbEUlT_E_NS1_11comp_targetILNS1_3genE2ELNS1_11target_archE906ELNS1_3gpuE6ELNS1_3repE0EEENS1_30default_config_static_selectorELNS0_4arch9wavefront6targetE1EEEvT1_,"axG",@progbits,_ZN7rocprim17ROCPRIM_400000_NS6detail17trampoline_kernelINS0_14default_configENS1_35adjacent_difference_config_selectorILb0ExEEZNS1_24adjacent_difference_implIS3_Lb0ELb0EPxS7_N6thrust23THRUST_200600_302600_NS4plusIxEEEE10hipError_tPvRmT2_T3_mT4_P12ihipStream_tbEUlT_E_NS1_11comp_targetILNS1_3genE2ELNS1_11target_archE906ELNS1_3gpuE6ELNS1_3repE0EEENS1_30default_config_static_selectorELNS0_4arch9wavefront6targetE1EEEvT1_,comdat
.Lfunc_end287:
	.size	_ZN7rocprim17ROCPRIM_400000_NS6detail17trampoline_kernelINS0_14default_configENS1_35adjacent_difference_config_selectorILb0ExEEZNS1_24adjacent_difference_implIS3_Lb0ELb0EPxS7_N6thrust23THRUST_200600_302600_NS4plusIxEEEE10hipError_tPvRmT2_T3_mT4_P12ihipStream_tbEUlT_E_NS1_11comp_targetILNS1_3genE2ELNS1_11target_archE906ELNS1_3gpuE6ELNS1_3repE0EEENS1_30default_config_static_selectorELNS0_4arch9wavefront6targetE1EEEvT1_, .Lfunc_end287-_ZN7rocprim17ROCPRIM_400000_NS6detail17trampoline_kernelINS0_14default_configENS1_35adjacent_difference_config_selectorILb0ExEEZNS1_24adjacent_difference_implIS3_Lb0ELb0EPxS7_N6thrust23THRUST_200600_302600_NS4plusIxEEEE10hipError_tPvRmT2_T3_mT4_P12ihipStream_tbEUlT_E_NS1_11comp_targetILNS1_3genE2ELNS1_11target_archE906ELNS1_3gpuE6ELNS1_3repE0EEENS1_30default_config_static_selectorELNS0_4arch9wavefront6targetE1EEEvT1_
                                        ; -- End function
	.set _ZN7rocprim17ROCPRIM_400000_NS6detail17trampoline_kernelINS0_14default_configENS1_35adjacent_difference_config_selectorILb0ExEEZNS1_24adjacent_difference_implIS3_Lb0ELb0EPxS7_N6thrust23THRUST_200600_302600_NS4plusIxEEEE10hipError_tPvRmT2_T3_mT4_P12ihipStream_tbEUlT_E_NS1_11comp_targetILNS1_3genE2ELNS1_11target_archE906ELNS1_3gpuE6ELNS1_3repE0EEENS1_30default_config_static_selectorELNS0_4arch9wavefront6targetE1EEEvT1_.num_vgpr, 15
	.set _ZN7rocprim17ROCPRIM_400000_NS6detail17trampoline_kernelINS0_14default_configENS1_35adjacent_difference_config_selectorILb0ExEEZNS1_24adjacent_difference_implIS3_Lb0ELb0EPxS7_N6thrust23THRUST_200600_302600_NS4plusIxEEEE10hipError_tPvRmT2_T3_mT4_P12ihipStream_tbEUlT_E_NS1_11comp_targetILNS1_3genE2ELNS1_11target_archE906ELNS1_3gpuE6ELNS1_3repE0EEENS1_30default_config_static_selectorELNS0_4arch9wavefront6targetE1EEEvT1_.num_agpr, 0
	.set _ZN7rocprim17ROCPRIM_400000_NS6detail17trampoline_kernelINS0_14default_configENS1_35adjacent_difference_config_selectorILb0ExEEZNS1_24adjacent_difference_implIS3_Lb0ELb0EPxS7_N6thrust23THRUST_200600_302600_NS4plusIxEEEE10hipError_tPvRmT2_T3_mT4_P12ihipStream_tbEUlT_E_NS1_11comp_targetILNS1_3genE2ELNS1_11target_archE906ELNS1_3gpuE6ELNS1_3repE0EEENS1_30default_config_static_selectorELNS0_4arch9wavefront6targetE1EEEvT1_.numbered_sgpr, 22
	.set _ZN7rocprim17ROCPRIM_400000_NS6detail17trampoline_kernelINS0_14default_configENS1_35adjacent_difference_config_selectorILb0ExEEZNS1_24adjacent_difference_implIS3_Lb0ELb0EPxS7_N6thrust23THRUST_200600_302600_NS4plusIxEEEE10hipError_tPvRmT2_T3_mT4_P12ihipStream_tbEUlT_E_NS1_11comp_targetILNS1_3genE2ELNS1_11target_archE906ELNS1_3gpuE6ELNS1_3repE0EEENS1_30default_config_static_selectorELNS0_4arch9wavefront6targetE1EEEvT1_.num_named_barrier, 0
	.set _ZN7rocprim17ROCPRIM_400000_NS6detail17trampoline_kernelINS0_14default_configENS1_35adjacent_difference_config_selectorILb0ExEEZNS1_24adjacent_difference_implIS3_Lb0ELb0EPxS7_N6thrust23THRUST_200600_302600_NS4plusIxEEEE10hipError_tPvRmT2_T3_mT4_P12ihipStream_tbEUlT_E_NS1_11comp_targetILNS1_3genE2ELNS1_11target_archE906ELNS1_3gpuE6ELNS1_3repE0EEENS1_30default_config_static_selectorELNS0_4arch9wavefront6targetE1EEEvT1_.private_seg_size, 0
	.set _ZN7rocprim17ROCPRIM_400000_NS6detail17trampoline_kernelINS0_14default_configENS1_35adjacent_difference_config_selectorILb0ExEEZNS1_24adjacent_difference_implIS3_Lb0ELb0EPxS7_N6thrust23THRUST_200600_302600_NS4plusIxEEEE10hipError_tPvRmT2_T3_mT4_P12ihipStream_tbEUlT_E_NS1_11comp_targetILNS1_3genE2ELNS1_11target_archE906ELNS1_3gpuE6ELNS1_3repE0EEENS1_30default_config_static_selectorELNS0_4arch9wavefront6targetE1EEEvT1_.uses_vcc, 1
	.set _ZN7rocprim17ROCPRIM_400000_NS6detail17trampoline_kernelINS0_14default_configENS1_35adjacent_difference_config_selectorILb0ExEEZNS1_24adjacent_difference_implIS3_Lb0ELb0EPxS7_N6thrust23THRUST_200600_302600_NS4plusIxEEEE10hipError_tPvRmT2_T3_mT4_P12ihipStream_tbEUlT_E_NS1_11comp_targetILNS1_3genE2ELNS1_11target_archE906ELNS1_3gpuE6ELNS1_3repE0EEENS1_30default_config_static_selectorELNS0_4arch9wavefront6targetE1EEEvT1_.uses_flat_scratch, 0
	.set _ZN7rocprim17ROCPRIM_400000_NS6detail17trampoline_kernelINS0_14default_configENS1_35adjacent_difference_config_selectorILb0ExEEZNS1_24adjacent_difference_implIS3_Lb0ELb0EPxS7_N6thrust23THRUST_200600_302600_NS4plusIxEEEE10hipError_tPvRmT2_T3_mT4_P12ihipStream_tbEUlT_E_NS1_11comp_targetILNS1_3genE2ELNS1_11target_archE906ELNS1_3gpuE6ELNS1_3repE0EEENS1_30default_config_static_selectorELNS0_4arch9wavefront6targetE1EEEvT1_.has_dyn_sized_stack, 0
	.set _ZN7rocprim17ROCPRIM_400000_NS6detail17trampoline_kernelINS0_14default_configENS1_35adjacent_difference_config_selectorILb0ExEEZNS1_24adjacent_difference_implIS3_Lb0ELb0EPxS7_N6thrust23THRUST_200600_302600_NS4plusIxEEEE10hipError_tPvRmT2_T3_mT4_P12ihipStream_tbEUlT_E_NS1_11comp_targetILNS1_3genE2ELNS1_11target_archE906ELNS1_3gpuE6ELNS1_3repE0EEENS1_30default_config_static_selectorELNS0_4arch9wavefront6targetE1EEEvT1_.has_recursion, 0
	.set _ZN7rocprim17ROCPRIM_400000_NS6detail17trampoline_kernelINS0_14default_configENS1_35adjacent_difference_config_selectorILb0ExEEZNS1_24adjacent_difference_implIS3_Lb0ELb0EPxS7_N6thrust23THRUST_200600_302600_NS4plusIxEEEE10hipError_tPvRmT2_T3_mT4_P12ihipStream_tbEUlT_E_NS1_11comp_targetILNS1_3genE2ELNS1_11target_archE906ELNS1_3gpuE6ELNS1_3repE0EEENS1_30default_config_static_selectorELNS0_4arch9wavefront6targetE1EEEvT1_.has_indirect_call, 0
	.section	.AMDGPU.csdata,"",@progbits
; Kernel info:
; codeLenInByte = 1188
; TotalNumSgprs: 26
; NumVgprs: 15
; ScratchSize: 0
; MemoryBound: 0
; FloatMode: 240
; IeeeMode: 1
; LDSByteSize: 2112 bytes/workgroup (compile time only)
; SGPRBlocks: 8
; VGPRBlocks: 7
; NumSGPRsForWavesPerEU: 65
; NumVGPRsForWavesPerEU: 29
; Occupancy: 8
; WaveLimiterHint : 1
; COMPUTE_PGM_RSRC2:SCRATCH_EN: 0
; COMPUTE_PGM_RSRC2:USER_SGPR: 6
; COMPUTE_PGM_RSRC2:TRAP_HANDLER: 0
; COMPUTE_PGM_RSRC2:TGID_X_EN: 1
; COMPUTE_PGM_RSRC2:TGID_Y_EN: 0
; COMPUTE_PGM_RSRC2:TGID_Z_EN: 0
; COMPUTE_PGM_RSRC2:TIDIG_COMP_CNT: 0
	.section	.text._ZN7rocprim17ROCPRIM_400000_NS6detail17trampoline_kernelINS0_14default_configENS1_35adjacent_difference_config_selectorILb0ExEEZNS1_24adjacent_difference_implIS3_Lb0ELb0EPxS7_N6thrust23THRUST_200600_302600_NS4plusIxEEEE10hipError_tPvRmT2_T3_mT4_P12ihipStream_tbEUlT_E_NS1_11comp_targetILNS1_3genE9ELNS1_11target_archE1100ELNS1_3gpuE3ELNS1_3repE0EEENS1_30default_config_static_selectorELNS0_4arch9wavefront6targetE1EEEvT1_,"axG",@progbits,_ZN7rocprim17ROCPRIM_400000_NS6detail17trampoline_kernelINS0_14default_configENS1_35adjacent_difference_config_selectorILb0ExEEZNS1_24adjacent_difference_implIS3_Lb0ELb0EPxS7_N6thrust23THRUST_200600_302600_NS4plusIxEEEE10hipError_tPvRmT2_T3_mT4_P12ihipStream_tbEUlT_E_NS1_11comp_targetILNS1_3genE9ELNS1_11target_archE1100ELNS1_3gpuE3ELNS1_3repE0EEENS1_30default_config_static_selectorELNS0_4arch9wavefront6targetE1EEEvT1_,comdat
	.protected	_ZN7rocprim17ROCPRIM_400000_NS6detail17trampoline_kernelINS0_14default_configENS1_35adjacent_difference_config_selectorILb0ExEEZNS1_24adjacent_difference_implIS3_Lb0ELb0EPxS7_N6thrust23THRUST_200600_302600_NS4plusIxEEEE10hipError_tPvRmT2_T3_mT4_P12ihipStream_tbEUlT_E_NS1_11comp_targetILNS1_3genE9ELNS1_11target_archE1100ELNS1_3gpuE3ELNS1_3repE0EEENS1_30default_config_static_selectorELNS0_4arch9wavefront6targetE1EEEvT1_ ; -- Begin function _ZN7rocprim17ROCPRIM_400000_NS6detail17trampoline_kernelINS0_14default_configENS1_35adjacent_difference_config_selectorILb0ExEEZNS1_24adjacent_difference_implIS3_Lb0ELb0EPxS7_N6thrust23THRUST_200600_302600_NS4plusIxEEEE10hipError_tPvRmT2_T3_mT4_P12ihipStream_tbEUlT_E_NS1_11comp_targetILNS1_3genE9ELNS1_11target_archE1100ELNS1_3gpuE3ELNS1_3repE0EEENS1_30default_config_static_selectorELNS0_4arch9wavefront6targetE1EEEvT1_
	.globl	_ZN7rocprim17ROCPRIM_400000_NS6detail17trampoline_kernelINS0_14default_configENS1_35adjacent_difference_config_selectorILb0ExEEZNS1_24adjacent_difference_implIS3_Lb0ELb0EPxS7_N6thrust23THRUST_200600_302600_NS4plusIxEEEE10hipError_tPvRmT2_T3_mT4_P12ihipStream_tbEUlT_E_NS1_11comp_targetILNS1_3genE9ELNS1_11target_archE1100ELNS1_3gpuE3ELNS1_3repE0EEENS1_30default_config_static_selectorELNS0_4arch9wavefront6targetE1EEEvT1_
	.p2align	8
	.type	_ZN7rocprim17ROCPRIM_400000_NS6detail17trampoline_kernelINS0_14default_configENS1_35adjacent_difference_config_selectorILb0ExEEZNS1_24adjacent_difference_implIS3_Lb0ELb0EPxS7_N6thrust23THRUST_200600_302600_NS4plusIxEEEE10hipError_tPvRmT2_T3_mT4_P12ihipStream_tbEUlT_E_NS1_11comp_targetILNS1_3genE9ELNS1_11target_archE1100ELNS1_3gpuE3ELNS1_3repE0EEENS1_30default_config_static_selectorELNS0_4arch9wavefront6targetE1EEEvT1_,@function
_ZN7rocprim17ROCPRIM_400000_NS6detail17trampoline_kernelINS0_14default_configENS1_35adjacent_difference_config_selectorILb0ExEEZNS1_24adjacent_difference_implIS3_Lb0ELb0EPxS7_N6thrust23THRUST_200600_302600_NS4plusIxEEEE10hipError_tPvRmT2_T3_mT4_P12ihipStream_tbEUlT_E_NS1_11comp_targetILNS1_3genE9ELNS1_11target_archE1100ELNS1_3gpuE3ELNS1_3repE0EEENS1_30default_config_static_selectorELNS0_4arch9wavefront6targetE1EEEvT1_: ; @_ZN7rocprim17ROCPRIM_400000_NS6detail17trampoline_kernelINS0_14default_configENS1_35adjacent_difference_config_selectorILb0ExEEZNS1_24adjacent_difference_implIS3_Lb0ELb0EPxS7_N6thrust23THRUST_200600_302600_NS4plusIxEEEE10hipError_tPvRmT2_T3_mT4_P12ihipStream_tbEUlT_E_NS1_11comp_targetILNS1_3genE9ELNS1_11target_archE1100ELNS1_3gpuE3ELNS1_3repE0EEENS1_30default_config_static_selectorELNS0_4arch9wavefront6targetE1EEEvT1_
; %bb.0:
	.section	.rodata,"a",@progbits
	.p2align	6, 0x0
	.amdhsa_kernel _ZN7rocprim17ROCPRIM_400000_NS6detail17trampoline_kernelINS0_14default_configENS1_35adjacent_difference_config_selectorILb0ExEEZNS1_24adjacent_difference_implIS3_Lb0ELb0EPxS7_N6thrust23THRUST_200600_302600_NS4plusIxEEEE10hipError_tPvRmT2_T3_mT4_P12ihipStream_tbEUlT_E_NS1_11comp_targetILNS1_3genE9ELNS1_11target_archE1100ELNS1_3gpuE3ELNS1_3repE0EEENS1_30default_config_static_selectorELNS0_4arch9wavefront6targetE1EEEvT1_
		.amdhsa_group_segment_fixed_size 0
		.amdhsa_private_segment_fixed_size 0
		.amdhsa_kernarg_size 56
		.amdhsa_user_sgpr_count 6
		.amdhsa_user_sgpr_private_segment_buffer 1
		.amdhsa_user_sgpr_dispatch_ptr 0
		.amdhsa_user_sgpr_queue_ptr 0
		.amdhsa_user_sgpr_kernarg_segment_ptr 1
		.amdhsa_user_sgpr_dispatch_id 0
		.amdhsa_user_sgpr_flat_scratch_init 0
		.amdhsa_user_sgpr_private_segment_size 0
		.amdhsa_uses_dynamic_stack 0
		.amdhsa_system_sgpr_private_segment_wavefront_offset 0
		.amdhsa_system_sgpr_workgroup_id_x 1
		.amdhsa_system_sgpr_workgroup_id_y 0
		.amdhsa_system_sgpr_workgroup_id_z 0
		.amdhsa_system_sgpr_workgroup_info 0
		.amdhsa_system_vgpr_workitem_id 0
		.amdhsa_next_free_vgpr 1
		.amdhsa_next_free_sgpr 0
		.amdhsa_reserve_vcc 0
		.amdhsa_reserve_flat_scratch 0
		.amdhsa_float_round_mode_32 0
		.amdhsa_float_round_mode_16_64 0
		.amdhsa_float_denorm_mode_32 3
		.amdhsa_float_denorm_mode_16_64 3
		.amdhsa_dx10_clamp 1
		.amdhsa_ieee_mode 1
		.amdhsa_fp16_overflow 0
		.amdhsa_exception_fp_ieee_invalid_op 0
		.amdhsa_exception_fp_denorm_src 0
		.amdhsa_exception_fp_ieee_div_zero 0
		.amdhsa_exception_fp_ieee_overflow 0
		.amdhsa_exception_fp_ieee_underflow 0
		.amdhsa_exception_fp_ieee_inexact 0
		.amdhsa_exception_int_div_zero 0
	.end_amdhsa_kernel
	.section	.text._ZN7rocprim17ROCPRIM_400000_NS6detail17trampoline_kernelINS0_14default_configENS1_35adjacent_difference_config_selectorILb0ExEEZNS1_24adjacent_difference_implIS3_Lb0ELb0EPxS7_N6thrust23THRUST_200600_302600_NS4plusIxEEEE10hipError_tPvRmT2_T3_mT4_P12ihipStream_tbEUlT_E_NS1_11comp_targetILNS1_3genE9ELNS1_11target_archE1100ELNS1_3gpuE3ELNS1_3repE0EEENS1_30default_config_static_selectorELNS0_4arch9wavefront6targetE1EEEvT1_,"axG",@progbits,_ZN7rocprim17ROCPRIM_400000_NS6detail17trampoline_kernelINS0_14default_configENS1_35adjacent_difference_config_selectorILb0ExEEZNS1_24adjacent_difference_implIS3_Lb0ELb0EPxS7_N6thrust23THRUST_200600_302600_NS4plusIxEEEE10hipError_tPvRmT2_T3_mT4_P12ihipStream_tbEUlT_E_NS1_11comp_targetILNS1_3genE9ELNS1_11target_archE1100ELNS1_3gpuE3ELNS1_3repE0EEENS1_30default_config_static_selectorELNS0_4arch9wavefront6targetE1EEEvT1_,comdat
.Lfunc_end288:
	.size	_ZN7rocprim17ROCPRIM_400000_NS6detail17trampoline_kernelINS0_14default_configENS1_35adjacent_difference_config_selectorILb0ExEEZNS1_24adjacent_difference_implIS3_Lb0ELb0EPxS7_N6thrust23THRUST_200600_302600_NS4plusIxEEEE10hipError_tPvRmT2_T3_mT4_P12ihipStream_tbEUlT_E_NS1_11comp_targetILNS1_3genE9ELNS1_11target_archE1100ELNS1_3gpuE3ELNS1_3repE0EEENS1_30default_config_static_selectorELNS0_4arch9wavefront6targetE1EEEvT1_, .Lfunc_end288-_ZN7rocprim17ROCPRIM_400000_NS6detail17trampoline_kernelINS0_14default_configENS1_35adjacent_difference_config_selectorILb0ExEEZNS1_24adjacent_difference_implIS3_Lb0ELb0EPxS7_N6thrust23THRUST_200600_302600_NS4plusIxEEEE10hipError_tPvRmT2_T3_mT4_P12ihipStream_tbEUlT_E_NS1_11comp_targetILNS1_3genE9ELNS1_11target_archE1100ELNS1_3gpuE3ELNS1_3repE0EEENS1_30default_config_static_selectorELNS0_4arch9wavefront6targetE1EEEvT1_
                                        ; -- End function
	.set _ZN7rocprim17ROCPRIM_400000_NS6detail17trampoline_kernelINS0_14default_configENS1_35adjacent_difference_config_selectorILb0ExEEZNS1_24adjacent_difference_implIS3_Lb0ELb0EPxS7_N6thrust23THRUST_200600_302600_NS4plusIxEEEE10hipError_tPvRmT2_T3_mT4_P12ihipStream_tbEUlT_E_NS1_11comp_targetILNS1_3genE9ELNS1_11target_archE1100ELNS1_3gpuE3ELNS1_3repE0EEENS1_30default_config_static_selectorELNS0_4arch9wavefront6targetE1EEEvT1_.num_vgpr, 0
	.set _ZN7rocprim17ROCPRIM_400000_NS6detail17trampoline_kernelINS0_14default_configENS1_35adjacent_difference_config_selectorILb0ExEEZNS1_24adjacent_difference_implIS3_Lb0ELb0EPxS7_N6thrust23THRUST_200600_302600_NS4plusIxEEEE10hipError_tPvRmT2_T3_mT4_P12ihipStream_tbEUlT_E_NS1_11comp_targetILNS1_3genE9ELNS1_11target_archE1100ELNS1_3gpuE3ELNS1_3repE0EEENS1_30default_config_static_selectorELNS0_4arch9wavefront6targetE1EEEvT1_.num_agpr, 0
	.set _ZN7rocprim17ROCPRIM_400000_NS6detail17trampoline_kernelINS0_14default_configENS1_35adjacent_difference_config_selectorILb0ExEEZNS1_24adjacent_difference_implIS3_Lb0ELb0EPxS7_N6thrust23THRUST_200600_302600_NS4plusIxEEEE10hipError_tPvRmT2_T3_mT4_P12ihipStream_tbEUlT_E_NS1_11comp_targetILNS1_3genE9ELNS1_11target_archE1100ELNS1_3gpuE3ELNS1_3repE0EEENS1_30default_config_static_selectorELNS0_4arch9wavefront6targetE1EEEvT1_.numbered_sgpr, 0
	.set _ZN7rocprim17ROCPRIM_400000_NS6detail17trampoline_kernelINS0_14default_configENS1_35adjacent_difference_config_selectorILb0ExEEZNS1_24adjacent_difference_implIS3_Lb0ELb0EPxS7_N6thrust23THRUST_200600_302600_NS4plusIxEEEE10hipError_tPvRmT2_T3_mT4_P12ihipStream_tbEUlT_E_NS1_11comp_targetILNS1_3genE9ELNS1_11target_archE1100ELNS1_3gpuE3ELNS1_3repE0EEENS1_30default_config_static_selectorELNS0_4arch9wavefront6targetE1EEEvT1_.num_named_barrier, 0
	.set _ZN7rocprim17ROCPRIM_400000_NS6detail17trampoline_kernelINS0_14default_configENS1_35adjacent_difference_config_selectorILb0ExEEZNS1_24adjacent_difference_implIS3_Lb0ELb0EPxS7_N6thrust23THRUST_200600_302600_NS4plusIxEEEE10hipError_tPvRmT2_T3_mT4_P12ihipStream_tbEUlT_E_NS1_11comp_targetILNS1_3genE9ELNS1_11target_archE1100ELNS1_3gpuE3ELNS1_3repE0EEENS1_30default_config_static_selectorELNS0_4arch9wavefront6targetE1EEEvT1_.private_seg_size, 0
	.set _ZN7rocprim17ROCPRIM_400000_NS6detail17trampoline_kernelINS0_14default_configENS1_35adjacent_difference_config_selectorILb0ExEEZNS1_24adjacent_difference_implIS3_Lb0ELb0EPxS7_N6thrust23THRUST_200600_302600_NS4plusIxEEEE10hipError_tPvRmT2_T3_mT4_P12ihipStream_tbEUlT_E_NS1_11comp_targetILNS1_3genE9ELNS1_11target_archE1100ELNS1_3gpuE3ELNS1_3repE0EEENS1_30default_config_static_selectorELNS0_4arch9wavefront6targetE1EEEvT1_.uses_vcc, 0
	.set _ZN7rocprim17ROCPRIM_400000_NS6detail17trampoline_kernelINS0_14default_configENS1_35adjacent_difference_config_selectorILb0ExEEZNS1_24adjacent_difference_implIS3_Lb0ELb0EPxS7_N6thrust23THRUST_200600_302600_NS4plusIxEEEE10hipError_tPvRmT2_T3_mT4_P12ihipStream_tbEUlT_E_NS1_11comp_targetILNS1_3genE9ELNS1_11target_archE1100ELNS1_3gpuE3ELNS1_3repE0EEENS1_30default_config_static_selectorELNS0_4arch9wavefront6targetE1EEEvT1_.uses_flat_scratch, 0
	.set _ZN7rocprim17ROCPRIM_400000_NS6detail17trampoline_kernelINS0_14default_configENS1_35adjacent_difference_config_selectorILb0ExEEZNS1_24adjacent_difference_implIS3_Lb0ELb0EPxS7_N6thrust23THRUST_200600_302600_NS4plusIxEEEE10hipError_tPvRmT2_T3_mT4_P12ihipStream_tbEUlT_E_NS1_11comp_targetILNS1_3genE9ELNS1_11target_archE1100ELNS1_3gpuE3ELNS1_3repE0EEENS1_30default_config_static_selectorELNS0_4arch9wavefront6targetE1EEEvT1_.has_dyn_sized_stack, 0
	.set _ZN7rocprim17ROCPRIM_400000_NS6detail17trampoline_kernelINS0_14default_configENS1_35adjacent_difference_config_selectorILb0ExEEZNS1_24adjacent_difference_implIS3_Lb0ELb0EPxS7_N6thrust23THRUST_200600_302600_NS4plusIxEEEE10hipError_tPvRmT2_T3_mT4_P12ihipStream_tbEUlT_E_NS1_11comp_targetILNS1_3genE9ELNS1_11target_archE1100ELNS1_3gpuE3ELNS1_3repE0EEENS1_30default_config_static_selectorELNS0_4arch9wavefront6targetE1EEEvT1_.has_recursion, 0
	.set _ZN7rocprim17ROCPRIM_400000_NS6detail17trampoline_kernelINS0_14default_configENS1_35adjacent_difference_config_selectorILb0ExEEZNS1_24adjacent_difference_implIS3_Lb0ELb0EPxS7_N6thrust23THRUST_200600_302600_NS4plusIxEEEE10hipError_tPvRmT2_T3_mT4_P12ihipStream_tbEUlT_E_NS1_11comp_targetILNS1_3genE9ELNS1_11target_archE1100ELNS1_3gpuE3ELNS1_3repE0EEENS1_30default_config_static_selectorELNS0_4arch9wavefront6targetE1EEEvT1_.has_indirect_call, 0
	.section	.AMDGPU.csdata,"",@progbits
; Kernel info:
; codeLenInByte = 0
; TotalNumSgprs: 4
; NumVgprs: 0
; ScratchSize: 0
; MemoryBound: 0
; FloatMode: 240
; IeeeMode: 1
; LDSByteSize: 0 bytes/workgroup (compile time only)
; SGPRBlocks: 0
; VGPRBlocks: 0
; NumSGPRsForWavesPerEU: 4
; NumVGPRsForWavesPerEU: 1
; Occupancy: 10
; WaveLimiterHint : 0
; COMPUTE_PGM_RSRC2:SCRATCH_EN: 0
; COMPUTE_PGM_RSRC2:USER_SGPR: 6
; COMPUTE_PGM_RSRC2:TRAP_HANDLER: 0
; COMPUTE_PGM_RSRC2:TGID_X_EN: 1
; COMPUTE_PGM_RSRC2:TGID_Y_EN: 0
; COMPUTE_PGM_RSRC2:TGID_Z_EN: 0
; COMPUTE_PGM_RSRC2:TIDIG_COMP_CNT: 0
	.section	.text._ZN7rocprim17ROCPRIM_400000_NS6detail17trampoline_kernelINS0_14default_configENS1_35adjacent_difference_config_selectorILb0ExEEZNS1_24adjacent_difference_implIS3_Lb0ELb0EPxS7_N6thrust23THRUST_200600_302600_NS4plusIxEEEE10hipError_tPvRmT2_T3_mT4_P12ihipStream_tbEUlT_E_NS1_11comp_targetILNS1_3genE8ELNS1_11target_archE1030ELNS1_3gpuE2ELNS1_3repE0EEENS1_30default_config_static_selectorELNS0_4arch9wavefront6targetE1EEEvT1_,"axG",@progbits,_ZN7rocprim17ROCPRIM_400000_NS6detail17trampoline_kernelINS0_14default_configENS1_35adjacent_difference_config_selectorILb0ExEEZNS1_24adjacent_difference_implIS3_Lb0ELb0EPxS7_N6thrust23THRUST_200600_302600_NS4plusIxEEEE10hipError_tPvRmT2_T3_mT4_P12ihipStream_tbEUlT_E_NS1_11comp_targetILNS1_3genE8ELNS1_11target_archE1030ELNS1_3gpuE2ELNS1_3repE0EEENS1_30default_config_static_selectorELNS0_4arch9wavefront6targetE1EEEvT1_,comdat
	.protected	_ZN7rocprim17ROCPRIM_400000_NS6detail17trampoline_kernelINS0_14default_configENS1_35adjacent_difference_config_selectorILb0ExEEZNS1_24adjacent_difference_implIS3_Lb0ELb0EPxS7_N6thrust23THRUST_200600_302600_NS4plusIxEEEE10hipError_tPvRmT2_T3_mT4_P12ihipStream_tbEUlT_E_NS1_11comp_targetILNS1_3genE8ELNS1_11target_archE1030ELNS1_3gpuE2ELNS1_3repE0EEENS1_30default_config_static_selectorELNS0_4arch9wavefront6targetE1EEEvT1_ ; -- Begin function _ZN7rocprim17ROCPRIM_400000_NS6detail17trampoline_kernelINS0_14default_configENS1_35adjacent_difference_config_selectorILb0ExEEZNS1_24adjacent_difference_implIS3_Lb0ELb0EPxS7_N6thrust23THRUST_200600_302600_NS4plusIxEEEE10hipError_tPvRmT2_T3_mT4_P12ihipStream_tbEUlT_E_NS1_11comp_targetILNS1_3genE8ELNS1_11target_archE1030ELNS1_3gpuE2ELNS1_3repE0EEENS1_30default_config_static_selectorELNS0_4arch9wavefront6targetE1EEEvT1_
	.globl	_ZN7rocprim17ROCPRIM_400000_NS6detail17trampoline_kernelINS0_14default_configENS1_35adjacent_difference_config_selectorILb0ExEEZNS1_24adjacent_difference_implIS3_Lb0ELb0EPxS7_N6thrust23THRUST_200600_302600_NS4plusIxEEEE10hipError_tPvRmT2_T3_mT4_P12ihipStream_tbEUlT_E_NS1_11comp_targetILNS1_3genE8ELNS1_11target_archE1030ELNS1_3gpuE2ELNS1_3repE0EEENS1_30default_config_static_selectorELNS0_4arch9wavefront6targetE1EEEvT1_
	.p2align	8
	.type	_ZN7rocprim17ROCPRIM_400000_NS6detail17trampoline_kernelINS0_14default_configENS1_35adjacent_difference_config_selectorILb0ExEEZNS1_24adjacent_difference_implIS3_Lb0ELb0EPxS7_N6thrust23THRUST_200600_302600_NS4plusIxEEEE10hipError_tPvRmT2_T3_mT4_P12ihipStream_tbEUlT_E_NS1_11comp_targetILNS1_3genE8ELNS1_11target_archE1030ELNS1_3gpuE2ELNS1_3repE0EEENS1_30default_config_static_selectorELNS0_4arch9wavefront6targetE1EEEvT1_,@function
_ZN7rocprim17ROCPRIM_400000_NS6detail17trampoline_kernelINS0_14default_configENS1_35adjacent_difference_config_selectorILb0ExEEZNS1_24adjacent_difference_implIS3_Lb0ELb0EPxS7_N6thrust23THRUST_200600_302600_NS4plusIxEEEE10hipError_tPvRmT2_T3_mT4_P12ihipStream_tbEUlT_E_NS1_11comp_targetILNS1_3genE8ELNS1_11target_archE1030ELNS1_3gpuE2ELNS1_3repE0EEENS1_30default_config_static_selectorELNS0_4arch9wavefront6targetE1EEEvT1_: ; @_ZN7rocprim17ROCPRIM_400000_NS6detail17trampoline_kernelINS0_14default_configENS1_35adjacent_difference_config_selectorILb0ExEEZNS1_24adjacent_difference_implIS3_Lb0ELb0EPxS7_N6thrust23THRUST_200600_302600_NS4plusIxEEEE10hipError_tPvRmT2_T3_mT4_P12ihipStream_tbEUlT_E_NS1_11comp_targetILNS1_3genE8ELNS1_11target_archE1030ELNS1_3gpuE2ELNS1_3repE0EEENS1_30default_config_static_selectorELNS0_4arch9wavefront6targetE1EEEvT1_
; %bb.0:
	.section	.rodata,"a",@progbits
	.p2align	6, 0x0
	.amdhsa_kernel _ZN7rocprim17ROCPRIM_400000_NS6detail17trampoline_kernelINS0_14default_configENS1_35adjacent_difference_config_selectorILb0ExEEZNS1_24adjacent_difference_implIS3_Lb0ELb0EPxS7_N6thrust23THRUST_200600_302600_NS4plusIxEEEE10hipError_tPvRmT2_T3_mT4_P12ihipStream_tbEUlT_E_NS1_11comp_targetILNS1_3genE8ELNS1_11target_archE1030ELNS1_3gpuE2ELNS1_3repE0EEENS1_30default_config_static_selectorELNS0_4arch9wavefront6targetE1EEEvT1_
		.amdhsa_group_segment_fixed_size 0
		.amdhsa_private_segment_fixed_size 0
		.amdhsa_kernarg_size 56
		.amdhsa_user_sgpr_count 6
		.amdhsa_user_sgpr_private_segment_buffer 1
		.amdhsa_user_sgpr_dispatch_ptr 0
		.amdhsa_user_sgpr_queue_ptr 0
		.amdhsa_user_sgpr_kernarg_segment_ptr 1
		.amdhsa_user_sgpr_dispatch_id 0
		.amdhsa_user_sgpr_flat_scratch_init 0
		.amdhsa_user_sgpr_private_segment_size 0
		.amdhsa_uses_dynamic_stack 0
		.amdhsa_system_sgpr_private_segment_wavefront_offset 0
		.amdhsa_system_sgpr_workgroup_id_x 1
		.amdhsa_system_sgpr_workgroup_id_y 0
		.amdhsa_system_sgpr_workgroup_id_z 0
		.amdhsa_system_sgpr_workgroup_info 0
		.amdhsa_system_vgpr_workitem_id 0
		.amdhsa_next_free_vgpr 1
		.amdhsa_next_free_sgpr 0
		.amdhsa_reserve_vcc 0
		.amdhsa_reserve_flat_scratch 0
		.amdhsa_float_round_mode_32 0
		.amdhsa_float_round_mode_16_64 0
		.amdhsa_float_denorm_mode_32 3
		.amdhsa_float_denorm_mode_16_64 3
		.amdhsa_dx10_clamp 1
		.amdhsa_ieee_mode 1
		.amdhsa_fp16_overflow 0
		.amdhsa_exception_fp_ieee_invalid_op 0
		.amdhsa_exception_fp_denorm_src 0
		.amdhsa_exception_fp_ieee_div_zero 0
		.amdhsa_exception_fp_ieee_overflow 0
		.amdhsa_exception_fp_ieee_underflow 0
		.amdhsa_exception_fp_ieee_inexact 0
		.amdhsa_exception_int_div_zero 0
	.end_amdhsa_kernel
	.section	.text._ZN7rocprim17ROCPRIM_400000_NS6detail17trampoline_kernelINS0_14default_configENS1_35adjacent_difference_config_selectorILb0ExEEZNS1_24adjacent_difference_implIS3_Lb0ELb0EPxS7_N6thrust23THRUST_200600_302600_NS4plusIxEEEE10hipError_tPvRmT2_T3_mT4_P12ihipStream_tbEUlT_E_NS1_11comp_targetILNS1_3genE8ELNS1_11target_archE1030ELNS1_3gpuE2ELNS1_3repE0EEENS1_30default_config_static_selectorELNS0_4arch9wavefront6targetE1EEEvT1_,"axG",@progbits,_ZN7rocprim17ROCPRIM_400000_NS6detail17trampoline_kernelINS0_14default_configENS1_35adjacent_difference_config_selectorILb0ExEEZNS1_24adjacent_difference_implIS3_Lb0ELb0EPxS7_N6thrust23THRUST_200600_302600_NS4plusIxEEEE10hipError_tPvRmT2_T3_mT4_P12ihipStream_tbEUlT_E_NS1_11comp_targetILNS1_3genE8ELNS1_11target_archE1030ELNS1_3gpuE2ELNS1_3repE0EEENS1_30default_config_static_selectorELNS0_4arch9wavefront6targetE1EEEvT1_,comdat
.Lfunc_end289:
	.size	_ZN7rocprim17ROCPRIM_400000_NS6detail17trampoline_kernelINS0_14default_configENS1_35adjacent_difference_config_selectorILb0ExEEZNS1_24adjacent_difference_implIS3_Lb0ELb0EPxS7_N6thrust23THRUST_200600_302600_NS4plusIxEEEE10hipError_tPvRmT2_T3_mT4_P12ihipStream_tbEUlT_E_NS1_11comp_targetILNS1_3genE8ELNS1_11target_archE1030ELNS1_3gpuE2ELNS1_3repE0EEENS1_30default_config_static_selectorELNS0_4arch9wavefront6targetE1EEEvT1_, .Lfunc_end289-_ZN7rocprim17ROCPRIM_400000_NS6detail17trampoline_kernelINS0_14default_configENS1_35adjacent_difference_config_selectorILb0ExEEZNS1_24adjacent_difference_implIS3_Lb0ELb0EPxS7_N6thrust23THRUST_200600_302600_NS4plusIxEEEE10hipError_tPvRmT2_T3_mT4_P12ihipStream_tbEUlT_E_NS1_11comp_targetILNS1_3genE8ELNS1_11target_archE1030ELNS1_3gpuE2ELNS1_3repE0EEENS1_30default_config_static_selectorELNS0_4arch9wavefront6targetE1EEEvT1_
                                        ; -- End function
	.set _ZN7rocprim17ROCPRIM_400000_NS6detail17trampoline_kernelINS0_14default_configENS1_35adjacent_difference_config_selectorILb0ExEEZNS1_24adjacent_difference_implIS3_Lb0ELb0EPxS7_N6thrust23THRUST_200600_302600_NS4plusIxEEEE10hipError_tPvRmT2_T3_mT4_P12ihipStream_tbEUlT_E_NS1_11comp_targetILNS1_3genE8ELNS1_11target_archE1030ELNS1_3gpuE2ELNS1_3repE0EEENS1_30default_config_static_selectorELNS0_4arch9wavefront6targetE1EEEvT1_.num_vgpr, 0
	.set _ZN7rocprim17ROCPRIM_400000_NS6detail17trampoline_kernelINS0_14default_configENS1_35adjacent_difference_config_selectorILb0ExEEZNS1_24adjacent_difference_implIS3_Lb0ELb0EPxS7_N6thrust23THRUST_200600_302600_NS4plusIxEEEE10hipError_tPvRmT2_T3_mT4_P12ihipStream_tbEUlT_E_NS1_11comp_targetILNS1_3genE8ELNS1_11target_archE1030ELNS1_3gpuE2ELNS1_3repE0EEENS1_30default_config_static_selectorELNS0_4arch9wavefront6targetE1EEEvT1_.num_agpr, 0
	.set _ZN7rocprim17ROCPRIM_400000_NS6detail17trampoline_kernelINS0_14default_configENS1_35adjacent_difference_config_selectorILb0ExEEZNS1_24adjacent_difference_implIS3_Lb0ELb0EPxS7_N6thrust23THRUST_200600_302600_NS4plusIxEEEE10hipError_tPvRmT2_T3_mT4_P12ihipStream_tbEUlT_E_NS1_11comp_targetILNS1_3genE8ELNS1_11target_archE1030ELNS1_3gpuE2ELNS1_3repE0EEENS1_30default_config_static_selectorELNS0_4arch9wavefront6targetE1EEEvT1_.numbered_sgpr, 0
	.set _ZN7rocprim17ROCPRIM_400000_NS6detail17trampoline_kernelINS0_14default_configENS1_35adjacent_difference_config_selectorILb0ExEEZNS1_24adjacent_difference_implIS3_Lb0ELb0EPxS7_N6thrust23THRUST_200600_302600_NS4plusIxEEEE10hipError_tPvRmT2_T3_mT4_P12ihipStream_tbEUlT_E_NS1_11comp_targetILNS1_3genE8ELNS1_11target_archE1030ELNS1_3gpuE2ELNS1_3repE0EEENS1_30default_config_static_selectorELNS0_4arch9wavefront6targetE1EEEvT1_.num_named_barrier, 0
	.set _ZN7rocprim17ROCPRIM_400000_NS6detail17trampoline_kernelINS0_14default_configENS1_35adjacent_difference_config_selectorILb0ExEEZNS1_24adjacent_difference_implIS3_Lb0ELb0EPxS7_N6thrust23THRUST_200600_302600_NS4plusIxEEEE10hipError_tPvRmT2_T3_mT4_P12ihipStream_tbEUlT_E_NS1_11comp_targetILNS1_3genE8ELNS1_11target_archE1030ELNS1_3gpuE2ELNS1_3repE0EEENS1_30default_config_static_selectorELNS0_4arch9wavefront6targetE1EEEvT1_.private_seg_size, 0
	.set _ZN7rocprim17ROCPRIM_400000_NS6detail17trampoline_kernelINS0_14default_configENS1_35adjacent_difference_config_selectorILb0ExEEZNS1_24adjacent_difference_implIS3_Lb0ELb0EPxS7_N6thrust23THRUST_200600_302600_NS4plusIxEEEE10hipError_tPvRmT2_T3_mT4_P12ihipStream_tbEUlT_E_NS1_11comp_targetILNS1_3genE8ELNS1_11target_archE1030ELNS1_3gpuE2ELNS1_3repE0EEENS1_30default_config_static_selectorELNS0_4arch9wavefront6targetE1EEEvT1_.uses_vcc, 0
	.set _ZN7rocprim17ROCPRIM_400000_NS6detail17trampoline_kernelINS0_14default_configENS1_35adjacent_difference_config_selectorILb0ExEEZNS1_24adjacent_difference_implIS3_Lb0ELb0EPxS7_N6thrust23THRUST_200600_302600_NS4plusIxEEEE10hipError_tPvRmT2_T3_mT4_P12ihipStream_tbEUlT_E_NS1_11comp_targetILNS1_3genE8ELNS1_11target_archE1030ELNS1_3gpuE2ELNS1_3repE0EEENS1_30default_config_static_selectorELNS0_4arch9wavefront6targetE1EEEvT1_.uses_flat_scratch, 0
	.set _ZN7rocprim17ROCPRIM_400000_NS6detail17trampoline_kernelINS0_14default_configENS1_35adjacent_difference_config_selectorILb0ExEEZNS1_24adjacent_difference_implIS3_Lb0ELb0EPxS7_N6thrust23THRUST_200600_302600_NS4plusIxEEEE10hipError_tPvRmT2_T3_mT4_P12ihipStream_tbEUlT_E_NS1_11comp_targetILNS1_3genE8ELNS1_11target_archE1030ELNS1_3gpuE2ELNS1_3repE0EEENS1_30default_config_static_selectorELNS0_4arch9wavefront6targetE1EEEvT1_.has_dyn_sized_stack, 0
	.set _ZN7rocprim17ROCPRIM_400000_NS6detail17trampoline_kernelINS0_14default_configENS1_35adjacent_difference_config_selectorILb0ExEEZNS1_24adjacent_difference_implIS3_Lb0ELb0EPxS7_N6thrust23THRUST_200600_302600_NS4plusIxEEEE10hipError_tPvRmT2_T3_mT4_P12ihipStream_tbEUlT_E_NS1_11comp_targetILNS1_3genE8ELNS1_11target_archE1030ELNS1_3gpuE2ELNS1_3repE0EEENS1_30default_config_static_selectorELNS0_4arch9wavefront6targetE1EEEvT1_.has_recursion, 0
	.set _ZN7rocprim17ROCPRIM_400000_NS6detail17trampoline_kernelINS0_14default_configENS1_35adjacent_difference_config_selectorILb0ExEEZNS1_24adjacent_difference_implIS3_Lb0ELb0EPxS7_N6thrust23THRUST_200600_302600_NS4plusIxEEEE10hipError_tPvRmT2_T3_mT4_P12ihipStream_tbEUlT_E_NS1_11comp_targetILNS1_3genE8ELNS1_11target_archE1030ELNS1_3gpuE2ELNS1_3repE0EEENS1_30default_config_static_selectorELNS0_4arch9wavefront6targetE1EEEvT1_.has_indirect_call, 0
	.section	.AMDGPU.csdata,"",@progbits
; Kernel info:
; codeLenInByte = 0
; TotalNumSgprs: 4
; NumVgprs: 0
; ScratchSize: 0
; MemoryBound: 0
; FloatMode: 240
; IeeeMode: 1
; LDSByteSize: 0 bytes/workgroup (compile time only)
; SGPRBlocks: 0
; VGPRBlocks: 0
; NumSGPRsForWavesPerEU: 4
; NumVGPRsForWavesPerEU: 1
; Occupancy: 10
; WaveLimiterHint : 0
; COMPUTE_PGM_RSRC2:SCRATCH_EN: 0
; COMPUTE_PGM_RSRC2:USER_SGPR: 6
; COMPUTE_PGM_RSRC2:TRAP_HANDLER: 0
; COMPUTE_PGM_RSRC2:TGID_X_EN: 1
; COMPUTE_PGM_RSRC2:TGID_Y_EN: 0
; COMPUTE_PGM_RSRC2:TGID_Z_EN: 0
; COMPUTE_PGM_RSRC2:TIDIG_COMP_CNT: 0
	.section	.text._ZN7rocprim17ROCPRIM_400000_NS6detail17trampoline_kernelINS0_14default_configENS1_25transform_config_selectorIxLb0EEEZNS1_14transform_implILb0ES3_S5_NS0_18transform_iteratorINS0_17counting_iteratorImlEEZNS1_24adjacent_difference_implIS3_Lb1ELb0EPxSB_N6thrust23THRUST_200600_302600_NS4plusIxEEEE10hipError_tPvRmT2_T3_mT4_P12ihipStream_tbEUlmE_xEESB_NS0_8identityIvEEEESG_SJ_SK_mSL_SN_bEUlT_E_NS1_11comp_targetILNS1_3genE0ELNS1_11target_archE4294967295ELNS1_3gpuE0ELNS1_3repE0EEENS1_30default_config_static_selectorELNS0_4arch9wavefront6targetE1EEEvT1_,"axG",@progbits,_ZN7rocprim17ROCPRIM_400000_NS6detail17trampoline_kernelINS0_14default_configENS1_25transform_config_selectorIxLb0EEEZNS1_14transform_implILb0ES3_S5_NS0_18transform_iteratorINS0_17counting_iteratorImlEEZNS1_24adjacent_difference_implIS3_Lb1ELb0EPxSB_N6thrust23THRUST_200600_302600_NS4plusIxEEEE10hipError_tPvRmT2_T3_mT4_P12ihipStream_tbEUlmE_xEESB_NS0_8identityIvEEEESG_SJ_SK_mSL_SN_bEUlT_E_NS1_11comp_targetILNS1_3genE0ELNS1_11target_archE4294967295ELNS1_3gpuE0ELNS1_3repE0EEENS1_30default_config_static_selectorELNS0_4arch9wavefront6targetE1EEEvT1_,comdat
	.protected	_ZN7rocprim17ROCPRIM_400000_NS6detail17trampoline_kernelINS0_14default_configENS1_25transform_config_selectorIxLb0EEEZNS1_14transform_implILb0ES3_S5_NS0_18transform_iteratorINS0_17counting_iteratorImlEEZNS1_24adjacent_difference_implIS3_Lb1ELb0EPxSB_N6thrust23THRUST_200600_302600_NS4plusIxEEEE10hipError_tPvRmT2_T3_mT4_P12ihipStream_tbEUlmE_xEESB_NS0_8identityIvEEEESG_SJ_SK_mSL_SN_bEUlT_E_NS1_11comp_targetILNS1_3genE0ELNS1_11target_archE4294967295ELNS1_3gpuE0ELNS1_3repE0EEENS1_30default_config_static_selectorELNS0_4arch9wavefront6targetE1EEEvT1_ ; -- Begin function _ZN7rocprim17ROCPRIM_400000_NS6detail17trampoline_kernelINS0_14default_configENS1_25transform_config_selectorIxLb0EEEZNS1_14transform_implILb0ES3_S5_NS0_18transform_iteratorINS0_17counting_iteratorImlEEZNS1_24adjacent_difference_implIS3_Lb1ELb0EPxSB_N6thrust23THRUST_200600_302600_NS4plusIxEEEE10hipError_tPvRmT2_T3_mT4_P12ihipStream_tbEUlmE_xEESB_NS0_8identityIvEEEESG_SJ_SK_mSL_SN_bEUlT_E_NS1_11comp_targetILNS1_3genE0ELNS1_11target_archE4294967295ELNS1_3gpuE0ELNS1_3repE0EEENS1_30default_config_static_selectorELNS0_4arch9wavefront6targetE1EEEvT1_
	.globl	_ZN7rocprim17ROCPRIM_400000_NS6detail17trampoline_kernelINS0_14default_configENS1_25transform_config_selectorIxLb0EEEZNS1_14transform_implILb0ES3_S5_NS0_18transform_iteratorINS0_17counting_iteratorImlEEZNS1_24adjacent_difference_implIS3_Lb1ELb0EPxSB_N6thrust23THRUST_200600_302600_NS4plusIxEEEE10hipError_tPvRmT2_T3_mT4_P12ihipStream_tbEUlmE_xEESB_NS0_8identityIvEEEESG_SJ_SK_mSL_SN_bEUlT_E_NS1_11comp_targetILNS1_3genE0ELNS1_11target_archE4294967295ELNS1_3gpuE0ELNS1_3repE0EEENS1_30default_config_static_selectorELNS0_4arch9wavefront6targetE1EEEvT1_
	.p2align	8
	.type	_ZN7rocprim17ROCPRIM_400000_NS6detail17trampoline_kernelINS0_14default_configENS1_25transform_config_selectorIxLb0EEEZNS1_14transform_implILb0ES3_S5_NS0_18transform_iteratorINS0_17counting_iteratorImlEEZNS1_24adjacent_difference_implIS3_Lb1ELb0EPxSB_N6thrust23THRUST_200600_302600_NS4plusIxEEEE10hipError_tPvRmT2_T3_mT4_P12ihipStream_tbEUlmE_xEESB_NS0_8identityIvEEEESG_SJ_SK_mSL_SN_bEUlT_E_NS1_11comp_targetILNS1_3genE0ELNS1_11target_archE4294967295ELNS1_3gpuE0ELNS1_3repE0EEENS1_30default_config_static_selectorELNS0_4arch9wavefront6targetE1EEEvT1_,@function
_ZN7rocprim17ROCPRIM_400000_NS6detail17trampoline_kernelINS0_14default_configENS1_25transform_config_selectorIxLb0EEEZNS1_14transform_implILb0ES3_S5_NS0_18transform_iteratorINS0_17counting_iteratorImlEEZNS1_24adjacent_difference_implIS3_Lb1ELb0EPxSB_N6thrust23THRUST_200600_302600_NS4plusIxEEEE10hipError_tPvRmT2_T3_mT4_P12ihipStream_tbEUlmE_xEESB_NS0_8identityIvEEEESG_SJ_SK_mSL_SN_bEUlT_E_NS1_11comp_targetILNS1_3genE0ELNS1_11target_archE4294967295ELNS1_3gpuE0ELNS1_3repE0EEENS1_30default_config_static_selectorELNS0_4arch9wavefront6targetE1EEEvT1_: ; @_ZN7rocprim17ROCPRIM_400000_NS6detail17trampoline_kernelINS0_14default_configENS1_25transform_config_selectorIxLb0EEEZNS1_14transform_implILb0ES3_S5_NS0_18transform_iteratorINS0_17counting_iteratorImlEEZNS1_24adjacent_difference_implIS3_Lb1ELb0EPxSB_N6thrust23THRUST_200600_302600_NS4plusIxEEEE10hipError_tPvRmT2_T3_mT4_P12ihipStream_tbEUlmE_xEESB_NS0_8identityIvEEEESG_SJ_SK_mSL_SN_bEUlT_E_NS1_11comp_targetILNS1_3genE0ELNS1_11target_archE4294967295ELNS1_3gpuE0ELNS1_3repE0EEENS1_30default_config_static_selectorELNS0_4arch9wavefront6targetE1EEEvT1_
; %bb.0:
	.section	.rodata,"a",@progbits
	.p2align	6, 0x0
	.amdhsa_kernel _ZN7rocprim17ROCPRIM_400000_NS6detail17trampoline_kernelINS0_14default_configENS1_25transform_config_selectorIxLb0EEEZNS1_14transform_implILb0ES3_S5_NS0_18transform_iteratorINS0_17counting_iteratorImlEEZNS1_24adjacent_difference_implIS3_Lb1ELb0EPxSB_N6thrust23THRUST_200600_302600_NS4plusIxEEEE10hipError_tPvRmT2_T3_mT4_P12ihipStream_tbEUlmE_xEESB_NS0_8identityIvEEEESG_SJ_SK_mSL_SN_bEUlT_E_NS1_11comp_targetILNS1_3genE0ELNS1_11target_archE4294967295ELNS1_3gpuE0ELNS1_3repE0EEENS1_30default_config_static_selectorELNS0_4arch9wavefront6targetE1EEEvT1_
		.amdhsa_group_segment_fixed_size 0
		.amdhsa_private_segment_fixed_size 0
		.amdhsa_kernarg_size 56
		.amdhsa_user_sgpr_count 6
		.amdhsa_user_sgpr_private_segment_buffer 1
		.amdhsa_user_sgpr_dispatch_ptr 0
		.amdhsa_user_sgpr_queue_ptr 0
		.amdhsa_user_sgpr_kernarg_segment_ptr 1
		.amdhsa_user_sgpr_dispatch_id 0
		.amdhsa_user_sgpr_flat_scratch_init 0
		.amdhsa_user_sgpr_private_segment_size 0
		.amdhsa_uses_dynamic_stack 0
		.amdhsa_system_sgpr_private_segment_wavefront_offset 0
		.amdhsa_system_sgpr_workgroup_id_x 1
		.amdhsa_system_sgpr_workgroup_id_y 0
		.amdhsa_system_sgpr_workgroup_id_z 0
		.amdhsa_system_sgpr_workgroup_info 0
		.amdhsa_system_vgpr_workitem_id 0
		.amdhsa_next_free_vgpr 1
		.amdhsa_next_free_sgpr 0
		.amdhsa_reserve_vcc 0
		.amdhsa_reserve_flat_scratch 0
		.amdhsa_float_round_mode_32 0
		.amdhsa_float_round_mode_16_64 0
		.amdhsa_float_denorm_mode_32 3
		.amdhsa_float_denorm_mode_16_64 3
		.amdhsa_dx10_clamp 1
		.amdhsa_ieee_mode 1
		.amdhsa_fp16_overflow 0
		.amdhsa_exception_fp_ieee_invalid_op 0
		.amdhsa_exception_fp_denorm_src 0
		.amdhsa_exception_fp_ieee_div_zero 0
		.amdhsa_exception_fp_ieee_overflow 0
		.amdhsa_exception_fp_ieee_underflow 0
		.amdhsa_exception_fp_ieee_inexact 0
		.amdhsa_exception_int_div_zero 0
	.end_amdhsa_kernel
	.section	.text._ZN7rocprim17ROCPRIM_400000_NS6detail17trampoline_kernelINS0_14default_configENS1_25transform_config_selectorIxLb0EEEZNS1_14transform_implILb0ES3_S5_NS0_18transform_iteratorINS0_17counting_iteratorImlEEZNS1_24adjacent_difference_implIS3_Lb1ELb0EPxSB_N6thrust23THRUST_200600_302600_NS4plusIxEEEE10hipError_tPvRmT2_T3_mT4_P12ihipStream_tbEUlmE_xEESB_NS0_8identityIvEEEESG_SJ_SK_mSL_SN_bEUlT_E_NS1_11comp_targetILNS1_3genE0ELNS1_11target_archE4294967295ELNS1_3gpuE0ELNS1_3repE0EEENS1_30default_config_static_selectorELNS0_4arch9wavefront6targetE1EEEvT1_,"axG",@progbits,_ZN7rocprim17ROCPRIM_400000_NS6detail17trampoline_kernelINS0_14default_configENS1_25transform_config_selectorIxLb0EEEZNS1_14transform_implILb0ES3_S5_NS0_18transform_iteratorINS0_17counting_iteratorImlEEZNS1_24adjacent_difference_implIS3_Lb1ELb0EPxSB_N6thrust23THRUST_200600_302600_NS4plusIxEEEE10hipError_tPvRmT2_T3_mT4_P12ihipStream_tbEUlmE_xEESB_NS0_8identityIvEEEESG_SJ_SK_mSL_SN_bEUlT_E_NS1_11comp_targetILNS1_3genE0ELNS1_11target_archE4294967295ELNS1_3gpuE0ELNS1_3repE0EEENS1_30default_config_static_selectorELNS0_4arch9wavefront6targetE1EEEvT1_,comdat
.Lfunc_end290:
	.size	_ZN7rocprim17ROCPRIM_400000_NS6detail17trampoline_kernelINS0_14default_configENS1_25transform_config_selectorIxLb0EEEZNS1_14transform_implILb0ES3_S5_NS0_18transform_iteratorINS0_17counting_iteratorImlEEZNS1_24adjacent_difference_implIS3_Lb1ELb0EPxSB_N6thrust23THRUST_200600_302600_NS4plusIxEEEE10hipError_tPvRmT2_T3_mT4_P12ihipStream_tbEUlmE_xEESB_NS0_8identityIvEEEESG_SJ_SK_mSL_SN_bEUlT_E_NS1_11comp_targetILNS1_3genE0ELNS1_11target_archE4294967295ELNS1_3gpuE0ELNS1_3repE0EEENS1_30default_config_static_selectorELNS0_4arch9wavefront6targetE1EEEvT1_, .Lfunc_end290-_ZN7rocprim17ROCPRIM_400000_NS6detail17trampoline_kernelINS0_14default_configENS1_25transform_config_selectorIxLb0EEEZNS1_14transform_implILb0ES3_S5_NS0_18transform_iteratorINS0_17counting_iteratorImlEEZNS1_24adjacent_difference_implIS3_Lb1ELb0EPxSB_N6thrust23THRUST_200600_302600_NS4plusIxEEEE10hipError_tPvRmT2_T3_mT4_P12ihipStream_tbEUlmE_xEESB_NS0_8identityIvEEEESG_SJ_SK_mSL_SN_bEUlT_E_NS1_11comp_targetILNS1_3genE0ELNS1_11target_archE4294967295ELNS1_3gpuE0ELNS1_3repE0EEENS1_30default_config_static_selectorELNS0_4arch9wavefront6targetE1EEEvT1_
                                        ; -- End function
	.set _ZN7rocprim17ROCPRIM_400000_NS6detail17trampoline_kernelINS0_14default_configENS1_25transform_config_selectorIxLb0EEEZNS1_14transform_implILb0ES3_S5_NS0_18transform_iteratorINS0_17counting_iteratorImlEEZNS1_24adjacent_difference_implIS3_Lb1ELb0EPxSB_N6thrust23THRUST_200600_302600_NS4plusIxEEEE10hipError_tPvRmT2_T3_mT4_P12ihipStream_tbEUlmE_xEESB_NS0_8identityIvEEEESG_SJ_SK_mSL_SN_bEUlT_E_NS1_11comp_targetILNS1_3genE0ELNS1_11target_archE4294967295ELNS1_3gpuE0ELNS1_3repE0EEENS1_30default_config_static_selectorELNS0_4arch9wavefront6targetE1EEEvT1_.num_vgpr, 0
	.set _ZN7rocprim17ROCPRIM_400000_NS6detail17trampoline_kernelINS0_14default_configENS1_25transform_config_selectorIxLb0EEEZNS1_14transform_implILb0ES3_S5_NS0_18transform_iteratorINS0_17counting_iteratorImlEEZNS1_24adjacent_difference_implIS3_Lb1ELb0EPxSB_N6thrust23THRUST_200600_302600_NS4plusIxEEEE10hipError_tPvRmT2_T3_mT4_P12ihipStream_tbEUlmE_xEESB_NS0_8identityIvEEEESG_SJ_SK_mSL_SN_bEUlT_E_NS1_11comp_targetILNS1_3genE0ELNS1_11target_archE4294967295ELNS1_3gpuE0ELNS1_3repE0EEENS1_30default_config_static_selectorELNS0_4arch9wavefront6targetE1EEEvT1_.num_agpr, 0
	.set _ZN7rocprim17ROCPRIM_400000_NS6detail17trampoline_kernelINS0_14default_configENS1_25transform_config_selectorIxLb0EEEZNS1_14transform_implILb0ES3_S5_NS0_18transform_iteratorINS0_17counting_iteratorImlEEZNS1_24adjacent_difference_implIS3_Lb1ELb0EPxSB_N6thrust23THRUST_200600_302600_NS4plusIxEEEE10hipError_tPvRmT2_T3_mT4_P12ihipStream_tbEUlmE_xEESB_NS0_8identityIvEEEESG_SJ_SK_mSL_SN_bEUlT_E_NS1_11comp_targetILNS1_3genE0ELNS1_11target_archE4294967295ELNS1_3gpuE0ELNS1_3repE0EEENS1_30default_config_static_selectorELNS0_4arch9wavefront6targetE1EEEvT1_.numbered_sgpr, 0
	.set _ZN7rocprim17ROCPRIM_400000_NS6detail17trampoline_kernelINS0_14default_configENS1_25transform_config_selectorIxLb0EEEZNS1_14transform_implILb0ES3_S5_NS0_18transform_iteratorINS0_17counting_iteratorImlEEZNS1_24adjacent_difference_implIS3_Lb1ELb0EPxSB_N6thrust23THRUST_200600_302600_NS4plusIxEEEE10hipError_tPvRmT2_T3_mT4_P12ihipStream_tbEUlmE_xEESB_NS0_8identityIvEEEESG_SJ_SK_mSL_SN_bEUlT_E_NS1_11comp_targetILNS1_3genE0ELNS1_11target_archE4294967295ELNS1_3gpuE0ELNS1_3repE0EEENS1_30default_config_static_selectorELNS0_4arch9wavefront6targetE1EEEvT1_.num_named_barrier, 0
	.set _ZN7rocprim17ROCPRIM_400000_NS6detail17trampoline_kernelINS0_14default_configENS1_25transform_config_selectorIxLb0EEEZNS1_14transform_implILb0ES3_S5_NS0_18transform_iteratorINS0_17counting_iteratorImlEEZNS1_24adjacent_difference_implIS3_Lb1ELb0EPxSB_N6thrust23THRUST_200600_302600_NS4plusIxEEEE10hipError_tPvRmT2_T3_mT4_P12ihipStream_tbEUlmE_xEESB_NS0_8identityIvEEEESG_SJ_SK_mSL_SN_bEUlT_E_NS1_11comp_targetILNS1_3genE0ELNS1_11target_archE4294967295ELNS1_3gpuE0ELNS1_3repE0EEENS1_30default_config_static_selectorELNS0_4arch9wavefront6targetE1EEEvT1_.private_seg_size, 0
	.set _ZN7rocprim17ROCPRIM_400000_NS6detail17trampoline_kernelINS0_14default_configENS1_25transform_config_selectorIxLb0EEEZNS1_14transform_implILb0ES3_S5_NS0_18transform_iteratorINS0_17counting_iteratorImlEEZNS1_24adjacent_difference_implIS3_Lb1ELb0EPxSB_N6thrust23THRUST_200600_302600_NS4plusIxEEEE10hipError_tPvRmT2_T3_mT4_P12ihipStream_tbEUlmE_xEESB_NS0_8identityIvEEEESG_SJ_SK_mSL_SN_bEUlT_E_NS1_11comp_targetILNS1_3genE0ELNS1_11target_archE4294967295ELNS1_3gpuE0ELNS1_3repE0EEENS1_30default_config_static_selectorELNS0_4arch9wavefront6targetE1EEEvT1_.uses_vcc, 0
	.set _ZN7rocprim17ROCPRIM_400000_NS6detail17trampoline_kernelINS0_14default_configENS1_25transform_config_selectorIxLb0EEEZNS1_14transform_implILb0ES3_S5_NS0_18transform_iteratorINS0_17counting_iteratorImlEEZNS1_24adjacent_difference_implIS3_Lb1ELb0EPxSB_N6thrust23THRUST_200600_302600_NS4plusIxEEEE10hipError_tPvRmT2_T3_mT4_P12ihipStream_tbEUlmE_xEESB_NS0_8identityIvEEEESG_SJ_SK_mSL_SN_bEUlT_E_NS1_11comp_targetILNS1_3genE0ELNS1_11target_archE4294967295ELNS1_3gpuE0ELNS1_3repE0EEENS1_30default_config_static_selectorELNS0_4arch9wavefront6targetE1EEEvT1_.uses_flat_scratch, 0
	.set _ZN7rocprim17ROCPRIM_400000_NS6detail17trampoline_kernelINS0_14default_configENS1_25transform_config_selectorIxLb0EEEZNS1_14transform_implILb0ES3_S5_NS0_18transform_iteratorINS0_17counting_iteratorImlEEZNS1_24adjacent_difference_implIS3_Lb1ELb0EPxSB_N6thrust23THRUST_200600_302600_NS4plusIxEEEE10hipError_tPvRmT2_T3_mT4_P12ihipStream_tbEUlmE_xEESB_NS0_8identityIvEEEESG_SJ_SK_mSL_SN_bEUlT_E_NS1_11comp_targetILNS1_3genE0ELNS1_11target_archE4294967295ELNS1_3gpuE0ELNS1_3repE0EEENS1_30default_config_static_selectorELNS0_4arch9wavefront6targetE1EEEvT1_.has_dyn_sized_stack, 0
	.set _ZN7rocprim17ROCPRIM_400000_NS6detail17trampoline_kernelINS0_14default_configENS1_25transform_config_selectorIxLb0EEEZNS1_14transform_implILb0ES3_S5_NS0_18transform_iteratorINS0_17counting_iteratorImlEEZNS1_24adjacent_difference_implIS3_Lb1ELb0EPxSB_N6thrust23THRUST_200600_302600_NS4plusIxEEEE10hipError_tPvRmT2_T3_mT4_P12ihipStream_tbEUlmE_xEESB_NS0_8identityIvEEEESG_SJ_SK_mSL_SN_bEUlT_E_NS1_11comp_targetILNS1_3genE0ELNS1_11target_archE4294967295ELNS1_3gpuE0ELNS1_3repE0EEENS1_30default_config_static_selectorELNS0_4arch9wavefront6targetE1EEEvT1_.has_recursion, 0
	.set _ZN7rocprim17ROCPRIM_400000_NS6detail17trampoline_kernelINS0_14default_configENS1_25transform_config_selectorIxLb0EEEZNS1_14transform_implILb0ES3_S5_NS0_18transform_iteratorINS0_17counting_iteratorImlEEZNS1_24adjacent_difference_implIS3_Lb1ELb0EPxSB_N6thrust23THRUST_200600_302600_NS4plusIxEEEE10hipError_tPvRmT2_T3_mT4_P12ihipStream_tbEUlmE_xEESB_NS0_8identityIvEEEESG_SJ_SK_mSL_SN_bEUlT_E_NS1_11comp_targetILNS1_3genE0ELNS1_11target_archE4294967295ELNS1_3gpuE0ELNS1_3repE0EEENS1_30default_config_static_selectorELNS0_4arch9wavefront6targetE1EEEvT1_.has_indirect_call, 0
	.section	.AMDGPU.csdata,"",@progbits
; Kernel info:
; codeLenInByte = 0
; TotalNumSgprs: 4
; NumVgprs: 0
; ScratchSize: 0
; MemoryBound: 0
; FloatMode: 240
; IeeeMode: 1
; LDSByteSize: 0 bytes/workgroup (compile time only)
; SGPRBlocks: 0
; VGPRBlocks: 0
; NumSGPRsForWavesPerEU: 4
; NumVGPRsForWavesPerEU: 1
; Occupancy: 10
; WaveLimiterHint : 0
; COMPUTE_PGM_RSRC2:SCRATCH_EN: 0
; COMPUTE_PGM_RSRC2:USER_SGPR: 6
; COMPUTE_PGM_RSRC2:TRAP_HANDLER: 0
; COMPUTE_PGM_RSRC2:TGID_X_EN: 1
; COMPUTE_PGM_RSRC2:TGID_Y_EN: 0
; COMPUTE_PGM_RSRC2:TGID_Z_EN: 0
; COMPUTE_PGM_RSRC2:TIDIG_COMP_CNT: 0
	.section	.text._ZN7rocprim17ROCPRIM_400000_NS6detail17trampoline_kernelINS0_14default_configENS1_25transform_config_selectorIxLb0EEEZNS1_14transform_implILb0ES3_S5_NS0_18transform_iteratorINS0_17counting_iteratorImlEEZNS1_24adjacent_difference_implIS3_Lb1ELb0EPxSB_N6thrust23THRUST_200600_302600_NS4plusIxEEEE10hipError_tPvRmT2_T3_mT4_P12ihipStream_tbEUlmE_xEESB_NS0_8identityIvEEEESG_SJ_SK_mSL_SN_bEUlT_E_NS1_11comp_targetILNS1_3genE5ELNS1_11target_archE942ELNS1_3gpuE9ELNS1_3repE0EEENS1_30default_config_static_selectorELNS0_4arch9wavefront6targetE1EEEvT1_,"axG",@progbits,_ZN7rocprim17ROCPRIM_400000_NS6detail17trampoline_kernelINS0_14default_configENS1_25transform_config_selectorIxLb0EEEZNS1_14transform_implILb0ES3_S5_NS0_18transform_iteratorINS0_17counting_iteratorImlEEZNS1_24adjacent_difference_implIS3_Lb1ELb0EPxSB_N6thrust23THRUST_200600_302600_NS4plusIxEEEE10hipError_tPvRmT2_T3_mT4_P12ihipStream_tbEUlmE_xEESB_NS0_8identityIvEEEESG_SJ_SK_mSL_SN_bEUlT_E_NS1_11comp_targetILNS1_3genE5ELNS1_11target_archE942ELNS1_3gpuE9ELNS1_3repE0EEENS1_30default_config_static_selectorELNS0_4arch9wavefront6targetE1EEEvT1_,comdat
	.protected	_ZN7rocprim17ROCPRIM_400000_NS6detail17trampoline_kernelINS0_14default_configENS1_25transform_config_selectorIxLb0EEEZNS1_14transform_implILb0ES3_S5_NS0_18transform_iteratorINS0_17counting_iteratorImlEEZNS1_24adjacent_difference_implIS3_Lb1ELb0EPxSB_N6thrust23THRUST_200600_302600_NS4plusIxEEEE10hipError_tPvRmT2_T3_mT4_P12ihipStream_tbEUlmE_xEESB_NS0_8identityIvEEEESG_SJ_SK_mSL_SN_bEUlT_E_NS1_11comp_targetILNS1_3genE5ELNS1_11target_archE942ELNS1_3gpuE9ELNS1_3repE0EEENS1_30default_config_static_selectorELNS0_4arch9wavefront6targetE1EEEvT1_ ; -- Begin function _ZN7rocprim17ROCPRIM_400000_NS6detail17trampoline_kernelINS0_14default_configENS1_25transform_config_selectorIxLb0EEEZNS1_14transform_implILb0ES3_S5_NS0_18transform_iteratorINS0_17counting_iteratorImlEEZNS1_24adjacent_difference_implIS3_Lb1ELb0EPxSB_N6thrust23THRUST_200600_302600_NS4plusIxEEEE10hipError_tPvRmT2_T3_mT4_P12ihipStream_tbEUlmE_xEESB_NS0_8identityIvEEEESG_SJ_SK_mSL_SN_bEUlT_E_NS1_11comp_targetILNS1_3genE5ELNS1_11target_archE942ELNS1_3gpuE9ELNS1_3repE0EEENS1_30default_config_static_selectorELNS0_4arch9wavefront6targetE1EEEvT1_
	.globl	_ZN7rocprim17ROCPRIM_400000_NS6detail17trampoline_kernelINS0_14default_configENS1_25transform_config_selectorIxLb0EEEZNS1_14transform_implILb0ES3_S5_NS0_18transform_iteratorINS0_17counting_iteratorImlEEZNS1_24adjacent_difference_implIS3_Lb1ELb0EPxSB_N6thrust23THRUST_200600_302600_NS4plusIxEEEE10hipError_tPvRmT2_T3_mT4_P12ihipStream_tbEUlmE_xEESB_NS0_8identityIvEEEESG_SJ_SK_mSL_SN_bEUlT_E_NS1_11comp_targetILNS1_3genE5ELNS1_11target_archE942ELNS1_3gpuE9ELNS1_3repE0EEENS1_30default_config_static_selectorELNS0_4arch9wavefront6targetE1EEEvT1_
	.p2align	8
	.type	_ZN7rocprim17ROCPRIM_400000_NS6detail17trampoline_kernelINS0_14default_configENS1_25transform_config_selectorIxLb0EEEZNS1_14transform_implILb0ES3_S5_NS0_18transform_iteratorINS0_17counting_iteratorImlEEZNS1_24adjacent_difference_implIS3_Lb1ELb0EPxSB_N6thrust23THRUST_200600_302600_NS4plusIxEEEE10hipError_tPvRmT2_T3_mT4_P12ihipStream_tbEUlmE_xEESB_NS0_8identityIvEEEESG_SJ_SK_mSL_SN_bEUlT_E_NS1_11comp_targetILNS1_3genE5ELNS1_11target_archE942ELNS1_3gpuE9ELNS1_3repE0EEENS1_30default_config_static_selectorELNS0_4arch9wavefront6targetE1EEEvT1_,@function
_ZN7rocprim17ROCPRIM_400000_NS6detail17trampoline_kernelINS0_14default_configENS1_25transform_config_selectorIxLb0EEEZNS1_14transform_implILb0ES3_S5_NS0_18transform_iteratorINS0_17counting_iteratorImlEEZNS1_24adjacent_difference_implIS3_Lb1ELb0EPxSB_N6thrust23THRUST_200600_302600_NS4plusIxEEEE10hipError_tPvRmT2_T3_mT4_P12ihipStream_tbEUlmE_xEESB_NS0_8identityIvEEEESG_SJ_SK_mSL_SN_bEUlT_E_NS1_11comp_targetILNS1_3genE5ELNS1_11target_archE942ELNS1_3gpuE9ELNS1_3repE0EEENS1_30default_config_static_selectorELNS0_4arch9wavefront6targetE1EEEvT1_: ; @_ZN7rocprim17ROCPRIM_400000_NS6detail17trampoline_kernelINS0_14default_configENS1_25transform_config_selectorIxLb0EEEZNS1_14transform_implILb0ES3_S5_NS0_18transform_iteratorINS0_17counting_iteratorImlEEZNS1_24adjacent_difference_implIS3_Lb1ELb0EPxSB_N6thrust23THRUST_200600_302600_NS4plusIxEEEE10hipError_tPvRmT2_T3_mT4_P12ihipStream_tbEUlmE_xEESB_NS0_8identityIvEEEESG_SJ_SK_mSL_SN_bEUlT_E_NS1_11comp_targetILNS1_3genE5ELNS1_11target_archE942ELNS1_3gpuE9ELNS1_3repE0EEENS1_30default_config_static_selectorELNS0_4arch9wavefront6targetE1EEEvT1_
; %bb.0:
	.section	.rodata,"a",@progbits
	.p2align	6, 0x0
	.amdhsa_kernel _ZN7rocprim17ROCPRIM_400000_NS6detail17trampoline_kernelINS0_14default_configENS1_25transform_config_selectorIxLb0EEEZNS1_14transform_implILb0ES3_S5_NS0_18transform_iteratorINS0_17counting_iteratorImlEEZNS1_24adjacent_difference_implIS3_Lb1ELb0EPxSB_N6thrust23THRUST_200600_302600_NS4plusIxEEEE10hipError_tPvRmT2_T3_mT4_P12ihipStream_tbEUlmE_xEESB_NS0_8identityIvEEEESG_SJ_SK_mSL_SN_bEUlT_E_NS1_11comp_targetILNS1_3genE5ELNS1_11target_archE942ELNS1_3gpuE9ELNS1_3repE0EEENS1_30default_config_static_selectorELNS0_4arch9wavefront6targetE1EEEvT1_
		.amdhsa_group_segment_fixed_size 0
		.amdhsa_private_segment_fixed_size 0
		.amdhsa_kernarg_size 56
		.amdhsa_user_sgpr_count 6
		.amdhsa_user_sgpr_private_segment_buffer 1
		.amdhsa_user_sgpr_dispatch_ptr 0
		.amdhsa_user_sgpr_queue_ptr 0
		.amdhsa_user_sgpr_kernarg_segment_ptr 1
		.amdhsa_user_sgpr_dispatch_id 0
		.amdhsa_user_sgpr_flat_scratch_init 0
		.amdhsa_user_sgpr_private_segment_size 0
		.amdhsa_uses_dynamic_stack 0
		.amdhsa_system_sgpr_private_segment_wavefront_offset 0
		.amdhsa_system_sgpr_workgroup_id_x 1
		.amdhsa_system_sgpr_workgroup_id_y 0
		.amdhsa_system_sgpr_workgroup_id_z 0
		.amdhsa_system_sgpr_workgroup_info 0
		.amdhsa_system_vgpr_workitem_id 0
		.amdhsa_next_free_vgpr 1
		.amdhsa_next_free_sgpr 0
		.amdhsa_reserve_vcc 0
		.amdhsa_reserve_flat_scratch 0
		.amdhsa_float_round_mode_32 0
		.amdhsa_float_round_mode_16_64 0
		.amdhsa_float_denorm_mode_32 3
		.amdhsa_float_denorm_mode_16_64 3
		.amdhsa_dx10_clamp 1
		.amdhsa_ieee_mode 1
		.amdhsa_fp16_overflow 0
		.amdhsa_exception_fp_ieee_invalid_op 0
		.amdhsa_exception_fp_denorm_src 0
		.amdhsa_exception_fp_ieee_div_zero 0
		.amdhsa_exception_fp_ieee_overflow 0
		.amdhsa_exception_fp_ieee_underflow 0
		.amdhsa_exception_fp_ieee_inexact 0
		.amdhsa_exception_int_div_zero 0
	.end_amdhsa_kernel
	.section	.text._ZN7rocprim17ROCPRIM_400000_NS6detail17trampoline_kernelINS0_14default_configENS1_25transform_config_selectorIxLb0EEEZNS1_14transform_implILb0ES3_S5_NS0_18transform_iteratorINS0_17counting_iteratorImlEEZNS1_24adjacent_difference_implIS3_Lb1ELb0EPxSB_N6thrust23THRUST_200600_302600_NS4plusIxEEEE10hipError_tPvRmT2_T3_mT4_P12ihipStream_tbEUlmE_xEESB_NS0_8identityIvEEEESG_SJ_SK_mSL_SN_bEUlT_E_NS1_11comp_targetILNS1_3genE5ELNS1_11target_archE942ELNS1_3gpuE9ELNS1_3repE0EEENS1_30default_config_static_selectorELNS0_4arch9wavefront6targetE1EEEvT1_,"axG",@progbits,_ZN7rocprim17ROCPRIM_400000_NS6detail17trampoline_kernelINS0_14default_configENS1_25transform_config_selectorIxLb0EEEZNS1_14transform_implILb0ES3_S5_NS0_18transform_iteratorINS0_17counting_iteratorImlEEZNS1_24adjacent_difference_implIS3_Lb1ELb0EPxSB_N6thrust23THRUST_200600_302600_NS4plusIxEEEE10hipError_tPvRmT2_T3_mT4_P12ihipStream_tbEUlmE_xEESB_NS0_8identityIvEEEESG_SJ_SK_mSL_SN_bEUlT_E_NS1_11comp_targetILNS1_3genE5ELNS1_11target_archE942ELNS1_3gpuE9ELNS1_3repE0EEENS1_30default_config_static_selectorELNS0_4arch9wavefront6targetE1EEEvT1_,comdat
.Lfunc_end291:
	.size	_ZN7rocprim17ROCPRIM_400000_NS6detail17trampoline_kernelINS0_14default_configENS1_25transform_config_selectorIxLb0EEEZNS1_14transform_implILb0ES3_S5_NS0_18transform_iteratorINS0_17counting_iteratorImlEEZNS1_24adjacent_difference_implIS3_Lb1ELb0EPxSB_N6thrust23THRUST_200600_302600_NS4plusIxEEEE10hipError_tPvRmT2_T3_mT4_P12ihipStream_tbEUlmE_xEESB_NS0_8identityIvEEEESG_SJ_SK_mSL_SN_bEUlT_E_NS1_11comp_targetILNS1_3genE5ELNS1_11target_archE942ELNS1_3gpuE9ELNS1_3repE0EEENS1_30default_config_static_selectorELNS0_4arch9wavefront6targetE1EEEvT1_, .Lfunc_end291-_ZN7rocprim17ROCPRIM_400000_NS6detail17trampoline_kernelINS0_14default_configENS1_25transform_config_selectorIxLb0EEEZNS1_14transform_implILb0ES3_S5_NS0_18transform_iteratorINS0_17counting_iteratorImlEEZNS1_24adjacent_difference_implIS3_Lb1ELb0EPxSB_N6thrust23THRUST_200600_302600_NS4plusIxEEEE10hipError_tPvRmT2_T3_mT4_P12ihipStream_tbEUlmE_xEESB_NS0_8identityIvEEEESG_SJ_SK_mSL_SN_bEUlT_E_NS1_11comp_targetILNS1_3genE5ELNS1_11target_archE942ELNS1_3gpuE9ELNS1_3repE0EEENS1_30default_config_static_selectorELNS0_4arch9wavefront6targetE1EEEvT1_
                                        ; -- End function
	.set _ZN7rocprim17ROCPRIM_400000_NS6detail17trampoline_kernelINS0_14default_configENS1_25transform_config_selectorIxLb0EEEZNS1_14transform_implILb0ES3_S5_NS0_18transform_iteratorINS0_17counting_iteratorImlEEZNS1_24adjacent_difference_implIS3_Lb1ELb0EPxSB_N6thrust23THRUST_200600_302600_NS4plusIxEEEE10hipError_tPvRmT2_T3_mT4_P12ihipStream_tbEUlmE_xEESB_NS0_8identityIvEEEESG_SJ_SK_mSL_SN_bEUlT_E_NS1_11comp_targetILNS1_3genE5ELNS1_11target_archE942ELNS1_3gpuE9ELNS1_3repE0EEENS1_30default_config_static_selectorELNS0_4arch9wavefront6targetE1EEEvT1_.num_vgpr, 0
	.set _ZN7rocprim17ROCPRIM_400000_NS6detail17trampoline_kernelINS0_14default_configENS1_25transform_config_selectorIxLb0EEEZNS1_14transform_implILb0ES3_S5_NS0_18transform_iteratorINS0_17counting_iteratorImlEEZNS1_24adjacent_difference_implIS3_Lb1ELb0EPxSB_N6thrust23THRUST_200600_302600_NS4plusIxEEEE10hipError_tPvRmT2_T3_mT4_P12ihipStream_tbEUlmE_xEESB_NS0_8identityIvEEEESG_SJ_SK_mSL_SN_bEUlT_E_NS1_11comp_targetILNS1_3genE5ELNS1_11target_archE942ELNS1_3gpuE9ELNS1_3repE0EEENS1_30default_config_static_selectorELNS0_4arch9wavefront6targetE1EEEvT1_.num_agpr, 0
	.set _ZN7rocprim17ROCPRIM_400000_NS6detail17trampoline_kernelINS0_14default_configENS1_25transform_config_selectorIxLb0EEEZNS1_14transform_implILb0ES3_S5_NS0_18transform_iteratorINS0_17counting_iteratorImlEEZNS1_24adjacent_difference_implIS3_Lb1ELb0EPxSB_N6thrust23THRUST_200600_302600_NS4plusIxEEEE10hipError_tPvRmT2_T3_mT4_P12ihipStream_tbEUlmE_xEESB_NS0_8identityIvEEEESG_SJ_SK_mSL_SN_bEUlT_E_NS1_11comp_targetILNS1_3genE5ELNS1_11target_archE942ELNS1_3gpuE9ELNS1_3repE0EEENS1_30default_config_static_selectorELNS0_4arch9wavefront6targetE1EEEvT1_.numbered_sgpr, 0
	.set _ZN7rocprim17ROCPRIM_400000_NS6detail17trampoline_kernelINS0_14default_configENS1_25transform_config_selectorIxLb0EEEZNS1_14transform_implILb0ES3_S5_NS0_18transform_iteratorINS0_17counting_iteratorImlEEZNS1_24adjacent_difference_implIS3_Lb1ELb0EPxSB_N6thrust23THRUST_200600_302600_NS4plusIxEEEE10hipError_tPvRmT2_T3_mT4_P12ihipStream_tbEUlmE_xEESB_NS0_8identityIvEEEESG_SJ_SK_mSL_SN_bEUlT_E_NS1_11comp_targetILNS1_3genE5ELNS1_11target_archE942ELNS1_3gpuE9ELNS1_3repE0EEENS1_30default_config_static_selectorELNS0_4arch9wavefront6targetE1EEEvT1_.num_named_barrier, 0
	.set _ZN7rocprim17ROCPRIM_400000_NS6detail17trampoline_kernelINS0_14default_configENS1_25transform_config_selectorIxLb0EEEZNS1_14transform_implILb0ES3_S5_NS0_18transform_iteratorINS0_17counting_iteratorImlEEZNS1_24adjacent_difference_implIS3_Lb1ELb0EPxSB_N6thrust23THRUST_200600_302600_NS4plusIxEEEE10hipError_tPvRmT2_T3_mT4_P12ihipStream_tbEUlmE_xEESB_NS0_8identityIvEEEESG_SJ_SK_mSL_SN_bEUlT_E_NS1_11comp_targetILNS1_3genE5ELNS1_11target_archE942ELNS1_3gpuE9ELNS1_3repE0EEENS1_30default_config_static_selectorELNS0_4arch9wavefront6targetE1EEEvT1_.private_seg_size, 0
	.set _ZN7rocprim17ROCPRIM_400000_NS6detail17trampoline_kernelINS0_14default_configENS1_25transform_config_selectorIxLb0EEEZNS1_14transform_implILb0ES3_S5_NS0_18transform_iteratorINS0_17counting_iteratorImlEEZNS1_24adjacent_difference_implIS3_Lb1ELb0EPxSB_N6thrust23THRUST_200600_302600_NS4plusIxEEEE10hipError_tPvRmT2_T3_mT4_P12ihipStream_tbEUlmE_xEESB_NS0_8identityIvEEEESG_SJ_SK_mSL_SN_bEUlT_E_NS1_11comp_targetILNS1_3genE5ELNS1_11target_archE942ELNS1_3gpuE9ELNS1_3repE0EEENS1_30default_config_static_selectorELNS0_4arch9wavefront6targetE1EEEvT1_.uses_vcc, 0
	.set _ZN7rocprim17ROCPRIM_400000_NS6detail17trampoline_kernelINS0_14default_configENS1_25transform_config_selectorIxLb0EEEZNS1_14transform_implILb0ES3_S5_NS0_18transform_iteratorINS0_17counting_iteratorImlEEZNS1_24adjacent_difference_implIS3_Lb1ELb0EPxSB_N6thrust23THRUST_200600_302600_NS4plusIxEEEE10hipError_tPvRmT2_T3_mT4_P12ihipStream_tbEUlmE_xEESB_NS0_8identityIvEEEESG_SJ_SK_mSL_SN_bEUlT_E_NS1_11comp_targetILNS1_3genE5ELNS1_11target_archE942ELNS1_3gpuE9ELNS1_3repE0EEENS1_30default_config_static_selectorELNS0_4arch9wavefront6targetE1EEEvT1_.uses_flat_scratch, 0
	.set _ZN7rocprim17ROCPRIM_400000_NS6detail17trampoline_kernelINS0_14default_configENS1_25transform_config_selectorIxLb0EEEZNS1_14transform_implILb0ES3_S5_NS0_18transform_iteratorINS0_17counting_iteratorImlEEZNS1_24adjacent_difference_implIS3_Lb1ELb0EPxSB_N6thrust23THRUST_200600_302600_NS4plusIxEEEE10hipError_tPvRmT2_T3_mT4_P12ihipStream_tbEUlmE_xEESB_NS0_8identityIvEEEESG_SJ_SK_mSL_SN_bEUlT_E_NS1_11comp_targetILNS1_3genE5ELNS1_11target_archE942ELNS1_3gpuE9ELNS1_3repE0EEENS1_30default_config_static_selectorELNS0_4arch9wavefront6targetE1EEEvT1_.has_dyn_sized_stack, 0
	.set _ZN7rocprim17ROCPRIM_400000_NS6detail17trampoline_kernelINS0_14default_configENS1_25transform_config_selectorIxLb0EEEZNS1_14transform_implILb0ES3_S5_NS0_18transform_iteratorINS0_17counting_iteratorImlEEZNS1_24adjacent_difference_implIS3_Lb1ELb0EPxSB_N6thrust23THRUST_200600_302600_NS4plusIxEEEE10hipError_tPvRmT2_T3_mT4_P12ihipStream_tbEUlmE_xEESB_NS0_8identityIvEEEESG_SJ_SK_mSL_SN_bEUlT_E_NS1_11comp_targetILNS1_3genE5ELNS1_11target_archE942ELNS1_3gpuE9ELNS1_3repE0EEENS1_30default_config_static_selectorELNS0_4arch9wavefront6targetE1EEEvT1_.has_recursion, 0
	.set _ZN7rocprim17ROCPRIM_400000_NS6detail17trampoline_kernelINS0_14default_configENS1_25transform_config_selectorIxLb0EEEZNS1_14transform_implILb0ES3_S5_NS0_18transform_iteratorINS0_17counting_iteratorImlEEZNS1_24adjacent_difference_implIS3_Lb1ELb0EPxSB_N6thrust23THRUST_200600_302600_NS4plusIxEEEE10hipError_tPvRmT2_T3_mT4_P12ihipStream_tbEUlmE_xEESB_NS0_8identityIvEEEESG_SJ_SK_mSL_SN_bEUlT_E_NS1_11comp_targetILNS1_3genE5ELNS1_11target_archE942ELNS1_3gpuE9ELNS1_3repE0EEENS1_30default_config_static_selectorELNS0_4arch9wavefront6targetE1EEEvT1_.has_indirect_call, 0
	.section	.AMDGPU.csdata,"",@progbits
; Kernel info:
; codeLenInByte = 0
; TotalNumSgprs: 4
; NumVgprs: 0
; ScratchSize: 0
; MemoryBound: 0
; FloatMode: 240
; IeeeMode: 1
; LDSByteSize: 0 bytes/workgroup (compile time only)
; SGPRBlocks: 0
; VGPRBlocks: 0
; NumSGPRsForWavesPerEU: 4
; NumVGPRsForWavesPerEU: 1
; Occupancy: 10
; WaveLimiterHint : 0
; COMPUTE_PGM_RSRC2:SCRATCH_EN: 0
; COMPUTE_PGM_RSRC2:USER_SGPR: 6
; COMPUTE_PGM_RSRC2:TRAP_HANDLER: 0
; COMPUTE_PGM_RSRC2:TGID_X_EN: 1
; COMPUTE_PGM_RSRC2:TGID_Y_EN: 0
; COMPUTE_PGM_RSRC2:TGID_Z_EN: 0
; COMPUTE_PGM_RSRC2:TIDIG_COMP_CNT: 0
	.section	.text._ZN7rocprim17ROCPRIM_400000_NS6detail17trampoline_kernelINS0_14default_configENS1_25transform_config_selectorIxLb0EEEZNS1_14transform_implILb0ES3_S5_NS0_18transform_iteratorINS0_17counting_iteratorImlEEZNS1_24adjacent_difference_implIS3_Lb1ELb0EPxSB_N6thrust23THRUST_200600_302600_NS4plusIxEEEE10hipError_tPvRmT2_T3_mT4_P12ihipStream_tbEUlmE_xEESB_NS0_8identityIvEEEESG_SJ_SK_mSL_SN_bEUlT_E_NS1_11comp_targetILNS1_3genE4ELNS1_11target_archE910ELNS1_3gpuE8ELNS1_3repE0EEENS1_30default_config_static_selectorELNS0_4arch9wavefront6targetE1EEEvT1_,"axG",@progbits,_ZN7rocprim17ROCPRIM_400000_NS6detail17trampoline_kernelINS0_14default_configENS1_25transform_config_selectorIxLb0EEEZNS1_14transform_implILb0ES3_S5_NS0_18transform_iteratorINS0_17counting_iteratorImlEEZNS1_24adjacent_difference_implIS3_Lb1ELb0EPxSB_N6thrust23THRUST_200600_302600_NS4plusIxEEEE10hipError_tPvRmT2_T3_mT4_P12ihipStream_tbEUlmE_xEESB_NS0_8identityIvEEEESG_SJ_SK_mSL_SN_bEUlT_E_NS1_11comp_targetILNS1_3genE4ELNS1_11target_archE910ELNS1_3gpuE8ELNS1_3repE0EEENS1_30default_config_static_selectorELNS0_4arch9wavefront6targetE1EEEvT1_,comdat
	.protected	_ZN7rocprim17ROCPRIM_400000_NS6detail17trampoline_kernelINS0_14default_configENS1_25transform_config_selectorIxLb0EEEZNS1_14transform_implILb0ES3_S5_NS0_18transform_iteratorINS0_17counting_iteratorImlEEZNS1_24adjacent_difference_implIS3_Lb1ELb0EPxSB_N6thrust23THRUST_200600_302600_NS4plusIxEEEE10hipError_tPvRmT2_T3_mT4_P12ihipStream_tbEUlmE_xEESB_NS0_8identityIvEEEESG_SJ_SK_mSL_SN_bEUlT_E_NS1_11comp_targetILNS1_3genE4ELNS1_11target_archE910ELNS1_3gpuE8ELNS1_3repE0EEENS1_30default_config_static_selectorELNS0_4arch9wavefront6targetE1EEEvT1_ ; -- Begin function _ZN7rocprim17ROCPRIM_400000_NS6detail17trampoline_kernelINS0_14default_configENS1_25transform_config_selectorIxLb0EEEZNS1_14transform_implILb0ES3_S5_NS0_18transform_iteratorINS0_17counting_iteratorImlEEZNS1_24adjacent_difference_implIS3_Lb1ELb0EPxSB_N6thrust23THRUST_200600_302600_NS4plusIxEEEE10hipError_tPvRmT2_T3_mT4_P12ihipStream_tbEUlmE_xEESB_NS0_8identityIvEEEESG_SJ_SK_mSL_SN_bEUlT_E_NS1_11comp_targetILNS1_3genE4ELNS1_11target_archE910ELNS1_3gpuE8ELNS1_3repE0EEENS1_30default_config_static_selectorELNS0_4arch9wavefront6targetE1EEEvT1_
	.globl	_ZN7rocprim17ROCPRIM_400000_NS6detail17trampoline_kernelINS0_14default_configENS1_25transform_config_selectorIxLb0EEEZNS1_14transform_implILb0ES3_S5_NS0_18transform_iteratorINS0_17counting_iteratorImlEEZNS1_24adjacent_difference_implIS3_Lb1ELb0EPxSB_N6thrust23THRUST_200600_302600_NS4plusIxEEEE10hipError_tPvRmT2_T3_mT4_P12ihipStream_tbEUlmE_xEESB_NS0_8identityIvEEEESG_SJ_SK_mSL_SN_bEUlT_E_NS1_11comp_targetILNS1_3genE4ELNS1_11target_archE910ELNS1_3gpuE8ELNS1_3repE0EEENS1_30default_config_static_selectorELNS0_4arch9wavefront6targetE1EEEvT1_
	.p2align	8
	.type	_ZN7rocprim17ROCPRIM_400000_NS6detail17trampoline_kernelINS0_14default_configENS1_25transform_config_selectorIxLb0EEEZNS1_14transform_implILb0ES3_S5_NS0_18transform_iteratorINS0_17counting_iteratorImlEEZNS1_24adjacent_difference_implIS3_Lb1ELb0EPxSB_N6thrust23THRUST_200600_302600_NS4plusIxEEEE10hipError_tPvRmT2_T3_mT4_P12ihipStream_tbEUlmE_xEESB_NS0_8identityIvEEEESG_SJ_SK_mSL_SN_bEUlT_E_NS1_11comp_targetILNS1_3genE4ELNS1_11target_archE910ELNS1_3gpuE8ELNS1_3repE0EEENS1_30default_config_static_selectorELNS0_4arch9wavefront6targetE1EEEvT1_,@function
_ZN7rocprim17ROCPRIM_400000_NS6detail17trampoline_kernelINS0_14default_configENS1_25transform_config_selectorIxLb0EEEZNS1_14transform_implILb0ES3_S5_NS0_18transform_iteratorINS0_17counting_iteratorImlEEZNS1_24adjacent_difference_implIS3_Lb1ELb0EPxSB_N6thrust23THRUST_200600_302600_NS4plusIxEEEE10hipError_tPvRmT2_T3_mT4_P12ihipStream_tbEUlmE_xEESB_NS0_8identityIvEEEESG_SJ_SK_mSL_SN_bEUlT_E_NS1_11comp_targetILNS1_3genE4ELNS1_11target_archE910ELNS1_3gpuE8ELNS1_3repE0EEENS1_30default_config_static_selectorELNS0_4arch9wavefront6targetE1EEEvT1_: ; @_ZN7rocprim17ROCPRIM_400000_NS6detail17trampoline_kernelINS0_14default_configENS1_25transform_config_selectorIxLb0EEEZNS1_14transform_implILb0ES3_S5_NS0_18transform_iteratorINS0_17counting_iteratorImlEEZNS1_24adjacent_difference_implIS3_Lb1ELb0EPxSB_N6thrust23THRUST_200600_302600_NS4plusIxEEEE10hipError_tPvRmT2_T3_mT4_P12ihipStream_tbEUlmE_xEESB_NS0_8identityIvEEEESG_SJ_SK_mSL_SN_bEUlT_E_NS1_11comp_targetILNS1_3genE4ELNS1_11target_archE910ELNS1_3gpuE8ELNS1_3repE0EEENS1_30default_config_static_selectorELNS0_4arch9wavefront6targetE1EEEvT1_
; %bb.0:
	.section	.rodata,"a",@progbits
	.p2align	6, 0x0
	.amdhsa_kernel _ZN7rocprim17ROCPRIM_400000_NS6detail17trampoline_kernelINS0_14default_configENS1_25transform_config_selectorIxLb0EEEZNS1_14transform_implILb0ES3_S5_NS0_18transform_iteratorINS0_17counting_iteratorImlEEZNS1_24adjacent_difference_implIS3_Lb1ELb0EPxSB_N6thrust23THRUST_200600_302600_NS4plusIxEEEE10hipError_tPvRmT2_T3_mT4_P12ihipStream_tbEUlmE_xEESB_NS0_8identityIvEEEESG_SJ_SK_mSL_SN_bEUlT_E_NS1_11comp_targetILNS1_3genE4ELNS1_11target_archE910ELNS1_3gpuE8ELNS1_3repE0EEENS1_30default_config_static_selectorELNS0_4arch9wavefront6targetE1EEEvT1_
		.amdhsa_group_segment_fixed_size 0
		.amdhsa_private_segment_fixed_size 0
		.amdhsa_kernarg_size 56
		.amdhsa_user_sgpr_count 6
		.amdhsa_user_sgpr_private_segment_buffer 1
		.amdhsa_user_sgpr_dispatch_ptr 0
		.amdhsa_user_sgpr_queue_ptr 0
		.amdhsa_user_sgpr_kernarg_segment_ptr 1
		.amdhsa_user_sgpr_dispatch_id 0
		.amdhsa_user_sgpr_flat_scratch_init 0
		.amdhsa_user_sgpr_private_segment_size 0
		.amdhsa_uses_dynamic_stack 0
		.amdhsa_system_sgpr_private_segment_wavefront_offset 0
		.amdhsa_system_sgpr_workgroup_id_x 1
		.amdhsa_system_sgpr_workgroup_id_y 0
		.amdhsa_system_sgpr_workgroup_id_z 0
		.amdhsa_system_sgpr_workgroup_info 0
		.amdhsa_system_vgpr_workitem_id 0
		.amdhsa_next_free_vgpr 1
		.amdhsa_next_free_sgpr 0
		.amdhsa_reserve_vcc 0
		.amdhsa_reserve_flat_scratch 0
		.amdhsa_float_round_mode_32 0
		.amdhsa_float_round_mode_16_64 0
		.amdhsa_float_denorm_mode_32 3
		.amdhsa_float_denorm_mode_16_64 3
		.amdhsa_dx10_clamp 1
		.amdhsa_ieee_mode 1
		.amdhsa_fp16_overflow 0
		.amdhsa_exception_fp_ieee_invalid_op 0
		.amdhsa_exception_fp_denorm_src 0
		.amdhsa_exception_fp_ieee_div_zero 0
		.amdhsa_exception_fp_ieee_overflow 0
		.amdhsa_exception_fp_ieee_underflow 0
		.amdhsa_exception_fp_ieee_inexact 0
		.amdhsa_exception_int_div_zero 0
	.end_amdhsa_kernel
	.section	.text._ZN7rocprim17ROCPRIM_400000_NS6detail17trampoline_kernelINS0_14default_configENS1_25transform_config_selectorIxLb0EEEZNS1_14transform_implILb0ES3_S5_NS0_18transform_iteratorINS0_17counting_iteratorImlEEZNS1_24adjacent_difference_implIS3_Lb1ELb0EPxSB_N6thrust23THRUST_200600_302600_NS4plusIxEEEE10hipError_tPvRmT2_T3_mT4_P12ihipStream_tbEUlmE_xEESB_NS0_8identityIvEEEESG_SJ_SK_mSL_SN_bEUlT_E_NS1_11comp_targetILNS1_3genE4ELNS1_11target_archE910ELNS1_3gpuE8ELNS1_3repE0EEENS1_30default_config_static_selectorELNS0_4arch9wavefront6targetE1EEEvT1_,"axG",@progbits,_ZN7rocprim17ROCPRIM_400000_NS6detail17trampoline_kernelINS0_14default_configENS1_25transform_config_selectorIxLb0EEEZNS1_14transform_implILb0ES3_S5_NS0_18transform_iteratorINS0_17counting_iteratorImlEEZNS1_24adjacent_difference_implIS3_Lb1ELb0EPxSB_N6thrust23THRUST_200600_302600_NS4plusIxEEEE10hipError_tPvRmT2_T3_mT4_P12ihipStream_tbEUlmE_xEESB_NS0_8identityIvEEEESG_SJ_SK_mSL_SN_bEUlT_E_NS1_11comp_targetILNS1_3genE4ELNS1_11target_archE910ELNS1_3gpuE8ELNS1_3repE0EEENS1_30default_config_static_selectorELNS0_4arch9wavefront6targetE1EEEvT1_,comdat
.Lfunc_end292:
	.size	_ZN7rocprim17ROCPRIM_400000_NS6detail17trampoline_kernelINS0_14default_configENS1_25transform_config_selectorIxLb0EEEZNS1_14transform_implILb0ES3_S5_NS0_18transform_iteratorINS0_17counting_iteratorImlEEZNS1_24adjacent_difference_implIS3_Lb1ELb0EPxSB_N6thrust23THRUST_200600_302600_NS4plusIxEEEE10hipError_tPvRmT2_T3_mT4_P12ihipStream_tbEUlmE_xEESB_NS0_8identityIvEEEESG_SJ_SK_mSL_SN_bEUlT_E_NS1_11comp_targetILNS1_3genE4ELNS1_11target_archE910ELNS1_3gpuE8ELNS1_3repE0EEENS1_30default_config_static_selectorELNS0_4arch9wavefront6targetE1EEEvT1_, .Lfunc_end292-_ZN7rocprim17ROCPRIM_400000_NS6detail17trampoline_kernelINS0_14default_configENS1_25transform_config_selectorIxLb0EEEZNS1_14transform_implILb0ES3_S5_NS0_18transform_iteratorINS0_17counting_iteratorImlEEZNS1_24adjacent_difference_implIS3_Lb1ELb0EPxSB_N6thrust23THRUST_200600_302600_NS4plusIxEEEE10hipError_tPvRmT2_T3_mT4_P12ihipStream_tbEUlmE_xEESB_NS0_8identityIvEEEESG_SJ_SK_mSL_SN_bEUlT_E_NS1_11comp_targetILNS1_3genE4ELNS1_11target_archE910ELNS1_3gpuE8ELNS1_3repE0EEENS1_30default_config_static_selectorELNS0_4arch9wavefront6targetE1EEEvT1_
                                        ; -- End function
	.set _ZN7rocprim17ROCPRIM_400000_NS6detail17trampoline_kernelINS0_14default_configENS1_25transform_config_selectorIxLb0EEEZNS1_14transform_implILb0ES3_S5_NS0_18transform_iteratorINS0_17counting_iteratorImlEEZNS1_24adjacent_difference_implIS3_Lb1ELb0EPxSB_N6thrust23THRUST_200600_302600_NS4plusIxEEEE10hipError_tPvRmT2_T3_mT4_P12ihipStream_tbEUlmE_xEESB_NS0_8identityIvEEEESG_SJ_SK_mSL_SN_bEUlT_E_NS1_11comp_targetILNS1_3genE4ELNS1_11target_archE910ELNS1_3gpuE8ELNS1_3repE0EEENS1_30default_config_static_selectorELNS0_4arch9wavefront6targetE1EEEvT1_.num_vgpr, 0
	.set _ZN7rocprim17ROCPRIM_400000_NS6detail17trampoline_kernelINS0_14default_configENS1_25transform_config_selectorIxLb0EEEZNS1_14transform_implILb0ES3_S5_NS0_18transform_iteratorINS0_17counting_iteratorImlEEZNS1_24adjacent_difference_implIS3_Lb1ELb0EPxSB_N6thrust23THRUST_200600_302600_NS4plusIxEEEE10hipError_tPvRmT2_T3_mT4_P12ihipStream_tbEUlmE_xEESB_NS0_8identityIvEEEESG_SJ_SK_mSL_SN_bEUlT_E_NS1_11comp_targetILNS1_3genE4ELNS1_11target_archE910ELNS1_3gpuE8ELNS1_3repE0EEENS1_30default_config_static_selectorELNS0_4arch9wavefront6targetE1EEEvT1_.num_agpr, 0
	.set _ZN7rocprim17ROCPRIM_400000_NS6detail17trampoline_kernelINS0_14default_configENS1_25transform_config_selectorIxLb0EEEZNS1_14transform_implILb0ES3_S5_NS0_18transform_iteratorINS0_17counting_iteratorImlEEZNS1_24adjacent_difference_implIS3_Lb1ELb0EPxSB_N6thrust23THRUST_200600_302600_NS4plusIxEEEE10hipError_tPvRmT2_T3_mT4_P12ihipStream_tbEUlmE_xEESB_NS0_8identityIvEEEESG_SJ_SK_mSL_SN_bEUlT_E_NS1_11comp_targetILNS1_3genE4ELNS1_11target_archE910ELNS1_3gpuE8ELNS1_3repE0EEENS1_30default_config_static_selectorELNS0_4arch9wavefront6targetE1EEEvT1_.numbered_sgpr, 0
	.set _ZN7rocprim17ROCPRIM_400000_NS6detail17trampoline_kernelINS0_14default_configENS1_25transform_config_selectorIxLb0EEEZNS1_14transform_implILb0ES3_S5_NS0_18transform_iteratorINS0_17counting_iteratorImlEEZNS1_24adjacent_difference_implIS3_Lb1ELb0EPxSB_N6thrust23THRUST_200600_302600_NS4plusIxEEEE10hipError_tPvRmT2_T3_mT4_P12ihipStream_tbEUlmE_xEESB_NS0_8identityIvEEEESG_SJ_SK_mSL_SN_bEUlT_E_NS1_11comp_targetILNS1_3genE4ELNS1_11target_archE910ELNS1_3gpuE8ELNS1_3repE0EEENS1_30default_config_static_selectorELNS0_4arch9wavefront6targetE1EEEvT1_.num_named_barrier, 0
	.set _ZN7rocprim17ROCPRIM_400000_NS6detail17trampoline_kernelINS0_14default_configENS1_25transform_config_selectorIxLb0EEEZNS1_14transform_implILb0ES3_S5_NS0_18transform_iteratorINS0_17counting_iteratorImlEEZNS1_24adjacent_difference_implIS3_Lb1ELb0EPxSB_N6thrust23THRUST_200600_302600_NS4plusIxEEEE10hipError_tPvRmT2_T3_mT4_P12ihipStream_tbEUlmE_xEESB_NS0_8identityIvEEEESG_SJ_SK_mSL_SN_bEUlT_E_NS1_11comp_targetILNS1_3genE4ELNS1_11target_archE910ELNS1_3gpuE8ELNS1_3repE0EEENS1_30default_config_static_selectorELNS0_4arch9wavefront6targetE1EEEvT1_.private_seg_size, 0
	.set _ZN7rocprim17ROCPRIM_400000_NS6detail17trampoline_kernelINS0_14default_configENS1_25transform_config_selectorIxLb0EEEZNS1_14transform_implILb0ES3_S5_NS0_18transform_iteratorINS0_17counting_iteratorImlEEZNS1_24adjacent_difference_implIS3_Lb1ELb0EPxSB_N6thrust23THRUST_200600_302600_NS4plusIxEEEE10hipError_tPvRmT2_T3_mT4_P12ihipStream_tbEUlmE_xEESB_NS0_8identityIvEEEESG_SJ_SK_mSL_SN_bEUlT_E_NS1_11comp_targetILNS1_3genE4ELNS1_11target_archE910ELNS1_3gpuE8ELNS1_3repE0EEENS1_30default_config_static_selectorELNS0_4arch9wavefront6targetE1EEEvT1_.uses_vcc, 0
	.set _ZN7rocprim17ROCPRIM_400000_NS6detail17trampoline_kernelINS0_14default_configENS1_25transform_config_selectorIxLb0EEEZNS1_14transform_implILb0ES3_S5_NS0_18transform_iteratorINS0_17counting_iteratorImlEEZNS1_24adjacent_difference_implIS3_Lb1ELb0EPxSB_N6thrust23THRUST_200600_302600_NS4plusIxEEEE10hipError_tPvRmT2_T3_mT4_P12ihipStream_tbEUlmE_xEESB_NS0_8identityIvEEEESG_SJ_SK_mSL_SN_bEUlT_E_NS1_11comp_targetILNS1_3genE4ELNS1_11target_archE910ELNS1_3gpuE8ELNS1_3repE0EEENS1_30default_config_static_selectorELNS0_4arch9wavefront6targetE1EEEvT1_.uses_flat_scratch, 0
	.set _ZN7rocprim17ROCPRIM_400000_NS6detail17trampoline_kernelINS0_14default_configENS1_25transform_config_selectorIxLb0EEEZNS1_14transform_implILb0ES3_S5_NS0_18transform_iteratorINS0_17counting_iteratorImlEEZNS1_24adjacent_difference_implIS3_Lb1ELb0EPxSB_N6thrust23THRUST_200600_302600_NS4plusIxEEEE10hipError_tPvRmT2_T3_mT4_P12ihipStream_tbEUlmE_xEESB_NS0_8identityIvEEEESG_SJ_SK_mSL_SN_bEUlT_E_NS1_11comp_targetILNS1_3genE4ELNS1_11target_archE910ELNS1_3gpuE8ELNS1_3repE0EEENS1_30default_config_static_selectorELNS0_4arch9wavefront6targetE1EEEvT1_.has_dyn_sized_stack, 0
	.set _ZN7rocprim17ROCPRIM_400000_NS6detail17trampoline_kernelINS0_14default_configENS1_25transform_config_selectorIxLb0EEEZNS1_14transform_implILb0ES3_S5_NS0_18transform_iteratorINS0_17counting_iteratorImlEEZNS1_24adjacent_difference_implIS3_Lb1ELb0EPxSB_N6thrust23THRUST_200600_302600_NS4plusIxEEEE10hipError_tPvRmT2_T3_mT4_P12ihipStream_tbEUlmE_xEESB_NS0_8identityIvEEEESG_SJ_SK_mSL_SN_bEUlT_E_NS1_11comp_targetILNS1_3genE4ELNS1_11target_archE910ELNS1_3gpuE8ELNS1_3repE0EEENS1_30default_config_static_selectorELNS0_4arch9wavefront6targetE1EEEvT1_.has_recursion, 0
	.set _ZN7rocprim17ROCPRIM_400000_NS6detail17trampoline_kernelINS0_14default_configENS1_25transform_config_selectorIxLb0EEEZNS1_14transform_implILb0ES3_S5_NS0_18transform_iteratorINS0_17counting_iteratorImlEEZNS1_24adjacent_difference_implIS3_Lb1ELb0EPxSB_N6thrust23THRUST_200600_302600_NS4plusIxEEEE10hipError_tPvRmT2_T3_mT4_P12ihipStream_tbEUlmE_xEESB_NS0_8identityIvEEEESG_SJ_SK_mSL_SN_bEUlT_E_NS1_11comp_targetILNS1_3genE4ELNS1_11target_archE910ELNS1_3gpuE8ELNS1_3repE0EEENS1_30default_config_static_selectorELNS0_4arch9wavefront6targetE1EEEvT1_.has_indirect_call, 0
	.section	.AMDGPU.csdata,"",@progbits
; Kernel info:
; codeLenInByte = 0
; TotalNumSgprs: 4
; NumVgprs: 0
; ScratchSize: 0
; MemoryBound: 0
; FloatMode: 240
; IeeeMode: 1
; LDSByteSize: 0 bytes/workgroup (compile time only)
; SGPRBlocks: 0
; VGPRBlocks: 0
; NumSGPRsForWavesPerEU: 4
; NumVGPRsForWavesPerEU: 1
; Occupancy: 10
; WaveLimiterHint : 0
; COMPUTE_PGM_RSRC2:SCRATCH_EN: 0
; COMPUTE_PGM_RSRC2:USER_SGPR: 6
; COMPUTE_PGM_RSRC2:TRAP_HANDLER: 0
; COMPUTE_PGM_RSRC2:TGID_X_EN: 1
; COMPUTE_PGM_RSRC2:TGID_Y_EN: 0
; COMPUTE_PGM_RSRC2:TGID_Z_EN: 0
; COMPUTE_PGM_RSRC2:TIDIG_COMP_CNT: 0
	.section	.text._ZN7rocprim17ROCPRIM_400000_NS6detail17trampoline_kernelINS0_14default_configENS1_25transform_config_selectorIxLb0EEEZNS1_14transform_implILb0ES3_S5_NS0_18transform_iteratorINS0_17counting_iteratorImlEEZNS1_24adjacent_difference_implIS3_Lb1ELb0EPxSB_N6thrust23THRUST_200600_302600_NS4plusIxEEEE10hipError_tPvRmT2_T3_mT4_P12ihipStream_tbEUlmE_xEESB_NS0_8identityIvEEEESG_SJ_SK_mSL_SN_bEUlT_E_NS1_11comp_targetILNS1_3genE3ELNS1_11target_archE908ELNS1_3gpuE7ELNS1_3repE0EEENS1_30default_config_static_selectorELNS0_4arch9wavefront6targetE1EEEvT1_,"axG",@progbits,_ZN7rocprim17ROCPRIM_400000_NS6detail17trampoline_kernelINS0_14default_configENS1_25transform_config_selectorIxLb0EEEZNS1_14transform_implILb0ES3_S5_NS0_18transform_iteratorINS0_17counting_iteratorImlEEZNS1_24adjacent_difference_implIS3_Lb1ELb0EPxSB_N6thrust23THRUST_200600_302600_NS4plusIxEEEE10hipError_tPvRmT2_T3_mT4_P12ihipStream_tbEUlmE_xEESB_NS0_8identityIvEEEESG_SJ_SK_mSL_SN_bEUlT_E_NS1_11comp_targetILNS1_3genE3ELNS1_11target_archE908ELNS1_3gpuE7ELNS1_3repE0EEENS1_30default_config_static_selectorELNS0_4arch9wavefront6targetE1EEEvT1_,comdat
	.protected	_ZN7rocprim17ROCPRIM_400000_NS6detail17trampoline_kernelINS0_14default_configENS1_25transform_config_selectorIxLb0EEEZNS1_14transform_implILb0ES3_S5_NS0_18transform_iteratorINS0_17counting_iteratorImlEEZNS1_24adjacent_difference_implIS3_Lb1ELb0EPxSB_N6thrust23THRUST_200600_302600_NS4plusIxEEEE10hipError_tPvRmT2_T3_mT4_P12ihipStream_tbEUlmE_xEESB_NS0_8identityIvEEEESG_SJ_SK_mSL_SN_bEUlT_E_NS1_11comp_targetILNS1_3genE3ELNS1_11target_archE908ELNS1_3gpuE7ELNS1_3repE0EEENS1_30default_config_static_selectorELNS0_4arch9wavefront6targetE1EEEvT1_ ; -- Begin function _ZN7rocprim17ROCPRIM_400000_NS6detail17trampoline_kernelINS0_14default_configENS1_25transform_config_selectorIxLb0EEEZNS1_14transform_implILb0ES3_S5_NS0_18transform_iteratorINS0_17counting_iteratorImlEEZNS1_24adjacent_difference_implIS3_Lb1ELb0EPxSB_N6thrust23THRUST_200600_302600_NS4plusIxEEEE10hipError_tPvRmT2_T3_mT4_P12ihipStream_tbEUlmE_xEESB_NS0_8identityIvEEEESG_SJ_SK_mSL_SN_bEUlT_E_NS1_11comp_targetILNS1_3genE3ELNS1_11target_archE908ELNS1_3gpuE7ELNS1_3repE0EEENS1_30default_config_static_selectorELNS0_4arch9wavefront6targetE1EEEvT1_
	.globl	_ZN7rocprim17ROCPRIM_400000_NS6detail17trampoline_kernelINS0_14default_configENS1_25transform_config_selectorIxLb0EEEZNS1_14transform_implILb0ES3_S5_NS0_18transform_iteratorINS0_17counting_iteratorImlEEZNS1_24adjacent_difference_implIS3_Lb1ELb0EPxSB_N6thrust23THRUST_200600_302600_NS4plusIxEEEE10hipError_tPvRmT2_T3_mT4_P12ihipStream_tbEUlmE_xEESB_NS0_8identityIvEEEESG_SJ_SK_mSL_SN_bEUlT_E_NS1_11comp_targetILNS1_3genE3ELNS1_11target_archE908ELNS1_3gpuE7ELNS1_3repE0EEENS1_30default_config_static_selectorELNS0_4arch9wavefront6targetE1EEEvT1_
	.p2align	8
	.type	_ZN7rocprim17ROCPRIM_400000_NS6detail17trampoline_kernelINS0_14default_configENS1_25transform_config_selectorIxLb0EEEZNS1_14transform_implILb0ES3_S5_NS0_18transform_iteratorINS0_17counting_iteratorImlEEZNS1_24adjacent_difference_implIS3_Lb1ELb0EPxSB_N6thrust23THRUST_200600_302600_NS4plusIxEEEE10hipError_tPvRmT2_T3_mT4_P12ihipStream_tbEUlmE_xEESB_NS0_8identityIvEEEESG_SJ_SK_mSL_SN_bEUlT_E_NS1_11comp_targetILNS1_3genE3ELNS1_11target_archE908ELNS1_3gpuE7ELNS1_3repE0EEENS1_30default_config_static_selectorELNS0_4arch9wavefront6targetE1EEEvT1_,@function
_ZN7rocprim17ROCPRIM_400000_NS6detail17trampoline_kernelINS0_14default_configENS1_25transform_config_selectorIxLb0EEEZNS1_14transform_implILb0ES3_S5_NS0_18transform_iteratorINS0_17counting_iteratorImlEEZNS1_24adjacent_difference_implIS3_Lb1ELb0EPxSB_N6thrust23THRUST_200600_302600_NS4plusIxEEEE10hipError_tPvRmT2_T3_mT4_P12ihipStream_tbEUlmE_xEESB_NS0_8identityIvEEEESG_SJ_SK_mSL_SN_bEUlT_E_NS1_11comp_targetILNS1_3genE3ELNS1_11target_archE908ELNS1_3gpuE7ELNS1_3repE0EEENS1_30default_config_static_selectorELNS0_4arch9wavefront6targetE1EEEvT1_: ; @_ZN7rocprim17ROCPRIM_400000_NS6detail17trampoline_kernelINS0_14default_configENS1_25transform_config_selectorIxLb0EEEZNS1_14transform_implILb0ES3_S5_NS0_18transform_iteratorINS0_17counting_iteratorImlEEZNS1_24adjacent_difference_implIS3_Lb1ELb0EPxSB_N6thrust23THRUST_200600_302600_NS4plusIxEEEE10hipError_tPvRmT2_T3_mT4_P12ihipStream_tbEUlmE_xEESB_NS0_8identityIvEEEESG_SJ_SK_mSL_SN_bEUlT_E_NS1_11comp_targetILNS1_3genE3ELNS1_11target_archE908ELNS1_3gpuE7ELNS1_3repE0EEENS1_30default_config_static_selectorELNS0_4arch9wavefront6targetE1EEEvT1_
; %bb.0:
	.section	.rodata,"a",@progbits
	.p2align	6, 0x0
	.amdhsa_kernel _ZN7rocprim17ROCPRIM_400000_NS6detail17trampoline_kernelINS0_14default_configENS1_25transform_config_selectorIxLb0EEEZNS1_14transform_implILb0ES3_S5_NS0_18transform_iteratorINS0_17counting_iteratorImlEEZNS1_24adjacent_difference_implIS3_Lb1ELb0EPxSB_N6thrust23THRUST_200600_302600_NS4plusIxEEEE10hipError_tPvRmT2_T3_mT4_P12ihipStream_tbEUlmE_xEESB_NS0_8identityIvEEEESG_SJ_SK_mSL_SN_bEUlT_E_NS1_11comp_targetILNS1_3genE3ELNS1_11target_archE908ELNS1_3gpuE7ELNS1_3repE0EEENS1_30default_config_static_selectorELNS0_4arch9wavefront6targetE1EEEvT1_
		.amdhsa_group_segment_fixed_size 0
		.amdhsa_private_segment_fixed_size 0
		.amdhsa_kernarg_size 56
		.amdhsa_user_sgpr_count 6
		.amdhsa_user_sgpr_private_segment_buffer 1
		.amdhsa_user_sgpr_dispatch_ptr 0
		.amdhsa_user_sgpr_queue_ptr 0
		.amdhsa_user_sgpr_kernarg_segment_ptr 1
		.amdhsa_user_sgpr_dispatch_id 0
		.amdhsa_user_sgpr_flat_scratch_init 0
		.amdhsa_user_sgpr_private_segment_size 0
		.amdhsa_uses_dynamic_stack 0
		.amdhsa_system_sgpr_private_segment_wavefront_offset 0
		.amdhsa_system_sgpr_workgroup_id_x 1
		.amdhsa_system_sgpr_workgroup_id_y 0
		.amdhsa_system_sgpr_workgroup_id_z 0
		.amdhsa_system_sgpr_workgroup_info 0
		.amdhsa_system_vgpr_workitem_id 0
		.amdhsa_next_free_vgpr 1
		.amdhsa_next_free_sgpr 0
		.amdhsa_reserve_vcc 0
		.amdhsa_reserve_flat_scratch 0
		.amdhsa_float_round_mode_32 0
		.amdhsa_float_round_mode_16_64 0
		.amdhsa_float_denorm_mode_32 3
		.amdhsa_float_denorm_mode_16_64 3
		.amdhsa_dx10_clamp 1
		.amdhsa_ieee_mode 1
		.amdhsa_fp16_overflow 0
		.amdhsa_exception_fp_ieee_invalid_op 0
		.amdhsa_exception_fp_denorm_src 0
		.amdhsa_exception_fp_ieee_div_zero 0
		.amdhsa_exception_fp_ieee_overflow 0
		.amdhsa_exception_fp_ieee_underflow 0
		.amdhsa_exception_fp_ieee_inexact 0
		.amdhsa_exception_int_div_zero 0
	.end_amdhsa_kernel
	.section	.text._ZN7rocprim17ROCPRIM_400000_NS6detail17trampoline_kernelINS0_14default_configENS1_25transform_config_selectorIxLb0EEEZNS1_14transform_implILb0ES3_S5_NS0_18transform_iteratorINS0_17counting_iteratorImlEEZNS1_24adjacent_difference_implIS3_Lb1ELb0EPxSB_N6thrust23THRUST_200600_302600_NS4plusIxEEEE10hipError_tPvRmT2_T3_mT4_P12ihipStream_tbEUlmE_xEESB_NS0_8identityIvEEEESG_SJ_SK_mSL_SN_bEUlT_E_NS1_11comp_targetILNS1_3genE3ELNS1_11target_archE908ELNS1_3gpuE7ELNS1_3repE0EEENS1_30default_config_static_selectorELNS0_4arch9wavefront6targetE1EEEvT1_,"axG",@progbits,_ZN7rocprim17ROCPRIM_400000_NS6detail17trampoline_kernelINS0_14default_configENS1_25transform_config_selectorIxLb0EEEZNS1_14transform_implILb0ES3_S5_NS0_18transform_iteratorINS0_17counting_iteratorImlEEZNS1_24adjacent_difference_implIS3_Lb1ELb0EPxSB_N6thrust23THRUST_200600_302600_NS4plusIxEEEE10hipError_tPvRmT2_T3_mT4_P12ihipStream_tbEUlmE_xEESB_NS0_8identityIvEEEESG_SJ_SK_mSL_SN_bEUlT_E_NS1_11comp_targetILNS1_3genE3ELNS1_11target_archE908ELNS1_3gpuE7ELNS1_3repE0EEENS1_30default_config_static_selectorELNS0_4arch9wavefront6targetE1EEEvT1_,comdat
.Lfunc_end293:
	.size	_ZN7rocprim17ROCPRIM_400000_NS6detail17trampoline_kernelINS0_14default_configENS1_25transform_config_selectorIxLb0EEEZNS1_14transform_implILb0ES3_S5_NS0_18transform_iteratorINS0_17counting_iteratorImlEEZNS1_24adjacent_difference_implIS3_Lb1ELb0EPxSB_N6thrust23THRUST_200600_302600_NS4plusIxEEEE10hipError_tPvRmT2_T3_mT4_P12ihipStream_tbEUlmE_xEESB_NS0_8identityIvEEEESG_SJ_SK_mSL_SN_bEUlT_E_NS1_11comp_targetILNS1_3genE3ELNS1_11target_archE908ELNS1_3gpuE7ELNS1_3repE0EEENS1_30default_config_static_selectorELNS0_4arch9wavefront6targetE1EEEvT1_, .Lfunc_end293-_ZN7rocprim17ROCPRIM_400000_NS6detail17trampoline_kernelINS0_14default_configENS1_25transform_config_selectorIxLb0EEEZNS1_14transform_implILb0ES3_S5_NS0_18transform_iteratorINS0_17counting_iteratorImlEEZNS1_24adjacent_difference_implIS3_Lb1ELb0EPxSB_N6thrust23THRUST_200600_302600_NS4plusIxEEEE10hipError_tPvRmT2_T3_mT4_P12ihipStream_tbEUlmE_xEESB_NS0_8identityIvEEEESG_SJ_SK_mSL_SN_bEUlT_E_NS1_11comp_targetILNS1_3genE3ELNS1_11target_archE908ELNS1_3gpuE7ELNS1_3repE0EEENS1_30default_config_static_selectorELNS0_4arch9wavefront6targetE1EEEvT1_
                                        ; -- End function
	.set _ZN7rocprim17ROCPRIM_400000_NS6detail17trampoline_kernelINS0_14default_configENS1_25transform_config_selectorIxLb0EEEZNS1_14transform_implILb0ES3_S5_NS0_18transform_iteratorINS0_17counting_iteratorImlEEZNS1_24adjacent_difference_implIS3_Lb1ELb0EPxSB_N6thrust23THRUST_200600_302600_NS4plusIxEEEE10hipError_tPvRmT2_T3_mT4_P12ihipStream_tbEUlmE_xEESB_NS0_8identityIvEEEESG_SJ_SK_mSL_SN_bEUlT_E_NS1_11comp_targetILNS1_3genE3ELNS1_11target_archE908ELNS1_3gpuE7ELNS1_3repE0EEENS1_30default_config_static_selectorELNS0_4arch9wavefront6targetE1EEEvT1_.num_vgpr, 0
	.set _ZN7rocprim17ROCPRIM_400000_NS6detail17trampoline_kernelINS0_14default_configENS1_25transform_config_selectorIxLb0EEEZNS1_14transform_implILb0ES3_S5_NS0_18transform_iteratorINS0_17counting_iteratorImlEEZNS1_24adjacent_difference_implIS3_Lb1ELb0EPxSB_N6thrust23THRUST_200600_302600_NS4plusIxEEEE10hipError_tPvRmT2_T3_mT4_P12ihipStream_tbEUlmE_xEESB_NS0_8identityIvEEEESG_SJ_SK_mSL_SN_bEUlT_E_NS1_11comp_targetILNS1_3genE3ELNS1_11target_archE908ELNS1_3gpuE7ELNS1_3repE0EEENS1_30default_config_static_selectorELNS0_4arch9wavefront6targetE1EEEvT1_.num_agpr, 0
	.set _ZN7rocprim17ROCPRIM_400000_NS6detail17trampoline_kernelINS0_14default_configENS1_25transform_config_selectorIxLb0EEEZNS1_14transform_implILb0ES3_S5_NS0_18transform_iteratorINS0_17counting_iteratorImlEEZNS1_24adjacent_difference_implIS3_Lb1ELb0EPxSB_N6thrust23THRUST_200600_302600_NS4plusIxEEEE10hipError_tPvRmT2_T3_mT4_P12ihipStream_tbEUlmE_xEESB_NS0_8identityIvEEEESG_SJ_SK_mSL_SN_bEUlT_E_NS1_11comp_targetILNS1_3genE3ELNS1_11target_archE908ELNS1_3gpuE7ELNS1_3repE0EEENS1_30default_config_static_selectorELNS0_4arch9wavefront6targetE1EEEvT1_.numbered_sgpr, 0
	.set _ZN7rocprim17ROCPRIM_400000_NS6detail17trampoline_kernelINS0_14default_configENS1_25transform_config_selectorIxLb0EEEZNS1_14transform_implILb0ES3_S5_NS0_18transform_iteratorINS0_17counting_iteratorImlEEZNS1_24adjacent_difference_implIS3_Lb1ELb0EPxSB_N6thrust23THRUST_200600_302600_NS4plusIxEEEE10hipError_tPvRmT2_T3_mT4_P12ihipStream_tbEUlmE_xEESB_NS0_8identityIvEEEESG_SJ_SK_mSL_SN_bEUlT_E_NS1_11comp_targetILNS1_3genE3ELNS1_11target_archE908ELNS1_3gpuE7ELNS1_3repE0EEENS1_30default_config_static_selectorELNS0_4arch9wavefront6targetE1EEEvT1_.num_named_barrier, 0
	.set _ZN7rocprim17ROCPRIM_400000_NS6detail17trampoline_kernelINS0_14default_configENS1_25transform_config_selectorIxLb0EEEZNS1_14transform_implILb0ES3_S5_NS0_18transform_iteratorINS0_17counting_iteratorImlEEZNS1_24adjacent_difference_implIS3_Lb1ELb0EPxSB_N6thrust23THRUST_200600_302600_NS4plusIxEEEE10hipError_tPvRmT2_T3_mT4_P12ihipStream_tbEUlmE_xEESB_NS0_8identityIvEEEESG_SJ_SK_mSL_SN_bEUlT_E_NS1_11comp_targetILNS1_3genE3ELNS1_11target_archE908ELNS1_3gpuE7ELNS1_3repE0EEENS1_30default_config_static_selectorELNS0_4arch9wavefront6targetE1EEEvT1_.private_seg_size, 0
	.set _ZN7rocprim17ROCPRIM_400000_NS6detail17trampoline_kernelINS0_14default_configENS1_25transform_config_selectorIxLb0EEEZNS1_14transform_implILb0ES3_S5_NS0_18transform_iteratorINS0_17counting_iteratorImlEEZNS1_24adjacent_difference_implIS3_Lb1ELb0EPxSB_N6thrust23THRUST_200600_302600_NS4plusIxEEEE10hipError_tPvRmT2_T3_mT4_P12ihipStream_tbEUlmE_xEESB_NS0_8identityIvEEEESG_SJ_SK_mSL_SN_bEUlT_E_NS1_11comp_targetILNS1_3genE3ELNS1_11target_archE908ELNS1_3gpuE7ELNS1_3repE0EEENS1_30default_config_static_selectorELNS0_4arch9wavefront6targetE1EEEvT1_.uses_vcc, 0
	.set _ZN7rocprim17ROCPRIM_400000_NS6detail17trampoline_kernelINS0_14default_configENS1_25transform_config_selectorIxLb0EEEZNS1_14transform_implILb0ES3_S5_NS0_18transform_iteratorINS0_17counting_iteratorImlEEZNS1_24adjacent_difference_implIS3_Lb1ELb0EPxSB_N6thrust23THRUST_200600_302600_NS4plusIxEEEE10hipError_tPvRmT2_T3_mT4_P12ihipStream_tbEUlmE_xEESB_NS0_8identityIvEEEESG_SJ_SK_mSL_SN_bEUlT_E_NS1_11comp_targetILNS1_3genE3ELNS1_11target_archE908ELNS1_3gpuE7ELNS1_3repE0EEENS1_30default_config_static_selectorELNS0_4arch9wavefront6targetE1EEEvT1_.uses_flat_scratch, 0
	.set _ZN7rocprim17ROCPRIM_400000_NS6detail17trampoline_kernelINS0_14default_configENS1_25transform_config_selectorIxLb0EEEZNS1_14transform_implILb0ES3_S5_NS0_18transform_iteratorINS0_17counting_iteratorImlEEZNS1_24adjacent_difference_implIS3_Lb1ELb0EPxSB_N6thrust23THRUST_200600_302600_NS4plusIxEEEE10hipError_tPvRmT2_T3_mT4_P12ihipStream_tbEUlmE_xEESB_NS0_8identityIvEEEESG_SJ_SK_mSL_SN_bEUlT_E_NS1_11comp_targetILNS1_3genE3ELNS1_11target_archE908ELNS1_3gpuE7ELNS1_3repE0EEENS1_30default_config_static_selectorELNS0_4arch9wavefront6targetE1EEEvT1_.has_dyn_sized_stack, 0
	.set _ZN7rocprim17ROCPRIM_400000_NS6detail17trampoline_kernelINS0_14default_configENS1_25transform_config_selectorIxLb0EEEZNS1_14transform_implILb0ES3_S5_NS0_18transform_iteratorINS0_17counting_iteratorImlEEZNS1_24adjacent_difference_implIS3_Lb1ELb0EPxSB_N6thrust23THRUST_200600_302600_NS4plusIxEEEE10hipError_tPvRmT2_T3_mT4_P12ihipStream_tbEUlmE_xEESB_NS0_8identityIvEEEESG_SJ_SK_mSL_SN_bEUlT_E_NS1_11comp_targetILNS1_3genE3ELNS1_11target_archE908ELNS1_3gpuE7ELNS1_3repE0EEENS1_30default_config_static_selectorELNS0_4arch9wavefront6targetE1EEEvT1_.has_recursion, 0
	.set _ZN7rocprim17ROCPRIM_400000_NS6detail17trampoline_kernelINS0_14default_configENS1_25transform_config_selectorIxLb0EEEZNS1_14transform_implILb0ES3_S5_NS0_18transform_iteratorINS0_17counting_iteratorImlEEZNS1_24adjacent_difference_implIS3_Lb1ELb0EPxSB_N6thrust23THRUST_200600_302600_NS4plusIxEEEE10hipError_tPvRmT2_T3_mT4_P12ihipStream_tbEUlmE_xEESB_NS0_8identityIvEEEESG_SJ_SK_mSL_SN_bEUlT_E_NS1_11comp_targetILNS1_3genE3ELNS1_11target_archE908ELNS1_3gpuE7ELNS1_3repE0EEENS1_30default_config_static_selectorELNS0_4arch9wavefront6targetE1EEEvT1_.has_indirect_call, 0
	.section	.AMDGPU.csdata,"",@progbits
; Kernel info:
; codeLenInByte = 0
; TotalNumSgprs: 4
; NumVgprs: 0
; ScratchSize: 0
; MemoryBound: 0
; FloatMode: 240
; IeeeMode: 1
; LDSByteSize: 0 bytes/workgroup (compile time only)
; SGPRBlocks: 0
; VGPRBlocks: 0
; NumSGPRsForWavesPerEU: 4
; NumVGPRsForWavesPerEU: 1
; Occupancy: 10
; WaveLimiterHint : 0
; COMPUTE_PGM_RSRC2:SCRATCH_EN: 0
; COMPUTE_PGM_RSRC2:USER_SGPR: 6
; COMPUTE_PGM_RSRC2:TRAP_HANDLER: 0
; COMPUTE_PGM_RSRC2:TGID_X_EN: 1
; COMPUTE_PGM_RSRC2:TGID_Y_EN: 0
; COMPUTE_PGM_RSRC2:TGID_Z_EN: 0
; COMPUTE_PGM_RSRC2:TIDIG_COMP_CNT: 0
	.section	.text._ZN7rocprim17ROCPRIM_400000_NS6detail17trampoline_kernelINS0_14default_configENS1_25transform_config_selectorIxLb0EEEZNS1_14transform_implILb0ES3_S5_NS0_18transform_iteratorINS0_17counting_iteratorImlEEZNS1_24adjacent_difference_implIS3_Lb1ELb0EPxSB_N6thrust23THRUST_200600_302600_NS4plusIxEEEE10hipError_tPvRmT2_T3_mT4_P12ihipStream_tbEUlmE_xEESB_NS0_8identityIvEEEESG_SJ_SK_mSL_SN_bEUlT_E_NS1_11comp_targetILNS1_3genE2ELNS1_11target_archE906ELNS1_3gpuE6ELNS1_3repE0EEENS1_30default_config_static_selectorELNS0_4arch9wavefront6targetE1EEEvT1_,"axG",@progbits,_ZN7rocprim17ROCPRIM_400000_NS6detail17trampoline_kernelINS0_14default_configENS1_25transform_config_selectorIxLb0EEEZNS1_14transform_implILb0ES3_S5_NS0_18transform_iteratorINS0_17counting_iteratorImlEEZNS1_24adjacent_difference_implIS3_Lb1ELb0EPxSB_N6thrust23THRUST_200600_302600_NS4plusIxEEEE10hipError_tPvRmT2_T3_mT4_P12ihipStream_tbEUlmE_xEESB_NS0_8identityIvEEEESG_SJ_SK_mSL_SN_bEUlT_E_NS1_11comp_targetILNS1_3genE2ELNS1_11target_archE906ELNS1_3gpuE6ELNS1_3repE0EEENS1_30default_config_static_selectorELNS0_4arch9wavefront6targetE1EEEvT1_,comdat
	.protected	_ZN7rocprim17ROCPRIM_400000_NS6detail17trampoline_kernelINS0_14default_configENS1_25transform_config_selectorIxLb0EEEZNS1_14transform_implILb0ES3_S5_NS0_18transform_iteratorINS0_17counting_iteratorImlEEZNS1_24adjacent_difference_implIS3_Lb1ELb0EPxSB_N6thrust23THRUST_200600_302600_NS4plusIxEEEE10hipError_tPvRmT2_T3_mT4_P12ihipStream_tbEUlmE_xEESB_NS0_8identityIvEEEESG_SJ_SK_mSL_SN_bEUlT_E_NS1_11comp_targetILNS1_3genE2ELNS1_11target_archE906ELNS1_3gpuE6ELNS1_3repE0EEENS1_30default_config_static_selectorELNS0_4arch9wavefront6targetE1EEEvT1_ ; -- Begin function _ZN7rocprim17ROCPRIM_400000_NS6detail17trampoline_kernelINS0_14default_configENS1_25transform_config_selectorIxLb0EEEZNS1_14transform_implILb0ES3_S5_NS0_18transform_iteratorINS0_17counting_iteratorImlEEZNS1_24adjacent_difference_implIS3_Lb1ELb0EPxSB_N6thrust23THRUST_200600_302600_NS4plusIxEEEE10hipError_tPvRmT2_T3_mT4_P12ihipStream_tbEUlmE_xEESB_NS0_8identityIvEEEESG_SJ_SK_mSL_SN_bEUlT_E_NS1_11comp_targetILNS1_3genE2ELNS1_11target_archE906ELNS1_3gpuE6ELNS1_3repE0EEENS1_30default_config_static_selectorELNS0_4arch9wavefront6targetE1EEEvT1_
	.globl	_ZN7rocprim17ROCPRIM_400000_NS6detail17trampoline_kernelINS0_14default_configENS1_25transform_config_selectorIxLb0EEEZNS1_14transform_implILb0ES3_S5_NS0_18transform_iteratorINS0_17counting_iteratorImlEEZNS1_24adjacent_difference_implIS3_Lb1ELb0EPxSB_N6thrust23THRUST_200600_302600_NS4plusIxEEEE10hipError_tPvRmT2_T3_mT4_P12ihipStream_tbEUlmE_xEESB_NS0_8identityIvEEEESG_SJ_SK_mSL_SN_bEUlT_E_NS1_11comp_targetILNS1_3genE2ELNS1_11target_archE906ELNS1_3gpuE6ELNS1_3repE0EEENS1_30default_config_static_selectorELNS0_4arch9wavefront6targetE1EEEvT1_
	.p2align	8
	.type	_ZN7rocprim17ROCPRIM_400000_NS6detail17trampoline_kernelINS0_14default_configENS1_25transform_config_selectorIxLb0EEEZNS1_14transform_implILb0ES3_S5_NS0_18transform_iteratorINS0_17counting_iteratorImlEEZNS1_24adjacent_difference_implIS3_Lb1ELb0EPxSB_N6thrust23THRUST_200600_302600_NS4plusIxEEEE10hipError_tPvRmT2_T3_mT4_P12ihipStream_tbEUlmE_xEESB_NS0_8identityIvEEEESG_SJ_SK_mSL_SN_bEUlT_E_NS1_11comp_targetILNS1_3genE2ELNS1_11target_archE906ELNS1_3gpuE6ELNS1_3repE0EEENS1_30default_config_static_selectorELNS0_4arch9wavefront6targetE1EEEvT1_,@function
_ZN7rocprim17ROCPRIM_400000_NS6detail17trampoline_kernelINS0_14default_configENS1_25transform_config_selectorIxLb0EEEZNS1_14transform_implILb0ES3_S5_NS0_18transform_iteratorINS0_17counting_iteratorImlEEZNS1_24adjacent_difference_implIS3_Lb1ELb0EPxSB_N6thrust23THRUST_200600_302600_NS4plusIxEEEE10hipError_tPvRmT2_T3_mT4_P12ihipStream_tbEUlmE_xEESB_NS0_8identityIvEEEESG_SJ_SK_mSL_SN_bEUlT_E_NS1_11comp_targetILNS1_3genE2ELNS1_11target_archE906ELNS1_3gpuE6ELNS1_3repE0EEENS1_30default_config_static_selectorELNS0_4arch9wavefront6targetE1EEEvT1_: ; @_ZN7rocprim17ROCPRIM_400000_NS6detail17trampoline_kernelINS0_14default_configENS1_25transform_config_selectorIxLb0EEEZNS1_14transform_implILb0ES3_S5_NS0_18transform_iteratorINS0_17counting_iteratorImlEEZNS1_24adjacent_difference_implIS3_Lb1ELb0EPxSB_N6thrust23THRUST_200600_302600_NS4plusIxEEEE10hipError_tPvRmT2_T3_mT4_P12ihipStream_tbEUlmE_xEESB_NS0_8identityIvEEEESG_SJ_SK_mSL_SN_bEUlT_E_NS1_11comp_targetILNS1_3genE2ELNS1_11target_archE906ELNS1_3gpuE6ELNS1_3repE0EEENS1_30default_config_static_selectorELNS0_4arch9wavefront6targetE1EEEvT1_
; %bb.0:
	s_load_dword s1, s[4:5], 0x38
	s_load_dword s7, s[4:5], 0x20
	s_lshl_b32 s0, s6, 9
	s_waitcnt lgkmcnt(0)
	s_add_i32 s1, s1, -1
	s_cmp_lg_u32 s6, s1
	s_cselect_b64 s[2:3], -1, 0
	s_sub_i32 s1, s7, s0
	v_cmp_gt_u32_e32 vcc, s1, v0
	s_or_b64 s[2:3], s[2:3], vcc
	s_and_saveexec_b64 s[6:7], s[2:3]
	s_cbranch_execz .LBB294_2
; %bb.1:
	s_load_dwordx2 s[2:3], s[4:5], 0x18
	s_load_dwordx2 s[6:7], s[4:5], 0x28
	s_load_dwordx4 s[8:11], s[4:5], 0x0
	s_load_dword s1, s[4:5], 0x10
	s_waitcnt lgkmcnt(0)
	s_lshl_b64 s[4:5], s[2:3], 3
	s_add_u32 s4, s6, s4
	s_addc_u32 s5, s7, s5
	s_add_u32 s2, s8, s2
	s_addc_u32 s3, s9, s3
	;; [unrolled: 2-line block ×3, first 2 shown]
	v_mov_b32_e32 v1, s3
	v_add_co_u32_e32 v2, vcc, s2, v0
	v_addc_co_u32_e32 v3, vcc, 0, v1, vcc
	v_mad_u64_u32 v[1:2], s[2:3], v2, s1, 0
	v_mad_u64_u32 v[2:3], s[2:3], v3, s1, v[2:3]
	v_mov_b32_e32 v3, s11
	s_mov_b32 s1, 0
	v_lshlrev_b64 v[1:2], 3, v[1:2]
	s_lshl_b64 s[0:1], s[0:1], 3
	v_add_co_u32_e32 v1, vcc, s10, v1
	v_addc_co_u32_e32 v2, vcc, v3, v2, vcc
	global_load_dwordx2 v[2:3], v[1:2], off
	v_mov_b32_e32 v1, 0
	s_add_u32 s0, s4, s0
	v_lshlrev_b64 v[0:1], 3, v[0:1]
	s_addc_u32 s1, s5, s1
	v_mov_b32_e32 v4, s1
	v_add_co_u32_e32 v0, vcc, s0, v0
	v_addc_co_u32_e32 v1, vcc, v4, v1, vcc
	s_waitcnt vmcnt(0)
	global_store_dwordx2 v[0:1], v[2:3], off
.LBB294_2:
	s_endpgm
	.section	.rodata,"a",@progbits
	.p2align	6, 0x0
	.amdhsa_kernel _ZN7rocprim17ROCPRIM_400000_NS6detail17trampoline_kernelINS0_14default_configENS1_25transform_config_selectorIxLb0EEEZNS1_14transform_implILb0ES3_S5_NS0_18transform_iteratorINS0_17counting_iteratorImlEEZNS1_24adjacent_difference_implIS3_Lb1ELb0EPxSB_N6thrust23THRUST_200600_302600_NS4plusIxEEEE10hipError_tPvRmT2_T3_mT4_P12ihipStream_tbEUlmE_xEESB_NS0_8identityIvEEEESG_SJ_SK_mSL_SN_bEUlT_E_NS1_11comp_targetILNS1_3genE2ELNS1_11target_archE906ELNS1_3gpuE6ELNS1_3repE0EEENS1_30default_config_static_selectorELNS0_4arch9wavefront6targetE1EEEvT1_
		.amdhsa_group_segment_fixed_size 0
		.amdhsa_private_segment_fixed_size 0
		.amdhsa_kernarg_size 312
		.amdhsa_user_sgpr_count 6
		.amdhsa_user_sgpr_private_segment_buffer 1
		.amdhsa_user_sgpr_dispatch_ptr 0
		.amdhsa_user_sgpr_queue_ptr 0
		.amdhsa_user_sgpr_kernarg_segment_ptr 1
		.amdhsa_user_sgpr_dispatch_id 0
		.amdhsa_user_sgpr_flat_scratch_init 0
		.amdhsa_user_sgpr_private_segment_size 0
		.amdhsa_uses_dynamic_stack 0
		.amdhsa_system_sgpr_private_segment_wavefront_offset 0
		.amdhsa_system_sgpr_workgroup_id_x 1
		.amdhsa_system_sgpr_workgroup_id_y 0
		.amdhsa_system_sgpr_workgroup_id_z 0
		.amdhsa_system_sgpr_workgroup_info 0
		.amdhsa_system_vgpr_workitem_id 0
		.amdhsa_next_free_vgpr 5
		.amdhsa_next_free_sgpr 12
		.amdhsa_reserve_vcc 1
		.amdhsa_reserve_flat_scratch 0
		.amdhsa_float_round_mode_32 0
		.amdhsa_float_round_mode_16_64 0
		.amdhsa_float_denorm_mode_32 3
		.amdhsa_float_denorm_mode_16_64 3
		.amdhsa_dx10_clamp 1
		.amdhsa_ieee_mode 1
		.amdhsa_fp16_overflow 0
		.amdhsa_exception_fp_ieee_invalid_op 0
		.amdhsa_exception_fp_denorm_src 0
		.amdhsa_exception_fp_ieee_div_zero 0
		.amdhsa_exception_fp_ieee_overflow 0
		.amdhsa_exception_fp_ieee_underflow 0
		.amdhsa_exception_fp_ieee_inexact 0
		.amdhsa_exception_int_div_zero 0
	.end_amdhsa_kernel
	.section	.text._ZN7rocprim17ROCPRIM_400000_NS6detail17trampoline_kernelINS0_14default_configENS1_25transform_config_selectorIxLb0EEEZNS1_14transform_implILb0ES3_S5_NS0_18transform_iteratorINS0_17counting_iteratorImlEEZNS1_24adjacent_difference_implIS3_Lb1ELb0EPxSB_N6thrust23THRUST_200600_302600_NS4plusIxEEEE10hipError_tPvRmT2_T3_mT4_P12ihipStream_tbEUlmE_xEESB_NS0_8identityIvEEEESG_SJ_SK_mSL_SN_bEUlT_E_NS1_11comp_targetILNS1_3genE2ELNS1_11target_archE906ELNS1_3gpuE6ELNS1_3repE0EEENS1_30default_config_static_selectorELNS0_4arch9wavefront6targetE1EEEvT1_,"axG",@progbits,_ZN7rocprim17ROCPRIM_400000_NS6detail17trampoline_kernelINS0_14default_configENS1_25transform_config_selectorIxLb0EEEZNS1_14transform_implILb0ES3_S5_NS0_18transform_iteratorINS0_17counting_iteratorImlEEZNS1_24adjacent_difference_implIS3_Lb1ELb0EPxSB_N6thrust23THRUST_200600_302600_NS4plusIxEEEE10hipError_tPvRmT2_T3_mT4_P12ihipStream_tbEUlmE_xEESB_NS0_8identityIvEEEESG_SJ_SK_mSL_SN_bEUlT_E_NS1_11comp_targetILNS1_3genE2ELNS1_11target_archE906ELNS1_3gpuE6ELNS1_3repE0EEENS1_30default_config_static_selectorELNS0_4arch9wavefront6targetE1EEEvT1_,comdat
.Lfunc_end294:
	.size	_ZN7rocprim17ROCPRIM_400000_NS6detail17trampoline_kernelINS0_14default_configENS1_25transform_config_selectorIxLb0EEEZNS1_14transform_implILb0ES3_S5_NS0_18transform_iteratorINS0_17counting_iteratorImlEEZNS1_24adjacent_difference_implIS3_Lb1ELb0EPxSB_N6thrust23THRUST_200600_302600_NS4plusIxEEEE10hipError_tPvRmT2_T3_mT4_P12ihipStream_tbEUlmE_xEESB_NS0_8identityIvEEEESG_SJ_SK_mSL_SN_bEUlT_E_NS1_11comp_targetILNS1_3genE2ELNS1_11target_archE906ELNS1_3gpuE6ELNS1_3repE0EEENS1_30default_config_static_selectorELNS0_4arch9wavefront6targetE1EEEvT1_, .Lfunc_end294-_ZN7rocprim17ROCPRIM_400000_NS6detail17trampoline_kernelINS0_14default_configENS1_25transform_config_selectorIxLb0EEEZNS1_14transform_implILb0ES3_S5_NS0_18transform_iteratorINS0_17counting_iteratorImlEEZNS1_24adjacent_difference_implIS3_Lb1ELb0EPxSB_N6thrust23THRUST_200600_302600_NS4plusIxEEEE10hipError_tPvRmT2_T3_mT4_P12ihipStream_tbEUlmE_xEESB_NS0_8identityIvEEEESG_SJ_SK_mSL_SN_bEUlT_E_NS1_11comp_targetILNS1_3genE2ELNS1_11target_archE906ELNS1_3gpuE6ELNS1_3repE0EEENS1_30default_config_static_selectorELNS0_4arch9wavefront6targetE1EEEvT1_
                                        ; -- End function
	.set _ZN7rocprim17ROCPRIM_400000_NS6detail17trampoline_kernelINS0_14default_configENS1_25transform_config_selectorIxLb0EEEZNS1_14transform_implILb0ES3_S5_NS0_18transform_iteratorINS0_17counting_iteratorImlEEZNS1_24adjacent_difference_implIS3_Lb1ELb0EPxSB_N6thrust23THRUST_200600_302600_NS4plusIxEEEE10hipError_tPvRmT2_T3_mT4_P12ihipStream_tbEUlmE_xEESB_NS0_8identityIvEEEESG_SJ_SK_mSL_SN_bEUlT_E_NS1_11comp_targetILNS1_3genE2ELNS1_11target_archE906ELNS1_3gpuE6ELNS1_3repE0EEENS1_30default_config_static_selectorELNS0_4arch9wavefront6targetE1EEEvT1_.num_vgpr, 5
	.set _ZN7rocprim17ROCPRIM_400000_NS6detail17trampoline_kernelINS0_14default_configENS1_25transform_config_selectorIxLb0EEEZNS1_14transform_implILb0ES3_S5_NS0_18transform_iteratorINS0_17counting_iteratorImlEEZNS1_24adjacent_difference_implIS3_Lb1ELb0EPxSB_N6thrust23THRUST_200600_302600_NS4plusIxEEEE10hipError_tPvRmT2_T3_mT4_P12ihipStream_tbEUlmE_xEESB_NS0_8identityIvEEEESG_SJ_SK_mSL_SN_bEUlT_E_NS1_11comp_targetILNS1_3genE2ELNS1_11target_archE906ELNS1_3gpuE6ELNS1_3repE0EEENS1_30default_config_static_selectorELNS0_4arch9wavefront6targetE1EEEvT1_.num_agpr, 0
	.set _ZN7rocprim17ROCPRIM_400000_NS6detail17trampoline_kernelINS0_14default_configENS1_25transform_config_selectorIxLb0EEEZNS1_14transform_implILb0ES3_S5_NS0_18transform_iteratorINS0_17counting_iteratorImlEEZNS1_24adjacent_difference_implIS3_Lb1ELb0EPxSB_N6thrust23THRUST_200600_302600_NS4plusIxEEEE10hipError_tPvRmT2_T3_mT4_P12ihipStream_tbEUlmE_xEESB_NS0_8identityIvEEEESG_SJ_SK_mSL_SN_bEUlT_E_NS1_11comp_targetILNS1_3genE2ELNS1_11target_archE906ELNS1_3gpuE6ELNS1_3repE0EEENS1_30default_config_static_selectorELNS0_4arch9wavefront6targetE1EEEvT1_.numbered_sgpr, 12
	.set _ZN7rocprim17ROCPRIM_400000_NS6detail17trampoline_kernelINS0_14default_configENS1_25transform_config_selectorIxLb0EEEZNS1_14transform_implILb0ES3_S5_NS0_18transform_iteratorINS0_17counting_iteratorImlEEZNS1_24adjacent_difference_implIS3_Lb1ELb0EPxSB_N6thrust23THRUST_200600_302600_NS4plusIxEEEE10hipError_tPvRmT2_T3_mT4_P12ihipStream_tbEUlmE_xEESB_NS0_8identityIvEEEESG_SJ_SK_mSL_SN_bEUlT_E_NS1_11comp_targetILNS1_3genE2ELNS1_11target_archE906ELNS1_3gpuE6ELNS1_3repE0EEENS1_30default_config_static_selectorELNS0_4arch9wavefront6targetE1EEEvT1_.num_named_barrier, 0
	.set _ZN7rocprim17ROCPRIM_400000_NS6detail17trampoline_kernelINS0_14default_configENS1_25transform_config_selectorIxLb0EEEZNS1_14transform_implILb0ES3_S5_NS0_18transform_iteratorINS0_17counting_iteratorImlEEZNS1_24adjacent_difference_implIS3_Lb1ELb0EPxSB_N6thrust23THRUST_200600_302600_NS4plusIxEEEE10hipError_tPvRmT2_T3_mT4_P12ihipStream_tbEUlmE_xEESB_NS0_8identityIvEEEESG_SJ_SK_mSL_SN_bEUlT_E_NS1_11comp_targetILNS1_3genE2ELNS1_11target_archE906ELNS1_3gpuE6ELNS1_3repE0EEENS1_30default_config_static_selectorELNS0_4arch9wavefront6targetE1EEEvT1_.private_seg_size, 0
	.set _ZN7rocprim17ROCPRIM_400000_NS6detail17trampoline_kernelINS0_14default_configENS1_25transform_config_selectorIxLb0EEEZNS1_14transform_implILb0ES3_S5_NS0_18transform_iteratorINS0_17counting_iteratorImlEEZNS1_24adjacent_difference_implIS3_Lb1ELb0EPxSB_N6thrust23THRUST_200600_302600_NS4plusIxEEEE10hipError_tPvRmT2_T3_mT4_P12ihipStream_tbEUlmE_xEESB_NS0_8identityIvEEEESG_SJ_SK_mSL_SN_bEUlT_E_NS1_11comp_targetILNS1_3genE2ELNS1_11target_archE906ELNS1_3gpuE6ELNS1_3repE0EEENS1_30default_config_static_selectorELNS0_4arch9wavefront6targetE1EEEvT1_.uses_vcc, 1
	.set _ZN7rocprim17ROCPRIM_400000_NS6detail17trampoline_kernelINS0_14default_configENS1_25transform_config_selectorIxLb0EEEZNS1_14transform_implILb0ES3_S5_NS0_18transform_iteratorINS0_17counting_iteratorImlEEZNS1_24adjacent_difference_implIS3_Lb1ELb0EPxSB_N6thrust23THRUST_200600_302600_NS4plusIxEEEE10hipError_tPvRmT2_T3_mT4_P12ihipStream_tbEUlmE_xEESB_NS0_8identityIvEEEESG_SJ_SK_mSL_SN_bEUlT_E_NS1_11comp_targetILNS1_3genE2ELNS1_11target_archE906ELNS1_3gpuE6ELNS1_3repE0EEENS1_30default_config_static_selectorELNS0_4arch9wavefront6targetE1EEEvT1_.uses_flat_scratch, 0
	.set _ZN7rocprim17ROCPRIM_400000_NS6detail17trampoline_kernelINS0_14default_configENS1_25transform_config_selectorIxLb0EEEZNS1_14transform_implILb0ES3_S5_NS0_18transform_iteratorINS0_17counting_iteratorImlEEZNS1_24adjacent_difference_implIS3_Lb1ELb0EPxSB_N6thrust23THRUST_200600_302600_NS4plusIxEEEE10hipError_tPvRmT2_T3_mT4_P12ihipStream_tbEUlmE_xEESB_NS0_8identityIvEEEESG_SJ_SK_mSL_SN_bEUlT_E_NS1_11comp_targetILNS1_3genE2ELNS1_11target_archE906ELNS1_3gpuE6ELNS1_3repE0EEENS1_30default_config_static_selectorELNS0_4arch9wavefront6targetE1EEEvT1_.has_dyn_sized_stack, 0
	.set _ZN7rocprim17ROCPRIM_400000_NS6detail17trampoline_kernelINS0_14default_configENS1_25transform_config_selectorIxLb0EEEZNS1_14transform_implILb0ES3_S5_NS0_18transform_iteratorINS0_17counting_iteratorImlEEZNS1_24adjacent_difference_implIS3_Lb1ELb0EPxSB_N6thrust23THRUST_200600_302600_NS4plusIxEEEE10hipError_tPvRmT2_T3_mT4_P12ihipStream_tbEUlmE_xEESB_NS0_8identityIvEEEESG_SJ_SK_mSL_SN_bEUlT_E_NS1_11comp_targetILNS1_3genE2ELNS1_11target_archE906ELNS1_3gpuE6ELNS1_3repE0EEENS1_30default_config_static_selectorELNS0_4arch9wavefront6targetE1EEEvT1_.has_recursion, 0
	.set _ZN7rocprim17ROCPRIM_400000_NS6detail17trampoline_kernelINS0_14default_configENS1_25transform_config_selectorIxLb0EEEZNS1_14transform_implILb0ES3_S5_NS0_18transform_iteratorINS0_17counting_iteratorImlEEZNS1_24adjacent_difference_implIS3_Lb1ELb0EPxSB_N6thrust23THRUST_200600_302600_NS4plusIxEEEE10hipError_tPvRmT2_T3_mT4_P12ihipStream_tbEUlmE_xEESB_NS0_8identityIvEEEESG_SJ_SK_mSL_SN_bEUlT_E_NS1_11comp_targetILNS1_3genE2ELNS1_11target_archE906ELNS1_3gpuE6ELNS1_3repE0EEENS1_30default_config_static_selectorELNS0_4arch9wavefront6targetE1EEEvT1_.has_indirect_call, 0
	.section	.AMDGPU.csdata,"",@progbits
; Kernel info:
; codeLenInByte = 232
; TotalNumSgprs: 16
; NumVgprs: 5
; ScratchSize: 0
; MemoryBound: 0
; FloatMode: 240
; IeeeMode: 1
; LDSByteSize: 0 bytes/workgroup (compile time only)
; SGPRBlocks: 1
; VGPRBlocks: 1
; NumSGPRsForWavesPerEU: 16
; NumVGPRsForWavesPerEU: 5
; Occupancy: 10
; WaveLimiterHint : 0
; COMPUTE_PGM_RSRC2:SCRATCH_EN: 0
; COMPUTE_PGM_RSRC2:USER_SGPR: 6
; COMPUTE_PGM_RSRC2:TRAP_HANDLER: 0
; COMPUTE_PGM_RSRC2:TGID_X_EN: 1
; COMPUTE_PGM_RSRC2:TGID_Y_EN: 0
; COMPUTE_PGM_RSRC2:TGID_Z_EN: 0
; COMPUTE_PGM_RSRC2:TIDIG_COMP_CNT: 0
	.section	.text._ZN7rocprim17ROCPRIM_400000_NS6detail17trampoline_kernelINS0_14default_configENS1_25transform_config_selectorIxLb0EEEZNS1_14transform_implILb0ES3_S5_NS0_18transform_iteratorINS0_17counting_iteratorImlEEZNS1_24adjacent_difference_implIS3_Lb1ELb0EPxSB_N6thrust23THRUST_200600_302600_NS4plusIxEEEE10hipError_tPvRmT2_T3_mT4_P12ihipStream_tbEUlmE_xEESB_NS0_8identityIvEEEESG_SJ_SK_mSL_SN_bEUlT_E_NS1_11comp_targetILNS1_3genE10ELNS1_11target_archE1201ELNS1_3gpuE5ELNS1_3repE0EEENS1_30default_config_static_selectorELNS0_4arch9wavefront6targetE1EEEvT1_,"axG",@progbits,_ZN7rocprim17ROCPRIM_400000_NS6detail17trampoline_kernelINS0_14default_configENS1_25transform_config_selectorIxLb0EEEZNS1_14transform_implILb0ES3_S5_NS0_18transform_iteratorINS0_17counting_iteratorImlEEZNS1_24adjacent_difference_implIS3_Lb1ELb0EPxSB_N6thrust23THRUST_200600_302600_NS4plusIxEEEE10hipError_tPvRmT2_T3_mT4_P12ihipStream_tbEUlmE_xEESB_NS0_8identityIvEEEESG_SJ_SK_mSL_SN_bEUlT_E_NS1_11comp_targetILNS1_3genE10ELNS1_11target_archE1201ELNS1_3gpuE5ELNS1_3repE0EEENS1_30default_config_static_selectorELNS0_4arch9wavefront6targetE1EEEvT1_,comdat
	.protected	_ZN7rocprim17ROCPRIM_400000_NS6detail17trampoline_kernelINS0_14default_configENS1_25transform_config_selectorIxLb0EEEZNS1_14transform_implILb0ES3_S5_NS0_18transform_iteratorINS0_17counting_iteratorImlEEZNS1_24adjacent_difference_implIS3_Lb1ELb0EPxSB_N6thrust23THRUST_200600_302600_NS4plusIxEEEE10hipError_tPvRmT2_T3_mT4_P12ihipStream_tbEUlmE_xEESB_NS0_8identityIvEEEESG_SJ_SK_mSL_SN_bEUlT_E_NS1_11comp_targetILNS1_3genE10ELNS1_11target_archE1201ELNS1_3gpuE5ELNS1_3repE0EEENS1_30default_config_static_selectorELNS0_4arch9wavefront6targetE1EEEvT1_ ; -- Begin function _ZN7rocprim17ROCPRIM_400000_NS6detail17trampoline_kernelINS0_14default_configENS1_25transform_config_selectorIxLb0EEEZNS1_14transform_implILb0ES3_S5_NS0_18transform_iteratorINS0_17counting_iteratorImlEEZNS1_24adjacent_difference_implIS3_Lb1ELb0EPxSB_N6thrust23THRUST_200600_302600_NS4plusIxEEEE10hipError_tPvRmT2_T3_mT4_P12ihipStream_tbEUlmE_xEESB_NS0_8identityIvEEEESG_SJ_SK_mSL_SN_bEUlT_E_NS1_11comp_targetILNS1_3genE10ELNS1_11target_archE1201ELNS1_3gpuE5ELNS1_3repE0EEENS1_30default_config_static_selectorELNS0_4arch9wavefront6targetE1EEEvT1_
	.globl	_ZN7rocprim17ROCPRIM_400000_NS6detail17trampoline_kernelINS0_14default_configENS1_25transform_config_selectorIxLb0EEEZNS1_14transform_implILb0ES3_S5_NS0_18transform_iteratorINS0_17counting_iteratorImlEEZNS1_24adjacent_difference_implIS3_Lb1ELb0EPxSB_N6thrust23THRUST_200600_302600_NS4plusIxEEEE10hipError_tPvRmT2_T3_mT4_P12ihipStream_tbEUlmE_xEESB_NS0_8identityIvEEEESG_SJ_SK_mSL_SN_bEUlT_E_NS1_11comp_targetILNS1_3genE10ELNS1_11target_archE1201ELNS1_3gpuE5ELNS1_3repE0EEENS1_30default_config_static_selectorELNS0_4arch9wavefront6targetE1EEEvT1_
	.p2align	8
	.type	_ZN7rocprim17ROCPRIM_400000_NS6detail17trampoline_kernelINS0_14default_configENS1_25transform_config_selectorIxLb0EEEZNS1_14transform_implILb0ES3_S5_NS0_18transform_iteratorINS0_17counting_iteratorImlEEZNS1_24adjacent_difference_implIS3_Lb1ELb0EPxSB_N6thrust23THRUST_200600_302600_NS4plusIxEEEE10hipError_tPvRmT2_T3_mT4_P12ihipStream_tbEUlmE_xEESB_NS0_8identityIvEEEESG_SJ_SK_mSL_SN_bEUlT_E_NS1_11comp_targetILNS1_3genE10ELNS1_11target_archE1201ELNS1_3gpuE5ELNS1_3repE0EEENS1_30default_config_static_selectorELNS0_4arch9wavefront6targetE1EEEvT1_,@function
_ZN7rocprim17ROCPRIM_400000_NS6detail17trampoline_kernelINS0_14default_configENS1_25transform_config_selectorIxLb0EEEZNS1_14transform_implILb0ES3_S5_NS0_18transform_iteratorINS0_17counting_iteratorImlEEZNS1_24adjacent_difference_implIS3_Lb1ELb0EPxSB_N6thrust23THRUST_200600_302600_NS4plusIxEEEE10hipError_tPvRmT2_T3_mT4_P12ihipStream_tbEUlmE_xEESB_NS0_8identityIvEEEESG_SJ_SK_mSL_SN_bEUlT_E_NS1_11comp_targetILNS1_3genE10ELNS1_11target_archE1201ELNS1_3gpuE5ELNS1_3repE0EEENS1_30default_config_static_selectorELNS0_4arch9wavefront6targetE1EEEvT1_: ; @_ZN7rocprim17ROCPRIM_400000_NS6detail17trampoline_kernelINS0_14default_configENS1_25transform_config_selectorIxLb0EEEZNS1_14transform_implILb0ES3_S5_NS0_18transform_iteratorINS0_17counting_iteratorImlEEZNS1_24adjacent_difference_implIS3_Lb1ELb0EPxSB_N6thrust23THRUST_200600_302600_NS4plusIxEEEE10hipError_tPvRmT2_T3_mT4_P12ihipStream_tbEUlmE_xEESB_NS0_8identityIvEEEESG_SJ_SK_mSL_SN_bEUlT_E_NS1_11comp_targetILNS1_3genE10ELNS1_11target_archE1201ELNS1_3gpuE5ELNS1_3repE0EEENS1_30default_config_static_selectorELNS0_4arch9wavefront6targetE1EEEvT1_
; %bb.0:
	.section	.rodata,"a",@progbits
	.p2align	6, 0x0
	.amdhsa_kernel _ZN7rocprim17ROCPRIM_400000_NS6detail17trampoline_kernelINS0_14default_configENS1_25transform_config_selectorIxLb0EEEZNS1_14transform_implILb0ES3_S5_NS0_18transform_iteratorINS0_17counting_iteratorImlEEZNS1_24adjacent_difference_implIS3_Lb1ELb0EPxSB_N6thrust23THRUST_200600_302600_NS4plusIxEEEE10hipError_tPvRmT2_T3_mT4_P12ihipStream_tbEUlmE_xEESB_NS0_8identityIvEEEESG_SJ_SK_mSL_SN_bEUlT_E_NS1_11comp_targetILNS1_3genE10ELNS1_11target_archE1201ELNS1_3gpuE5ELNS1_3repE0EEENS1_30default_config_static_selectorELNS0_4arch9wavefront6targetE1EEEvT1_
		.amdhsa_group_segment_fixed_size 0
		.amdhsa_private_segment_fixed_size 0
		.amdhsa_kernarg_size 56
		.amdhsa_user_sgpr_count 6
		.amdhsa_user_sgpr_private_segment_buffer 1
		.amdhsa_user_sgpr_dispatch_ptr 0
		.amdhsa_user_sgpr_queue_ptr 0
		.amdhsa_user_sgpr_kernarg_segment_ptr 1
		.amdhsa_user_sgpr_dispatch_id 0
		.amdhsa_user_sgpr_flat_scratch_init 0
		.amdhsa_user_sgpr_private_segment_size 0
		.amdhsa_uses_dynamic_stack 0
		.amdhsa_system_sgpr_private_segment_wavefront_offset 0
		.amdhsa_system_sgpr_workgroup_id_x 1
		.amdhsa_system_sgpr_workgroup_id_y 0
		.amdhsa_system_sgpr_workgroup_id_z 0
		.amdhsa_system_sgpr_workgroup_info 0
		.amdhsa_system_vgpr_workitem_id 0
		.amdhsa_next_free_vgpr 1
		.amdhsa_next_free_sgpr 0
		.amdhsa_reserve_vcc 0
		.amdhsa_reserve_flat_scratch 0
		.amdhsa_float_round_mode_32 0
		.amdhsa_float_round_mode_16_64 0
		.amdhsa_float_denorm_mode_32 3
		.amdhsa_float_denorm_mode_16_64 3
		.amdhsa_dx10_clamp 1
		.amdhsa_ieee_mode 1
		.amdhsa_fp16_overflow 0
		.amdhsa_exception_fp_ieee_invalid_op 0
		.amdhsa_exception_fp_denorm_src 0
		.amdhsa_exception_fp_ieee_div_zero 0
		.amdhsa_exception_fp_ieee_overflow 0
		.amdhsa_exception_fp_ieee_underflow 0
		.amdhsa_exception_fp_ieee_inexact 0
		.amdhsa_exception_int_div_zero 0
	.end_amdhsa_kernel
	.section	.text._ZN7rocprim17ROCPRIM_400000_NS6detail17trampoline_kernelINS0_14default_configENS1_25transform_config_selectorIxLb0EEEZNS1_14transform_implILb0ES3_S5_NS0_18transform_iteratorINS0_17counting_iteratorImlEEZNS1_24adjacent_difference_implIS3_Lb1ELb0EPxSB_N6thrust23THRUST_200600_302600_NS4plusIxEEEE10hipError_tPvRmT2_T3_mT4_P12ihipStream_tbEUlmE_xEESB_NS0_8identityIvEEEESG_SJ_SK_mSL_SN_bEUlT_E_NS1_11comp_targetILNS1_3genE10ELNS1_11target_archE1201ELNS1_3gpuE5ELNS1_3repE0EEENS1_30default_config_static_selectorELNS0_4arch9wavefront6targetE1EEEvT1_,"axG",@progbits,_ZN7rocprim17ROCPRIM_400000_NS6detail17trampoline_kernelINS0_14default_configENS1_25transform_config_selectorIxLb0EEEZNS1_14transform_implILb0ES3_S5_NS0_18transform_iteratorINS0_17counting_iteratorImlEEZNS1_24adjacent_difference_implIS3_Lb1ELb0EPxSB_N6thrust23THRUST_200600_302600_NS4plusIxEEEE10hipError_tPvRmT2_T3_mT4_P12ihipStream_tbEUlmE_xEESB_NS0_8identityIvEEEESG_SJ_SK_mSL_SN_bEUlT_E_NS1_11comp_targetILNS1_3genE10ELNS1_11target_archE1201ELNS1_3gpuE5ELNS1_3repE0EEENS1_30default_config_static_selectorELNS0_4arch9wavefront6targetE1EEEvT1_,comdat
.Lfunc_end295:
	.size	_ZN7rocprim17ROCPRIM_400000_NS6detail17trampoline_kernelINS0_14default_configENS1_25transform_config_selectorIxLb0EEEZNS1_14transform_implILb0ES3_S5_NS0_18transform_iteratorINS0_17counting_iteratorImlEEZNS1_24adjacent_difference_implIS3_Lb1ELb0EPxSB_N6thrust23THRUST_200600_302600_NS4plusIxEEEE10hipError_tPvRmT2_T3_mT4_P12ihipStream_tbEUlmE_xEESB_NS0_8identityIvEEEESG_SJ_SK_mSL_SN_bEUlT_E_NS1_11comp_targetILNS1_3genE10ELNS1_11target_archE1201ELNS1_3gpuE5ELNS1_3repE0EEENS1_30default_config_static_selectorELNS0_4arch9wavefront6targetE1EEEvT1_, .Lfunc_end295-_ZN7rocprim17ROCPRIM_400000_NS6detail17trampoline_kernelINS0_14default_configENS1_25transform_config_selectorIxLb0EEEZNS1_14transform_implILb0ES3_S5_NS0_18transform_iteratorINS0_17counting_iteratorImlEEZNS1_24adjacent_difference_implIS3_Lb1ELb0EPxSB_N6thrust23THRUST_200600_302600_NS4plusIxEEEE10hipError_tPvRmT2_T3_mT4_P12ihipStream_tbEUlmE_xEESB_NS0_8identityIvEEEESG_SJ_SK_mSL_SN_bEUlT_E_NS1_11comp_targetILNS1_3genE10ELNS1_11target_archE1201ELNS1_3gpuE5ELNS1_3repE0EEENS1_30default_config_static_selectorELNS0_4arch9wavefront6targetE1EEEvT1_
                                        ; -- End function
	.set _ZN7rocprim17ROCPRIM_400000_NS6detail17trampoline_kernelINS0_14default_configENS1_25transform_config_selectorIxLb0EEEZNS1_14transform_implILb0ES3_S5_NS0_18transform_iteratorINS0_17counting_iteratorImlEEZNS1_24adjacent_difference_implIS3_Lb1ELb0EPxSB_N6thrust23THRUST_200600_302600_NS4plusIxEEEE10hipError_tPvRmT2_T3_mT4_P12ihipStream_tbEUlmE_xEESB_NS0_8identityIvEEEESG_SJ_SK_mSL_SN_bEUlT_E_NS1_11comp_targetILNS1_3genE10ELNS1_11target_archE1201ELNS1_3gpuE5ELNS1_3repE0EEENS1_30default_config_static_selectorELNS0_4arch9wavefront6targetE1EEEvT1_.num_vgpr, 0
	.set _ZN7rocprim17ROCPRIM_400000_NS6detail17trampoline_kernelINS0_14default_configENS1_25transform_config_selectorIxLb0EEEZNS1_14transform_implILb0ES3_S5_NS0_18transform_iteratorINS0_17counting_iteratorImlEEZNS1_24adjacent_difference_implIS3_Lb1ELb0EPxSB_N6thrust23THRUST_200600_302600_NS4plusIxEEEE10hipError_tPvRmT2_T3_mT4_P12ihipStream_tbEUlmE_xEESB_NS0_8identityIvEEEESG_SJ_SK_mSL_SN_bEUlT_E_NS1_11comp_targetILNS1_3genE10ELNS1_11target_archE1201ELNS1_3gpuE5ELNS1_3repE0EEENS1_30default_config_static_selectorELNS0_4arch9wavefront6targetE1EEEvT1_.num_agpr, 0
	.set _ZN7rocprim17ROCPRIM_400000_NS6detail17trampoline_kernelINS0_14default_configENS1_25transform_config_selectorIxLb0EEEZNS1_14transform_implILb0ES3_S5_NS0_18transform_iteratorINS0_17counting_iteratorImlEEZNS1_24adjacent_difference_implIS3_Lb1ELb0EPxSB_N6thrust23THRUST_200600_302600_NS4plusIxEEEE10hipError_tPvRmT2_T3_mT4_P12ihipStream_tbEUlmE_xEESB_NS0_8identityIvEEEESG_SJ_SK_mSL_SN_bEUlT_E_NS1_11comp_targetILNS1_3genE10ELNS1_11target_archE1201ELNS1_3gpuE5ELNS1_3repE0EEENS1_30default_config_static_selectorELNS0_4arch9wavefront6targetE1EEEvT1_.numbered_sgpr, 0
	.set _ZN7rocprim17ROCPRIM_400000_NS6detail17trampoline_kernelINS0_14default_configENS1_25transform_config_selectorIxLb0EEEZNS1_14transform_implILb0ES3_S5_NS0_18transform_iteratorINS0_17counting_iteratorImlEEZNS1_24adjacent_difference_implIS3_Lb1ELb0EPxSB_N6thrust23THRUST_200600_302600_NS4plusIxEEEE10hipError_tPvRmT2_T3_mT4_P12ihipStream_tbEUlmE_xEESB_NS0_8identityIvEEEESG_SJ_SK_mSL_SN_bEUlT_E_NS1_11comp_targetILNS1_3genE10ELNS1_11target_archE1201ELNS1_3gpuE5ELNS1_3repE0EEENS1_30default_config_static_selectorELNS0_4arch9wavefront6targetE1EEEvT1_.num_named_barrier, 0
	.set _ZN7rocprim17ROCPRIM_400000_NS6detail17trampoline_kernelINS0_14default_configENS1_25transform_config_selectorIxLb0EEEZNS1_14transform_implILb0ES3_S5_NS0_18transform_iteratorINS0_17counting_iteratorImlEEZNS1_24adjacent_difference_implIS3_Lb1ELb0EPxSB_N6thrust23THRUST_200600_302600_NS4plusIxEEEE10hipError_tPvRmT2_T3_mT4_P12ihipStream_tbEUlmE_xEESB_NS0_8identityIvEEEESG_SJ_SK_mSL_SN_bEUlT_E_NS1_11comp_targetILNS1_3genE10ELNS1_11target_archE1201ELNS1_3gpuE5ELNS1_3repE0EEENS1_30default_config_static_selectorELNS0_4arch9wavefront6targetE1EEEvT1_.private_seg_size, 0
	.set _ZN7rocprim17ROCPRIM_400000_NS6detail17trampoline_kernelINS0_14default_configENS1_25transform_config_selectorIxLb0EEEZNS1_14transform_implILb0ES3_S5_NS0_18transform_iteratorINS0_17counting_iteratorImlEEZNS1_24adjacent_difference_implIS3_Lb1ELb0EPxSB_N6thrust23THRUST_200600_302600_NS4plusIxEEEE10hipError_tPvRmT2_T3_mT4_P12ihipStream_tbEUlmE_xEESB_NS0_8identityIvEEEESG_SJ_SK_mSL_SN_bEUlT_E_NS1_11comp_targetILNS1_3genE10ELNS1_11target_archE1201ELNS1_3gpuE5ELNS1_3repE0EEENS1_30default_config_static_selectorELNS0_4arch9wavefront6targetE1EEEvT1_.uses_vcc, 0
	.set _ZN7rocprim17ROCPRIM_400000_NS6detail17trampoline_kernelINS0_14default_configENS1_25transform_config_selectorIxLb0EEEZNS1_14transform_implILb0ES3_S5_NS0_18transform_iteratorINS0_17counting_iteratorImlEEZNS1_24adjacent_difference_implIS3_Lb1ELb0EPxSB_N6thrust23THRUST_200600_302600_NS4plusIxEEEE10hipError_tPvRmT2_T3_mT4_P12ihipStream_tbEUlmE_xEESB_NS0_8identityIvEEEESG_SJ_SK_mSL_SN_bEUlT_E_NS1_11comp_targetILNS1_3genE10ELNS1_11target_archE1201ELNS1_3gpuE5ELNS1_3repE0EEENS1_30default_config_static_selectorELNS0_4arch9wavefront6targetE1EEEvT1_.uses_flat_scratch, 0
	.set _ZN7rocprim17ROCPRIM_400000_NS6detail17trampoline_kernelINS0_14default_configENS1_25transform_config_selectorIxLb0EEEZNS1_14transform_implILb0ES3_S5_NS0_18transform_iteratorINS0_17counting_iteratorImlEEZNS1_24adjacent_difference_implIS3_Lb1ELb0EPxSB_N6thrust23THRUST_200600_302600_NS4plusIxEEEE10hipError_tPvRmT2_T3_mT4_P12ihipStream_tbEUlmE_xEESB_NS0_8identityIvEEEESG_SJ_SK_mSL_SN_bEUlT_E_NS1_11comp_targetILNS1_3genE10ELNS1_11target_archE1201ELNS1_3gpuE5ELNS1_3repE0EEENS1_30default_config_static_selectorELNS0_4arch9wavefront6targetE1EEEvT1_.has_dyn_sized_stack, 0
	.set _ZN7rocprim17ROCPRIM_400000_NS6detail17trampoline_kernelINS0_14default_configENS1_25transform_config_selectorIxLb0EEEZNS1_14transform_implILb0ES3_S5_NS0_18transform_iteratorINS0_17counting_iteratorImlEEZNS1_24adjacent_difference_implIS3_Lb1ELb0EPxSB_N6thrust23THRUST_200600_302600_NS4plusIxEEEE10hipError_tPvRmT2_T3_mT4_P12ihipStream_tbEUlmE_xEESB_NS0_8identityIvEEEESG_SJ_SK_mSL_SN_bEUlT_E_NS1_11comp_targetILNS1_3genE10ELNS1_11target_archE1201ELNS1_3gpuE5ELNS1_3repE0EEENS1_30default_config_static_selectorELNS0_4arch9wavefront6targetE1EEEvT1_.has_recursion, 0
	.set _ZN7rocprim17ROCPRIM_400000_NS6detail17trampoline_kernelINS0_14default_configENS1_25transform_config_selectorIxLb0EEEZNS1_14transform_implILb0ES3_S5_NS0_18transform_iteratorINS0_17counting_iteratorImlEEZNS1_24adjacent_difference_implIS3_Lb1ELb0EPxSB_N6thrust23THRUST_200600_302600_NS4plusIxEEEE10hipError_tPvRmT2_T3_mT4_P12ihipStream_tbEUlmE_xEESB_NS0_8identityIvEEEESG_SJ_SK_mSL_SN_bEUlT_E_NS1_11comp_targetILNS1_3genE10ELNS1_11target_archE1201ELNS1_3gpuE5ELNS1_3repE0EEENS1_30default_config_static_selectorELNS0_4arch9wavefront6targetE1EEEvT1_.has_indirect_call, 0
	.section	.AMDGPU.csdata,"",@progbits
; Kernel info:
; codeLenInByte = 0
; TotalNumSgprs: 4
; NumVgprs: 0
; ScratchSize: 0
; MemoryBound: 0
; FloatMode: 240
; IeeeMode: 1
; LDSByteSize: 0 bytes/workgroup (compile time only)
; SGPRBlocks: 0
; VGPRBlocks: 0
; NumSGPRsForWavesPerEU: 4
; NumVGPRsForWavesPerEU: 1
; Occupancy: 10
; WaveLimiterHint : 0
; COMPUTE_PGM_RSRC2:SCRATCH_EN: 0
; COMPUTE_PGM_RSRC2:USER_SGPR: 6
; COMPUTE_PGM_RSRC2:TRAP_HANDLER: 0
; COMPUTE_PGM_RSRC2:TGID_X_EN: 1
; COMPUTE_PGM_RSRC2:TGID_Y_EN: 0
; COMPUTE_PGM_RSRC2:TGID_Z_EN: 0
; COMPUTE_PGM_RSRC2:TIDIG_COMP_CNT: 0
	.section	.text._ZN7rocprim17ROCPRIM_400000_NS6detail17trampoline_kernelINS0_14default_configENS1_25transform_config_selectorIxLb0EEEZNS1_14transform_implILb0ES3_S5_NS0_18transform_iteratorINS0_17counting_iteratorImlEEZNS1_24adjacent_difference_implIS3_Lb1ELb0EPxSB_N6thrust23THRUST_200600_302600_NS4plusIxEEEE10hipError_tPvRmT2_T3_mT4_P12ihipStream_tbEUlmE_xEESB_NS0_8identityIvEEEESG_SJ_SK_mSL_SN_bEUlT_E_NS1_11comp_targetILNS1_3genE10ELNS1_11target_archE1200ELNS1_3gpuE4ELNS1_3repE0EEENS1_30default_config_static_selectorELNS0_4arch9wavefront6targetE1EEEvT1_,"axG",@progbits,_ZN7rocprim17ROCPRIM_400000_NS6detail17trampoline_kernelINS0_14default_configENS1_25transform_config_selectorIxLb0EEEZNS1_14transform_implILb0ES3_S5_NS0_18transform_iteratorINS0_17counting_iteratorImlEEZNS1_24adjacent_difference_implIS3_Lb1ELb0EPxSB_N6thrust23THRUST_200600_302600_NS4plusIxEEEE10hipError_tPvRmT2_T3_mT4_P12ihipStream_tbEUlmE_xEESB_NS0_8identityIvEEEESG_SJ_SK_mSL_SN_bEUlT_E_NS1_11comp_targetILNS1_3genE10ELNS1_11target_archE1200ELNS1_3gpuE4ELNS1_3repE0EEENS1_30default_config_static_selectorELNS0_4arch9wavefront6targetE1EEEvT1_,comdat
	.protected	_ZN7rocprim17ROCPRIM_400000_NS6detail17trampoline_kernelINS0_14default_configENS1_25transform_config_selectorIxLb0EEEZNS1_14transform_implILb0ES3_S5_NS0_18transform_iteratorINS0_17counting_iteratorImlEEZNS1_24adjacent_difference_implIS3_Lb1ELb0EPxSB_N6thrust23THRUST_200600_302600_NS4plusIxEEEE10hipError_tPvRmT2_T3_mT4_P12ihipStream_tbEUlmE_xEESB_NS0_8identityIvEEEESG_SJ_SK_mSL_SN_bEUlT_E_NS1_11comp_targetILNS1_3genE10ELNS1_11target_archE1200ELNS1_3gpuE4ELNS1_3repE0EEENS1_30default_config_static_selectorELNS0_4arch9wavefront6targetE1EEEvT1_ ; -- Begin function _ZN7rocprim17ROCPRIM_400000_NS6detail17trampoline_kernelINS0_14default_configENS1_25transform_config_selectorIxLb0EEEZNS1_14transform_implILb0ES3_S5_NS0_18transform_iteratorINS0_17counting_iteratorImlEEZNS1_24adjacent_difference_implIS3_Lb1ELb0EPxSB_N6thrust23THRUST_200600_302600_NS4plusIxEEEE10hipError_tPvRmT2_T3_mT4_P12ihipStream_tbEUlmE_xEESB_NS0_8identityIvEEEESG_SJ_SK_mSL_SN_bEUlT_E_NS1_11comp_targetILNS1_3genE10ELNS1_11target_archE1200ELNS1_3gpuE4ELNS1_3repE0EEENS1_30default_config_static_selectorELNS0_4arch9wavefront6targetE1EEEvT1_
	.globl	_ZN7rocprim17ROCPRIM_400000_NS6detail17trampoline_kernelINS0_14default_configENS1_25transform_config_selectorIxLb0EEEZNS1_14transform_implILb0ES3_S5_NS0_18transform_iteratorINS0_17counting_iteratorImlEEZNS1_24adjacent_difference_implIS3_Lb1ELb0EPxSB_N6thrust23THRUST_200600_302600_NS4plusIxEEEE10hipError_tPvRmT2_T3_mT4_P12ihipStream_tbEUlmE_xEESB_NS0_8identityIvEEEESG_SJ_SK_mSL_SN_bEUlT_E_NS1_11comp_targetILNS1_3genE10ELNS1_11target_archE1200ELNS1_3gpuE4ELNS1_3repE0EEENS1_30default_config_static_selectorELNS0_4arch9wavefront6targetE1EEEvT1_
	.p2align	8
	.type	_ZN7rocprim17ROCPRIM_400000_NS6detail17trampoline_kernelINS0_14default_configENS1_25transform_config_selectorIxLb0EEEZNS1_14transform_implILb0ES3_S5_NS0_18transform_iteratorINS0_17counting_iteratorImlEEZNS1_24adjacent_difference_implIS3_Lb1ELb0EPxSB_N6thrust23THRUST_200600_302600_NS4plusIxEEEE10hipError_tPvRmT2_T3_mT4_P12ihipStream_tbEUlmE_xEESB_NS0_8identityIvEEEESG_SJ_SK_mSL_SN_bEUlT_E_NS1_11comp_targetILNS1_3genE10ELNS1_11target_archE1200ELNS1_3gpuE4ELNS1_3repE0EEENS1_30default_config_static_selectorELNS0_4arch9wavefront6targetE1EEEvT1_,@function
_ZN7rocprim17ROCPRIM_400000_NS6detail17trampoline_kernelINS0_14default_configENS1_25transform_config_selectorIxLb0EEEZNS1_14transform_implILb0ES3_S5_NS0_18transform_iteratorINS0_17counting_iteratorImlEEZNS1_24adjacent_difference_implIS3_Lb1ELb0EPxSB_N6thrust23THRUST_200600_302600_NS4plusIxEEEE10hipError_tPvRmT2_T3_mT4_P12ihipStream_tbEUlmE_xEESB_NS0_8identityIvEEEESG_SJ_SK_mSL_SN_bEUlT_E_NS1_11comp_targetILNS1_3genE10ELNS1_11target_archE1200ELNS1_3gpuE4ELNS1_3repE0EEENS1_30default_config_static_selectorELNS0_4arch9wavefront6targetE1EEEvT1_: ; @_ZN7rocprim17ROCPRIM_400000_NS6detail17trampoline_kernelINS0_14default_configENS1_25transform_config_selectorIxLb0EEEZNS1_14transform_implILb0ES3_S5_NS0_18transform_iteratorINS0_17counting_iteratorImlEEZNS1_24adjacent_difference_implIS3_Lb1ELb0EPxSB_N6thrust23THRUST_200600_302600_NS4plusIxEEEE10hipError_tPvRmT2_T3_mT4_P12ihipStream_tbEUlmE_xEESB_NS0_8identityIvEEEESG_SJ_SK_mSL_SN_bEUlT_E_NS1_11comp_targetILNS1_3genE10ELNS1_11target_archE1200ELNS1_3gpuE4ELNS1_3repE0EEENS1_30default_config_static_selectorELNS0_4arch9wavefront6targetE1EEEvT1_
; %bb.0:
	.section	.rodata,"a",@progbits
	.p2align	6, 0x0
	.amdhsa_kernel _ZN7rocprim17ROCPRIM_400000_NS6detail17trampoline_kernelINS0_14default_configENS1_25transform_config_selectorIxLb0EEEZNS1_14transform_implILb0ES3_S5_NS0_18transform_iteratorINS0_17counting_iteratorImlEEZNS1_24adjacent_difference_implIS3_Lb1ELb0EPxSB_N6thrust23THRUST_200600_302600_NS4plusIxEEEE10hipError_tPvRmT2_T3_mT4_P12ihipStream_tbEUlmE_xEESB_NS0_8identityIvEEEESG_SJ_SK_mSL_SN_bEUlT_E_NS1_11comp_targetILNS1_3genE10ELNS1_11target_archE1200ELNS1_3gpuE4ELNS1_3repE0EEENS1_30default_config_static_selectorELNS0_4arch9wavefront6targetE1EEEvT1_
		.amdhsa_group_segment_fixed_size 0
		.amdhsa_private_segment_fixed_size 0
		.amdhsa_kernarg_size 56
		.amdhsa_user_sgpr_count 6
		.amdhsa_user_sgpr_private_segment_buffer 1
		.amdhsa_user_sgpr_dispatch_ptr 0
		.amdhsa_user_sgpr_queue_ptr 0
		.amdhsa_user_sgpr_kernarg_segment_ptr 1
		.amdhsa_user_sgpr_dispatch_id 0
		.amdhsa_user_sgpr_flat_scratch_init 0
		.amdhsa_user_sgpr_private_segment_size 0
		.amdhsa_uses_dynamic_stack 0
		.amdhsa_system_sgpr_private_segment_wavefront_offset 0
		.amdhsa_system_sgpr_workgroup_id_x 1
		.amdhsa_system_sgpr_workgroup_id_y 0
		.amdhsa_system_sgpr_workgroup_id_z 0
		.amdhsa_system_sgpr_workgroup_info 0
		.amdhsa_system_vgpr_workitem_id 0
		.amdhsa_next_free_vgpr 1
		.amdhsa_next_free_sgpr 0
		.amdhsa_reserve_vcc 0
		.amdhsa_reserve_flat_scratch 0
		.amdhsa_float_round_mode_32 0
		.amdhsa_float_round_mode_16_64 0
		.amdhsa_float_denorm_mode_32 3
		.amdhsa_float_denorm_mode_16_64 3
		.amdhsa_dx10_clamp 1
		.amdhsa_ieee_mode 1
		.amdhsa_fp16_overflow 0
		.amdhsa_exception_fp_ieee_invalid_op 0
		.amdhsa_exception_fp_denorm_src 0
		.amdhsa_exception_fp_ieee_div_zero 0
		.amdhsa_exception_fp_ieee_overflow 0
		.amdhsa_exception_fp_ieee_underflow 0
		.amdhsa_exception_fp_ieee_inexact 0
		.amdhsa_exception_int_div_zero 0
	.end_amdhsa_kernel
	.section	.text._ZN7rocprim17ROCPRIM_400000_NS6detail17trampoline_kernelINS0_14default_configENS1_25transform_config_selectorIxLb0EEEZNS1_14transform_implILb0ES3_S5_NS0_18transform_iteratorINS0_17counting_iteratorImlEEZNS1_24adjacent_difference_implIS3_Lb1ELb0EPxSB_N6thrust23THRUST_200600_302600_NS4plusIxEEEE10hipError_tPvRmT2_T3_mT4_P12ihipStream_tbEUlmE_xEESB_NS0_8identityIvEEEESG_SJ_SK_mSL_SN_bEUlT_E_NS1_11comp_targetILNS1_3genE10ELNS1_11target_archE1200ELNS1_3gpuE4ELNS1_3repE0EEENS1_30default_config_static_selectorELNS0_4arch9wavefront6targetE1EEEvT1_,"axG",@progbits,_ZN7rocprim17ROCPRIM_400000_NS6detail17trampoline_kernelINS0_14default_configENS1_25transform_config_selectorIxLb0EEEZNS1_14transform_implILb0ES3_S5_NS0_18transform_iteratorINS0_17counting_iteratorImlEEZNS1_24adjacent_difference_implIS3_Lb1ELb0EPxSB_N6thrust23THRUST_200600_302600_NS4plusIxEEEE10hipError_tPvRmT2_T3_mT4_P12ihipStream_tbEUlmE_xEESB_NS0_8identityIvEEEESG_SJ_SK_mSL_SN_bEUlT_E_NS1_11comp_targetILNS1_3genE10ELNS1_11target_archE1200ELNS1_3gpuE4ELNS1_3repE0EEENS1_30default_config_static_selectorELNS0_4arch9wavefront6targetE1EEEvT1_,comdat
.Lfunc_end296:
	.size	_ZN7rocprim17ROCPRIM_400000_NS6detail17trampoline_kernelINS0_14default_configENS1_25transform_config_selectorIxLb0EEEZNS1_14transform_implILb0ES3_S5_NS0_18transform_iteratorINS0_17counting_iteratorImlEEZNS1_24adjacent_difference_implIS3_Lb1ELb0EPxSB_N6thrust23THRUST_200600_302600_NS4plusIxEEEE10hipError_tPvRmT2_T3_mT4_P12ihipStream_tbEUlmE_xEESB_NS0_8identityIvEEEESG_SJ_SK_mSL_SN_bEUlT_E_NS1_11comp_targetILNS1_3genE10ELNS1_11target_archE1200ELNS1_3gpuE4ELNS1_3repE0EEENS1_30default_config_static_selectorELNS0_4arch9wavefront6targetE1EEEvT1_, .Lfunc_end296-_ZN7rocprim17ROCPRIM_400000_NS6detail17trampoline_kernelINS0_14default_configENS1_25transform_config_selectorIxLb0EEEZNS1_14transform_implILb0ES3_S5_NS0_18transform_iteratorINS0_17counting_iteratorImlEEZNS1_24adjacent_difference_implIS3_Lb1ELb0EPxSB_N6thrust23THRUST_200600_302600_NS4plusIxEEEE10hipError_tPvRmT2_T3_mT4_P12ihipStream_tbEUlmE_xEESB_NS0_8identityIvEEEESG_SJ_SK_mSL_SN_bEUlT_E_NS1_11comp_targetILNS1_3genE10ELNS1_11target_archE1200ELNS1_3gpuE4ELNS1_3repE0EEENS1_30default_config_static_selectorELNS0_4arch9wavefront6targetE1EEEvT1_
                                        ; -- End function
	.set _ZN7rocprim17ROCPRIM_400000_NS6detail17trampoline_kernelINS0_14default_configENS1_25transform_config_selectorIxLb0EEEZNS1_14transform_implILb0ES3_S5_NS0_18transform_iteratorINS0_17counting_iteratorImlEEZNS1_24adjacent_difference_implIS3_Lb1ELb0EPxSB_N6thrust23THRUST_200600_302600_NS4plusIxEEEE10hipError_tPvRmT2_T3_mT4_P12ihipStream_tbEUlmE_xEESB_NS0_8identityIvEEEESG_SJ_SK_mSL_SN_bEUlT_E_NS1_11comp_targetILNS1_3genE10ELNS1_11target_archE1200ELNS1_3gpuE4ELNS1_3repE0EEENS1_30default_config_static_selectorELNS0_4arch9wavefront6targetE1EEEvT1_.num_vgpr, 0
	.set _ZN7rocprim17ROCPRIM_400000_NS6detail17trampoline_kernelINS0_14default_configENS1_25transform_config_selectorIxLb0EEEZNS1_14transform_implILb0ES3_S5_NS0_18transform_iteratorINS0_17counting_iteratorImlEEZNS1_24adjacent_difference_implIS3_Lb1ELb0EPxSB_N6thrust23THRUST_200600_302600_NS4plusIxEEEE10hipError_tPvRmT2_T3_mT4_P12ihipStream_tbEUlmE_xEESB_NS0_8identityIvEEEESG_SJ_SK_mSL_SN_bEUlT_E_NS1_11comp_targetILNS1_3genE10ELNS1_11target_archE1200ELNS1_3gpuE4ELNS1_3repE0EEENS1_30default_config_static_selectorELNS0_4arch9wavefront6targetE1EEEvT1_.num_agpr, 0
	.set _ZN7rocprim17ROCPRIM_400000_NS6detail17trampoline_kernelINS0_14default_configENS1_25transform_config_selectorIxLb0EEEZNS1_14transform_implILb0ES3_S5_NS0_18transform_iteratorINS0_17counting_iteratorImlEEZNS1_24adjacent_difference_implIS3_Lb1ELb0EPxSB_N6thrust23THRUST_200600_302600_NS4plusIxEEEE10hipError_tPvRmT2_T3_mT4_P12ihipStream_tbEUlmE_xEESB_NS0_8identityIvEEEESG_SJ_SK_mSL_SN_bEUlT_E_NS1_11comp_targetILNS1_3genE10ELNS1_11target_archE1200ELNS1_3gpuE4ELNS1_3repE0EEENS1_30default_config_static_selectorELNS0_4arch9wavefront6targetE1EEEvT1_.numbered_sgpr, 0
	.set _ZN7rocprim17ROCPRIM_400000_NS6detail17trampoline_kernelINS0_14default_configENS1_25transform_config_selectorIxLb0EEEZNS1_14transform_implILb0ES3_S5_NS0_18transform_iteratorINS0_17counting_iteratorImlEEZNS1_24adjacent_difference_implIS3_Lb1ELb0EPxSB_N6thrust23THRUST_200600_302600_NS4plusIxEEEE10hipError_tPvRmT2_T3_mT4_P12ihipStream_tbEUlmE_xEESB_NS0_8identityIvEEEESG_SJ_SK_mSL_SN_bEUlT_E_NS1_11comp_targetILNS1_3genE10ELNS1_11target_archE1200ELNS1_3gpuE4ELNS1_3repE0EEENS1_30default_config_static_selectorELNS0_4arch9wavefront6targetE1EEEvT1_.num_named_barrier, 0
	.set _ZN7rocprim17ROCPRIM_400000_NS6detail17trampoline_kernelINS0_14default_configENS1_25transform_config_selectorIxLb0EEEZNS1_14transform_implILb0ES3_S5_NS0_18transform_iteratorINS0_17counting_iteratorImlEEZNS1_24adjacent_difference_implIS3_Lb1ELb0EPxSB_N6thrust23THRUST_200600_302600_NS4plusIxEEEE10hipError_tPvRmT2_T3_mT4_P12ihipStream_tbEUlmE_xEESB_NS0_8identityIvEEEESG_SJ_SK_mSL_SN_bEUlT_E_NS1_11comp_targetILNS1_3genE10ELNS1_11target_archE1200ELNS1_3gpuE4ELNS1_3repE0EEENS1_30default_config_static_selectorELNS0_4arch9wavefront6targetE1EEEvT1_.private_seg_size, 0
	.set _ZN7rocprim17ROCPRIM_400000_NS6detail17trampoline_kernelINS0_14default_configENS1_25transform_config_selectorIxLb0EEEZNS1_14transform_implILb0ES3_S5_NS0_18transform_iteratorINS0_17counting_iteratorImlEEZNS1_24adjacent_difference_implIS3_Lb1ELb0EPxSB_N6thrust23THRUST_200600_302600_NS4plusIxEEEE10hipError_tPvRmT2_T3_mT4_P12ihipStream_tbEUlmE_xEESB_NS0_8identityIvEEEESG_SJ_SK_mSL_SN_bEUlT_E_NS1_11comp_targetILNS1_3genE10ELNS1_11target_archE1200ELNS1_3gpuE4ELNS1_3repE0EEENS1_30default_config_static_selectorELNS0_4arch9wavefront6targetE1EEEvT1_.uses_vcc, 0
	.set _ZN7rocprim17ROCPRIM_400000_NS6detail17trampoline_kernelINS0_14default_configENS1_25transform_config_selectorIxLb0EEEZNS1_14transform_implILb0ES3_S5_NS0_18transform_iteratorINS0_17counting_iteratorImlEEZNS1_24adjacent_difference_implIS3_Lb1ELb0EPxSB_N6thrust23THRUST_200600_302600_NS4plusIxEEEE10hipError_tPvRmT2_T3_mT4_P12ihipStream_tbEUlmE_xEESB_NS0_8identityIvEEEESG_SJ_SK_mSL_SN_bEUlT_E_NS1_11comp_targetILNS1_3genE10ELNS1_11target_archE1200ELNS1_3gpuE4ELNS1_3repE0EEENS1_30default_config_static_selectorELNS0_4arch9wavefront6targetE1EEEvT1_.uses_flat_scratch, 0
	.set _ZN7rocprim17ROCPRIM_400000_NS6detail17trampoline_kernelINS0_14default_configENS1_25transform_config_selectorIxLb0EEEZNS1_14transform_implILb0ES3_S5_NS0_18transform_iteratorINS0_17counting_iteratorImlEEZNS1_24adjacent_difference_implIS3_Lb1ELb0EPxSB_N6thrust23THRUST_200600_302600_NS4plusIxEEEE10hipError_tPvRmT2_T3_mT4_P12ihipStream_tbEUlmE_xEESB_NS0_8identityIvEEEESG_SJ_SK_mSL_SN_bEUlT_E_NS1_11comp_targetILNS1_3genE10ELNS1_11target_archE1200ELNS1_3gpuE4ELNS1_3repE0EEENS1_30default_config_static_selectorELNS0_4arch9wavefront6targetE1EEEvT1_.has_dyn_sized_stack, 0
	.set _ZN7rocprim17ROCPRIM_400000_NS6detail17trampoline_kernelINS0_14default_configENS1_25transform_config_selectorIxLb0EEEZNS1_14transform_implILb0ES3_S5_NS0_18transform_iteratorINS0_17counting_iteratorImlEEZNS1_24adjacent_difference_implIS3_Lb1ELb0EPxSB_N6thrust23THRUST_200600_302600_NS4plusIxEEEE10hipError_tPvRmT2_T3_mT4_P12ihipStream_tbEUlmE_xEESB_NS0_8identityIvEEEESG_SJ_SK_mSL_SN_bEUlT_E_NS1_11comp_targetILNS1_3genE10ELNS1_11target_archE1200ELNS1_3gpuE4ELNS1_3repE0EEENS1_30default_config_static_selectorELNS0_4arch9wavefront6targetE1EEEvT1_.has_recursion, 0
	.set _ZN7rocprim17ROCPRIM_400000_NS6detail17trampoline_kernelINS0_14default_configENS1_25transform_config_selectorIxLb0EEEZNS1_14transform_implILb0ES3_S5_NS0_18transform_iteratorINS0_17counting_iteratorImlEEZNS1_24adjacent_difference_implIS3_Lb1ELb0EPxSB_N6thrust23THRUST_200600_302600_NS4plusIxEEEE10hipError_tPvRmT2_T3_mT4_P12ihipStream_tbEUlmE_xEESB_NS0_8identityIvEEEESG_SJ_SK_mSL_SN_bEUlT_E_NS1_11comp_targetILNS1_3genE10ELNS1_11target_archE1200ELNS1_3gpuE4ELNS1_3repE0EEENS1_30default_config_static_selectorELNS0_4arch9wavefront6targetE1EEEvT1_.has_indirect_call, 0
	.section	.AMDGPU.csdata,"",@progbits
; Kernel info:
; codeLenInByte = 0
; TotalNumSgprs: 4
; NumVgprs: 0
; ScratchSize: 0
; MemoryBound: 0
; FloatMode: 240
; IeeeMode: 1
; LDSByteSize: 0 bytes/workgroup (compile time only)
; SGPRBlocks: 0
; VGPRBlocks: 0
; NumSGPRsForWavesPerEU: 4
; NumVGPRsForWavesPerEU: 1
; Occupancy: 10
; WaveLimiterHint : 0
; COMPUTE_PGM_RSRC2:SCRATCH_EN: 0
; COMPUTE_PGM_RSRC2:USER_SGPR: 6
; COMPUTE_PGM_RSRC2:TRAP_HANDLER: 0
; COMPUTE_PGM_RSRC2:TGID_X_EN: 1
; COMPUTE_PGM_RSRC2:TGID_Y_EN: 0
; COMPUTE_PGM_RSRC2:TGID_Z_EN: 0
; COMPUTE_PGM_RSRC2:TIDIG_COMP_CNT: 0
	.section	.text._ZN7rocprim17ROCPRIM_400000_NS6detail17trampoline_kernelINS0_14default_configENS1_25transform_config_selectorIxLb0EEEZNS1_14transform_implILb0ES3_S5_NS0_18transform_iteratorINS0_17counting_iteratorImlEEZNS1_24adjacent_difference_implIS3_Lb1ELb0EPxSB_N6thrust23THRUST_200600_302600_NS4plusIxEEEE10hipError_tPvRmT2_T3_mT4_P12ihipStream_tbEUlmE_xEESB_NS0_8identityIvEEEESG_SJ_SK_mSL_SN_bEUlT_E_NS1_11comp_targetILNS1_3genE9ELNS1_11target_archE1100ELNS1_3gpuE3ELNS1_3repE0EEENS1_30default_config_static_selectorELNS0_4arch9wavefront6targetE1EEEvT1_,"axG",@progbits,_ZN7rocprim17ROCPRIM_400000_NS6detail17trampoline_kernelINS0_14default_configENS1_25transform_config_selectorIxLb0EEEZNS1_14transform_implILb0ES3_S5_NS0_18transform_iteratorINS0_17counting_iteratorImlEEZNS1_24adjacent_difference_implIS3_Lb1ELb0EPxSB_N6thrust23THRUST_200600_302600_NS4plusIxEEEE10hipError_tPvRmT2_T3_mT4_P12ihipStream_tbEUlmE_xEESB_NS0_8identityIvEEEESG_SJ_SK_mSL_SN_bEUlT_E_NS1_11comp_targetILNS1_3genE9ELNS1_11target_archE1100ELNS1_3gpuE3ELNS1_3repE0EEENS1_30default_config_static_selectorELNS0_4arch9wavefront6targetE1EEEvT1_,comdat
	.protected	_ZN7rocprim17ROCPRIM_400000_NS6detail17trampoline_kernelINS0_14default_configENS1_25transform_config_selectorIxLb0EEEZNS1_14transform_implILb0ES3_S5_NS0_18transform_iteratorINS0_17counting_iteratorImlEEZNS1_24adjacent_difference_implIS3_Lb1ELb0EPxSB_N6thrust23THRUST_200600_302600_NS4plusIxEEEE10hipError_tPvRmT2_T3_mT4_P12ihipStream_tbEUlmE_xEESB_NS0_8identityIvEEEESG_SJ_SK_mSL_SN_bEUlT_E_NS1_11comp_targetILNS1_3genE9ELNS1_11target_archE1100ELNS1_3gpuE3ELNS1_3repE0EEENS1_30default_config_static_selectorELNS0_4arch9wavefront6targetE1EEEvT1_ ; -- Begin function _ZN7rocprim17ROCPRIM_400000_NS6detail17trampoline_kernelINS0_14default_configENS1_25transform_config_selectorIxLb0EEEZNS1_14transform_implILb0ES3_S5_NS0_18transform_iteratorINS0_17counting_iteratorImlEEZNS1_24adjacent_difference_implIS3_Lb1ELb0EPxSB_N6thrust23THRUST_200600_302600_NS4plusIxEEEE10hipError_tPvRmT2_T3_mT4_P12ihipStream_tbEUlmE_xEESB_NS0_8identityIvEEEESG_SJ_SK_mSL_SN_bEUlT_E_NS1_11comp_targetILNS1_3genE9ELNS1_11target_archE1100ELNS1_3gpuE3ELNS1_3repE0EEENS1_30default_config_static_selectorELNS0_4arch9wavefront6targetE1EEEvT1_
	.globl	_ZN7rocprim17ROCPRIM_400000_NS6detail17trampoline_kernelINS0_14default_configENS1_25transform_config_selectorIxLb0EEEZNS1_14transform_implILb0ES3_S5_NS0_18transform_iteratorINS0_17counting_iteratorImlEEZNS1_24adjacent_difference_implIS3_Lb1ELb0EPxSB_N6thrust23THRUST_200600_302600_NS4plusIxEEEE10hipError_tPvRmT2_T3_mT4_P12ihipStream_tbEUlmE_xEESB_NS0_8identityIvEEEESG_SJ_SK_mSL_SN_bEUlT_E_NS1_11comp_targetILNS1_3genE9ELNS1_11target_archE1100ELNS1_3gpuE3ELNS1_3repE0EEENS1_30default_config_static_selectorELNS0_4arch9wavefront6targetE1EEEvT1_
	.p2align	8
	.type	_ZN7rocprim17ROCPRIM_400000_NS6detail17trampoline_kernelINS0_14default_configENS1_25transform_config_selectorIxLb0EEEZNS1_14transform_implILb0ES3_S5_NS0_18transform_iteratorINS0_17counting_iteratorImlEEZNS1_24adjacent_difference_implIS3_Lb1ELb0EPxSB_N6thrust23THRUST_200600_302600_NS4plusIxEEEE10hipError_tPvRmT2_T3_mT4_P12ihipStream_tbEUlmE_xEESB_NS0_8identityIvEEEESG_SJ_SK_mSL_SN_bEUlT_E_NS1_11comp_targetILNS1_3genE9ELNS1_11target_archE1100ELNS1_3gpuE3ELNS1_3repE0EEENS1_30default_config_static_selectorELNS0_4arch9wavefront6targetE1EEEvT1_,@function
_ZN7rocprim17ROCPRIM_400000_NS6detail17trampoline_kernelINS0_14default_configENS1_25transform_config_selectorIxLb0EEEZNS1_14transform_implILb0ES3_S5_NS0_18transform_iteratorINS0_17counting_iteratorImlEEZNS1_24adjacent_difference_implIS3_Lb1ELb0EPxSB_N6thrust23THRUST_200600_302600_NS4plusIxEEEE10hipError_tPvRmT2_T3_mT4_P12ihipStream_tbEUlmE_xEESB_NS0_8identityIvEEEESG_SJ_SK_mSL_SN_bEUlT_E_NS1_11comp_targetILNS1_3genE9ELNS1_11target_archE1100ELNS1_3gpuE3ELNS1_3repE0EEENS1_30default_config_static_selectorELNS0_4arch9wavefront6targetE1EEEvT1_: ; @_ZN7rocprim17ROCPRIM_400000_NS6detail17trampoline_kernelINS0_14default_configENS1_25transform_config_selectorIxLb0EEEZNS1_14transform_implILb0ES3_S5_NS0_18transform_iteratorINS0_17counting_iteratorImlEEZNS1_24adjacent_difference_implIS3_Lb1ELb0EPxSB_N6thrust23THRUST_200600_302600_NS4plusIxEEEE10hipError_tPvRmT2_T3_mT4_P12ihipStream_tbEUlmE_xEESB_NS0_8identityIvEEEESG_SJ_SK_mSL_SN_bEUlT_E_NS1_11comp_targetILNS1_3genE9ELNS1_11target_archE1100ELNS1_3gpuE3ELNS1_3repE0EEENS1_30default_config_static_selectorELNS0_4arch9wavefront6targetE1EEEvT1_
; %bb.0:
	.section	.rodata,"a",@progbits
	.p2align	6, 0x0
	.amdhsa_kernel _ZN7rocprim17ROCPRIM_400000_NS6detail17trampoline_kernelINS0_14default_configENS1_25transform_config_selectorIxLb0EEEZNS1_14transform_implILb0ES3_S5_NS0_18transform_iteratorINS0_17counting_iteratorImlEEZNS1_24adjacent_difference_implIS3_Lb1ELb0EPxSB_N6thrust23THRUST_200600_302600_NS4plusIxEEEE10hipError_tPvRmT2_T3_mT4_P12ihipStream_tbEUlmE_xEESB_NS0_8identityIvEEEESG_SJ_SK_mSL_SN_bEUlT_E_NS1_11comp_targetILNS1_3genE9ELNS1_11target_archE1100ELNS1_3gpuE3ELNS1_3repE0EEENS1_30default_config_static_selectorELNS0_4arch9wavefront6targetE1EEEvT1_
		.amdhsa_group_segment_fixed_size 0
		.amdhsa_private_segment_fixed_size 0
		.amdhsa_kernarg_size 56
		.amdhsa_user_sgpr_count 6
		.amdhsa_user_sgpr_private_segment_buffer 1
		.amdhsa_user_sgpr_dispatch_ptr 0
		.amdhsa_user_sgpr_queue_ptr 0
		.amdhsa_user_sgpr_kernarg_segment_ptr 1
		.amdhsa_user_sgpr_dispatch_id 0
		.amdhsa_user_sgpr_flat_scratch_init 0
		.amdhsa_user_sgpr_private_segment_size 0
		.amdhsa_uses_dynamic_stack 0
		.amdhsa_system_sgpr_private_segment_wavefront_offset 0
		.amdhsa_system_sgpr_workgroup_id_x 1
		.amdhsa_system_sgpr_workgroup_id_y 0
		.amdhsa_system_sgpr_workgroup_id_z 0
		.amdhsa_system_sgpr_workgroup_info 0
		.amdhsa_system_vgpr_workitem_id 0
		.amdhsa_next_free_vgpr 1
		.amdhsa_next_free_sgpr 0
		.amdhsa_reserve_vcc 0
		.amdhsa_reserve_flat_scratch 0
		.amdhsa_float_round_mode_32 0
		.amdhsa_float_round_mode_16_64 0
		.amdhsa_float_denorm_mode_32 3
		.amdhsa_float_denorm_mode_16_64 3
		.amdhsa_dx10_clamp 1
		.amdhsa_ieee_mode 1
		.amdhsa_fp16_overflow 0
		.amdhsa_exception_fp_ieee_invalid_op 0
		.amdhsa_exception_fp_denorm_src 0
		.amdhsa_exception_fp_ieee_div_zero 0
		.amdhsa_exception_fp_ieee_overflow 0
		.amdhsa_exception_fp_ieee_underflow 0
		.amdhsa_exception_fp_ieee_inexact 0
		.amdhsa_exception_int_div_zero 0
	.end_amdhsa_kernel
	.section	.text._ZN7rocprim17ROCPRIM_400000_NS6detail17trampoline_kernelINS0_14default_configENS1_25transform_config_selectorIxLb0EEEZNS1_14transform_implILb0ES3_S5_NS0_18transform_iteratorINS0_17counting_iteratorImlEEZNS1_24adjacent_difference_implIS3_Lb1ELb0EPxSB_N6thrust23THRUST_200600_302600_NS4plusIxEEEE10hipError_tPvRmT2_T3_mT4_P12ihipStream_tbEUlmE_xEESB_NS0_8identityIvEEEESG_SJ_SK_mSL_SN_bEUlT_E_NS1_11comp_targetILNS1_3genE9ELNS1_11target_archE1100ELNS1_3gpuE3ELNS1_3repE0EEENS1_30default_config_static_selectorELNS0_4arch9wavefront6targetE1EEEvT1_,"axG",@progbits,_ZN7rocprim17ROCPRIM_400000_NS6detail17trampoline_kernelINS0_14default_configENS1_25transform_config_selectorIxLb0EEEZNS1_14transform_implILb0ES3_S5_NS0_18transform_iteratorINS0_17counting_iteratorImlEEZNS1_24adjacent_difference_implIS3_Lb1ELb0EPxSB_N6thrust23THRUST_200600_302600_NS4plusIxEEEE10hipError_tPvRmT2_T3_mT4_P12ihipStream_tbEUlmE_xEESB_NS0_8identityIvEEEESG_SJ_SK_mSL_SN_bEUlT_E_NS1_11comp_targetILNS1_3genE9ELNS1_11target_archE1100ELNS1_3gpuE3ELNS1_3repE0EEENS1_30default_config_static_selectorELNS0_4arch9wavefront6targetE1EEEvT1_,comdat
.Lfunc_end297:
	.size	_ZN7rocprim17ROCPRIM_400000_NS6detail17trampoline_kernelINS0_14default_configENS1_25transform_config_selectorIxLb0EEEZNS1_14transform_implILb0ES3_S5_NS0_18transform_iteratorINS0_17counting_iteratorImlEEZNS1_24adjacent_difference_implIS3_Lb1ELb0EPxSB_N6thrust23THRUST_200600_302600_NS4plusIxEEEE10hipError_tPvRmT2_T3_mT4_P12ihipStream_tbEUlmE_xEESB_NS0_8identityIvEEEESG_SJ_SK_mSL_SN_bEUlT_E_NS1_11comp_targetILNS1_3genE9ELNS1_11target_archE1100ELNS1_3gpuE3ELNS1_3repE0EEENS1_30default_config_static_selectorELNS0_4arch9wavefront6targetE1EEEvT1_, .Lfunc_end297-_ZN7rocprim17ROCPRIM_400000_NS6detail17trampoline_kernelINS0_14default_configENS1_25transform_config_selectorIxLb0EEEZNS1_14transform_implILb0ES3_S5_NS0_18transform_iteratorINS0_17counting_iteratorImlEEZNS1_24adjacent_difference_implIS3_Lb1ELb0EPxSB_N6thrust23THRUST_200600_302600_NS4plusIxEEEE10hipError_tPvRmT2_T3_mT4_P12ihipStream_tbEUlmE_xEESB_NS0_8identityIvEEEESG_SJ_SK_mSL_SN_bEUlT_E_NS1_11comp_targetILNS1_3genE9ELNS1_11target_archE1100ELNS1_3gpuE3ELNS1_3repE0EEENS1_30default_config_static_selectorELNS0_4arch9wavefront6targetE1EEEvT1_
                                        ; -- End function
	.set _ZN7rocprim17ROCPRIM_400000_NS6detail17trampoline_kernelINS0_14default_configENS1_25transform_config_selectorIxLb0EEEZNS1_14transform_implILb0ES3_S5_NS0_18transform_iteratorINS0_17counting_iteratorImlEEZNS1_24adjacent_difference_implIS3_Lb1ELb0EPxSB_N6thrust23THRUST_200600_302600_NS4plusIxEEEE10hipError_tPvRmT2_T3_mT4_P12ihipStream_tbEUlmE_xEESB_NS0_8identityIvEEEESG_SJ_SK_mSL_SN_bEUlT_E_NS1_11comp_targetILNS1_3genE9ELNS1_11target_archE1100ELNS1_3gpuE3ELNS1_3repE0EEENS1_30default_config_static_selectorELNS0_4arch9wavefront6targetE1EEEvT1_.num_vgpr, 0
	.set _ZN7rocprim17ROCPRIM_400000_NS6detail17trampoline_kernelINS0_14default_configENS1_25transform_config_selectorIxLb0EEEZNS1_14transform_implILb0ES3_S5_NS0_18transform_iteratorINS0_17counting_iteratorImlEEZNS1_24adjacent_difference_implIS3_Lb1ELb0EPxSB_N6thrust23THRUST_200600_302600_NS4plusIxEEEE10hipError_tPvRmT2_T3_mT4_P12ihipStream_tbEUlmE_xEESB_NS0_8identityIvEEEESG_SJ_SK_mSL_SN_bEUlT_E_NS1_11comp_targetILNS1_3genE9ELNS1_11target_archE1100ELNS1_3gpuE3ELNS1_3repE0EEENS1_30default_config_static_selectorELNS0_4arch9wavefront6targetE1EEEvT1_.num_agpr, 0
	.set _ZN7rocprim17ROCPRIM_400000_NS6detail17trampoline_kernelINS0_14default_configENS1_25transform_config_selectorIxLb0EEEZNS1_14transform_implILb0ES3_S5_NS0_18transform_iteratorINS0_17counting_iteratorImlEEZNS1_24adjacent_difference_implIS3_Lb1ELb0EPxSB_N6thrust23THRUST_200600_302600_NS4plusIxEEEE10hipError_tPvRmT2_T3_mT4_P12ihipStream_tbEUlmE_xEESB_NS0_8identityIvEEEESG_SJ_SK_mSL_SN_bEUlT_E_NS1_11comp_targetILNS1_3genE9ELNS1_11target_archE1100ELNS1_3gpuE3ELNS1_3repE0EEENS1_30default_config_static_selectorELNS0_4arch9wavefront6targetE1EEEvT1_.numbered_sgpr, 0
	.set _ZN7rocprim17ROCPRIM_400000_NS6detail17trampoline_kernelINS0_14default_configENS1_25transform_config_selectorIxLb0EEEZNS1_14transform_implILb0ES3_S5_NS0_18transform_iteratorINS0_17counting_iteratorImlEEZNS1_24adjacent_difference_implIS3_Lb1ELb0EPxSB_N6thrust23THRUST_200600_302600_NS4plusIxEEEE10hipError_tPvRmT2_T3_mT4_P12ihipStream_tbEUlmE_xEESB_NS0_8identityIvEEEESG_SJ_SK_mSL_SN_bEUlT_E_NS1_11comp_targetILNS1_3genE9ELNS1_11target_archE1100ELNS1_3gpuE3ELNS1_3repE0EEENS1_30default_config_static_selectorELNS0_4arch9wavefront6targetE1EEEvT1_.num_named_barrier, 0
	.set _ZN7rocprim17ROCPRIM_400000_NS6detail17trampoline_kernelINS0_14default_configENS1_25transform_config_selectorIxLb0EEEZNS1_14transform_implILb0ES3_S5_NS0_18transform_iteratorINS0_17counting_iteratorImlEEZNS1_24adjacent_difference_implIS3_Lb1ELb0EPxSB_N6thrust23THRUST_200600_302600_NS4plusIxEEEE10hipError_tPvRmT2_T3_mT4_P12ihipStream_tbEUlmE_xEESB_NS0_8identityIvEEEESG_SJ_SK_mSL_SN_bEUlT_E_NS1_11comp_targetILNS1_3genE9ELNS1_11target_archE1100ELNS1_3gpuE3ELNS1_3repE0EEENS1_30default_config_static_selectorELNS0_4arch9wavefront6targetE1EEEvT1_.private_seg_size, 0
	.set _ZN7rocprim17ROCPRIM_400000_NS6detail17trampoline_kernelINS0_14default_configENS1_25transform_config_selectorIxLb0EEEZNS1_14transform_implILb0ES3_S5_NS0_18transform_iteratorINS0_17counting_iteratorImlEEZNS1_24adjacent_difference_implIS3_Lb1ELb0EPxSB_N6thrust23THRUST_200600_302600_NS4plusIxEEEE10hipError_tPvRmT2_T3_mT4_P12ihipStream_tbEUlmE_xEESB_NS0_8identityIvEEEESG_SJ_SK_mSL_SN_bEUlT_E_NS1_11comp_targetILNS1_3genE9ELNS1_11target_archE1100ELNS1_3gpuE3ELNS1_3repE0EEENS1_30default_config_static_selectorELNS0_4arch9wavefront6targetE1EEEvT1_.uses_vcc, 0
	.set _ZN7rocprim17ROCPRIM_400000_NS6detail17trampoline_kernelINS0_14default_configENS1_25transform_config_selectorIxLb0EEEZNS1_14transform_implILb0ES3_S5_NS0_18transform_iteratorINS0_17counting_iteratorImlEEZNS1_24adjacent_difference_implIS3_Lb1ELb0EPxSB_N6thrust23THRUST_200600_302600_NS4plusIxEEEE10hipError_tPvRmT2_T3_mT4_P12ihipStream_tbEUlmE_xEESB_NS0_8identityIvEEEESG_SJ_SK_mSL_SN_bEUlT_E_NS1_11comp_targetILNS1_3genE9ELNS1_11target_archE1100ELNS1_3gpuE3ELNS1_3repE0EEENS1_30default_config_static_selectorELNS0_4arch9wavefront6targetE1EEEvT1_.uses_flat_scratch, 0
	.set _ZN7rocprim17ROCPRIM_400000_NS6detail17trampoline_kernelINS0_14default_configENS1_25transform_config_selectorIxLb0EEEZNS1_14transform_implILb0ES3_S5_NS0_18transform_iteratorINS0_17counting_iteratorImlEEZNS1_24adjacent_difference_implIS3_Lb1ELb0EPxSB_N6thrust23THRUST_200600_302600_NS4plusIxEEEE10hipError_tPvRmT2_T3_mT4_P12ihipStream_tbEUlmE_xEESB_NS0_8identityIvEEEESG_SJ_SK_mSL_SN_bEUlT_E_NS1_11comp_targetILNS1_3genE9ELNS1_11target_archE1100ELNS1_3gpuE3ELNS1_3repE0EEENS1_30default_config_static_selectorELNS0_4arch9wavefront6targetE1EEEvT1_.has_dyn_sized_stack, 0
	.set _ZN7rocprim17ROCPRIM_400000_NS6detail17trampoline_kernelINS0_14default_configENS1_25transform_config_selectorIxLb0EEEZNS1_14transform_implILb0ES3_S5_NS0_18transform_iteratorINS0_17counting_iteratorImlEEZNS1_24adjacent_difference_implIS3_Lb1ELb0EPxSB_N6thrust23THRUST_200600_302600_NS4plusIxEEEE10hipError_tPvRmT2_T3_mT4_P12ihipStream_tbEUlmE_xEESB_NS0_8identityIvEEEESG_SJ_SK_mSL_SN_bEUlT_E_NS1_11comp_targetILNS1_3genE9ELNS1_11target_archE1100ELNS1_3gpuE3ELNS1_3repE0EEENS1_30default_config_static_selectorELNS0_4arch9wavefront6targetE1EEEvT1_.has_recursion, 0
	.set _ZN7rocprim17ROCPRIM_400000_NS6detail17trampoline_kernelINS0_14default_configENS1_25transform_config_selectorIxLb0EEEZNS1_14transform_implILb0ES3_S5_NS0_18transform_iteratorINS0_17counting_iteratorImlEEZNS1_24adjacent_difference_implIS3_Lb1ELb0EPxSB_N6thrust23THRUST_200600_302600_NS4plusIxEEEE10hipError_tPvRmT2_T3_mT4_P12ihipStream_tbEUlmE_xEESB_NS0_8identityIvEEEESG_SJ_SK_mSL_SN_bEUlT_E_NS1_11comp_targetILNS1_3genE9ELNS1_11target_archE1100ELNS1_3gpuE3ELNS1_3repE0EEENS1_30default_config_static_selectorELNS0_4arch9wavefront6targetE1EEEvT1_.has_indirect_call, 0
	.section	.AMDGPU.csdata,"",@progbits
; Kernel info:
; codeLenInByte = 0
; TotalNumSgprs: 4
; NumVgprs: 0
; ScratchSize: 0
; MemoryBound: 0
; FloatMode: 240
; IeeeMode: 1
; LDSByteSize: 0 bytes/workgroup (compile time only)
; SGPRBlocks: 0
; VGPRBlocks: 0
; NumSGPRsForWavesPerEU: 4
; NumVGPRsForWavesPerEU: 1
; Occupancy: 10
; WaveLimiterHint : 0
; COMPUTE_PGM_RSRC2:SCRATCH_EN: 0
; COMPUTE_PGM_RSRC2:USER_SGPR: 6
; COMPUTE_PGM_RSRC2:TRAP_HANDLER: 0
; COMPUTE_PGM_RSRC2:TGID_X_EN: 1
; COMPUTE_PGM_RSRC2:TGID_Y_EN: 0
; COMPUTE_PGM_RSRC2:TGID_Z_EN: 0
; COMPUTE_PGM_RSRC2:TIDIG_COMP_CNT: 0
	.section	.text._ZN7rocprim17ROCPRIM_400000_NS6detail17trampoline_kernelINS0_14default_configENS1_25transform_config_selectorIxLb0EEEZNS1_14transform_implILb0ES3_S5_NS0_18transform_iteratorINS0_17counting_iteratorImlEEZNS1_24adjacent_difference_implIS3_Lb1ELb0EPxSB_N6thrust23THRUST_200600_302600_NS4plusIxEEEE10hipError_tPvRmT2_T3_mT4_P12ihipStream_tbEUlmE_xEESB_NS0_8identityIvEEEESG_SJ_SK_mSL_SN_bEUlT_E_NS1_11comp_targetILNS1_3genE8ELNS1_11target_archE1030ELNS1_3gpuE2ELNS1_3repE0EEENS1_30default_config_static_selectorELNS0_4arch9wavefront6targetE1EEEvT1_,"axG",@progbits,_ZN7rocprim17ROCPRIM_400000_NS6detail17trampoline_kernelINS0_14default_configENS1_25transform_config_selectorIxLb0EEEZNS1_14transform_implILb0ES3_S5_NS0_18transform_iteratorINS0_17counting_iteratorImlEEZNS1_24adjacent_difference_implIS3_Lb1ELb0EPxSB_N6thrust23THRUST_200600_302600_NS4plusIxEEEE10hipError_tPvRmT2_T3_mT4_P12ihipStream_tbEUlmE_xEESB_NS0_8identityIvEEEESG_SJ_SK_mSL_SN_bEUlT_E_NS1_11comp_targetILNS1_3genE8ELNS1_11target_archE1030ELNS1_3gpuE2ELNS1_3repE0EEENS1_30default_config_static_selectorELNS0_4arch9wavefront6targetE1EEEvT1_,comdat
	.protected	_ZN7rocprim17ROCPRIM_400000_NS6detail17trampoline_kernelINS0_14default_configENS1_25transform_config_selectorIxLb0EEEZNS1_14transform_implILb0ES3_S5_NS0_18transform_iteratorINS0_17counting_iteratorImlEEZNS1_24adjacent_difference_implIS3_Lb1ELb0EPxSB_N6thrust23THRUST_200600_302600_NS4plusIxEEEE10hipError_tPvRmT2_T3_mT4_P12ihipStream_tbEUlmE_xEESB_NS0_8identityIvEEEESG_SJ_SK_mSL_SN_bEUlT_E_NS1_11comp_targetILNS1_3genE8ELNS1_11target_archE1030ELNS1_3gpuE2ELNS1_3repE0EEENS1_30default_config_static_selectorELNS0_4arch9wavefront6targetE1EEEvT1_ ; -- Begin function _ZN7rocprim17ROCPRIM_400000_NS6detail17trampoline_kernelINS0_14default_configENS1_25transform_config_selectorIxLb0EEEZNS1_14transform_implILb0ES3_S5_NS0_18transform_iteratorINS0_17counting_iteratorImlEEZNS1_24adjacent_difference_implIS3_Lb1ELb0EPxSB_N6thrust23THRUST_200600_302600_NS4plusIxEEEE10hipError_tPvRmT2_T3_mT4_P12ihipStream_tbEUlmE_xEESB_NS0_8identityIvEEEESG_SJ_SK_mSL_SN_bEUlT_E_NS1_11comp_targetILNS1_3genE8ELNS1_11target_archE1030ELNS1_3gpuE2ELNS1_3repE0EEENS1_30default_config_static_selectorELNS0_4arch9wavefront6targetE1EEEvT1_
	.globl	_ZN7rocprim17ROCPRIM_400000_NS6detail17trampoline_kernelINS0_14default_configENS1_25transform_config_selectorIxLb0EEEZNS1_14transform_implILb0ES3_S5_NS0_18transform_iteratorINS0_17counting_iteratorImlEEZNS1_24adjacent_difference_implIS3_Lb1ELb0EPxSB_N6thrust23THRUST_200600_302600_NS4plusIxEEEE10hipError_tPvRmT2_T3_mT4_P12ihipStream_tbEUlmE_xEESB_NS0_8identityIvEEEESG_SJ_SK_mSL_SN_bEUlT_E_NS1_11comp_targetILNS1_3genE8ELNS1_11target_archE1030ELNS1_3gpuE2ELNS1_3repE0EEENS1_30default_config_static_selectorELNS0_4arch9wavefront6targetE1EEEvT1_
	.p2align	8
	.type	_ZN7rocprim17ROCPRIM_400000_NS6detail17trampoline_kernelINS0_14default_configENS1_25transform_config_selectorIxLb0EEEZNS1_14transform_implILb0ES3_S5_NS0_18transform_iteratorINS0_17counting_iteratorImlEEZNS1_24adjacent_difference_implIS3_Lb1ELb0EPxSB_N6thrust23THRUST_200600_302600_NS4plusIxEEEE10hipError_tPvRmT2_T3_mT4_P12ihipStream_tbEUlmE_xEESB_NS0_8identityIvEEEESG_SJ_SK_mSL_SN_bEUlT_E_NS1_11comp_targetILNS1_3genE8ELNS1_11target_archE1030ELNS1_3gpuE2ELNS1_3repE0EEENS1_30default_config_static_selectorELNS0_4arch9wavefront6targetE1EEEvT1_,@function
_ZN7rocprim17ROCPRIM_400000_NS6detail17trampoline_kernelINS0_14default_configENS1_25transform_config_selectorIxLb0EEEZNS1_14transform_implILb0ES3_S5_NS0_18transform_iteratorINS0_17counting_iteratorImlEEZNS1_24adjacent_difference_implIS3_Lb1ELb0EPxSB_N6thrust23THRUST_200600_302600_NS4plusIxEEEE10hipError_tPvRmT2_T3_mT4_P12ihipStream_tbEUlmE_xEESB_NS0_8identityIvEEEESG_SJ_SK_mSL_SN_bEUlT_E_NS1_11comp_targetILNS1_3genE8ELNS1_11target_archE1030ELNS1_3gpuE2ELNS1_3repE0EEENS1_30default_config_static_selectorELNS0_4arch9wavefront6targetE1EEEvT1_: ; @_ZN7rocprim17ROCPRIM_400000_NS6detail17trampoline_kernelINS0_14default_configENS1_25transform_config_selectorIxLb0EEEZNS1_14transform_implILb0ES3_S5_NS0_18transform_iteratorINS0_17counting_iteratorImlEEZNS1_24adjacent_difference_implIS3_Lb1ELb0EPxSB_N6thrust23THRUST_200600_302600_NS4plusIxEEEE10hipError_tPvRmT2_T3_mT4_P12ihipStream_tbEUlmE_xEESB_NS0_8identityIvEEEESG_SJ_SK_mSL_SN_bEUlT_E_NS1_11comp_targetILNS1_3genE8ELNS1_11target_archE1030ELNS1_3gpuE2ELNS1_3repE0EEENS1_30default_config_static_selectorELNS0_4arch9wavefront6targetE1EEEvT1_
; %bb.0:
	.section	.rodata,"a",@progbits
	.p2align	6, 0x0
	.amdhsa_kernel _ZN7rocprim17ROCPRIM_400000_NS6detail17trampoline_kernelINS0_14default_configENS1_25transform_config_selectorIxLb0EEEZNS1_14transform_implILb0ES3_S5_NS0_18transform_iteratorINS0_17counting_iteratorImlEEZNS1_24adjacent_difference_implIS3_Lb1ELb0EPxSB_N6thrust23THRUST_200600_302600_NS4plusIxEEEE10hipError_tPvRmT2_T3_mT4_P12ihipStream_tbEUlmE_xEESB_NS0_8identityIvEEEESG_SJ_SK_mSL_SN_bEUlT_E_NS1_11comp_targetILNS1_3genE8ELNS1_11target_archE1030ELNS1_3gpuE2ELNS1_3repE0EEENS1_30default_config_static_selectorELNS0_4arch9wavefront6targetE1EEEvT1_
		.amdhsa_group_segment_fixed_size 0
		.amdhsa_private_segment_fixed_size 0
		.amdhsa_kernarg_size 56
		.amdhsa_user_sgpr_count 6
		.amdhsa_user_sgpr_private_segment_buffer 1
		.amdhsa_user_sgpr_dispatch_ptr 0
		.amdhsa_user_sgpr_queue_ptr 0
		.amdhsa_user_sgpr_kernarg_segment_ptr 1
		.amdhsa_user_sgpr_dispatch_id 0
		.amdhsa_user_sgpr_flat_scratch_init 0
		.amdhsa_user_sgpr_private_segment_size 0
		.amdhsa_uses_dynamic_stack 0
		.amdhsa_system_sgpr_private_segment_wavefront_offset 0
		.amdhsa_system_sgpr_workgroup_id_x 1
		.amdhsa_system_sgpr_workgroup_id_y 0
		.amdhsa_system_sgpr_workgroup_id_z 0
		.amdhsa_system_sgpr_workgroup_info 0
		.amdhsa_system_vgpr_workitem_id 0
		.amdhsa_next_free_vgpr 1
		.amdhsa_next_free_sgpr 0
		.amdhsa_reserve_vcc 0
		.amdhsa_reserve_flat_scratch 0
		.amdhsa_float_round_mode_32 0
		.amdhsa_float_round_mode_16_64 0
		.amdhsa_float_denorm_mode_32 3
		.amdhsa_float_denorm_mode_16_64 3
		.amdhsa_dx10_clamp 1
		.amdhsa_ieee_mode 1
		.amdhsa_fp16_overflow 0
		.amdhsa_exception_fp_ieee_invalid_op 0
		.amdhsa_exception_fp_denorm_src 0
		.amdhsa_exception_fp_ieee_div_zero 0
		.amdhsa_exception_fp_ieee_overflow 0
		.amdhsa_exception_fp_ieee_underflow 0
		.amdhsa_exception_fp_ieee_inexact 0
		.amdhsa_exception_int_div_zero 0
	.end_amdhsa_kernel
	.section	.text._ZN7rocprim17ROCPRIM_400000_NS6detail17trampoline_kernelINS0_14default_configENS1_25transform_config_selectorIxLb0EEEZNS1_14transform_implILb0ES3_S5_NS0_18transform_iteratorINS0_17counting_iteratorImlEEZNS1_24adjacent_difference_implIS3_Lb1ELb0EPxSB_N6thrust23THRUST_200600_302600_NS4plusIxEEEE10hipError_tPvRmT2_T3_mT4_P12ihipStream_tbEUlmE_xEESB_NS0_8identityIvEEEESG_SJ_SK_mSL_SN_bEUlT_E_NS1_11comp_targetILNS1_3genE8ELNS1_11target_archE1030ELNS1_3gpuE2ELNS1_3repE0EEENS1_30default_config_static_selectorELNS0_4arch9wavefront6targetE1EEEvT1_,"axG",@progbits,_ZN7rocprim17ROCPRIM_400000_NS6detail17trampoline_kernelINS0_14default_configENS1_25transform_config_selectorIxLb0EEEZNS1_14transform_implILb0ES3_S5_NS0_18transform_iteratorINS0_17counting_iteratorImlEEZNS1_24adjacent_difference_implIS3_Lb1ELb0EPxSB_N6thrust23THRUST_200600_302600_NS4plusIxEEEE10hipError_tPvRmT2_T3_mT4_P12ihipStream_tbEUlmE_xEESB_NS0_8identityIvEEEESG_SJ_SK_mSL_SN_bEUlT_E_NS1_11comp_targetILNS1_3genE8ELNS1_11target_archE1030ELNS1_3gpuE2ELNS1_3repE0EEENS1_30default_config_static_selectorELNS0_4arch9wavefront6targetE1EEEvT1_,comdat
.Lfunc_end298:
	.size	_ZN7rocprim17ROCPRIM_400000_NS6detail17trampoline_kernelINS0_14default_configENS1_25transform_config_selectorIxLb0EEEZNS1_14transform_implILb0ES3_S5_NS0_18transform_iteratorINS0_17counting_iteratorImlEEZNS1_24adjacent_difference_implIS3_Lb1ELb0EPxSB_N6thrust23THRUST_200600_302600_NS4plusIxEEEE10hipError_tPvRmT2_T3_mT4_P12ihipStream_tbEUlmE_xEESB_NS0_8identityIvEEEESG_SJ_SK_mSL_SN_bEUlT_E_NS1_11comp_targetILNS1_3genE8ELNS1_11target_archE1030ELNS1_3gpuE2ELNS1_3repE0EEENS1_30default_config_static_selectorELNS0_4arch9wavefront6targetE1EEEvT1_, .Lfunc_end298-_ZN7rocprim17ROCPRIM_400000_NS6detail17trampoline_kernelINS0_14default_configENS1_25transform_config_selectorIxLb0EEEZNS1_14transform_implILb0ES3_S5_NS0_18transform_iteratorINS0_17counting_iteratorImlEEZNS1_24adjacent_difference_implIS3_Lb1ELb0EPxSB_N6thrust23THRUST_200600_302600_NS4plusIxEEEE10hipError_tPvRmT2_T3_mT4_P12ihipStream_tbEUlmE_xEESB_NS0_8identityIvEEEESG_SJ_SK_mSL_SN_bEUlT_E_NS1_11comp_targetILNS1_3genE8ELNS1_11target_archE1030ELNS1_3gpuE2ELNS1_3repE0EEENS1_30default_config_static_selectorELNS0_4arch9wavefront6targetE1EEEvT1_
                                        ; -- End function
	.set _ZN7rocprim17ROCPRIM_400000_NS6detail17trampoline_kernelINS0_14default_configENS1_25transform_config_selectorIxLb0EEEZNS1_14transform_implILb0ES3_S5_NS0_18transform_iteratorINS0_17counting_iteratorImlEEZNS1_24adjacent_difference_implIS3_Lb1ELb0EPxSB_N6thrust23THRUST_200600_302600_NS4plusIxEEEE10hipError_tPvRmT2_T3_mT4_P12ihipStream_tbEUlmE_xEESB_NS0_8identityIvEEEESG_SJ_SK_mSL_SN_bEUlT_E_NS1_11comp_targetILNS1_3genE8ELNS1_11target_archE1030ELNS1_3gpuE2ELNS1_3repE0EEENS1_30default_config_static_selectorELNS0_4arch9wavefront6targetE1EEEvT1_.num_vgpr, 0
	.set _ZN7rocprim17ROCPRIM_400000_NS6detail17trampoline_kernelINS0_14default_configENS1_25transform_config_selectorIxLb0EEEZNS1_14transform_implILb0ES3_S5_NS0_18transform_iteratorINS0_17counting_iteratorImlEEZNS1_24adjacent_difference_implIS3_Lb1ELb0EPxSB_N6thrust23THRUST_200600_302600_NS4plusIxEEEE10hipError_tPvRmT2_T3_mT4_P12ihipStream_tbEUlmE_xEESB_NS0_8identityIvEEEESG_SJ_SK_mSL_SN_bEUlT_E_NS1_11comp_targetILNS1_3genE8ELNS1_11target_archE1030ELNS1_3gpuE2ELNS1_3repE0EEENS1_30default_config_static_selectorELNS0_4arch9wavefront6targetE1EEEvT1_.num_agpr, 0
	.set _ZN7rocprim17ROCPRIM_400000_NS6detail17trampoline_kernelINS0_14default_configENS1_25transform_config_selectorIxLb0EEEZNS1_14transform_implILb0ES3_S5_NS0_18transform_iteratorINS0_17counting_iteratorImlEEZNS1_24adjacent_difference_implIS3_Lb1ELb0EPxSB_N6thrust23THRUST_200600_302600_NS4plusIxEEEE10hipError_tPvRmT2_T3_mT4_P12ihipStream_tbEUlmE_xEESB_NS0_8identityIvEEEESG_SJ_SK_mSL_SN_bEUlT_E_NS1_11comp_targetILNS1_3genE8ELNS1_11target_archE1030ELNS1_3gpuE2ELNS1_3repE0EEENS1_30default_config_static_selectorELNS0_4arch9wavefront6targetE1EEEvT1_.numbered_sgpr, 0
	.set _ZN7rocprim17ROCPRIM_400000_NS6detail17trampoline_kernelINS0_14default_configENS1_25transform_config_selectorIxLb0EEEZNS1_14transform_implILb0ES3_S5_NS0_18transform_iteratorINS0_17counting_iteratorImlEEZNS1_24adjacent_difference_implIS3_Lb1ELb0EPxSB_N6thrust23THRUST_200600_302600_NS4plusIxEEEE10hipError_tPvRmT2_T3_mT4_P12ihipStream_tbEUlmE_xEESB_NS0_8identityIvEEEESG_SJ_SK_mSL_SN_bEUlT_E_NS1_11comp_targetILNS1_3genE8ELNS1_11target_archE1030ELNS1_3gpuE2ELNS1_3repE0EEENS1_30default_config_static_selectorELNS0_4arch9wavefront6targetE1EEEvT1_.num_named_barrier, 0
	.set _ZN7rocprim17ROCPRIM_400000_NS6detail17trampoline_kernelINS0_14default_configENS1_25transform_config_selectorIxLb0EEEZNS1_14transform_implILb0ES3_S5_NS0_18transform_iteratorINS0_17counting_iteratorImlEEZNS1_24adjacent_difference_implIS3_Lb1ELb0EPxSB_N6thrust23THRUST_200600_302600_NS4plusIxEEEE10hipError_tPvRmT2_T3_mT4_P12ihipStream_tbEUlmE_xEESB_NS0_8identityIvEEEESG_SJ_SK_mSL_SN_bEUlT_E_NS1_11comp_targetILNS1_3genE8ELNS1_11target_archE1030ELNS1_3gpuE2ELNS1_3repE0EEENS1_30default_config_static_selectorELNS0_4arch9wavefront6targetE1EEEvT1_.private_seg_size, 0
	.set _ZN7rocprim17ROCPRIM_400000_NS6detail17trampoline_kernelINS0_14default_configENS1_25transform_config_selectorIxLb0EEEZNS1_14transform_implILb0ES3_S5_NS0_18transform_iteratorINS0_17counting_iteratorImlEEZNS1_24adjacent_difference_implIS3_Lb1ELb0EPxSB_N6thrust23THRUST_200600_302600_NS4plusIxEEEE10hipError_tPvRmT2_T3_mT4_P12ihipStream_tbEUlmE_xEESB_NS0_8identityIvEEEESG_SJ_SK_mSL_SN_bEUlT_E_NS1_11comp_targetILNS1_3genE8ELNS1_11target_archE1030ELNS1_3gpuE2ELNS1_3repE0EEENS1_30default_config_static_selectorELNS0_4arch9wavefront6targetE1EEEvT1_.uses_vcc, 0
	.set _ZN7rocprim17ROCPRIM_400000_NS6detail17trampoline_kernelINS0_14default_configENS1_25transform_config_selectorIxLb0EEEZNS1_14transform_implILb0ES3_S5_NS0_18transform_iteratorINS0_17counting_iteratorImlEEZNS1_24adjacent_difference_implIS3_Lb1ELb0EPxSB_N6thrust23THRUST_200600_302600_NS4plusIxEEEE10hipError_tPvRmT2_T3_mT4_P12ihipStream_tbEUlmE_xEESB_NS0_8identityIvEEEESG_SJ_SK_mSL_SN_bEUlT_E_NS1_11comp_targetILNS1_3genE8ELNS1_11target_archE1030ELNS1_3gpuE2ELNS1_3repE0EEENS1_30default_config_static_selectorELNS0_4arch9wavefront6targetE1EEEvT1_.uses_flat_scratch, 0
	.set _ZN7rocprim17ROCPRIM_400000_NS6detail17trampoline_kernelINS0_14default_configENS1_25transform_config_selectorIxLb0EEEZNS1_14transform_implILb0ES3_S5_NS0_18transform_iteratorINS0_17counting_iteratorImlEEZNS1_24adjacent_difference_implIS3_Lb1ELb0EPxSB_N6thrust23THRUST_200600_302600_NS4plusIxEEEE10hipError_tPvRmT2_T3_mT4_P12ihipStream_tbEUlmE_xEESB_NS0_8identityIvEEEESG_SJ_SK_mSL_SN_bEUlT_E_NS1_11comp_targetILNS1_3genE8ELNS1_11target_archE1030ELNS1_3gpuE2ELNS1_3repE0EEENS1_30default_config_static_selectorELNS0_4arch9wavefront6targetE1EEEvT1_.has_dyn_sized_stack, 0
	.set _ZN7rocprim17ROCPRIM_400000_NS6detail17trampoline_kernelINS0_14default_configENS1_25transform_config_selectorIxLb0EEEZNS1_14transform_implILb0ES3_S5_NS0_18transform_iteratorINS0_17counting_iteratorImlEEZNS1_24adjacent_difference_implIS3_Lb1ELb0EPxSB_N6thrust23THRUST_200600_302600_NS4plusIxEEEE10hipError_tPvRmT2_T3_mT4_P12ihipStream_tbEUlmE_xEESB_NS0_8identityIvEEEESG_SJ_SK_mSL_SN_bEUlT_E_NS1_11comp_targetILNS1_3genE8ELNS1_11target_archE1030ELNS1_3gpuE2ELNS1_3repE0EEENS1_30default_config_static_selectorELNS0_4arch9wavefront6targetE1EEEvT1_.has_recursion, 0
	.set _ZN7rocprim17ROCPRIM_400000_NS6detail17trampoline_kernelINS0_14default_configENS1_25transform_config_selectorIxLb0EEEZNS1_14transform_implILb0ES3_S5_NS0_18transform_iteratorINS0_17counting_iteratorImlEEZNS1_24adjacent_difference_implIS3_Lb1ELb0EPxSB_N6thrust23THRUST_200600_302600_NS4plusIxEEEE10hipError_tPvRmT2_T3_mT4_P12ihipStream_tbEUlmE_xEESB_NS0_8identityIvEEEESG_SJ_SK_mSL_SN_bEUlT_E_NS1_11comp_targetILNS1_3genE8ELNS1_11target_archE1030ELNS1_3gpuE2ELNS1_3repE0EEENS1_30default_config_static_selectorELNS0_4arch9wavefront6targetE1EEEvT1_.has_indirect_call, 0
	.section	.AMDGPU.csdata,"",@progbits
; Kernel info:
; codeLenInByte = 0
; TotalNumSgprs: 4
; NumVgprs: 0
; ScratchSize: 0
; MemoryBound: 0
; FloatMode: 240
; IeeeMode: 1
; LDSByteSize: 0 bytes/workgroup (compile time only)
; SGPRBlocks: 0
; VGPRBlocks: 0
; NumSGPRsForWavesPerEU: 4
; NumVGPRsForWavesPerEU: 1
; Occupancy: 10
; WaveLimiterHint : 0
; COMPUTE_PGM_RSRC2:SCRATCH_EN: 0
; COMPUTE_PGM_RSRC2:USER_SGPR: 6
; COMPUTE_PGM_RSRC2:TRAP_HANDLER: 0
; COMPUTE_PGM_RSRC2:TGID_X_EN: 1
; COMPUTE_PGM_RSRC2:TGID_Y_EN: 0
; COMPUTE_PGM_RSRC2:TGID_Z_EN: 0
; COMPUTE_PGM_RSRC2:TIDIG_COMP_CNT: 0
	.section	.text._ZN7rocprim17ROCPRIM_400000_NS6detail17trampoline_kernelINS0_14default_configENS1_35adjacent_difference_config_selectorILb1ExEEZNS1_24adjacent_difference_implIS3_Lb1ELb0EPxS7_N6thrust23THRUST_200600_302600_NS4plusIxEEEE10hipError_tPvRmT2_T3_mT4_P12ihipStream_tbEUlT_E_NS1_11comp_targetILNS1_3genE0ELNS1_11target_archE4294967295ELNS1_3gpuE0ELNS1_3repE0EEENS1_30default_config_static_selectorELNS0_4arch9wavefront6targetE1EEEvT1_,"axG",@progbits,_ZN7rocprim17ROCPRIM_400000_NS6detail17trampoline_kernelINS0_14default_configENS1_35adjacent_difference_config_selectorILb1ExEEZNS1_24adjacent_difference_implIS3_Lb1ELb0EPxS7_N6thrust23THRUST_200600_302600_NS4plusIxEEEE10hipError_tPvRmT2_T3_mT4_P12ihipStream_tbEUlT_E_NS1_11comp_targetILNS1_3genE0ELNS1_11target_archE4294967295ELNS1_3gpuE0ELNS1_3repE0EEENS1_30default_config_static_selectorELNS0_4arch9wavefront6targetE1EEEvT1_,comdat
	.protected	_ZN7rocprim17ROCPRIM_400000_NS6detail17trampoline_kernelINS0_14default_configENS1_35adjacent_difference_config_selectorILb1ExEEZNS1_24adjacent_difference_implIS3_Lb1ELb0EPxS7_N6thrust23THRUST_200600_302600_NS4plusIxEEEE10hipError_tPvRmT2_T3_mT4_P12ihipStream_tbEUlT_E_NS1_11comp_targetILNS1_3genE0ELNS1_11target_archE4294967295ELNS1_3gpuE0ELNS1_3repE0EEENS1_30default_config_static_selectorELNS0_4arch9wavefront6targetE1EEEvT1_ ; -- Begin function _ZN7rocprim17ROCPRIM_400000_NS6detail17trampoline_kernelINS0_14default_configENS1_35adjacent_difference_config_selectorILb1ExEEZNS1_24adjacent_difference_implIS3_Lb1ELb0EPxS7_N6thrust23THRUST_200600_302600_NS4plusIxEEEE10hipError_tPvRmT2_T3_mT4_P12ihipStream_tbEUlT_E_NS1_11comp_targetILNS1_3genE0ELNS1_11target_archE4294967295ELNS1_3gpuE0ELNS1_3repE0EEENS1_30default_config_static_selectorELNS0_4arch9wavefront6targetE1EEEvT1_
	.globl	_ZN7rocprim17ROCPRIM_400000_NS6detail17trampoline_kernelINS0_14default_configENS1_35adjacent_difference_config_selectorILb1ExEEZNS1_24adjacent_difference_implIS3_Lb1ELb0EPxS7_N6thrust23THRUST_200600_302600_NS4plusIxEEEE10hipError_tPvRmT2_T3_mT4_P12ihipStream_tbEUlT_E_NS1_11comp_targetILNS1_3genE0ELNS1_11target_archE4294967295ELNS1_3gpuE0ELNS1_3repE0EEENS1_30default_config_static_selectorELNS0_4arch9wavefront6targetE1EEEvT1_
	.p2align	8
	.type	_ZN7rocprim17ROCPRIM_400000_NS6detail17trampoline_kernelINS0_14default_configENS1_35adjacent_difference_config_selectorILb1ExEEZNS1_24adjacent_difference_implIS3_Lb1ELb0EPxS7_N6thrust23THRUST_200600_302600_NS4plusIxEEEE10hipError_tPvRmT2_T3_mT4_P12ihipStream_tbEUlT_E_NS1_11comp_targetILNS1_3genE0ELNS1_11target_archE4294967295ELNS1_3gpuE0ELNS1_3repE0EEENS1_30default_config_static_selectorELNS0_4arch9wavefront6targetE1EEEvT1_,@function
_ZN7rocprim17ROCPRIM_400000_NS6detail17trampoline_kernelINS0_14default_configENS1_35adjacent_difference_config_selectorILb1ExEEZNS1_24adjacent_difference_implIS3_Lb1ELb0EPxS7_N6thrust23THRUST_200600_302600_NS4plusIxEEEE10hipError_tPvRmT2_T3_mT4_P12ihipStream_tbEUlT_E_NS1_11comp_targetILNS1_3genE0ELNS1_11target_archE4294967295ELNS1_3gpuE0ELNS1_3repE0EEENS1_30default_config_static_selectorELNS0_4arch9wavefront6targetE1EEEvT1_: ; @_ZN7rocprim17ROCPRIM_400000_NS6detail17trampoline_kernelINS0_14default_configENS1_35adjacent_difference_config_selectorILb1ExEEZNS1_24adjacent_difference_implIS3_Lb1ELb0EPxS7_N6thrust23THRUST_200600_302600_NS4plusIxEEEE10hipError_tPvRmT2_T3_mT4_P12ihipStream_tbEUlT_E_NS1_11comp_targetILNS1_3genE0ELNS1_11target_archE4294967295ELNS1_3gpuE0ELNS1_3repE0EEENS1_30default_config_static_selectorELNS0_4arch9wavefront6targetE1EEEvT1_
; %bb.0:
	.section	.rodata,"a",@progbits
	.p2align	6, 0x0
	.amdhsa_kernel _ZN7rocprim17ROCPRIM_400000_NS6detail17trampoline_kernelINS0_14default_configENS1_35adjacent_difference_config_selectorILb1ExEEZNS1_24adjacent_difference_implIS3_Lb1ELb0EPxS7_N6thrust23THRUST_200600_302600_NS4plusIxEEEE10hipError_tPvRmT2_T3_mT4_P12ihipStream_tbEUlT_E_NS1_11comp_targetILNS1_3genE0ELNS1_11target_archE4294967295ELNS1_3gpuE0ELNS1_3repE0EEENS1_30default_config_static_selectorELNS0_4arch9wavefront6targetE1EEEvT1_
		.amdhsa_group_segment_fixed_size 0
		.amdhsa_private_segment_fixed_size 0
		.amdhsa_kernarg_size 56
		.amdhsa_user_sgpr_count 6
		.amdhsa_user_sgpr_private_segment_buffer 1
		.amdhsa_user_sgpr_dispatch_ptr 0
		.amdhsa_user_sgpr_queue_ptr 0
		.amdhsa_user_sgpr_kernarg_segment_ptr 1
		.amdhsa_user_sgpr_dispatch_id 0
		.amdhsa_user_sgpr_flat_scratch_init 0
		.amdhsa_user_sgpr_private_segment_size 0
		.amdhsa_uses_dynamic_stack 0
		.amdhsa_system_sgpr_private_segment_wavefront_offset 0
		.amdhsa_system_sgpr_workgroup_id_x 1
		.amdhsa_system_sgpr_workgroup_id_y 0
		.amdhsa_system_sgpr_workgroup_id_z 0
		.amdhsa_system_sgpr_workgroup_info 0
		.amdhsa_system_vgpr_workitem_id 0
		.amdhsa_next_free_vgpr 1
		.amdhsa_next_free_sgpr 0
		.amdhsa_reserve_vcc 0
		.amdhsa_reserve_flat_scratch 0
		.amdhsa_float_round_mode_32 0
		.amdhsa_float_round_mode_16_64 0
		.amdhsa_float_denorm_mode_32 3
		.amdhsa_float_denorm_mode_16_64 3
		.amdhsa_dx10_clamp 1
		.amdhsa_ieee_mode 1
		.amdhsa_fp16_overflow 0
		.amdhsa_exception_fp_ieee_invalid_op 0
		.amdhsa_exception_fp_denorm_src 0
		.amdhsa_exception_fp_ieee_div_zero 0
		.amdhsa_exception_fp_ieee_overflow 0
		.amdhsa_exception_fp_ieee_underflow 0
		.amdhsa_exception_fp_ieee_inexact 0
		.amdhsa_exception_int_div_zero 0
	.end_amdhsa_kernel
	.section	.text._ZN7rocprim17ROCPRIM_400000_NS6detail17trampoline_kernelINS0_14default_configENS1_35adjacent_difference_config_selectorILb1ExEEZNS1_24adjacent_difference_implIS3_Lb1ELb0EPxS7_N6thrust23THRUST_200600_302600_NS4plusIxEEEE10hipError_tPvRmT2_T3_mT4_P12ihipStream_tbEUlT_E_NS1_11comp_targetILNS1_3genE0ELNS1_11target_archE4294967295ELNS1_3gpuE0ELNS1_3repE0EEENS1_30default_config_static_selectorELNS0_4arch9wavefront6targetE1EEEvT1_,"axG",@progbits,_ZN7rocprim17ROCPRIM_400000_NS6detail17trampoline_kernelINS0_14default_configENS1_35adjacent_difference_config_selectorILb1ExEEZNS1_24adjacent_difference_implIS3_Lb1ELb0EPxS7_N6thrust23THRUST_200600_302600_NS4plusIxEEEE10hipError_tPvRmT2_T3_mT4_P12ihipStream_tbEUlT_E_NS1_11comp_targetILNS1_3genE0ELNS1_11target_archE4294967295ELNS1_3gpuE0ELNS1_3repE0EEENS1_30default_config_static_selectorELNS0_4arch9wavefront6targetE1EEEvT1_,comdat
.Lfunc_end299:
	.size	_ZN7rocprim17ROCPRIM_400000_NS6detail17trampoline_kernelINS0_14default_configENS1_35adjacent_difference_config_selectorILb1ExEEZNS1_24adjacent_difference_implIS3_Lb1ELb0EPxS7_N6thrust23THRUST_200600_302600_NS4plusIxEEEE10hipError_tPvRmT2_T3_mT4_P12ihipStream_tbEUlT_E_NS1_11comp_targetILNS1_3genE0ELNS1_11target_archE4294967295ELNS1_3gpuE0ELNS1_3repE0EEENS1_30default_config_static_selectorELNS0_4arch9wavefront6targetE1EEEvT1_, .Lfunc_end299-_ZN7rocprim17ROCPRIM_400000_NS6detail17trampoline_kernelINS0_14default_configENS1_35adjacent_difference_config_selectorILb1ExEEZNS1_24adjacent_difference_implIS3_Lb1ELb0EPxS7_N6thrust23THRUST_200600_302600_NS4plusIxEEEE10hipError_tPvRmT2_T3_mT4_P12ihipStream_tbEUlT_E_NS1_11comp_targetILNS1_3genE0ELNS1_11target_archE4294967295ELNS1_3gpuE0ELNS1_3repE0EEENS1_30default_config_static_selectorELNS0_4arch9wavefront6targetE1EEEvT1_
                                        ; -- End function
	.set _ZN7rocprim17ROCPRIM_400000_NS6detail17trampoline_kernelINS0_14default_configENS1_35adjacent_difference_config_selectorILb1ExEEZNS1_24adjacent_difference_implIS3_Lb1ELb0EPxS7_N6thrust23THRUST_200600_302600_NS4plusIxEEEE10hipError_tPvRmT2_T3_mT4_P12ihipStream_tbEUlT_E_NS1_11comp_targetILNS1_3genE0ELNS1_11target_archE4294967295ELNS1_3gpuE0ELNS1_3repE0EEENS1_30default_config_static_selectorELNS0_4arch9wavefront6targetE1EEEvT1_.num_vgpr, 0
	.set _ZN7rocprim17ROCPRIM_400000_NS6detail17trampoline_kernelINS0_14default_configENS1_35adjacent_difference_config_selectorILb1ExEEZNS1_24adjacent_difference_implIS3_Lb1ELb0EPxS7_N6thrust23THRUST_200600_302600_NS4plusIxEEEE10hipError_tPvRmT2_T3_mT4_P12ihipStream_tbEUlT_E_NS1_11comp_targetILNS1_3genE0ELNS1_11target_archE4294967295ELNS1_3gpuE0ELNS1_3repE0EEENS1_30default_config_static_selectorELNS0_4arch9wavefront6targetE1EEEvT1_.num_agpr, 0
	.set _ZN7rocprim17ROCPRIM_400000_NS6detail17trampoline_kernelINS0_14default_configENS1_35adjacent_difference_config_selectorILb1ExEEZNS1_24adjacent_difference_implIS3_Lb1ELb0EPxS7_N6thrust23THRUST_200600_302600_NS4plusIxEEEE10hipError_tPvRmT2_T3_mT4_P12ihipStream_tbEUlT_E_NS1_11comp_targetILNS1_3genE0ELNS1_11target_archE4294967295ELNS1_3gpuE0ELNS1_3repE0EEENS1_30default_config_static_selectorELNS0_4arch9wavefront6targetE1EEEvT1_.numbered_sgpr, 0
	.set _ZN7rocprim17ROCPRIM_400000_NS6detail17trampoline_kernelINS0_14default_configENS1_35adjacent_difference_config_selectorILb1ExEEZNS1_24adjacent_difference_implIS3_Lb1ELb0EPxS7_N6thrust23THRUST_200600_302600_NS4plusIxEEEE10hipError_tPvRmT2_T3_mT4_P12ihipStream_tbEUlT_E_NS1_11comp_targetILNS1_3genE0ELNS1_11target_archE4294967295ELNS1_3gpuE0ELNS1_3repE0EEENS1_30default_config_static_selectorELNS0_4arch9wavefront6targetE1EEEvT1_.num_named_barrier, 0
	.set _ZN7rocprim17ROCPRIM_400000_NS6detail17trampoline_kernelINS0_14default_configENS1_35adjacent_difference_config_selectorILb1ExEEZNS1_24adjacent_difference_implIS3_Lb1ELb0EPxS7_N6thrust23THRUST_200600_302600_NS4plusIxEEEE10hipError_tPvRmT2_T3_mT4_P12ihipStream_tbEUlT_E_NS1_11comp_targetILNS1_3genE0ELNS1_11target_archE4294967295ELNS1_3gpuE0ELNS1_3repE0EEENS1_30default_config_static_selectorELNS0_4arch9wavefront6targetE1EEEvT1_.private_seg_size, 0
	.set _ZN7rocprim17ROCPRIM_400000_NS6detail17trampoline_kernelINS0_14default_configENS1_35adjacent_difference_config_selectorILb1ExEEZNS1_24adjacent_difference_implIS3_Lb1ELb0EPxS7_N6thrust23THRUST_200600_302600_NS4plusIxEEEE10hipError_tPvRmT2_T3_mT4_P12ihipStream_tbEUlT_E_NS1_11comp_targetILNS1_3genE0ELNS1_11target_archE4294967295ELNS1_3gpuE0ELNS1_3repE0EEENS1_30default_config_static_selectorELNS0_4arch9wavefront6targetE1EEEvT1_.uses_vcc, 0
	.set _ZN7rocprim17ROCPRIM_400000_NS6detail17trampoline_kernelINS0_14default_configENS1_35adjacent_difference_config_selectorILb1ExEEZNS1_24adjacent_difference_implIS3_Lb1ELb0EPxS7_N6thrust23THRUST_200600_302600_NS4plusIxEEEE10hipError_tPvRmT2_T3_mT4_P12ihipStream_tbEUlT_E_NS1_11comp_targetILNS1_3genE0ELNS1_11target_archE4294967295ELNS1_3gpuE0ELNS1_3repE0EEENS1_30default_config_static_selectorELNS0_4arch9wavefront6targetE1EEEvT1_.uses_flat_scratch, 0
	.set _ZN7rocprim17ROCPRIM_400000_NS6detail17trampoline_kernelINS0_14default_configENS1_35adjacent_difference_config_selectorILb1ExEEZNS1_24adjacent_difference_implIS3_Lb1ELb0EPxS7_N6thrust23THRUST_200600_302600_NS4plusIxEEEE10hipError_tPvRmT2_T3_mT4_P12ihipStream_tbEUlT_E_NS1_11comp_targetILNS1_3genE0ELNS1_11target_archE4294967295ELNS1_3gpuE0ELNS1_3repE0EEENS1_30default_config_static_selectorELNS0_4arch9wavefront6targetE1EEEvT1_.has_dyn_sized_stack, 0
	.set _ZN7rocprim17ROCPRIM_400000_NS6detail17trampoline_kernelINS0_14default_configENS1_35adjacent_difference_config_selectorILb1ExEEZNS1_24adjacent_difference_implIS3_Lb1ELb0EPxS7_N6thrust23THRUST_200600_302600_NS4plusIxEEEE10hipError_tPvRmT2_T3_mT4_P12ihipStream_tbEUlT_E_NS1_11comp_targetILNS1_3genE0ELNS1_11target_archE4294967295ELNS1_3gpuE0ELNS1_3repE0EEENS1_30default_config_static_selectorELNS0_4arch9wavefront6targetE1EEEvT1_.has_recursion, 0
	.set _ZN7rocprim17ROCPRIM_400000_NS6detail17trampoline_kernelINS0_14default_configENS1_35adjacent_difference_config_selectorILb1ExEEZNS1_24adjacent_difference_implIS3_Lb1ELb0EPxS7_N6thrust23THRUST_200600_302600_NS4plusIxEEEE10hipError_tPvRmT2_T3_mT4_P12ihipStream_tbEUlT_E_NS1_11comp_targetILNS1_3genE0ELNS1_11target_archE4294967295ELNS1_3gpuE0ELNS1_3repE0EEENS1_30default_config_static_selectorELNS0_4arch9wavefront6targetE1EEEvT1_.has_indirect_call, 0
	.section	.AMDGPU.csdata,"",@progbits
; Kernel info:
; codeLenInByte = 0
; TotalNumSgprs: 4
; NumVgprs: 0
; ScratchSize: 0
; MemoryBound: 0
; FloatMode: 240
; IeeeMode: 1
; LDSByteSize: 0 bytes/workgroup (compile time only)
; SGPRBlocks: 0
; VGPRBlocks: 0
; NumSGPRsForWavesPerEU: 4
; NumVGPRsForWavesPerEU: 1
; Occupancy: 10
; WaveLimiterHint : 0
; COMPUTE_PGM_RSRC2:SCRATCH_EN: 0
; COMPUTE_PGM_RSRC2:USER_SGPR: 6
; COMPUTE_PGM_RSRC2:TRAP_HANDLER: 0
; COMPUTE_PGM_RSRC2:TGID_X_EN: 1
; COMPUTE_PGM_RSRC2:TGID_Y_EN: 0
; COMPUTE_PGM_RSRC2:TGID_Z_EN: 0
; COMPUTE_PGM_RSRC2:TIDIG_COMP_CNT: 0
	.section	.text._ZN7rocprim17ROCPRIM_400000_NS6detail17trampoline_kernelINS0_14default_configENS1_35adjacent_difference_config_selectorILb1ExEEZNS1_24adjacent_difference_implIS3_Lb1ELb0EPxS7_N6thrust23THRUST_200600_302600_NS4plusIxEEEE10hipError_tPvRmT2_T3_mT4_P12ihipStream_tbEUlT_E_NS1_11comp_targetILNS1_3genE10ELNS1_11target_archE1201ELNS1_3gpuE5ELNS1_3repE0EEENS1_30default_config_static_selectorELNS0_4arch9wavefront6targetE1EEEvT1_,"axG",@progbits,_ZN7rocprim17ROCPRIM_400000_NS6detail17trampoline_kernelINS0_14default_configENS1_35adjacent_difference_config_selectorILb1ExEEZNS1_24adjacent_difference_implIS3_Lb1ELb0EPxS7_N6thrust23THRUST_200600_302600_NS4plusIxEEEE10hipError_tPvRmT2_T3_mT4_P12ihipStream_tbEUlT_E_NS1_11comp_targetILNS1_3genE10ELNS1_11target_archE1201ELNS1_3gpuE5ELNS1_3repE0EEENS1_30default_config_static_selectorELNS0_4arch9wavefront6targetE1EEEvT1_,comdat
	.protected	_ZN7rocprim17ROCPRIM_400000_NS6detail17trampoline_kernelINS0_14default_configENS1_35adjacent_difference_config_selectorILb1ExEEZNS1_24adjacent_difference_implIS3_Lb1ELb0EPxS7_N6thrust23THRUST_200600_302600_NS4plusIxEEEE10hipError_tPvRmT2_T3_mT4_P12ihipStream_tbEUlT_E_NS1_11comp_targetILNS1_3genE10ELNS1_11target_archE1201ELNS1_3gpuE5ELNS1_3repE0EEENS1_30default_config_static_selectorELNS0_4arch9wavefront6targetE1EEEvT1_ ; -- Begin function _ZN7rocprim17ROCPRIM_400000_NS6detail17trampoline_kernelINS0_14default_configENS1_35adjacent_difference_config_selectorILb1ExEEZNS1_24adjacent_difference_implIS3_Lb1ELb0EPxS7_N6thrust23THRUST_200600_302600_NS4plusIxEEEE10hipError_tPvRmT2_T3_mT4_P12ihipStream_tbEUlT_E_NS1_11comp_targetILNS1_3genE10ELNS1_11target_archE1201ELNS1_3gpuE5ELNS1_3repE0EEENS1_30default_config_static_selectorELNS0_4arch9wavefront6targetE1EEEvT1_
	.globl	_ZN7rocprim17ROCPRIM_400000_NS6detail17trampoline_kernelINS0_14default_configENS1_35adjacent_difference_config_selectorILb1ExEEZNS1_24adjacent_difference_implIS3_Lb1ELb0EPxS7_N6thrust23THRUST_200600_302600_NS4plusIxEEEE10hipError_tPvRmT2_T3_mT4_P12ihipStream_tbEUlT_E_NS1_11comp_targetILNS1_3genE10ELNS1_11target_archE1201ELNS1_3gpuE5ELNS1_3repE0EEENS1_30default_config_static_selectorELNS0_4arch9wavefront6targetE1EEEvT1_
	.p2align	8
	.type	_ZN7rocprim17ROCPRIM_400000_NS6detail17trampoline_kernelINS0_14default_configENS1_35adjacent_difference_config_selectorILb1ExEEZNS1_24adjacent_difference_implIS3_Lb1ELb0EPxS7_N6thrust23THRUST_200600_302600_NS4plusIxEEEE10hipError_tPvRmT2_T3_mT4_P12ihipStream_tbEUlT_E_NS1_11comp_targetILNS1_3genE10ELNS1_11target_archE1201ELNS1_3gpuE5ELNS1_3repE0EEENS1_30default_config_static_selectorELNS0_4arch9wavefront6targetE1EEEvT1_,@function
_ZN7rocprim17ROCPRIM_400000_NS6detail17trampoline_kernelINS0_14default_configENS1_35adjacent_difference_config_selectorILb1ExEEZNS1_24adjacent_difference_implIS3_Lb1ELb0EPxS7_N6thrust23THRUST_200600_302600_NS4plusIxEEEE10hipError_tPvRmT2_T3_mT4_P12ihipStream_tbEUlT_E_NS1_11comp_targetILNS1_3genE10ELNS1_11target_archE1201ELNS1_3gpuE5ELNS1_3repE0EEENS1_30default_config_static_selectorELNS0_4arch9wavefront6targetE1EEEvT1_: ; @_ZN7rocprim17ROCPRIM_400000_NS6detail17trampoline_kernelINS0_14default_configENS1_35adjacent_difference_config_selectorILb1ExEEZNS1_24adjacent_difference_implIS3_Lb1ELb0EPxS7_N6thrust23THRUST_200600_302600_NS4plusIxEEEE10hipError_tPvRmT2_T3_mT4_P12ihipStream_tbEUlT_E_NS1_11comp_targetILNS1_3genE10ELNS1_11target_archE1201ELNS1_3gpuE5ELNS1_3repE0EEENS1_30default_config_static_selectorELNS0_4arch9wavefront6targetE1EEEvT1_
; %bb.0:
	.section	.rodata,"a",@progbits
	.p2align	6, 0x0
	.amdhsa_kernel _ZN7rocprim17ROCPRIM_400000_NS6detail17trampoline_kernelINS0_14default_configENS1_35adjacent_difference_config_selectorILb1ExEEZNS1_24adjacent_difference_implIS3_Lb1ELb0EPxS7_N6thrust23THRUST_200600_302600_NS4plusIxEEEE10hipError_tPvRmT2_T3_mT4_P12ihipStream_tbEUlT_E_NS1_11comp_targetILNS1_3genE10ELNS1_11target_archE1201ELNS1_3gpuE5ELNS1_3repE0EEENS1_30default_config_static_selectorELNS0_4arch9wavefront6targetE1EEEvT1_
		.amdhsa_group_segment_fixed_size 0
		.amdhsa_private_segment_fixed_size 0
		.amdhsa_kernarg_size 56
		.amdhsa_user_sgpr_count 6
		.amdhsa_user_sgpr_private_segment_buffer 1
		.amdhsa_user_sgpr_dispatch_ptr 0
		.amdhsa_user_sgpr_queue_ptr 0
		.amdhsa_user_sgpr_kernarg_segment_ptr 1
		.amdhsa_user_sgpr_dispatch_id 0
		.amdhsa_user_sgpr_flat_scratch_init 0
		.amdhsa_user_sgpr_private_segment_size 0
		.amdhsa_uses_dynamic_stack 0
		.amdhsa_system_sgpr_private_segment_wavefront_offset 0
		.amdhsa_system_sgpr_workgroup_id_x 1
		.amdhsa_system_sgpr_workgroup_id_y 0
		.amdhsa_system_sgpr_workgroup_id_z 0
		.amdhsa_system_sgpr_workgroup_info 0
		.amdhsa_system_vgpr_workitem_id 0
		.amdhsa_next_free_vgpr 1
		.amdhsa_next_free_sgpr 0
		.amdhsa_reserve_vcc 0
		.amdhsa_reserve_flat_scratch 0
		.amdhsa_float_round_mode_32 0
		.amdhsa_float_round_mode_16_64 0
		.amdhsa_float_denorm_mode_32 3
		.amdhsa_float_denorm_mode_16_64 3
		.amdhsa_dx10_clamp 1
		.amdhsa_ieee_mode 1
		.amdhsa_fp16_overflow 0
		.amdhsa_exception_fp_ieee_invalid_op 0
		.amdhsa_exception_fp_denorm_src 0
		.amdhsa_exception_fp_ieee_div_zero 0
		.amdhsa_exception_fp_ieee_overflow 0
		.amdhsa_exception_fp_ieee_underflow 0
		.amdhsa_exception_fp_ieee_inexact 0
		.amdhsa_exception_int_div_zero 0
	.end_amdhsa_kernel
	.section	.text._ZN7rocprim17ROCPRIM_400000_NS6detail17trampoline_kernelINS0_14default_configENS1_35adjacent_difference_config_selectorILb1ExEEZNS1_24adjacent_difference_implIS3_Lb1ELb0EPxS7_N6thrust23THRUST_200600_302600_NS4plusIxEEEE10hipError_tPvRmT2_T3_mT4_P12ihipStream_tbEUlT_E_NS1_11comp_targetILNS1_3genE10ELNS1_11target_archE1201ELNS1_3gpuE5ELNS1_3repE0EEENS1_30default_config_static_selectorELNS0_4arch9wavefront6targetE1EEEvT1_,"axG",@progbits,_ZN7rocprim17ROCPRIM_400000_NS6detail17trampoline_kernelINS0_14default_configENS1_35adjacent_difference_config_selectorILb1ExEEZNS1_24adjacent_difference_implIS3_Lb1ELb0EPxS7_N6thrust23THRUST_200600_302600_NS4plusIxEEEE10hipError_tPvRmT2_T3_mT4_P12ihipStream_tbEUlT_E_NS1_11comp_targetILNS1_3genE10ELNS1_11target_archE1201ELNS1_3gpuE5ELNS1_3repE0EEENS1_30default_config_static_selectorELNS0_4arch9wavefront6targetE1EEEvT1_,comdat
.Lfunc_end300:
	.size	_ZN7rocprim17ROCPRIM_400000_NS6detail17trampoline_kernelINS0_14default_configENS1_35adjacent_difference_config_selectorILb1ExEEZNS1_24adjacent_difference_implIS3_Lb1ELb0EPxS7_N6thrust23THRUST_200600_302600_NS4plusIxEEEE10hipError_tPvRmT2_T3_mT4_P12ihipStream_tbEUlT_E_NS1_11comp_targetILNS1_3genE10ELNS1_11target_archE1201ELNS1_3gpuE5ELNS1_3repE0EEENS1_30default_config_static_selectorELNS0_4arch9wavefront6targetE1EEEvT1_, .Lfunc_end300-_ZN7rocprim17ROCPRIM_400000_NS6detail17trampoline_kernelINS0_14default_configENS1_35adjacent_difference_config_selectorILb1ExEEZNS1_24adjacent_difference_implIS3_Lb1ELb0EPxS7_N6thrust23THRUST_200600_302600_NS4plusIxEEEE10hipError_tPvRmT2_T3_mT4_P12ihipStream_tbEUlT_E_NS1_11comp_targetILNS1_3genE10ELNS1_11target_archE1201ELNS1_3gpuE5ELNS1_3repE0EEENS1_30default_config_static_selectorELNS0_4arch9wavefront6targetE1EEEvT1_
                                        ; -- End function
	.set _ZN7rocprim17ROCPRIM_400000_NS6detail17trampoline_kernelINS0_14default_configENS1_35adjacent_difference_config_selectorILb1ExEEZNS1_24adjacent_difference_implIS3_Lb1ELb0EPxS7_N6thrust23THRUST_200600_302600_NS4plusIxEEEE10hipError_tPvRmT2_T3_mT4_P12ihipStream_tbEUlT_E_NS1_11comp_targetILNS1_3genE10ELNS1_11target_archE1201ELNS1_3gpuE5ELNS1_3repE0EEENS1_30default_config_static_selectorELNS0_4arch9wavefront6targetE1EEEvT1_.num_vgpr, 0
	.set _ZN7rocprim17ROCPRIM_400000_NS6detail17trampoline_kernelINS0_14default_configENS1_35adjacent_difference_config_selectorILb1ExEEZNS1_24adjacent_difference_implIS3_Lb1ELb0EPxS7_N6thrust23THRUST_200600_302600_NS4plusIxEEEE10hipError_tPvRmT2_T3_mT4_P12ihipStream_tbEUlT_E_NS1_11comp_targetILNS1_3genE10ELNS1_11target_archE1201ELNS1_3gpuE5ELNS1_3repE0EEENS1_30default_config_static_selectorELNS0_4arch9wavefront6targetE1EEEvT1_.num_agpr, 0
	.set _ZN7rocprim17ROCPRIM_400000_NS6detail17trampoline_kernelINS0_14default_configENS1_35adjacent_difference_config_selectorILb1ExEEZNS1_24adjacent_difference_implIS3_Lb1ELb0EPxS7_N6thrust23THRUST_200600_302600_NS4plusIxEEEE10hipError_tPvRmT2_T3_mT4_P12ihipStream_tbEUlT_E_NS1_11comp_targetILNS1_3genE10ELNS1_11target_archE1201ELNS1_3gpuE5ELNS1_3repE0EEENS1_30default_config_static_selectorELNS0_4arch9wavefront6targetE1EEEvT1_.numbered_sgpr, 0
	.set _ZN7rocprim17ROCPRIM_400000_NS6detail17trampoline_kernelINS0_14default_configENS1_35adjacent_difference_config_selectorILb1ExEEZNS1_24adjacent_difference_implIS3_Lb1ELb0EPxS7_N6thrust23THRUST_200600_302600_NS4plusIxEEEE10hipError_tPvRmT2_T3_mT4_P12ihipStream_tbEUlT_E_NS1_11comp_targetILNS1_3genE10ELNS1_11target_archE1201ELNS1_3gpuE5ELNS1_3repE0EEENS1_30default_config_static_selectorELNS0_4arch9wavefront6targetE1EEEvT1_.num_named_barrier, 0
	.set _ZN7rocprim17ROCPRIM_400000_NS6detail17trampoline_kernelINS0_14default_configENS1_35adjacent_difference_config_selectorILb1ExEEZNS1_24adjacent_difference_implIS3_Lb1ELb0EPxS7_N6thrust23THRUST_200600_302600_NS4plusIxEEEE10hipError_tPvRmT2_T3_mT4_P12ihipStream_tbEUlT_E_NS1_11comp_targetILNS1_3genE10ELNS1_11target_archE1201ELNS1_3gpuE5ELNS1_3repE0EEENS1_30default_config_static_selectorELNS0_4arch9wavefront6targetE1EEEvT1_.private_seg_size, 0
	.set _ZN7rocprim17ROCPRIM_400000_NS6detail17trampoline_kernelINS0_14default_configENS1_35adjacent_difference_config_selectorILb1ExEEZNS1_24adjacent_difference_implIS3_Lb1ELb0EPxS7_N6thrust23THRUST_200600_302600_NS4plusIxEEEE10hipError_tPvRmT2_T3_mT4_P12ihipStream_tbEUlT_E_NS1_11comp_targetILNS1_3genE10ELNS1_11target_archE1201ELNS1_3gpuE5ELNS1_3repE0EEENS1_30default_config_static_selectorELNS0_4arch9wavefront6targetE1EEEvT1_.uses_vcc, 0
	.set _ZN7rocprim17ROCPRIM_400000_NS6detail17trampoline_kernelINS0_14default_configENS1_35adjacent_difference_config_selectorILb1ExEEZNS1_24adjacent_difference_implIS3_Lb1ELb0EPxS7_N6thrust23THRUST_200600_302600_NS4plusIxEEEE10hipError_tPvRmT2_T3_mT4_P12ihipStream_tbEUlT_E_NS1_11comp_targetILNS1_3genE10ELNS1_11target_archE1201ELNS1_3gpuE5ELNS1_3repE0EEENS1_30default_config_static_selectorELNS0_4arch9wavefront6targetE1EEEvT1_.uses_flat_scratch, 0
	.set _ZN7rocprim17ROCPRIM_400000_NS6detail17trampoline_kernelINS0_14default_configENS1_35adjacent_difference_config_selectorILb1ExEEZNS1_24adjacent_difference_implIS3_Lb1ELb0EPxS7_N6thrust23THRUST_200600_302600_NS4plusIxEEEE10hipError_tPvRmT2_T3_mT4_P12ihipStream_tbEUlT_E_NS1_11comp_targetILNS1_3genE10ELNS1_11target_archE1201ELNS1_3gpuE5ELNS1_3repE0EEENS1_30default_config_static_selectorELNS0_4arch9wavefront6targetE1EEEvT1_.has_dyn_sized_stack, 0
	.set _ZN7rocprim17ROCPRIM_400000_NS6detail17trampoline_kernelINS0_14default_configENS1_35adjacent_difference_config_selectorILb1ExEEZNS1_24adjacent_difference_implIS3_Lb1ELb0EPxS7_N6thrust23THRUST_200600_302600_NS4plusIxEEEE10hipError_tPvRmT2_T3_mT4_P12ihipStream_tbEUlT_E_NS1_11comp_targetILNS1_3genE10ELNS1_11target_archE1201ELNS1_3gpuE5ELNS1_3repE0EEENS1_30default_config_static_selectorELNS0_4arch9wavefront6targetE1EEEvT1_.has_recursion, 0
	.set _ZN7rocprim17ROCPRIM_400000_NS6detail17trampoline_kernelINS0_14default_configENS1_35adjacent_difference_config_selectorILb1ExEEZNS1_24adjacent_difference_implIS3_Lb1ELb0EPxS7_N6thrust23THRUST_200600_302600_NS4plusIxEEEE10hipError_tPvRmT2_T3_mT4_P12ihipStream_tbEUlT_E_NS1_11comp_targetILNS1_3genE10ELNS1_11target_archE1201ELNS1_3gpuE5ELNS1_3repE0EEENS1_30default_config_static_selectorELNS0_4arch9wavefront6targetE1EEEvT1_.has_indirect_call, 0
	.section	.AMDGPU.csdata,"",@progbits
; Kernel info:
; codeLenInByte = 0
; TotalNumSgprs: 4
; NumVgprs: 0
; ScratchSize: 0
; MemoryBound: 0
; FloatMode: 240
; IeeeMode: 1
; LDSByteSize: 0 bytes/workgroup (compile time only)
; SGPRBlocks: 0
; VGPRBlocks: 0
; NumSGPRsForWavesPerEU: 4
; NumVGPRsForWavesPerEU: 1
; Occupancy: 10
; WaveLimiterHint : 0
; COMPUTE_PGM_RSRC2:SCRATCH_EN: 0
; COMPUTE_PGM_RSRC2:USER_SGPR: 6
; COMPUTE_PGM_RSRC2:TRAP_HANDLER: 0
; COMPUTE_PGM_RSRC2:TGID_X_EN: 1
; COMPUTE_PGM_RSRC2:TGID_Y_EN: 0
; COMPUTE_PGM_RSRC2:TGID_Z_EN: 0
; COMPUTE_PGM_RSRC2:TIDIG_COMP_CNT: 0
	.section	.text._ZN7rocprim17ROCPRIM_400000_NS6detail17trampoline_kernelINS0_14default_configENS1_35adjacent_difference_config_selectorILb1ExEEZNS1_24adjacent_difference_implIS3_Lb1ELb0EPxS7_N6thrust23THRUST_200600_302600_NS4plusIxEEEE10hipError_tPvRmT2_T3_mT4_P12ihipStream_tbEUlT_E_NS1_11comp_targetILNS1_3genE5ELNS1_11target_archE942ELNS1_3gpuE9ELNS1_3repE0EEENS1_30default_config_static_selectorELNS0_4arch9wavefront6targetE1EEEvT1_,"axG",@progbits,_ZN7rocprim17ROCPRIM_400000_NS6detail17trampoline_kernelINS0_14default_configENS1_35adjacent_difference_config_selectorILb1ExEEZNS1_24adjacent_difference_implIS3_Lb1ELb0EPxS7_N6thrust23THRUST_200600_302600_NS4plusIxEEEE10hipError_tPvRmT2_T3_mT4_P12ihipStream_tbEUlT_E_NS1_11comp_targetILNS1_3genE5ELNS1_11target_archE942ELNS1_3gpuE9ELNS1_3repE0EEENS1_30default_config_static_selectorELNS0_4arch9wavefront6targetE1EEEvT1_,comdat
	.protected	_ZN7rocprim17ROCPRIM_400000_NS6detail17trampoline_kernelINS0_14default_configENS1_35adjacent_difference_config_selectorILb1ExEEZNS1_24adjacent_difference_implIS3_Lb1ELb0EPxS7_N6thrust23THRUST_200600_302600_NS4plusIxEEEE10hipError_tPvRmT2_T3_mT4_P12ihipStream_tbEUlT_E_NS1_11comp_targetILNS1_3genE5ELNS1_11target_archE942ELNS1_3gpuE9ELNS1_3repE0EEENS1_30default_config_static_selectorELNS0_4arch9wavefront6targetE1EEEvT1_ ; -- Begin function _ZN7rocprim17ROCPRIM_400000_NS6detail17trampoline_kernelINS0_14default_configENS1_35adjacent_difference_config_selectorILb1ExEEZNS1_24adjacent_difference_implIS3_Lb1ELb0EPxS7_N6thrust23THRUST_200600_302600_NS4plusIxEEEE10hipError_tPvRmT2_T3_mT4_P12ihipStream_tbEUlT_E_NS1_11comp_targetILNS1_3genE5ELNS1_11target_archE942ELNS1_3gpuE9ELNS1_3repE0EEENS1_30default_config_static_selectorELNS0_4arch9wavefront6targetE1EEEvT1_
	.globl	_ZN7rocprim17ROCPRIM_400000_NS6detail17trampoline_kernelINS0_14default_configENS1_35adjacent_difference_config_selectorILb1ExEEZNS1_24adjacent_difference_implIS3_Lb1ELb0EPxS7_N6thrust23THRUST_200600_302600_NS4plusIxEEEE10hipError_tPvRmT2_T3_mT4_P12ihipStream_tbEUlT_E_NS1_11comp_targetILNS1_3genE5ELNS1_11target_archE942ELNS1_3gpuE9ELNS1_3repE0EEENS1_30default_config_static_selectorELNS0_4arch9wavefront6targetE1EEEvT1_
	.p2align	8
	.type	_ZN7rocprim17ROCPRIM_400000_NS6detail17trampoline_kernelINS0_14default_configENS1_35adjacent_difference_config_selectorILb1ExEEZNS1_24adjacent_difference_implIS3_Lb1ELb0EPxS7_N6thrust23THRUST_200600_302600_NS4plusIxEEEE10hipError_tPvRmT2_T3_mT4_P12ihipStream_tbEUlT_E_NS1_11comp_targetILNS1_3genE5ELNS1_11target_archE942ELNS1_3gpuE9ELNS1_3repE0EEENS1_30default_config_static_selectorELNS0_4arch9wavefront6targetE1EEEvT1_,@function
_ZN7rocprim17ROCPRIM_400000_NS6detail17trampoline_kernelINS0_14default_configENS1_35adjacent_difference_config_selectorILb1ExEEZNS1_24adjacent_difference_implIS3_Lb1ELb0EPxS7_N6thrust23THRUST_200600_302600_NS4plusIxEEEE10hipError_tPvRmT2_T3_mT4_P12ihipStream_tbEUlT_E_NS1_11comp_targetILNS1_3genE5ELNS1_11target_archE942ELNS1_3gpuE9ELNS1_3repE0EEENS1_30default_config_static_selectorELNS0_4arch9wavefront6targetE1EEEvT1_: ; @_ZN7rocprim17ROCPRIM_400000_NS6detail17trampoline_kernelINS0_14default_configENS1_35adjacent_difference_config_selectorILb1ExEEZNS1_24adjacent_difference_implIS3_Lb1ELb0EPxS7_N6thrust23THRUST_200600_302600_NS4plusIxEEEE10hipError_tPvRmT2_T3_mT4_P12ihipStream_tbEUlT_E_NS1_11comp_targetILNS1_3genE5ELNS1_11target_archE942ELNS1_3gpuE9ELNS1_3repE0EEENS1_30default_config_static_selectorELNS0_4arch9wavefront6targetE1EEEvT1_
; %bb.0:
	.section	.rodata,"a",@progbits
	.p2align	6, 0x0
	.amdhsa_kernel _ZN7rocprim17ROCPRIM_400000_NS6detail17trampoline_kernelINS0_14default_configENS1_35adjacent_difference_config_selectorILb1ExEEZNS1_24adjacent_difference_implIS3_Lb1ELb0EPxS7_N6thrust23THRUST_200600_302600_NS4plusIxEEEE10hipError_tPvRmT2_T3_mT4_P12ihipStream_tbEUlT_E_NS1_11comp_targetILNS1_3genE5ELNS1_11target_archE942ELNS1_3gpuE9ELNS1_3repE0EEENS1_30default_config_static_selectorELNS0_4arch9wavefront6targetE1EEEvT1_
		.amdhsa_group_segment_fixed_size 0
		.amdhsa_private_segment_fixed_size 0
		.amdhsa_kernarg_size 56
		.amdhsa_user_sgpr_count 6
		.amdhsa_user_sgpr_private_segment_buffer 1
		.amdhsa_user_sgpr_dispatch_ptr 0
		.amdhsa_user_sgpr_queue_ptr 0
		.amdhsa_user_sgpr_kernarg_segment_ptr 1
		.amdhsa_user_sgpr_dispatch_id 0
		.amdhsa_user_sgpr_flat_scratch_init 0
		.amdhsa_user_sgpr_private_segment_size 0
		.amdhsa_uses_dynamic_stack 0
		.amdhsa_system_sgpr_private_segment_wavefront_offset 0
		.amdhsa_system_sgpr_workgroup_id_x 1
		.amdhsa_system_sgpr_workgroup_id_y 0
		.amdhsa_system_sgpr_workgroup_id_z 0
		.amdhsa_system_sgpr_workgroup_info 0
		.amdhsa_system_vgpr_workitem_id 0
		.amdhsa_next_free_vgpr 1
		.amdhsa_next_free_sgpr 0
		.amdhsa_reserve_vcc 0
		.amdhsa_reserve_flat_scratch 0
		.amdhsa_float_round_mode_32 0
		.amdhsa_float_round_mode_16_64 0
		.amdhsa_float_denorm_mode_32 3
		.amdhsa_float_denorm_mode_16_64 3
		.amdhsa_dx10_clamp 1
		.amdhsa_ieee_mode 1
		.amdhsa_fp16_overflow 0
		.amdhsa_exception_fp_ieee_invalid_op 0
		.amdhsa_exception_fp_denorm_src 0
		.amdhsa_exception_fp_ieee_div_zero 0
		.amdhsa_exception_fp_ieee_overflow 0
		.amdhsa_exception_fp_ieee_underflow 0
		.amdhsa_exception_fp_ieee_inexact 0
		.amdhsa_exception_int_div_zero 0
	.end_amdhsa_kernel
	.section	.text._ZN7rocprim17ROCPRIM_400000_NS6detail17trampoline_kernelINS0_14default_configENS1_35adjacent_difference_config_selectorILb1ExEEZNS1_24adjacent_difference_implIS3_Lb1ELb0EPxS7_N6thrust23THRUST_200600_302600_NS4plusIxEEEE10hipError_tPvRmT2_T3_mT4_P12ihipStream_tbEUlT_E_NS1_11comp_targetILNS1_3genE5ELNS1_11target_archE942ELNS1_3gpuE9ELNS1_3repE0EEENS1_30default_config_static_selectorELNS0_4arch9wavefront6targetE1EEEvT1_,"axG",@progbits,_ZN7rocprim17ROCPRIM_400000_NS6detail17trampoline_kernelINS0_14default_configENS1_35adjacent_difference_config_selectorILb1ExEEZNS1_24adjacent_difference_implIS3_Lb1ELb0EPxS7_N6thrust23THRUST_200600_302600_NS4plusIxEEEE10hipError_tPvRmT2_T3_mT4_P12ihipStream_tbEUlT_E_NS1_11comp_targetILNS1_3genE5ELNS1_11target_archE942ELNS1_3gpuE9ELNS1_3repE0EEENS1_30default_config_static_selectorELNS0_4arch9wavefront6targetE1EEEvT1_,comdat
.Lfunc_end301:
	.size	_ZN7rocprim17ROCPRIM_400000_NS6detail17trampoline_kernelINS0_14default_configENS1_35adjacent_difference_config_selectorILb1ExEEZNS1_24adjacent_difference_implIS3_Lb1ELb0EPxS7_N6thrust23THRUST_200600_302600_NS4plusIxEEEE10hipError_tPvRmT2_T3_mT4_P12ihipStream_tbEUlT_E_NS1_11comp_targetILNS1_3genE5ELNS1_11target_archE942ELNS1_3gpuE9ELNS1_3repE0EEENS1_30default_config_static_selectorELNS0_4arch9wavefront6targetE1EEEvT1_, .Lfunc_end301-_ZN7rocprim17ROCPRIM_400000_NS6detail17trampoline_kernelINS0_14default_configENS1_35adjacent_difference_config_selectorILb1ExEEZNS1_24adjacent_difference_implIS3_Lb1ELb0EPxS7_N6thrust23THRUST_200600_302600_NS4plusIxEEEE10hipError_tPvRmT2_T3_mT4_P12ihipStream_tbEUlT_E_NS1_11comp_targetILNS1_3genE5ELNS1_11target_archE942ELNS1_3gpuE9ELNS1_3repE0EEENS1_30default_config_static_selectorELNS0_4arch9wavefront6targetE1EEEvT1_
                                        ; -- End function
	.set _ZN7rocprim17ROCPRIM_400000_NS6detail17trampoline_kernelINS0_14default_configENS1_35adjacent_difference_config_selectorILb1ExEEZNS1_24adjacent_difference_implIS3_Lb1ELb0EPxS7_N6thrust23THRUST_200600_302600_NS4plusIxEEEE10hipError_tPvRmT2_T3_mT4_P12ihipStream_tbEUlT_E_NS1_11comp_targetILNS1_3genE5ELNS1_11target_archE942ELNS1_3gpuE9ELNS1_3repE0EEENS1_30default_config_static_selectorELNS0_4arch9wavefront6targetE1EEEvT1_.num_vgpr, 0
	.set _ZN7rocprim17ROCPRIM_400000_NS6detail17trampoline_kernelINS0_14default_configENS1_35adjacent_difference_config_selectorILb1ExEEZNS1_24adjacent_difference_implIS3_Lb1ELb0EPxS7_N6thrust23THRUST_200600_302600_NS4plusIxEEEE10hipError_tPvRmT2_T3_mT4_P12ihipStream_tbEUlT_E_NS1_11comp_targetILNS1_3genE5ELNS1_11target_archE942ELNS1_3gpuE9ELNS1_3repE0EEENS1_30default_config_static_selectorELNS0_4arch9wavefront6targetE1EEEvT1_.num_agpr, 0
	.set _ZN7rocprim17ROCPRIM_400000_NS6detail17trampoline_kernelINS0_14default_configENS1_35adjacent_difference_config_selectorILb1ExEEZNS1_24adjacent_difference_implIS3_Lb1ELb0EPxS7_N6thrust23THRUST_200600_302600_NS4plusIxEEEE10hipError_tPvRmT2_T3_mT4_P12ihipStream_tbEUlT_E_NS1_11comp_targetILNS1_3genE5ELNS1_11target_archE942ELNS1_3gpuE9ELNS1_3repE0EEENS1_30default_config_static_selectorELNS0_4arch9wavefront6targetE1EEEvT1_.numbered_sgpr, 0
	.set _ZN7rocprim17ROCPRIM_400000_NS6detail17trampoline_kernelINS0_14default_configENS1_35adjacent_difference_config_selectorILb1ExEEZNS1_24adjacent_difference_implIS3_Lb1ELb0EPxS7_N6thrust23THRUST_200600_302600_NS4plusIxEEEE10hipError_tPvRmT2_T3_mT4_P12ihipStream_tbEUlT_E_NS1_11comp_targetILNS1_3genE5ELNS1_11target_archE942ELNS1_3gpuE9ELNS1_3repE0EEENS1_30default_config_static_selectorELNS0_4arch9wavefront6targetE1EEEvT1_.num_named_barrier, 0
	.set _ZN7rocprim17ROCPRIM_400000_NS6detail17trampoline_kernelINS0_14default_configENS1_35adjacent_difference_config_selectorILb1ExEEZNS1_24adjacent_difference_implIS3_Lb1ELb0EPxS7_N6thrust23THRUST_200600_302600_NS4plusIxEEEE10hipError_tPvRmT2_T3_mT4_P12ihipStream_tbEUlT_E_NS1_11comp_targetILNS1_3genE5ELNS1_11target_archE942ELNS1_3gpuE9ELNS1_3repE0EEENS1_30default_config_static_selectorELNS0_4arch9wavefront6targetE1EEEvT1_.private_seg_size, 0
	.set _ZN7rocprim17ROCPRIM_400000_NS6detail17trampoline_kernelINS0_14default_configENS1_35adjacent_difference_config_selectorILb1ExEEZNS1_24adjacent_difference_implIS3_Lb1ELb0EPxS7_N6thrust23THRUST_200600_302600_NS4plusIxEEEE10hipError_tPvRmT2_T3_mT4_P12ihipStream_tbEUlT_E_NS1_11comp_targetILNS1_3genE5ELNS1_11target_archE942ELNS1_3gpuE9ELNS1_3repE0EEENS1_30default_config_static_selectorELNS0_4arch9wavefront6targetE1EEEvT1_.uses_vcc, 0
	.set _ZN7rocprim17ROCPRIM_400000_NS6detail17trampoline_kernelINS0_14default_configENS1_35adjacent_difference_config_selectorILb1ExEEZNS1_24adjacent_difference_implIS3_Lb1ELb0EPxS7_N6thrust23THRUST_200600_302600_NS4plusIxEEEE10hipError_tPvRmT2_T3_mT4_P12ihipStream_tbEUlT_E_NS1_11comp_targetILNS1_3genE5ELNS1_11target_archE942ELNS1_3gpuE9ELNS1_3repE0EEENS1_30default_config_static_selectorELNS0_4arch9wavefront6targetE1EEEvT1_.uses_flat_scratch, 0
	.set _ZN7rocprim17ROCPRIM_400000_NS6detail17trampoline_kernelINS0_14default_configENS1_35adjacent_difference_config_selectorILb1ExEEZNS1_24adjacent_difference_implIS3_Lb1ELb0EPxS7_N6thrust23THRUST_200600_302600_NS4plusIxEEEE10hipError_tPvRmT2_T3_mT4_P12ihipStream_tbEUlT_E_NS1_11comp_targetILNS1_3genE5ELNS1_11target_archE942ELNS1_3gpuE9ELNS1_3repE0EEENS1_30default_config_static_selectorELNS0_4arch9wavefront6targetE1EEEvT1_.has_dyn_sized_stack, 0
	.set _ZN7rocprim17ROCPRIM_400000_NS6detail17trampoline_kernelINS0_14default_configENS1_35adjacent_difference_config_selectorILb1ExEEZNS1_24adjacent_difference_implIS3_Lb1ELb0EPxS7_N6thrust23THRUST_200600_302600_NS4plusIxEEEE10hipError_tPvRmT2_T3_mT4_P12ihipStream_tbEUlT_E_NS1_11comp_targetILNS1_3genE5ELNS1_11target_archE942ELNS1_3gpuE9ELNS1_3repE0EEENS1_30default_config_static_selectorELNS0_4arch9wavefront6targetE1EEEvT1_.has_recursion, 0
	.set _ZN7rocprim17ROCPRIM_400000_NS6detail17trampoline_kernelINS0_14default_configENS1_35adjacent_difference_config_selectorILb1ExEEZNS1_24adjacent_difference_implIS3_Lb1ELb0EPxS7_N6thrust23THRUST_200600_302600_NS4plusIxEEEE10hipError_tPvRmT2_T3_mT4_P12ihipStream_tbEUlT_E_NS1_11comp_targetILNS1_3genE5ELNS1_11target_archE942ELNS1_3gpuE9ELNS1_3repE0EEENS1_30default_config_static_selectorELNS0_4arch9wavefront6targetE1EEEvT1_.has_indirect_call, 0
	.section	.AMDGPU.csdata,"",@progbits
; Kernel info:
; codeLenInByte = 0
; TotalNumSgprs: 4
; NumVgprs: 0
; ScratchSize: 0
; MemoryBound: 0
; FloatMode: 240
; IeeeMode: 1
; LDSByteSize: 0 bytes/workgroup (compile time only)
; SGPRBlocks: 0
; VGPRBlocks: 0
; NumSGPRsForWavesPerEU: 4
; NumVGPRsForWavesPerEU: 1
; Occupancy: 10
; WaveLimiterHint : 0
; COMPUTE_PGM_RSRC2:SCRATCH_EN: 0
; COMPUTE_PGM_RSRC2:USER_SGPR: 6
; COMPUTE_PGM_RSRC2:TRAP_HANDLER: 0
; COMPUTE_PGM_RSRC2:TGID_X_EN: 1
; COMPUTE_PGM_RSRC2:TGID_Y_EN: 0
; COMPUTE_PGM_RSRC2:TGID_Z_EN: 0
; COMPUTE_PGM_RSRC2:TIDIG_COMP_CNT: 0
	.section	.text._ZN7rocprim17ROCPRIM_400000_NS6detail17trampoline_kernelINS0_14default_configENS1_35adjacent_difference_config_selectorILb1ExEEZNS1_24adjacent_difference_implIS3_Lb1ELb0EPxS7_N6thrust23THRUST_200600_302600_NS4plusIxEEEE10hipError_tPvRmT2_T3_mT4_P12ihipStream_tbEUlT_E_NS1_11comp_targetILNS1_3genE4ELNS1_11target_archE910ELNS1_3gpuE8ELNS1_3repE0EEENS1_30default_config_static_selectorELNS0_4arch9wavefront6targetE1EEEvT1_,"axG",@progbits,_ZN7rocprim17ROCPRIM_400000_NS6detail17trampoline_kernelINS0_14default_configENS1_35adjacent_difference_config_selectorILb1ExEEZNS1_24adjacent_difference_implIS3_Lb1ELb0EPxS7_N6thrust23THRUST_200600_302600_NS4plusIxEEEE10hipError_tPvRmT2_T3_mT4_P12ihipStream_tbEUlT_E_NS1_11comp_targetILNS1_3genE4ELNS1_11target_archE910ELNS1_3gpuE8ELNS1_3repE0EEENS1_30default_config_static_selectorELNS0_4arch9wavefront6targetE1EEEvT1_,comdat
	.protected	_ZN7rocprim17ROCPRIM_400000_NS6detail17trampoline_kernelINS0_14default_configENS1_35adjacent_difference_config_selectorILb1ExEEZNS1_24adjacent_difference_implIS3_Lb1ELb0EPxS7_N6thrust23THRUST_200600_302600_NS4plusIxEEEE10hipError_tPvRmT2_T3_mT4_P12ihipStream_tbEUlT_E_NS1_11comp_targetILNS1_3genE4ELNS1_11target_archE910ELNS1_3gpuE8ELNS1_3repE0EEENS1_30default_config_static_selectorELNS0_4arch9wavefront6targetE1EEEvT1_ ; -- Begin function _ZN7rocprim17ROCPRIM_400000_NS6detail17trampoline_kernelINS0_14default_configENS1_35adjacent_difference_config_selectorILb1ExEEZNS1_24adjacent_difference_implIS3_Lb1ELb0EPxS7_N6thrust23THRUST_200600_302600_NS4plusIxEEEE10hipError_tPvRmT2_T3_mT4_P12ihipStream_tbEUlT_E_NS1_11comp_targetILNS1_3genE4ELNS1_11target_archE910ELNS1_3gpuE8ELNS1_3repE0EEENS1_30default_config_static_selectorELNS0_4arch9wavefront6targetE1EEEvT1_
	.globl	_ZN7rocprim17ROCPRIM_400000_NS6detail17trampoline_kernelINS0_14default_configENS1_35adjacent_difference_config_selectorILb1ExEEZNS1_24adjacent_difference_implIS3_Lb1ELb0EPxS7_N6thrust23THRUST_200600_302600_NS4plusIxEEEE10hipError_tPvRmT2_T3_mT4_P12ihipStream_tbEUlT_E_NS1_11comp_targetILNS1_3genE4ELNS1_11target_archE910ELNS1_3gpuE8ELNS1_3repE0EEENS1_30default_config_static_selectorELNS0_4arch9wavefront6targetE1EEEvT1_
	.p2align	8
	.type	_ZN7rocprim17ROCPRIM_400000_NS6detail17trampoline_kernelINS0_14default_configENS1_35adjacent_difference_config_selectorILb1ExEEZNS1_24adjacent_difference_implIS3_Lb1ELb0EPxS7_N6thrust23THRUST_200600_302600_NS4plusIxEEEE10hipError_tPvRmT2_T3_mT4_P12ihipStream_tbEUlT_E_NS1_11comp_targetILNS1_3genE4ELNS1_11target_archE910ELNS1_3gpuE8ELNS1_3repE0EEENS1_30default_config_static_selectorELNS0_4arch9wavefront6targetE1EEEvT1_,@function
_ZN7rocprim17ROCPRIM_400000_NS6detail17trampoline_kernelINS0_14default_configENS1_35adjacent_difference_config_selectorILb1ExEEZNS1_24adjacent_difference_implIS3_Lb1ELb0EPxS7_N6thrust23THRUST_200600_302600_NS4plusIxEEEE10hipError_tPvRmT2_T3_mT4_P12ihipStream_tbEUlT_E_NS1_11comp_targetILNS1_3genE4ELNS1_11target_archE910ELNS1_3gpuE8ELNS1_3repE0EEENS1_30default_config_static_selectorELNS0_4arch9wavefront6targetE1EEEvT1_: ; @_ZN7rocprim17ROCPRIM_400000_NS6detail17trampoline_kernelINS0_14default_configENS1_35adjacent_difference_config_selectorILb1ExEEZNS1_24adjacent_difference_implIS3_Lb1ELb0EPxS7_N6thrust23THRUST_200600_302600_NS4plusIxEEEE10hipError_tPvRmT2_T3_mT4_P12ihipStream_tbEUlT_E_NS1_11comp_targetILNS1_3genE4ELNS1_11target_archE910ELNS1_3gpuE8ELNS1_3repE0EEENS1_30default_config_static_selectorELNS0_4arch9wavefront6targetE1EEEvT1_
; %bb.0:
	.section	.rodata,"a",@progbits
	.p2align	6, 0x0
	.amdhsa_kernel _ZN7rocprim17ROCPRIM_400000_NS6detail17trampoline_kernelINS0_14default_configENS1_35adjacent_difference_config_selectorILb1ExEEZNS1_24adjacent_difference_implIS3_Lb1ELb0EPxS7_N6thrust23THRUST_200600_302600_NS4plusIxEEEE10hipError_tPvRmT2_T3_mT4_P12ihipStream_tbEUlT_E_NS1_11comp_targetILNS1_3genE4ELNS1_11target_archE910ELNS1_3gpuE8ELNS1_3repE0EEENS1_30default_config_static_selectorELNS0_4arch9wavefront6targetE1EEEvT1_
		.amdhsa_group_segment_fixed_size 0
		.amdhsa_private_segment_fixed_size 0
		.amdhsa_kernarg_size 56
		.amdhsa_user_sgpr_count 6
		.amdhsa_user_sgpr_private_segment_buffer 1
		.amdhsa_user_sgpr_dispatch_ptr 0
		.amdhsa_user_sgpr_queue_ptr 0
		.amdhsa_user_sgpr_kernarg_segment_ptr 1
		.amdhsa_user_sgpr_dispatch_id 0
		.amdhsa_user_sgpr_flat_scratch_init 0
		.amdhsa_user_sgpr_private_segment_size 0
		.amdhsa_uses_dynamic_stack 0
		.amdhsa_system_sgpr_private_segment_wavefront_offset 0
		.amdhsa_system_sgpr_workgroup_id_x 1
		.amdhsa_system_sgpr_workgroup_id_y 0
		.amdhsa_system_sgpr_workgroup_id_z 0
		.amdhsa_system_sgpr_workgroup_info 0
		.amdhsa_system_vgpr_workitem_id 0
		.amdhsa_next_free_vgpr 1
		.amdhsa_next_free_sgpr 0
		.amdhsa_reserve_vcc 0
		.amdhsa_reserve_flat_scratch 0
		.amdhsa_float_round_mode_32 0
		.amdhsa_float_round_mode_16_64 0
		.amdhsa_float_denorm_mode_32 3
		.amdhsa_float_denorm_mode_16_64 3
		.amdhsa_dx10_clamp 1
		.amdhsa_ieee_mode 1
		.amdhsa_fp16_overflow 0
		.amdhsa_exception_fp_ieee_invalid_op 0
		.amdhsa_exception_fp_denorm_src 0
		.amdhsa_exception_fp_ieee_div_zero 0
		.amdhsa_exception_fp_ieee_overflow 0
		.amdhsa_exception_fp_ieee_underflow 0
		.amdhsa_exception_fp_ieee_inexact 0
		.amdhsa_exception_int_div_zero 0
	.end_amdhsa_kernel
	.section	.text._ZN7rocprim17ROCPRIM_400000_NS6detail17trampoline_kernelINS0_14default_configENS1_35adjacent_difference_config_selectorILb1ExEEZNS1_24adjacent_difference_implIS3_Lb1ELb0EPxS7_N6thrust23THRUST_200600_302600_NS4plusIxEEEE10hipError_tPvRmT2_T3_mT4_P12ihipStream_tbEUlT_E_NS1_11comp_targetILNS1_3genE4ELNS1_11target_archE910ELNS1_3gpuE8ELNS1_3repE0EEENS1_30default_config_static_selectorELNS0_4arch9wavefront6targetE1EEEvT1_,"axG",@progbits,_ZN7rocprim17ROCPRIM_400000_NS6detail17trampoline_kernelINS0_14default_configENS1_35adjacent_difference_config_selectorILb1ExEEZNS1_24adjacent_difference_implIS3_Lb1ELb0EPxS7_N6thrust23THRUST_200600_302600_NS4plusIxEEEE10hipError_tPvRmT2_T3_mT4_P12ihipStream_tbEUlT_E_NS1_11comp_targetILNS1_3genE4ELNS1_11target_archE910ELNS1_3gpuE8ELNS1_3repE0EEENS1_30default_config_static_selectorELNS0_4arch9wavefront6targetE1EEEvT1_,comdat
.Lfunc_end302:
	.size	_ZN7rocprim17ROCPRIM_400000_NS6detail17trampoline_kernelINS0_14default_configENS1_35adjacent_difference_config_selectorILb1ExEEZNS1_24adjacent_difference_implIS3_Lb1ELb0EPxS7_N6thrust23THRUST_200600_302600_NS4plusIxEEEE10hipError_tPvRmT2_T3_mT4_P12ihipStream_tbEUlT_E_NS1_11comp_targetILNS1_3genE4ELNS1_11target_archE910ELNS1_3gpuE8ELNS1_3repE0EEENS1_30default_config_static_selectorELNS0_4arch9wavefront6targetE1EEEvT1_, .Lfunc_end302-_ZN7rocprim17ROCPRIM_400000_NS6detail17trampoline_kernelINS0_14default_configENS1_35adjacent_difference_config_selectorILb1ExEEZNS1_24adjacent_difference_implIS3_Lb1ELb0EPxS7_N6thrust23THRUST_200600_302600_NS4plusIxEEEE10hipError_tPvRmT2_T3_mT4_P12ihipStream_tbEUlT_E_NS1_11comp_targetILNS1_3genE4ELNS1_11target_archE910ELNS1_3gpuE8ELNS1_3repE0EEENS1_30default_config_static_selectorELNS0_4arch9wavefront6targetE1EEEvT1_
                                        ; -- End function
	.set _ZN7rocprim17ROCPRIM_400000_NS6detail17trampoline_kernelINS0_14default_configENS1_35adjacent_difference_config_selectorILb1ExEEZNS1_24adjacent_difference_implIS3_Lb1ELb0EPxS7_N6thrust23THRUST_200600_302600_NS4plusIxEEEE10hipError_tPvRmT2_T3_mT4_P12ihipStream_tbEUlT_E_NS1_11comp_targetILNS1_3genE4ELNS1_11target_archE910ELNS1_3gpuE8ELNS1_3repE0EEENS1_30default_config_static_selectorELNS0_4arch9wavefront6targetE1EEEvT1_.num_vgpr, 0
	.set _ZN7rocprim17ROCPRIM_400000_NS6detail17trampoline_kernelINS0_14default_configENS1_35adjacent_difference_config_selectorILb1ExEEZNS1_24adjacent_difference_implIS3_Lb1ELb0EPxS7_N6thrust23THRUST_200600_302600_NS4plusIxEEEE10hipError_tPvRmT2_T3_mT4_P12ihipStream_tbEUlT_E_NS1_11comp_targetILNS1_3genE4ELNS1_11target_archE910ELNS1_3gpuE8ELNS1_3repE0EEENS1_30default_config_static_selectorELNS0_4arch9wavefront6targetE1EEEvT1_.num_agpr, 0
	.set _ZN7rocprim17ROCPRIM_400000_NS6detail17trampoline_kernelINS0_14default_configENS1_35adjacent_difference_config_selectorILb1ExEEZNS1_24adjacent_difference_implIS3_Lb1ELb0EPxS7_N6thrust23THRUST_200600_302600_NS4plusIxEEEE10hipError_tPvRmT2_T3_mT4_P12ihipStream_tbEUlT_E_NS1_11comp_targetILNS1_3genE4ELNS1_11target_archE910ELNS1_3gpuE8ELNS1_3repE0EEENS1_30default_config_static_selectorELNS0_4arch9wavefront6targetE1EEEvT1_.numbered_sgpr, 0
	.set _ZN7rocprim17ROCPRIM_400000_NS6detail17trampoline_kernelINS0_14default_configENS1_35adjacent_difference_config_selectorILb1ExEEZNS1_24adjacent_difference_implIS3_Lb1ELb0EPxS7_N6thrust23THRUST_200600_302600_NS4plusIxEEEE10hipError_tPvRmT2_T3_mT4_P12ihipStream_tbEUlT_E_NS1_11comp_targetILNS1_3genE4ELNS1_11target_archE910ELNS1_3gpuE8ELNS1_3repE0EEENS1_30default_config_static_selectorELNS0_4arch9wavefront6targetE1EEEvT1_.num_named_barrier, 0
	.set _ZN7rocprim17ROCPRIM_400000_NS6detail17trampoline_kernelINS0_14default_configENS1_35adjacent_difference_config_selectorILb1ExEEZNS1_24adjacent_difference_implIS3_Lb1ELb0EPxS7_N6thrust23THRUST_200600_302600_NS4plusIxEEEE10hipError_tPvRmT2_T3_mT4_P12ihipStream_tbEUlT_E_NS1_11comp_targetILNS1_3genE4ELNS1_11target_archE910ELNS1_3gpuE8ELNS1_3repE0EEENS1_30default_config_static_selectorELNS0_4arch9wavefront6targetE1EEEvT1_.private_seg_size, 0
	.set _ZN7rocprim17ROCPRIM_400000_NS6detail17trampoline_kernelINS0_14default_configENS1_35adjacent_difference_config_selectorILb1ExEEZNS1_24adjacent_difference_implIS3_Lb1ELb0EPxS7_N6thrust23THRUST_200600_302600_NS4plusIxEEEE10hipError_tPvRmT2_T3_mT4_P12ihipStream_tbEUlT_E_NS1_11comp_targetILNS1_3genE4ELNS1_11target_archE910ELNS1_3gpuE8ELNS1_3repE0EEENS1_30default_config_static_selectorELNS0_4arch9wavefront6targetE1EEEvT1_.uses_vcc, 0
	.set _ZN7rocprim17ROCPRIM_400000_NS6detail17trampoline_kernelINS0_14default_configENS1_35adjacent_difference_config_selectorILb1ExEEZNS1_24adjacent_difference_implIS3_Lb1ELb0EPxS7_N6thrust23THRUST_200600_302600_NS4plusIxEEEE10hipError_tPvRmT2_T3_mT4_P12ihipStream_tbEUlT_E_NS1_11comp_targetILNS1_3genE4ELNS1_11target_archE910ELNS1_3gpuE8ELNS1_3repE0EEENS1_30default_config_static_selectorELNS0_4arch9wavefront6targetE1EEEvT1_.uses_flat_scratch, 0
	.set _ZN7rocprim17ROCPRIM_400000_NS6detail17trampoline_kernelINS0_14default_configENS1_35adjacent_difference_config_selectorILb1ExEEZNS1_24adjacent_difference_implIS3_Lb1ELb0EPxS7_N6thrust23THRUST_200600_302600_NS4plusIxEEEE10hipError_tPvRmT2_T3_mT4_P12ihipStream_tbEUlT_E_NS1_11comp_targetILNS1_3genE4ELNS1_11target_archE910ELNS1_3gpuE8ELNS1_3repE0EEENS1_30default_config_static_selectorELNS0_4arch9wavefront6targetE1EEEvT1_.has_dyn_sized_stack, 0
	.set _ZN7rocprim17ROCPRIM_400000_NS6detail17trampoline_kernelINS0_14default_configENS1_35adjacent_difference_config_selectorILb1ExEEZNS1_24adjacent_difference_implIS3_Lb1ELb0EPxS7_N6thrust23THRUST_200600_302600_NS4plusIxEEEE10hipError_tPvRmT2_T3_mT4_P12ihipStream_tbEUlT_E_NS1_11comp_targetILNS1_3genE4ELNS1_11target_archE910ELNS1_3gpuE8ELNS1_3repE0EEENS1_30default_config_static_selectorELNS0_4arch9wavefront6targetE1EEEvT1_.has_recursion, 0
	.set _ZN7rocprim17ROCPRIM_400000_NS6detail17trampoline_kernelINS0_14default_configENS1_35adjacent_difference_config_selectorILb1ExEEZNS1_24adjacent_difference_implIS3_Lb1ELb0EPxS7_N6thrust23THRUST_200600_302600_NS4plusIxEEEE10hipError_tPvRmT2_T3_mT4_P12ihipStream_tbEUlT_E_NS1_11comp_targetILNS1_3genE4ELNS1_11target_archE910ELNS1_3gpuE8ELNS1_3repE0EEENS1_30default_config_static_selectorELNS0_4arch9wavefront6targetE1EEEvT1_.has_indirect_call, 0
	.section	.AMDGPU.csdata,"",@progbits
; Kernel info:
; codeLenInByte = 0
; TotalNumSgprs: 4
; NumVgprs: 0
; ScratchSize: 0
; MemoryBound: 0
; FloatMode: 240
; IeeeMode: 1
; LDSByteSize: 0 bytes/workgroup (compile time only)
; SGPRBlocks: 0
; VGPRBlocks: 0
; NumSGPRsForWavesPerEU: 4
; NumVGPRsForWavesPerEU: 1
; Occupancy: 10
; WaveLimiterHint : 0
; COMPUTE_PGM_RSRC2:SCRATCH_EN: 0
; COMPUTE_PGM_RSRC2:USER_SGPR: 6
; COMPUTE_PGM_RSRC2:TRAP_HANDLER: 0
; COMPUTE_PGM_RSRC2:TGID_X_EN: 1
; COMPUTE_PGM_RSRC2:TGID_Y_EN: 0
; COMPUTE_PGM_RSRC2:TGID_Z_EN: 0
; COMPUTE_PGM_RSRC2:TIDIG_COMP_CNT: 0
	.section	.text._ZN7rocprim17ROCPRIM_400000_NS6detail17trampoline_kernelINS0_14default_configENS1_35adjacent_difference_config_selectorILb1ExEEZNS1_24adjacent_difference_implIS3_Lb1ELb0EPxS7_N6thrust23THRUST_200600_302600_NS4plusIxEEEE10hipError_tPvRmT2_T3_mT4_P12ihipStream_tbEUlT_E_NS1_11comp_targetILNS1_3genE3ELNS1_11target_archE908ELNS1_3gpuE7ELNS1_3repE0EEENS1_30default_config_static_selectorELNS0_4arch9wavefront6targetE1EEEvT1_,"axG",@progbits,_ZN7rocprim17ROCPRIM_400000_NS6detail17trampoline_kernelINS0_14default_configENS1_35adjacent_difference_config_selectorILb1ExEEZNS1_24adjacent_difference_implIS3_Lb1ELb0EPxS7_N6thrust23THRUST_200600_302600_NS4plusIxEEEE10hipError_tPvRmT2_T3_mT4_P12ihipStream_tbEUlT_E_NS1_11comp_targetILNS1_3genE3ELNS1_11target_archE908ELNS1_3gpuE7ELNS1_3repE0EEENS1_30default_config_static_selectorELNS0_4arch9wavefront6targetE1EEEvT1_,comdat
	.protected	_ZN7rocprim17ROCPRIM_400000_NS6detail17trampoline_kernelINS0_14default_configENS1_35adjacent_difference_config_selectorILb1ExEEZNS1_24adjacent_difference_implIS3_Lb1ELb0EPxS7_N6thrust23THRUST_200600_302600_NS4plusIxEEEE10hipError_tPvRmT2_T3_mT4_P12ihipStream_tbEUlT_E_NS1_11comp_targetILNS1_3genE3ELNS1_11target_archE908ELNS1_3gpuE7ELNS1_3repE0EEENS1_30default_config_static_selectorELNS0_4arch9wavefront6targetE1EEEvT1_ ; -- Begin function _ZN7rocprim17ROCPRIM_400000_NS6detail17trampoline_kernelINS0_14default_configENS1_35adjacent_difference_config_selectorILb1ExEEZNS1_24adjacent_difference_implIS3_Lb1ELb0EPxS7_N6thrust23THRUST_200600_302600_NS4plusIxEEEE10hipError_tPvRmT2_T3_mT4_P12ihipStream_tbEUlT_E_NS1_11comp_targetILNS1_3genE3ELNS1_11target_archE908ELNS1_3gpuE7ELNS1_3repE0EEENS1_30default_config_static_selectorELNS0_4arch9wavefront6targetE1EEEvT1_
	.globl	_ZN7rocprim17ROCPRIM_400000_NS6detail17trampoline_kernelINS0_14default_configENS1_35adjacent_difference_config_selectorILb1ExEEZNS1_24adjacent_difference_implIS3_Lb1ELb0EPxS7_N6thrust23THRUST_200600_302600_NS4plusIxEEEE10hipError_tPvRmT2_T3_mT4_P12ihipStream_tbEUlT_E_NS1_11comp_targetILNS1_3genE3ELNS1_11target_archE908ELNS1_3gpuE7ELNS1_3repE0EEENS1_30default_config_static_selectorELNS0_4arch9wavefront6targetE1EEEvT1_
	.p2align	8
	.type	_ZN7rocprim17ROCPRIM_400000_NS6detail17trampoline_kernelINS0_14default_configENS1_35adjacent_difference_config_selectorILb1ExEEZNS1_24adjacent_difference_implIS3_Lb1ELb0EPxS7_N6thrust23THRUST_200600_302600_NS4plusIxEEEE10hipError_tPvRmT2_T3_mT4_P12ihipStream_tbEUlT_E_NS1_11comp_targetILNS1_3genE3ELNS1_11target_archE908ELNS1_3gpuE7ELNS1_3repE0EEENS1_30default_config_static_selectorELNS0_4arch9wavefront6targetE1EEEvT1_,@function
_ZN7rocprim17ROCPRIM_400000_NS6detail17trampoline_kernelINS0_14default_configENS1_35adjacent_difference_config_selectorILb1ExEEZNS1_24adjacent_difference_implIS3_Lb1ELb0EPxS7_N6thrust23THRUST_200600_302600_NS4plusIxEEEE10hipError_tPvRmT2_T3_mT4_P12ihipStream_tbEUlT_E_NS1_11comp_targetILNS1_3genE3ELNS1_11target_archE908ELNS1_3gpuE7ELNS1_3repE0EEENS1_30default_config_static_selectorELNS0_4arch9wavefront6targetE1EEEvT1_: ; @_ZN7rocprim17ROCPRIM_400000_NS6detail17trampoline_kernelINS0_14default_configENS1_35adjacent_difference_config_selectorILb1ExEEZNS1_24adjacent_difference_implIS3_Lb1ELb0EPxS7_N6thrust23THRUST_200600_302600_NS4plusIxEEEE10hipError_tPvRmT2_T3_mT4_P12ihipStream_tbEUlT_E_NS1_11comp_targetILNS1_3genE3ELNS1_11target_archE908ELNS1_3gpuE7ELNS1_3repE0EEENS1_30default_config_static_selectorELNS0_4arch9wavefront6targetE1EEEvT1_
; %bb.0:
	.section	.rodata,"a",@progbits
	.p2align	6, 0x0
	.amdhsa_kernel _ZN7rocprim17ROCPRIM_400000_NS6detail17trampoline_kernelINS0_14default_configENS1_35adjacent_difference_config_selectorILb1ExEEZNS1_24adjacent_difference_implIS3_Lb1ELb0EPxS7_N6thrust23THRUST_200600_302600_NS4plusIxEEEE10hipError_tPvRmT2_T3_mT4_P12ihipStream_tbEUlT_E_NS1_11comp_targetILNS1_3genE3ELNS1_11target_archE908ELNS1_3gpuE7ELNS1_3repE0EEENS1_30default_config_static_selectorELNS0_4arch9wavefront6targetE1EEEvT1_
		.amdhsa_group_segment_fixed_size 0
		.amdhsa_private_segment_fixed_size 0
		.amdhsa_kernarg_size 56
		.amdhsa_user_sgpr_count 6
		.amdhsa_user_sgpr_private_segment_buffer 1
		.amdhsa_user_sgpr_dispatch_ptr 0
		.amdhsa_user_sgpr_queue_ptr 0
		.amdhsa_user_sgpr_kernarg_segment_ptr 1
		.amdhsa_user_sgpr_dispatch_id 0
		.amdhsa_user_sgpr_flat_scratch_init 0
		.amdhsa_user_sgpr_private_segment_size 0
		.amdhsa_uses_dynamic_stack 0
		.amdhsa_system_sgpr_private_segment_wavefront_offset 0
		.amdhsa_system_sgpr_workgroup_id_x 1
		.amdhsa_system_sgpr_workgroup_id_y 0
		.amdhsa_system_sgpr_workgroup_id_z 0
		.amdhsa_system_sgpr_workgroup_info 0
		.amdhsa_system_vgpr_workitem_id 0
		.amdhsa_next_free_vgpr 1
		.amdhsa_next_free_sgpr 0
		.amdhsa_reserve_vcc 0
		.amdhsa_reserve_flat_scratch 0
		.amdhsa_float_round_mode_32 0
		.amdhsa_float_round_mode_16_64 0
		.amdhsa_float_denorm_mode_32 3
		.amdhsa_float_denorm_mode_16_64 3
		.amdhsa_dx10_clamp 1
		.amdhsa_ieee_mode 1
		.amdhsa_fp16_overflow 0
		.amdhsa_exception_fp_ieee_invalid_op 0
		.amdhsa_exception_fp_denorm_src 0
		.amdhsa_exception_fp_ieee_div_zero 0
		.amdhsa_exception_fp_ieee_overflow 0
		.amdhsa_exception_fp_ieee_underflow 0
		.amdhsa_exception_fp_ieee_inexact 0
		.amdhsa_exception_int_div_zero 0
	.end_amdhsa_kernel
	.section	.text._ZN7rocprim17ROCPRIM_400000_NS6detail17trampoline_kernelINS0_14default_configENS1_35adjacent_difference_config_selectorILb1ExEEZNS1_24adjacent_difference_implIS3_Lb1ELb0EPxS7_N6thrust23THRUST_200600_302600_NS4plusIxEEEE10hipError_tPvRmT2_T3_mT4_P12ihipStream_tbEUlT_E_NS1_11comp_targetILNS1_3genE3ELNS1_11target_archE908ELNS1_3gpuE7ELNS1_3repE0EEENS1_30default_config_static_selectorELNS0_4arch9wavefront6targetE1EEEvT1_,"axG",@progbits,_ZN7rocprim17ROCPRIM_400000_NS6detail17trampoline_kernelINS0_14default_configENS1_35adjacent_difference_config_selectorILb1ExEEZNS1_24adjacent_difference_implIS3_Lb1ELb0EPxS7_N6thrust23THRUST_200600_302600_NS4plusIxEEEE10hipError_tPvRmT2_T3_mT4_P12ihipStream_tbEUlT_E_NS1_11comp_targetILNS1_3genE3ELNS1_11target_archE908ELNS1_3gpuE7ELNS1_3repE0EEENS1_30default_config_static_selectorELNS0_4arch9wavefront6targetE1EEEvT1_,comdat
.Lfunc_end303:
	.size	_ZN7rocprim17ROCPRIM_400000_NS6detail17trampoline_kernelINS0_14default_configENS1_35adjacent_difference_config_selectorILb1ExEEZNS1_24adjacent_difference_implIS3_Lb1ELb0EPxS7_N6thrust23THRUST_200600_302600_NS4plusIxEEEE10hipError_tPvRmT2_T3_mT4_P12ihipStream_tbEUlT_E_NS1_11comp_targetILNS1_3genE3ELNS1_11target_archE908ELNS1_3gpuE7ELNS1_3repE0EEENS1_30default_config_static_selectorELNS0_4arch9wavefront6targetE1EEEvT1_, .Lfunc_end303-_ZN7rocprim17ROCPRIM_400000_NS6detail17trampoline_kernelINS0_14default_configENS1_35adjacent_difference_config_selectorILb1ExEEZNS1_24adjacent_difference_implIS3_Lb1ELb0EPxS7_N6thrust23THRUST_200600_302600_NS4plusIxEEEE10hipError_tPvRmT2_T3_mT4_P12ihipStream_tbEUlT_E_NS1_11comp_targetILNS1_3genE3ELNS1_11target_archE908ELNS1_3gpuE7ELNS1_3repE0EEENS1_30default_config_static_selectorELNS0_4arch9wavefront6targetE1EEEvT1_
                                        ; -- End function
	.set _ZN7rocprim17ROCPRIM_400000_NS6detail17trampoline_kernelINS0_14default_configENS1_35adjacent_difference_config_selectorILb1ExEEZNS1_24adjacent_difference_implIS3_Lb1ELb0EPxS7_N6thrust23THRUST_200600_302600_NS4plusIxEEEE10hipError_tPvRmT2_T3_mT4_P12ihipStream_tbEUlT_E_NS1_11comp_targetILNS1_3genE3ELNS1_11target_archE908ELNS1_3gpuE7ELNS1_3repE0EEENS1_30default_config_static_selectorELNS0_4arch9wavefront6targetE1EEEvT1_.num_vgpr, 0
	.set _ZN7rocprim17ROCPRIM_400000_NS6detail17trampoline_kernelINS0_14default_configENS1_35adjacent_difference_config_selectorILb1ExEEZNS1_24adjacent_difference_implIS3_Lb1ELb0EPxS7_N6thrust23THRUST_200600_302600_NS4plusIxEEEE10hipError_tPvRmT2_T3_mT4_P12ihipStream_tbEUlT_E_NS1_11comp_targetILNS1_3genE3ELNS1_11target_archE908ELNS1_3gpuE7ELNS1_3repE0EEENS1_30default_config_static_selectorELNS0_4arch9wavefront6targetE1EEEvT1_.num_agpr, 0
	.set _ZN7rocprim17ROCPRIM_400000_NS6detail17trampoline_kernelINS0_14default_configENS1_35adjacent_difference_config_selectorILb1ExEEZNS1_24adjacent_difference_implIS3_Lb1ELb0EPxS7_N6thrust23THRUST_200600_302600_NS4plusIxEEEE10hipError_tPvRmT2_T3_mT4_P12ihipStream_tbEUlT_E_NS1_11comp_targetILNS1_3genE3ELNS1_11target_archE908ELNS1_3gpuE7ELNS1_3repE0EEENS1_30default_config_static_selectorELNS0_4arch9wavefront6targetE1EEEvT1_.numbered_sgpr, 0
	.set _ZN7rocprim17ROCPRIM_400000_NS6detail17trampoline_kernelINS0_14default_configENS1_35adjacent_difference_config_selectorILb1ExEEZNS1_24adjacent_difference_implIS3_Lb1ELb0EPxS7_N6thrust23THRUST_200600_302600_NS4plusIxEEEE10hipError_tPvRmT2_T3_mT4_P12ihipStream_tbEUlT_E_NS1_11comp_targetILNS1_3genE3ELNS1_11target_archE908ELNS1_3gpuE7ELNS1_3repE0EEENS1_30default_config_static_selectorELNS0_4arch9wavefront6targetE1EEEvT1_.num_named_barrier, 0
	.set _ZN7rocprim17ROCPRIM_400000_NS6detail17trampoline_kernelINS0_14default_configENS1_35adjacent_difference_config_selectorILb1ExEEZNS1_24adjacent_difference_implIS3_Lb1ELb0EPxS7_N6thrust23THRUST_200600_302600_NS4plusIxEEEE10hipError_tPvRmT2_T3_mT4_P12ihipStream_tbEUlT_E_NS1_11comp_targetILNS1_3genE3ELNS1_11target_archE908ELNS1_3gpuE7ELNS1_3repE0EEENS1_30default_config_static_selectorELNS0_4arch9wavefront6targetE1EEEvT1_.private_seg_size, 0
	.set _ZN7rocprim17ROCPRIM_400000_NS6detail17trampoline_kernelINS0_14default_configENS1_35adjacent_difference_config_selectorILb1ExEEZNS1_24adjacent_difference_implIS3_Lb1ELb0EPxS7_N6thrust23THRUST_200600_302600_NS4plusIxEEEE10hipError_tPvRmT2_T3_mT4_P12ihipStream_tbEUlT_E_NS1_11comp_targetILNS1_3genE3ELNS1_11target_archE908ELNS1_3gpuE7ELNS1_3repE0EEENS1_30default_config_static_selectorELNS0_4arch9wavefront6targetE1EEEvT1_.uses_vcc, 0
	.set _ZN7rocprim17ROCPRIM_400000_NS6detail17trampoline_kernelINS0_14default_configENS1_35adjacent_difference_config_selectorILb1ExEEZNS1_24adjacent_difference_implIS3_Lb1ELb0EPxS7_N6thrust23THRUST_200600_302600_NS4plusIxEEEE10hipError_tPvRmT2_T3_mT4_P12ihipStream_tbEUlT_E_NS1_11comp_targetILNS1_3genE3ELNS1_11target_archE908ELNS1_3gpuE7ELNS1_3repE0EEENS1_30default_config_static_selectorELNS0_4arch9wavefront6targetE1EEEvT1_.uses_flat_scratch, 0
	.set _ZN7rocprim17ROCPRIM_400000_NS6detail17trampoline_kernelINS0_14default_configENS1_35adjacent_difference_config_selectorILb1ExEEZNS1_24adjacent_difference_implIS3_Lb1ELb0EPxS7_N6thrust23THRUST_200600_302600_NS4plusIxEEEE10hipError_tPvRmT2_T3_mT4_P12ihipStream_tbEUlT_E_NS1_11comp_targetILNS1_3genE3ELNS1_11target_archE908ELNS1_3gpuE7ELNS1_3repE0EEENS1_30default_config_static_selectorELNS0_4arch9wavefront6targetE1EEEvT1_.has_dyn_sized_stack, 0
	.set _ZN7rocprim17ROCPRIM_400000_NS6detail17trampoline_kernelINS0_14default_configENS1_35adjacent_difference_config_selectorILb1ExEEZNS1_24adjacent_difference_implIS3_Lb1ELb0EPxS7_N6thrust23THRUST_200600_302600_NS4plusIxEEEE10hipError_tPvRmT2_T3_mT4_P12ihipStream_tbEUlT_E_NS1_11comp_targetILNS1_3genE3ELNS1_11target_archE908ELNS1_3gpuE7ELNS1_3repE0EEENS1_30default_config_static_selectorELNS0_4arch9wavefront6targetE1EEEvT1_.has_recursion, 0
	.set _ZN7rocprim17ROCPRIM_400000_NS6detail17trampoline_kernelINS0_14default_configENS1_35adjacent_difference_config_selectorILb1ExEEZNS1_24adjacent_difference_implIS3_Lb1ELb0EPxS7_N6thrust23THRUST_200600_302600_NS4plusIxEEEE10hipError_tPvRmT2_T3_mT4_P12ihipStream_tbEUlT_E_NS1_11comp_targetILNS1_3genE3ELNS1_11target_archE908ELNS1_3gpuE7ELNS1_3repE0EEENS1_30default_config_static_selectorELNS0_4arch9wavefront6targetE1EEEvT1_.has_indirect_call, 0
	.section	.AMDGPU.csdata,"",@progbits
; Kernel info:
; codeLenInByte = 0
; TotalNumSgprs: 4
; NumVgprs: 0
; ScratchSize: 0
; MemoryBound: 0
; FloatMode: 240
; IeeeMode: 1
; LDSByteSize: 0 bytes/workgroup (compile time only)
; SGPRBlocks: 0
; VGPRBlocks: 0
; NumSGPRsForWavesPerEU: 4
; NumVGPRsForWavesPerEU: 1
; Occupancy: 10
; WaveLimiterHint : 0
; COMPUTE_PGM_RSRC2:SCRATCH_EN: 0
; COMPUTE_PGM_RSRC2:USER_SGPR: 6
; COMPUTE_PGM_RSRC2:TRAP_HANDLER: 0
; COMPUTE_PGM_RSRC2:TGID_X_EN: 1
; COMPUTE_PGM_RSRC2:TGID_Y_EN: 0
; COMPUTE_PGM_RSRC2:TGID_Z_EN: 0
; COMPUTE_PGM_RSRC2:TIDIG_COMP_CNT: 0
	.section	.text._ZN7rocprim17ROCPRIM_400000_NS6detail17trampoline_kernelINS0_14default_configENS1_35adjacent_difference_config_selectorILb1ExEEZNS1_24adjacent_difference_implIS3_Lb1ELb0EPxS7_N6thrust23THRUST_200600_302600_NS4plusIxEEEE10hipError_tPvRmT2_T3_mT4_P12ihipStream_tbEUlT_E_NS1_11comp_targetILNS1_3genE2ELNS1_11target_archE906ELNS1_3gpuE6ELNS1_3repE0EEENS1_30default_config_static_selectorELNS0_4arch9wavefront6targetE1EEEvT1_,"axG",@progbits,_ZN7rocprim17ROCPRIM_400000_NS6detail17trampoline_kernelINS0_14default_configENS1_35adjacent_difference_config_selectorILb1ExEEZNS1_24adjacent_difference_implIS3_Lb1ELb0EPxS7_N6thrust23THRUST_200600_302600_NS4plusIxEEEE10hipError_tPvRmT2_T3_mT4_P12ihipStream_tbEUlT_E_NS1_11comp_targetILNS1_3genE2ELNS1_11target_archE906ELNS1_3gpuE6ELNS1_3repE0EEENS1_30default_config_static_selectorELNS0_4arch9wavefront6targetE1EEEvT1_,comdat
	.protected	_ZN7rocprim17ROCPRIM_400000_NS6detail17trampoline_kernelINS0_14default_configENS1_35adjacent_difference_config_selectorILb1ExEEZNS1_24adjacent_difference_implIS3_Lb1ELb0EPxS7_N6thrust23THRUST_200600_302600_NS4plusIxEEEE10hipError_tPvRmT2_T3_mT4_P12ihipStream_tbEUlT_E_NS1_11comp_targetILNS1_3genE2ELNS1_11target_archE906ELNS1_3gpuE6ELNS1_3repE0EEENS1_30default_config_static_selectorELNS0_4arch9wavefront6targetE1EEEvT1_ ; -- Begin function _ZN7rocprim17ROCPRIM_400000_NS6detail17trampoline_kernelINS0_14default_configENS1_35adjacent_difference_config_selectorILb1ExEEZNS1_24adjacent_difference_implIS3_Lb1ELb0EPxS7_N6thrust23THRUST_200600_302600_NS4plusIxEEEE10hipError_tPvRmT2_T3_mT4_P12ihipStream_tbEUlT_E_NS1_11comp_targetILNS1_3genE2ELNS1_11target_archE906ELNS1_3gpuE6ELNS1_3repE0EEENS1_30default_config_static_selectorELNS0_4arch9wavefront6targetE1EEEvT1_
	.globl	_ZN7rocprim17ROCPRIM_400000_NS6detail17trampoline_kernelINS0_14default_configENS1_35adjacent_difference_config_selectorILb1ExEEZNS1_24adjacent_difference_implIS3_Lb1ELb0EPxS7_N6thrust23THRUST_200600_302600_NS4plusIxEEEE10hipError_tPvRmT2_T3_mT4_P12ihipStream_tbEUlT_E_NS1_11comp_targetILNS1_3genE2ELNS1_11target_archE906ELNS1_3gpuE6ELNS1_3repE0EEENS1_30default_config_static_selectorELNS0_4arch9wavefront6targetE1EEEvT1_
	.p2align	8
	.type	_ZN7rocprim17ROCPRIM_400000_NS6detail17trampoline_kernelINS0_14default_configENS1_35adjacent_difference_config_selectorILb1ExEEZNS1_24adjacent_difference_implIS3_Lb1ELb0EPxS7_N6thrust23THRUST_200600_302600_NS4plusIxEEEE10hipError_tPvRmT2_T3_mT4_P12ihipStream_tbEUlT_E_NS1_11comp_targetILNS1_3genE2ELNS1_11target_archE906ELNS1_3gpuE6ELNS1_3repE0EEENS1_30default_config_static_selectorELNS0_4arch9wavefront6targetE1EEEvT1_,@function
_ZN7rocprim17ROCPRIM_400000_NS6detail17trampoline_kernelINS0_14default_configENS1_35adjacent_difference_config_selectorILb1ExEEZNS1_24adjacent_difference_implIS3_Lb1ELb0EPxS7_N6thrust23THRUST_200600_302600_NS4plusIxEEEE10hipError_tPvRmT2_T3_mT4_P12ihipStream_tbEUlT_E_NS1_11comp_targetILNS1_3genE2ELNS1_11target_archE906ELNS1_3gpuE6ELNS1_3repE0EEENS1_30default_config_static_selectorELNS0_4arch9wavefront6targetE1EEEvT1_: ; @_ZN7rocprim17ROCPRIM_400000_NS6detail17trampoline_kernelINS0_14default_configENS1_35adjacent_difference_config_selectorILb1ExEEZNS1_24adjacent_difference_implIS3_Lb1ELb0EPxS7_N6thrust23THRUST_200600_302600_NS4plusIxEEEE10hipError_tPvRmT2_T3_mT4_P12ihipStream_tbEUlT_E_NS1_11comp_targetILNS1_3genE2ELNS1_11target_archE906ELNS1_3gpuE6ELNS1_3repE0EEENS1_30default_config_static_selectorELNS0_4arch9wavefront6targetE1EEEvT1_
; %bb.0:
	s_load_dwordx8 s[8:15], s[4:5], 0x0
	s_load_dwordx4 s[16:19], s[4:5], 0x28
	s_mul_i32 s4, s6, 0x580
	s_mov_b32 s7, 0
	s_mov_b64 s[22:23], -1
	s_waitcnt lgkmcnt(0)
	s_lshl_b64 s[10:11], s[10:11], 3
	s_add_u32 s26, s8, s10
	s_addc_u32 s27, s9, s11
	s_mul_i32 s3, s15, 0xba2e8ba3
	s_mul_hi_u32 s5, s14, 0xba2e8ba3
	s_mul_hi_u32 s2, s15, 0xba2e8ba3
	s_add_u32 s3, s3, s5
	s_mul_i32 s1, s14, 0x2e8ba2e8
	s_addc_u32 s2, s2, 0
	s_mul_hi_u32 s0, s14, 0x2e8ba2e8
	s_add_u32 s1, s1, s3
	s_addc_u32 s0, s0, 0
	s_add_u32 s0, s2, s0
	s_addc_u32 s1, 0, 0
	s_mul_i32 s3, s15, 0x2e8ba2e8
	s_mul_hi_u32 s2, s15, 0x2e8ba2e8
	s_add_u32 s0, s3, s0
	s_addc_u32 s1, s2, s1
	s_lshr_b64 s[2:3], s[0:1], 8
	s_lshr_b32 s0, s1, 8
	s_mulk_i32 s0, 0x580
	s_mul_hi_u32 s1, s2, 0x580
	s_add_i32 s1, s1, s0
	s_mul_i32 s0, s2, 0x580
	s_sub_u32 s0, s14, s0
	s_subb_u32 s1, s15, s1
	s_cmp_lg_u64 s[0:1], 0
	s_cselect_b64 s[0:1], -1, 0
	v_cndmask_b32_e64 v1, 0, 1, s[0:1]
	v_readfirstlane_b32 s0, v1
	s_add_u32 s2, s2, s0
	s_addc_u32 s3, s3, 0
	s_add_u32 s8, s18, s6
	s_addc_u32 s9, s19, 0
	s_add_u32 s20, s2, -1
	s_addc_u32 s21, s3, -1
	v_mov_b32_e32 v1, s20
	v_mov_b32_e32 v2, s21
	v_cmp_ge_u64_e64 s[0:1], s[8:9], v[1:2]
	s_mul_i32 s15, s20, 0xfffffa80
	s_and_b64 vcc, exec, s[0:1]
	s_cbranch_vccz .LBB304_24
; %bb.1:
	s_mov_b32 s5, s7
	s_add_i32 s28, s15, s14
	s_lshl_b64 s[22:23], s[4:5], 3
	s_add_u32 s22, s26, s22
	s_addc_u32 s23, s27, s23
	v_cmp_gt_u32_e32 vcc, s28, v0
                                        ; implicit-def: $vgpr1_vgpr2
	s_and_saveexec_b64 s[24:25], vcc
	s_cbranch_execz .LBB304_3
; %bb.2:
	v_lshlrev_b32_e32 v1, 3, v0
	global_load_dwordx2 v[1:2], v1, s[22:23]
.LBB304_3:
	s_or_b64 exec, exec, s[24:25]
	v_or_b32_e32 v3, 0x80, v0
	v_cmp_gt_u32_e32 vcc, s28, v3
                                        ; implicit-def: $vgpr3_vgpr4
	s_and_saveexec_b64 s[24:25], vcc
	s_cbranch_execz .LBB304_5
; %bb.4:
	v_lshlrev_b32_e32 v3, 3, v0
	global_load_dwordx2 v[3:4], v3, s[22:23] offset:1024
.LBB304_5:
	s_or_b64 exec, exec, s[24:25]
	v_or_b32_e32 v5, 0x100, v0
	v_cmp_gt_u32_e32 vcc, s28, v5
                                        ; implicit-def: $vgpr5_vgpr6
	s_and_saveexec_b64 s[24:25], vcc
	s_cbranch_execz .LBB304_7
; %bb.6:
	v_lshlrev_b32_e32 v5, 3, v0
	global_load_dwordx2 v[5:6], v5, s[22:23] offset:2048
.LBB304_7:
	s_or_b64 exec, exec, s[24:25]
	v_or_b32_e32 v7, 0x180, v0
	v_cmp_gt_u32_e32 vcc, s28, v7
                                        ; implicit-def: $vgpr7_vgpr8
	s_and_saveexec_b64 s[24:25], vcc
	s_cbranch_execz .LBB304_9
; %bb.8:
	v_lshlrev_b32_e32 v7, 3, v0
	global_load_dwordx2 v[7:8], v7, s[22:23] offset:3072
.LBB304_9:
	s_or_b64 exec, exec, s[24:25]
	v_or_b32_e32 v11, 0x200, v0
	v_cmp_gt_u32_e32 vcc, s28, v11
                                        ; implicit-def: $vgpr9_vgpr10
	s_and_saveexec_b64 s[24:25], vcc
	s_cbranch_execz .LBB304_11
; %bb.10:
	v_lshlrev_b32_e32 v9, 3, v11
	global_load_dwordx2 v[9:10], v9, s[22:23]
.LBB304_11:
	s_or_b64 exec, exec, s[24:25]
	v_or_b32_e32 v13, 0x280, v0
	v_cmp_gt_u32_e32 vcc, s28, v13
                                        ; implicit-def: $vgpr11_vgpr12
	s_and_saveexec_b64 s[24:25], vcc
	s_cbranch_execz .LBB304_13
; %bb.12:
	v_lshlrev_b32_e32 v11, 3, v13
	global_load_dwordx2 v[11:12], v11, s[22:23]
.LBB304_13:
	s_or_b64 exec, exec, s[24:25]
	v_or_b32_e32 v15, 0x300, v0
	v_cmp_gt_u32_e32 vcc, s28, v15
                                        ; implicit-def: $vgpr13_vgpr14
	s_and_saveexec_b64 s[24:25], vcc
	s_cbranch_execz .LBB304_15
; %bb.14:
	v_lshlrev_b32_e32 v13, 3, v15
	global_load_dwordx2 v[13:14], v13, s[22:23]
.LBB304_15:
	s_or_b64 exec, exec, s[24:25]
	v_or_b32_e32 v17, 0x380, v0
	v_cmp_gt_u32_e32 vcc, s28, v17
                                        ; implicit-def: $vgpr15_vgpr16
	s_and_saveexec_b64 s[24:25], vcc
	s_cbranch_execz .LBB304_17
; %bb.16:
	v_lshlrev_b32_e32 v15, 3, v17
	global_load_dwordx2 v[15:16], v15, s[22:23]
.LBB304_17:
	s_or_b64 exec, exec, s[24:25]
	v_or_b32_e32 v19, 0x400, v0
	v_cmp_gt_u32_e32 vcc, s28, v19
                                        ; implicit-def: $vgpr17_vgpr18
	s_and_saveexec_b64 s[24:25], vcc
	s_cbranch_execz .LBB304_19
; %bb.18:
	v_lshlrev_b32_e32 v17, 3, v19
	global_load_dwordx2 v[17:18], v17, s[22:23]
.LBB304_19:
	s_or_b64 exec, exec, s[24:25]
	v_or_b32_e32 v21, 0x480, v0
	v_cmp_gt_u32_e32 vcc, s28, v21
                                        ; implicit-def: $vgpr19_vgpr20
	s_and_saveexec_b64 s[24:25], vcc
	s_cbranch_execz .LBB304_21
; %bb.20:
	v_lshlrev_b32_e32 v19, 3, v21
	global_load_dwordx2 v[19:20], v19, s[22:23]
.LBB304_21:
	s_or_b64 exec, exec, s[24:25]
	v_or_b32_e32 v23, 0x500, v0
	v_cmp_gt_u32_e32 vcc, s28, v23
                                        ; implicit-def: $vgpr21_vgpr22
	s_and_saveexec_b64 s[24:25], vcc
	s_cbranch_execz .LBB304_23
; %bb.22:
	v_lshlrev_b32_e32 v21, 3, v23
	global_load_dwordx2 v[21:22], v21, s[22:23]
.LBB304_23:
	s_or_b64 exec, exec, s[24:25]
	v_lshlrev_b32_e32 v23, 3, v0
	s_mov_b64 s[22:23], 0
	s_waitcnt vmcnt(0)
	ds_write2st64_b64 v23, v[1:2], v[3:4] offset1:2
	ds_write2st64_b64 v23, v[5:6], v[7:8] offset0:4 offset1:6
	ds_write2st64_b64 v23, v[9:10], v[11:12] offset0:8 offset1:10
	;; [unrolled: 1-line block ×4, first 2 shown]
	ds_write_b64 v23, v[21:22] offset:10240
	s_waitcnt lgkmcnt(0)
	s_barrier
.LBB304_24:
	s_and_b64 vcc, exec, s[22:23]
	v_lshlrev_b32_e32 v45, 3, v0
	s_cbranch_vccz .LBB304_26
; %bb.25:
	s_mov_b32 s5, 0
	s_lshl_b64 s[22:23], s[4:5], 3
	s_add_u32 s22, s26, s22
	s_addc_u32 s23, s27, s23
	v_mov_b32_e32 v1, s23
	v_add_co_u32_e32 v19, vcc, s22, v45
	v_addc_co_u32_e32 v20, vcc, 0, v1, vcc
	v_add_co_u32_e32 v9, vcc, 0x1000, v19
	v_addc_co_u32_e32 v10, vcc, 0, v20, vcc
	global_load_dwordx2 v[1:2], v45, s[22:23]
	global_load_dwordx2 v[3:4], v45, s[22:23] offset:1024
	global_load_dwordx2 v[5:6], v45, s[22:23] offset:2048
	;; [unrolled: 1-line block ×3, first 2 shown]
	global_load_dwordx2 v[11:12], v[9:10], off
	global_load_dwordx2 v[13:14], v[9:10], off offset:1024
	global_load_dwordx2 v[15:16], v[9:10], off offset:2048
	;; [unrolled: 1-line block ×3, first 2 shown]
	v_add_co_u32_e32 v9, vcc, 0x2000, v19
	v_addc_co_u32_e32 v10, vcc, 0, v20, vcc
	global_load_dwordx2 v[19:20], v[9:10], off
	global_load_dwordx2 v[21:22], v[9:10], off offset:1024
	global_load_dwordx2 v[23:24], v[9:10], off offset:2048
	s_waitcnt vmcnt(9)
	ds_write2st64_b64 v45, v[1:2], v[3:4] offset1:2
	s_waitcnt vmcnt(7)
	ds_write2st64_b64 v45, v[5:6], v[7:8] offset0:4 offset1:6
	s_waitcnt vmcnt(5)
	ds_write2st64_b64 v45, v[11:12], v[13:14] offset0:8 offset1:10
	;; [unrolled: 2-line block ×4, first 2 shown]
	s_waitcnt vmcnt(0)
	ds_write_b64 v45, v[23:24] offset:10240
	s_waitcnt lgkmcnt(0)
	s_barrier
.LBB304_26:
	v_mul_u32_u24_e32 v17, 0x58, v0
	ds_read_b64 v[21:22], v17 offset:80
	ds_read2_b64 v[1:4], v17 offset0:8 offset1:9
	ds_read2_b64 v[9:12], v17 offset1:1
	ds_read2_b64 v[13:16], v17 offset0:2 offset1:3
	ds_read2_b64 v[5:8], v17 offset0:6 offset1:7
	ds_read2_b64 v[17:20], v17 offset0:4 offset1:5
	s_cmp_eq_u64 s[8:9], 0
	s_waitcnt lgkmcnt(0)
	s_barrier
	s_cbranch_scc1 .LBB304_31
; %bb.27:
	s_lshl_b64 s[18:19], s[18:19], 3
	s_add_u32 s5, s16, s18
	s_addc_u32 s16, s17, s19
	s_lshl_b64 s[6:7], s[6:7], 3
	s_add_u32 s5, s5, s6
	s_addc_u32 s7, s16, s7
	s_add_u32 s6, s5, -8
	s_addc_u32 s7, s7, -1
	s_load_dwordx2 s[6:7], s[6:7], 0x0
	s_cmp_eq_u64 s[8:9], s[20:21]
	s_cbranch_scc1 .LBB304_32
; %bb.28:
	s_waitcnt lgkmcnt(0)
	v_mov_b32_e32 v24, s7
	v_cmp_ne_u32_e32 vcc, 0, v0
	v_mov_b32_e32 v23, s6
	ds_write_b64 v45, v[21:22]
	s_waitcnt lgkmcnt(0)
	s_barrier
	s_and_saveexec_b64 s[16:17], vcc
; %bb.29:
	v_add_u32_e32 v23, -8, v45
	ds_read_b64 v[23:24], v23
; %bb.30:
	s_or_b64 exec, exec, s[16:17]
	s_waitcnt lgkmcnt(0)
	v_add_co_u32_e32 v23, vcc, v23, v9
	v_addc_co_u32_e32 v24, vcc, v24, v10, vcc
	s_mov_b64 s[16:17], 0
	s_branch .LBB304_33
.LBB304_31:
                                        ; implicit-def: $vgpr23_vgpr24
                                        ; implicit-def: $vgpr41_vgpr42
                                        ; implicit-def: $vgpr35_vgpr36
                                        ; implicit-def: $vgpr39_vgpr40
                                        ; implicit-def: $vgpr33_vgpr34
                                        ; implicit-def: $vgpr37_vgpr38
                                        ; implicit-def: $vgpr43_vgpr44
                                        ; implicit-def: $vgpr31_vgpr32
                                        ; implicit-def: $vgpr27_vgpr28
                                        ; implicit-def: $vgpr25_vgpr26
                                        ; implicit-def: $vgpr29_vgpr30
	s_branch .LBB304_38
.LBB304_32:
	s_mov_b64 s[16:17], -1
                                        ; implicit-def: $vgpr23_vgpr24
.LBB304_33:
	v_mov_b32_e32 v42, v10
	v_mov_b32_e32 v36, v12
	;; [unrolled: 1-line block ×10, first 2 shown]
	s_and_b64 vcc, exec, s[16:17]
	v_mov_b32_e32 v41, v9
	v_mov_b32_e32 v35, v11
	;; [unrolled: 1-line block ×10, first 2 shown]
	s_cbranch_vccz .LBB304_37
; %bb.34:
	s_waitcnt lgkmcnt(0)
	v_mov_b32_e32 v24, s7
	v_mul_u32_u24_e32 v46, 11, v0
	v_cmp_ne_u32_e32 vcc, 0, v0
	v_mov_b32_e32 v23, s6
	ds_write_b64 v45, v[21:22]
	s_waitcnt lgkmcnt(0)
	s_barrier
	s_and_saveexec_b64 s[6:7], vcc
; %bb.35:
	v_add_u32_e32 v23, -8, v45
	ds_read_b64 v[23:24], v23
; %bb.36:
	s_or_b64 exec, exec, s[6:7]
	s_mul_i32 s5, s8, 0xfffffa80
	s_add_i32 s5, s5, s14
	v_add_u32_e32 v25, 10, v46
	v_cmp_gt_u32_e32 vcc, s5, v25
	v_add_u32_e32 v25, 9, v46
	v_cndmask_b32_e32 v30, 0, v4, vcc
	v_cndmask_b32_e32 v29, 0, v3, vcc
	v_cmp_gt_u32_e32 vcc, s5, v25
	v_add_u32_e32 v27, 8, v46
	v_cndmask_b32_e32 v26, 0, v2, vcc
	v_cndmask_b32_e32 v25, 0, v1, vcc
	;; [unrolled: 4-line block ×9, first 2 shown]
	v_cmp_gt_u32_e32 vcc, s5, v41
	v_cndmask_b32_e32 v42, 0, v10, vcc
	v_cndmask_b32_e32 v41, 0, v9, vcc
	v_cmp_gt_u32_e32 vcc, s5, v46
	s_waitcnt lgkmcnt(0)
	v_cndmask_b32_e32 v23, 0, v23, vcc
	v_cndmask_b32_e32 v24, 0, v24, vcc
	v_add_co_u32_e32 v23, vcc, v23, v9
	v_addc_co_u32_e32 v24, vcc, v24, v10, vcc
.LBB304_37:
	s_waitcnt lgkmcnt(0)
	s_cbranch_execnz .LBB304_48
.LBB304_38:
	s_cmp_eq_u64 s[2:3], 1
	v_cmp_ne_u32_e32 vcc, 0, v0
	s_cbranch_scc1 .LBB304_43
; %bb.39:
	v_mov_b32_e32 v24, v10
	v_mov_b32_e32 v23, v9
	ds_write_b64 v45, v[21:22]
	s_waitcnt lgkmcnt(0)
	s_barrier
	s_and_saveexec_b64 s[2:3], vcc
	s_cbranch_execz .LBB304_41
; %bb.40:
	v_add_u32_e32 v23, -8, v45
	ds_read_b64 v[23:24], v23
	s_waitcnt lgkmcnt(0)
	v_add_co_u32_e32 v23, vcc, v23, v9
	v_addc_co_u32_e32 v24, vcc, v24, v10, vcc
.LBB304_41:
	s_or_b64 exec, exec, s[2:3]
	s_cbranch_execz .LBB304_44
; %bb.42:
	v_mov_b32_e32 v36, v12
	v_mov_b32_e32 v40, v14
	v_mov_b32_e32 v34, v16
	v_mov_b32_e32 v38, v18
	v_mov_b32_e32 v44, v20
	v_mov_b32_e32 v32, v6
	v_mov_b32_e32 v28, v8
	v_mov_b32_e32 v26, v2
	v_mov_b32_e32 v30, v4
	v_mov_b32_e32 v35, v11
	v_mov_b32_e32 v39, v13
	v_mov_b32_e32 v33, v15
	v_mov_b32_e32 v37, v17
	v_mov_b32_e32 v43, v19
	v_mov_b32_e32 v31, v5
	v_mov_b32_e32 v27, v7
	v_mov_b32_e32 v25, v1
	v_mov_b32_e32 v29, v3
	s_branch .LBB304_47
.LBB304_43:
                                        ; implicit-def: $vgpr23_vgpr24
.LBB304_44:
	v_mul_u32_u24_e32 v23, 11, v0
	v_add_u32_e32 v24, 10, v23
	v_cmp_gt_u32_e32 vcc, s14, v24
	v_add_u32_e32 v24, 9, v23
	v_cndmask_b32_e32 v30, 0, v4, vcc
	v_cndmask_b32_e32 v29, 0, v3, vcc
	v_cmp_gt_u32_e32 vcc, s14, v24
	v_add_u32_e32 v24, 8, v23
	v_cndmask_b32_e32 v26, 0, v2, vcc
	v_cndmask_b32_e32 v25, 0, v1, vcc
	;; [unrolled: 4-line block ×9, first 2 shown]
	v_cmp_gt_u32_e32 vcc, s14, v24
	v_cndmask_b32_e32 v42, 0, v10, vcc
	v_cndmask_b32_e32 v41, 0, v9, vcc
	v_cmp_ne_u32_e32 vcc, 0, v0
	v_cmp_gt_u32_e64 s[2:3], s14, v23
	s_and_b64 s[6:7], vcc, s[2:3]
	ds_write_b64 v45, v[21:22]
	s_waitcnt lgkmcnt(0)
	s_barrier
	s_and_saveexec_b64 s[2:3], s[6:7]
	s_cbranch_execz .LBB304_46
; %bb.45:
	v_add_u32_e32 v23, -8, v45
	ds_read_b64 v[23:24], v23
	s_waitcnt lgkmcnt(0)
	v_add_co_u32_e32 v9, vcc, v23, v9
	v_addc_co_u32_e32 v10, vcc, v24, v10, vcc
.LBB304_46:
	s_or_b64 exec, exec, s[2:3]
	v_mov_b32_e32 v24, v10
	v_mov_b32_e32 v23, v9
	v_mov_b32_e32 v9, v41
	v_mov_b32_e32 v10, v42
.LBB304_47:
	v_mov_b32_e32 v42, v10
	v_mov_b32_e32 v41, v9
.LBB304_48:
	v_add_co_u32_e32 v21, vcc, v29, v21
	v_addc_co_u32_e32 v22, vcc, v30, v22, vcc
	v_add_co_u32_e32 v41, vcc, v41, v11
	v_addc_co_u32_e32 v42, vcc, v42, v12, vcc
	;; [unrolled: 2-line block ×9, first 2 shown]
	v_add_co_u32_e32 v25, vcc, v25, v3
	s_add_u32 s6, s12, s10
	v_addc_co_u32_e32 v26, vcc, v26, v4, vcc
	s_addc_u32 s7, s13, s11
	s_and_b64 vcc, exec, s[0:1]
	s_barrier
	s_cbranch_vccz .LBB304_70
; %bb.49:
	s_movk_i32 s2, 0x58
	v_mul_i32_i24_e32 v47, 0xffffffb0, v0
	v_mul_u32_u24_e32 v46, 0x58, v0
	v_mad_u32_u24 v1, v0, s2, v47
	ds_write2_b64 v46, v[23:24], v[41:42] offset1:1
	ds_write2_b64 v46, v[35:36], v[39:40] offset0:2 offset1:3
	ds_write2_b64 v46, v[33:34], v[37:38] offset0:4 offset1:5
	;; [unrolled: 1-line block ×4, first 2 shown]
	ds_write_b64 v46, v[21:22] offset:80
	s_waitcnt lgkmcnt(0)
	s_barrier
	ds_read2st64_b64 v[17:20], v1 offset0:2 offset1:4
	ds_read2st64_b64 v[13:16], v1 offset0:6 offset1:8
	;; [unrolled: 1-line block ×5, first 2 shown]
	s_mov_b32 s5, 0
	s_add_i32 s15, s15, s14
	s_lshl_b64 s[0:1], s[4:5], 3
	s_add_u32 s0, s6, s0
	s_addc_u32 s1, s7, s1
	v_mov_b32_e32 v44, s1
	v_add_co_u32_e32 v43, vcc, s0, v45
	v_addc_co_u32_e32 v44, vcc, 0, v44, vcc
	v_cmp_gt_u32_e32 vcc, s15, v0
	s_and_saveexec_b64 s[0:1], vcc
	s_cbranch_execz .LBB304_51
; %bb.50:
	v_add_u32_e32 v46, v46, v47
	ds_read_b64 v[46:47], v46
	s_waitcnt lgkmcnt(0)
	global_store_dwordx2 v[43:44], v[46:47], off
.LBB304_51:
	s_or_b64 exec, exec, s[0:1]
	v_or_b32_e32 v46, 0x80, v0
	v_cmp_gt_u32_e32 vcc, s15, v46
	s_and_saveexec_b64 s[0:1], vcc
	s_cbranch_execz .LBB304_53
; %bb.52:
	s_waitcnt lgkmcnt(4)
	global_store_dwordx2 v[43:44], v[17:18], off offset:1024
.LBB304_53:
	s_or_b64 exec, exec, s[0:1]
	s_waitcnt lgkmcnt(4)
	v_or_b32_e32 v17, 0x100, v0
	v_cmp_gt_u32_e32 vcc, s15, v17
	s_and_saveexec_b64 s[0:1], vcc
	s_cbranch_execz .LBB304_55
; %bb.54:
	global_store_dwordx2 v[43:44], v[19:20], off offset:2048
.LBB304_55:
	s_or_b64 exec, exec, s[0:1]
	v_or_b32_e32 v17, 0x180, v0
	v_cmp_gt_u32_e32 vcc, s15, v17
	s_and_saveexec_b64 s[0:1], vcc
	s_cbranch_execz .LBB304_57
; %bb.56:
	s_waitcnt lgkmcnt(3)
	global_store_dwordx2 v[43:44], v[13:14], off offset:3072
.LBB304_57:
	s_or_b64 exec, exec, s[0:1]
	s_waitcnt lgkmcnt(3)
	v_or_b32_e32 v13, 0x200, v0
	v_cmp_gt_u32_e32 vcc, s15, v13
	s_and_saveexec_b64 s[0:1], vcc
	s_cbranch_execz .LBB304_59
; %bb.58:
	v_add_co_u32_e32 v13, vcc, 0x1000, v43
	v_addc_co_u32_e32 v14, vcc, 0, v44, vcc
	global_store_dwordx2 v[13:14], v[15:16], off
.LBB304_59:
	s_or_b64 exec, exec, s[0:1]
	v_or_b32_e32 v13, 0x280, v0
	v_cmp_gt_u32_e32 vcc, s15, v13
	s_and_saveexec_b64 s[0:1], vcc
	s_cbranch_execz .LBB304_61
; %bb.60:
	v_add_co_u32_e32 v13, vcc, 0x1000, v43
	v_addc_co_u32_e32 v14, vcc, 0, v44, vcc
	s_waitcnt lgkmcnt(2)
	global_store_dwordx2 v[13:14], v[9:10], off offset:1024
.LBB304_61:
	s_or_b64 exec, exec, s[0:1]
	s_waitcnt lgkmcnt(2)
	v_or_b32_e32 v9, 0x300, v0
	v_cmp_gt_u32_e32 vcc, s15, v9
	s_and_saveexec_b64 s[0:1], vcc
	s_cbranch_execz .LBB304_63
; %bb.62:
	v_add_co_u32_e32 v9, vcc, 0x1000, v43
	v_addc_co_u32_e32 v10, vcc, 0, v44, vcc
	global_store_dwordx2 v[9:10], v[11:12], off offset:2048
.LBB304_63:
	s_or_b64 exec, exec, s[0:1]
	v_or_b32_e32 v9, 0x380, v0
	v_cmp_gt_u32_e32 vcc, s15, v9
	s_and_saveexec_b64 s[0:1], vcc
	s_cbranch_execz .LBB304_65
; %bb.64:
	v_add_co_u32_e32 v9, vcc, 0x1000, v43
	v_addc_co_u32_e32 v10, vcc, 0, v44, vcc
	s_waitcnt lgkmcnt(1)
	global_store_dwordx2 v[9:10], v[5:6], off offset:3072
.LBB304_65:
	s_or_b64 exec, exec, s[0:1]
	s_waitcnt lgkmcnt(1)
	v_or_b32_e32 v5, 0x400, v0
	v_cmp_gt_u32_e32 vcc, s15, v5
	s_and_saveexec_b64 s[0:1], vcc
	s_cbranch_execz .LBB304_67
; %bb.66:
	v_add_co_u32_e32 v5, vcc, 0x2000, v43
	v_addc_co_u32_e32 v6, vcc, 0, v44, vcc
	global_store_dwordx2 v[5:6], v[7:8], off
.LBB304_67:
	s_or_b64 exec, exec, s[0:1]
	v_or_b32_e32 v5, 0x480, v0
	v_cmp_gt_u32_e32 vcc, s15, v5
	s_and_saveexec_b64 s[0:1], vcc
	s_cbranch_execz .LBB304_69
; %bb.68:
	v_add_co_u32_e32 v5, vcc, 0x2000, v43
	v_addc_co_u32_e32 v6, vcc, 0, v44, vcc
	s_waitcnt lgkmcnt(0)
	global_store_dwordx2 v[5:6], v[1:2], off offset:1024
.LBB304_69:
	s_or_b64 exec, exec, s[0:1]
	s_waitcnt lgkmcnt(0)
	v_or_b32_e32 v1, 0x500, v0
	v_cmp_gt_u32_e64 s[0:1], s15, v1
	s_branch .LBB304_72
.LBB304_70:
	s_mov_b64 s[0:1], 0
                                        ; implicit-def: $vgpr3_vgpr4
                                        ; implicit-def: $vgpr43_vgpr44
	s_cbranch_execz .LBB304_72
; %bb.71:
	s_mov_b32 s5, 0
	s_lshl_b64 s[2:3], s[4:5], 3
	v_mul_u32_u24_e32 v1, 0x58, v0
	s_add_u32 s2, s6, s2
	s_movk_i32 s4, 0x58
	ds_write2_b64 v1, v[23:24], v[41:42] offset1:1
	ds_write2_b64 v1, v[35:36], v[39:40] offset0:2 offset1:3
	ds_write2_b64 v1, v[33:34], v[37:38] offset0:4 offset1:5
	;; [unrolled: 1-line block ×4, first 2 shown]
	ds_write_b64 v1, v[21:22] offset:80
	v_mul_i32_i24_e32 v1, 0xffffffb0, v0
	s_addc_u32 s3, s7, s3
	v_mad_u32_u24 v0, v0, s4, v1
	s_waitcnt vmcnt(0) lgkmcnt(0)
	s_barrier
	ds_read2st64_b64 v[5:8], v0 offset1:2
	ds_read2st64_b64 v[9:12], v0 offset0:4 offset1:6
	ds_read2st64_b64 v[13:16], v0 offset0:8 offset1:10
	;; [unrolled: 1-line block ×4, first 2 shown]
	ds_read_b64 v[3:4], v0 offset:10240
	v_mov_b32_e32 v0, s3
	v_add_co_u32_e32 v43, vcc, s2, v45
	v_addc_co_u32_e32 v44, vcc, 0, v0, vcc
	s_waitcnt lgkmcnt(5)
	global_store_dwordx2 v45, v[5:6], s[2:3]
	global_store_dwordx2 v45, v[7:8], s[2:3] offset:1024
	s_waitcnt lgkmcnt(4)
	global_store_dwordx2 v45, v[9:10], s[2:3] offset:2048
	global_store_dwordx2 v45, v[11:12], s[2:3] offset:3072
	s_movk_i32 s2, 0x1000
	v_add_co_u32_e32 v0, vcc, s2, v43
	v_addc_co_u32_e32 v1, vcc, 0, v44, vcc
	s_waitcnt lgkmcnt(3)
	global_store_dwordx2 v[0:1], v[13:14], off
	global_store_dwordx2 v[0:1], v[15:16], off offset:1024
	s_waitcnt lgkmcnt(2)
	global_store_dwordx2 v[0:1], v[17:18], off offset:2048
	global_store_dwordx2 v[0:1], v[19:20], off offset:3072
	v_add_co_u32_e32 v0, vcc, 0x2000, v43
	v_addc_co_u32_e32 v1, vcc, 0, v44, vcc
	s_or_b64 s[0:1], s[0:1], exec
	s_waitcnt lgkmcnt(1)
	global_store_dwordx2 v[0:1], v[21:22], off
	global_store_dwordx2 v[0:1], v[23:24], off offset:1024
.LBB304_72:
	s_and_saveexec_b64 s[2:3], s[0:1]
	s_cbranch_execnz .LBB304_74
; %bb.73:
	s_endpgm
.LBB304_74:
	v_add_co_u32_e32 v0, vcc, 0x2000, v43
	v_addc_co_u32_e32 v1, vcc, 0, v44, vcc
	s_waitcnt lgkmcnt(0)
	global_store_dwordx2 v[0:1], v[3:4], off offset:2048
	s_endpgm
	.section	.rodata,"a",@progbits
	.p2align	6, 0x0
	.amdhsa_kernel _ZN7rocprim17ROCPRIM_400000_NS6detail17trampoline_kernelINS0_14default_configENS1_35adjacent_difference_config_selectorILb1ExEEZNS1_24adjacent_difference_implIS3_Lb1ELb0EPxS7_N6thrust23THRUST_200600_302600_NS4plusIxEEEE10hipError_tPvRmT2_T3_mT4_P12ihipStream_tbEUlT_E_NS1_11comp_targetILNS1_3genE2ELNS1_11target_archE906ELNS1_3gpuE6ELNS1_3repE0EEENS1_30default_config_static_selectorELNS0_4arch9wavefront6targetE1EEEvT1_
		.amdhsa_group_segment_fixed_size 11264
		.amdhsa_private_segment_fixed_size 0
		.amdhsa_kernarg_size 56
		.amdhsa_user_sgpr_count 6
		.amdhsa_user_sgpr_private_segment_buffer 1
		.amdhsa_user_sgpr_dispatch_ptr 0
		.amdhsa_user_sgpr_queue_ptr 0
		.amdhsa_user_sgpr_kernarg_segment_ptr 1
		.amdhsa_user_sgpr_dispatch_id 0
		.amdhsa_user_sgpr_flat_scratch_init 0
		.amdhsa_user_sgpr_private_segment_size 0
		.amdhsa_uses_dynamic_stack 0
		.amdhsa_system_sgpr_private_segment_wavefront_offset 0
		.amdhsa_system_sgpr_workgroup_id_x 1
		.amdhsa_system_sgpr_workgroup_id_y 0
		.amdhsa_system_sgpr_workgroup_id_z 0
		.amdhsa_system_sgpr_workgroup_info 0
		.amdhsa_system_vgpr_workitem_id 0
		.amdhsa_next_free_vgpr 65
		.amdhsa_next_free_sgpr 98
		.amdhsa_reserve_vcc 1
		.amdhsa_reserve_flat_scratch 0
		.amdhsa_float_round_mode_32 0
		.amdhsa_float_round_mode_16_64 0
		.amdhsa_float_denorm_mode_32 3
		.amdhsa_float_denorm_mode_16_64 3
		.amdhsa_dx10_clamp 1
		.amdhsa_ieee_mode 1
		.amdhsa_fp16_overflow 0
		.amdhsa_exception_fp_ieee_invalid_op 0
		.amdhsa_exception_fp_denorm_src 0
		.amdhsa_exception_fp_ieee_div_zero 0
		.amdhsa_exception_fp_ieee_overflow 0
		.amdhsa_exception_fp_ieee_underflow 0
		.amdhsa_exception_fp_ieee_inexact 0
		.amdhsa_exception_int_div_zero 0
	.end_amdhsa_kernel
	.section	.text._ZN7rocprim17ROCPRIM_400000_NS6detail17trampoline_kernelINS0_14default_configENS1_35adjacent_difference_config_selectorILb1ExEEZNS1_24adjacent_difference_implIS3_Lb1ELb0EPxS7_N6thrust23THRUST_200600_302600_NS4plusIxEEEE10hipError_tPvRmT2_T3_mT4_P12ihipStream_tbEUlT_E_NS1_11comp_targetILNS1_3genE2ELNS1_11target_archE906ELNS1_3gpuE6ELNS1_3repE0EEENS1_30default_config_static_selectorELNS0_4arch9wavefront6targetE1EEEvT1_,"axG",@progbits,_ZN7rocprim17ROCPRIM_400000_NS6detail17trampoline_kernelINS0_14default_configENS1_35adjacent_difference_config_selectorILb1ExEEZNS1_24adjacent_difference_implIS3_Lb1ELb0EPxS7_N6thrust23THRUST_200600_302600_NS4plusIxEEEE10hipError_tPvRmT2_T3_mT4_P12ihipStream_tbEUlT_E_NS1_11comp_targetILNS1_3genE2ELNS1_11target_archE906ELNS1_3gpuE6ELNS1_3repE0EEENS1_30default_config_static_selectorELNS0_4arch9wavefront6targetE1EEEvT1_,comdat
.Lfunc_end304:
	.size	_ZN7rocprim17ROCPRIM_400000_NS6detail17trampoline_kernelINS0_14default_configENS1_35adjacent_difference_config_selectorILb1ExEEZNS1_24adjacent_difference_implIS3_Lb1ELb0EPxS7_N6thrust23THRUST_200600_302600_NS4plusIxEEEE10hipError_tPvRmT2_T3_mT4_P12ihipStream_tbEUlT_E_NS1_11comp_targetILNS1_3genE2ELNS1_11target_archE906ELNS1_3gpuE6ELNS1_3repE0EEENS1_30default_config_static_selectorELNS0_4arch9wavefront6targetE1EEEvT1_, .Lfunc_end304-_ZN7rocprim17ROCPRIM_400000_NS6detail17trampoline_kernelINS0_14default_configENS1_35adjacent_difference_config_selectorILb1ExEEZNS1_24adjacent_difference_implIS3_Lb1ELb0EPxS7_N6thrust23THRUST_200600_302600_NS4plusIxEEEE10hipError_tPvRmT2_T3_mT4_P12ihipStream_tbEUlT_E_NS1_11comp_targetILNS1_3genE2ELNS1_11target_archE906ELNS1_3gpuE6ELNS1_3repE0EEENS1_30default_config_static_selectorELNS0_4arch9wavefront6targetE1EEEvT1_
                                        ; -- End function
	.set _ZN7rocprim17ROCPRIM_400000_NS6detail17trampoline_kernelINS0_14default_configENS1_35adjacent_difference_config_selectorILb1ExEEZNS1_24adjacent_difference_implIS3_Lb1ELb0EPxS7_N6thrust23THRUST_200600_302600_NS4plusIxEEEE10hipError_tPvRmT2_T3_mT4_P12ihipStream_tbEUlT_E_NS1_11comp_targetILNS1_3genE2ELNS1_11target_archE906ELNS1_3gpuE6ELNS1_3repE0EEENS1_30default_config_static_selectorELNS0_4arch9wavefront6targetE1EEEvT1_.num_vgpr, 48
	.set _ZN7rocprim17ROCPRIM_400000_NS6detail17trampoline_kernelINS0_14default_configENS1_35adjacent_difference_config_selectorILb1ExEEZNS1_24adjacent_difference_implIS3_Lb1ELb0EPxS7_N6thrust23THRUST_200600_302600_NS4plusIxEEEE10hipError_tPvRmT2_T3_mT4_P12ihipStream_tbEUlT_E_NS1_11comp_targetILNS1_3genE2ELNS1_11target_archE906ELNS1_3gpuE6ELNS1_3repE0EEENS1_30default_config_static_selectorELNS0_4arch9wavefront6targetE1EEEvT1_.num_agpr, 0
	.set _ZN7rocprim17ROCPRIM_400000_NS6detail17trampoline_kernelINS0_14default_configENS1_35adjacent_difference_config_selectorILb1ExEEZNS1_24adjacent_difference_implIS3_Lb1ELb0EPxS7_N6thrust23THRUST_200600_302600_NS4plusIxEEEE10hipError_tPvRmT2_T3_mT4_P12ihipStream_tbEUlT_E_NS1_11comp_targetILNS1_3genE2ELNS1_11target_archE906ELNS1_3gpuE6ELNS1_3repE0EEENS1_30default_config_static_selectorELNS0_4arch9wavefront6targetE1EEEvT1_.numbered_sgpr, 29
	.set _ZN7rocprim17ROCPRIM_400000_NS6detail17trampoline_kernelINS0_14default_configENS1_35adjacent_difference_config_selectorILb1ExEEZNS1_24adjacent_difference_implIS3_Lb1ELb0EPxS7_N6thrust23THRUST_200600_302600_NS4plusIxEEEE10hipError_tPvRmT2_T3_mT4_P12ihipStream_tbEUlT_E_NS1_11comp_targetILNS1_3genE2ELNS1_11target_archE906ELNS1_3gpuE6ELNS1_3repE0EEENS1_30default_config_static_selectorELNS0_4arch9wavefront6targetE1EEEvT1_.num_named_barrier, 0
	.set _ZN7rocprim17ROCPRIM_400000_NS6detail17trampoline_kernelINS0_14default_configENS1_35adjacent_difference_config_selectorILb1ExEEZNS1_24adjacent_difference_implIS3_Lb1ELb0EPxS7_N6thrust23THRUST_200600_302600_NS4plusIxEEEE10hipError_tPvRmT2_T3_mT4_P12ihipStream_tbEUlT_E_NS1_11comp_targetILNS1_3genE2ELNS1_11target_archE906ELNS1_3gpuE6ELNS1_3repE0EEENS1_30default_config_static_selectorELNS0_4arch9wavefront6targetE1EEEvT1_.private_seg_size, 0
	.set _ZN7rocprim17ROCPRIM_400000_NS6detail17trampoline_kernelINS0_14default_configENS1_35adjacent_difference_config_selectorILb1ExEEZNS1_24adjacent_difference_implIS3_Lb1ELb0EPxS7_N6thrust23THRUST_200600_302600_NS4plusIxEEEE10hipError_tPvRmT2_T3_mT4_P12ihipStream_tbEUlT_E_NS1_11comp_targetILNS1_3genE2ELNS1_11target_archE906ELNS1_3gpuE6ELNS1_3repE0EEENS1_30default_config_static_selectorELNS0_4arch9wavefront6targetE1EEEvT1_.uses_vcc, 1
	.set _ZN7rocprim17ROCPRIM_400000_NS6detail17trampoline_kernelINS0_14default_configENS1_35adjacent_difference_config_selectorILb1ExEEZNS1_24adjacent_difference_implIS3_Lb1ELb0EPxS7_N6thrust23THRUST_200600_302600_NS4plusIxEEEE10hipError_tPvRmT2_T3_mT4_P12ihipStream_tbEUlT_E_NS1_11comp_targetILNS1_3genE2ELNS1_11target_archE906ELNS1_3gpuE6ELNS1_3repE0EEENS1_30default_config_static_selectorELNS0_4arch9wavefront6targetE1EEEvT1_.uses_flat_scratch, 0
	.set _ZN7rocprim17ROCPRIM_400000_NS6detail17trampoline_kernelINS0_14default_configENS1_35adjacent_difference_config_selectorILb1ExEEZNS1_24adjacent_difference_implIS3_Lb1ELb0EPxS7_N6thrust23THRUST_200600_302600_NS4plusIxEEEE10hipError_tPvRmT2_T3_mT4_P12ihipStream_tbEUlT_E_NS1_11comp_targetILNS1_3genE2ELNS1_11target_archE906ELNS1_3gpuE6ELNS1_3repE0EEENS1_30default_config_static_selectorELNS0_4arch9wavefront6targetE1EEEvT1_.has_dyn_sized_stack, 0
	.set _ZN7rocprim17ROCPRIM_400000_NS6detail17trampoline_kernelINS0_14default_configENS1_35adjacent_difference_config_selectorILb1ExEEZNS1_24adjacent_difference_implIS3_Lb1ELb0EPxS7_N6thrust23THRUST_200600_302600_NS4plusIxEEEE10hipError_tPvRmT2_T3_mT4_P12ihipStream_tbEUlT_E_NS1_11comp_targetILNS1_3genE2ELNS1_11target_archE906ELNS1_3gpuE6ELNS1_3repE0EEENS1_30default_config_static_selectorELNS0_4arch9wavefront6targetE1EEEvT1_.has_recursion, 0
	.set _ZN7rocprim17ROCPRIM_400000_NS6detail17trampoline_kernelINS0_14default_configENS1_35adjacent_difference_config_selectorILb1ExEEZNS1_24adjacent_difference_implIS3_Lb1ELb0EPxS7_N6thrust23THRUST_200600_302600_NS4plusIxEEEE10hipError_tPvRmT2_T3_mT4_P12ihipStream_tbEUlT_E_NS1_11comp_targetILNS1_3genE2ELNS1_11target_archE906ELNS1_3gpuE6ELNS1_3repE0EEENS1_30default_config_static_selectorELNS0_4arch9wavefront6targetE1EEEvT1_.has_indirect_call, 0
	.section	.AMDGPU.csdata,"",@progbits
; Kernel info:
; codeLenInByte = 2968
; TotalNumSgprs: 33
; NumVgprs: 48
; ScratchSize: 0
; MemoryBound: 0
; FloatMode: 240
; IeeeMode: 1
; LDSByteSize: 11264 bytes/workgroup (compile time only)
; SGPRBlocks: 12
; VGPRBlocks: 16
; NumSGPRsForWavesPerEU: 102
; NumVGPRsForWavesPerEU: 65
; Occupancy: 3
; WaveLimiterHint : 1
; COMPUTE_PGM_RSRC2:SCRATCH_EN: 0
; COMPUTE_PGM_RSRC2:USER_SGPR: 6
; COMPUTE_PGM_RSRC2:TRAP_HANDLER: 0
; COMPUTE_PGM_RSRC2:TGID_X_EN: 1
; COMPUTE_PGM_RSRC2:TGID_Y_EN: 0
; COMPUTE_PGM_RSRC2:TGID_Z_EN: 0
; COMPUTE_PGM_RSRC2:TIDIG_COMP_CNT: 0
	.section	.text._ZN7rocprim17ROCPRIM_400000_NS6detail17trampoline_kernelINS0_14default_configENS1_35adjacent_difference_config_selectorILb1ExEEZNS1_24adjacent_difference_implIS3_Lb1ELb0EPxS7_N6thrust23THRUST_200600_302600_NS4plusIxEEEE10hipError_tPvRmT2_T3_mT4_P12ihipStream_tbEUlT_E_NS1_11comp_targetILNS1_3genE9ELNS1_11target_archE1100ELNS1_3gpuE3ELNS1_3repE0EEENS1_30default_config_static_selectorELNS0_4arch9wavefront6targetE1EEEvT1_,"axG",@progbits,_ZN7rocprim17ROCPRIM_400000_NS6detail17trampoline_kernelINS0_14default_configENS1_35adjacent_difference_config_selectorILb1ExEEZNS1_24adjacent_difference_implIS3_Lb1ELb0EPxS7_N6thrust23THRUST_200600_302600_NS4plusIxEEEE10hipError_tPvRmT2_T3_mT4_P12ihipStream_tbEUlT_E_NS1_11comp_targetILNS1_3genE9ELNS1_11target_archE1100ELNS1_3gpuE3ELNS1_3repE0EEENS1_30default_config_static_selectorELNS0_4arch9wavefront6targetE1EEEvT1_,comdat
	.protected	_ZN7rocprim17ROCPRIM_400000_NS6detail17trampoline_kernelINS0_14default_configENS1_35adjacent_difference_config_selectorILb1ExEEZNS1_24adjacent_difference_implIS3_Lb1ELb0EPxS7_N6thrust23THRUST_200600_302600_NS4plusIxEEEE10hipError_tPvRmT2_T3_mT4_P12ihipStream_tbEUlT_E_NS1_11comp_targetILNS1_3genE9ELNS1_11target_archE1100ELNS1_3gpuE3ELNS1_3repE0EEENS1_30default_config_static_selectorELNS0_4arch9wavefront6targetE1EEEvT1_ ; -- Begin function _ZN7rocprim17ROCPRIM_400000_NS6detail17trampoline_kernelINS0_14default_configENS1_35adjacent_difference_config_selectorILb1ExEEZNS1_24adjacent_difference_implIS3_Lb1ELb0EPxS7_N6thrust23THRUST_200600_302600_NS4plusIxEEEE10hipError_tPvRmT2_T3_mT4_P12ihipStream_tbEUlT_E_NS1_11comp_targetILNS1_3genE9ELNS1_11target_archE1100ELNS1_3gpuE3ELNS1_3repE0EEENS1_30default_config_static_selectorELNS0_4arch9wavefront6targetE1EEEvT1_
	.globl	_ZN7rocprim17ROCPRIM_400000_NS6detail17trampoline_kernelINS0_14default_configENS1_35adjacent_difference_config_selectorILb1ExEEZNS1_24adjacent_difference_implIS3_Lb1ELb0EPxS7_N6thrust23THRUST_200600_302600_NS4plusIxEEEE10hipError_tPvRmT2_T3_mT4_P12ihipStream_tbEUlT_E_NS1_11comp_targetILNS1_3genE9ELNS1_11target_archE1100ELNS1_3gpuE3ELNS1_3repE0EEENS1_30default_config_static_selectorELNS0_4arch9wavefront6targetE1EEEvT1_
	.p2align	8
	.type	_ZN7rocprim17ROCPRIM_400000_NS6detail17trampoline_kernelINS0_14default_configENS1_35adjacent_difference_config_selectorILb1ExEEZNS1_24adjacent_difference_implIS3_Lb1ELb0EPxS7_N6thrust23THRUST_200600_302600_NS4plusIxEEEE10hipError_tPvRmT2_T3_mT4_P12ihipStream_tbEUlT_E_NS1_11comp_targetILNS1_3genE9ELNS1_11target_archE1100ELNS1_3gpuE3ELNS1_3repE0EEENS1_30default_config_static_selectorELNS0_4arch9wavefront6targetE1EEEvT1_,@function
_ZN7rocprim17ROCPRIM_400000_NS6detail17trampoline_kernelINS0_14default_configENS1_35adjacent_difference_config_selectorILb1ExEEZNS1_24adjacent_difference_implIS3_Lb1ELb0EPxS7_N6thrust23THRUST_200600_302600_NS4plusIxEEEE10hipError_tPvRmT2_T3_mT4_P12ihipStream_tbEUlT_E_NS1_11comp_targetILNS1_3genE9ELNS1_11target_archE1100ELNS1_3gpuE3ELNS1_3repE0EEENS1_30default_config_static_selectorELNS0_4arch9wavefront6targetE1EEEvT1_: ; @_ZN7rocprim17ROCPRIM_400000_NS6detail17trampoline_kernelINS0_14default_configENS1_35adjacent_difference_config_selectorILb1ExEEZNS1_24adjacent_difference_implIS3_Lb1ELb0EPxS7_N6thrust23THRUST_200600_302600_NS4plusIxEEEE10hipError_tPvRmT2_T3_mT4_P12ihipStream_tbEUlT_E_NS1_11comp_targetILNS1_3genE9ELNS1_11target_archE1100ELNS1_3gpuE3ELNS1_3repE0EEENS1_30default_config_static_selectorELNS0_4arch9wavefront6targetE1EEEvT1_
; %bb.0:
	.section	.rodata,"a",@progbits
	.p2align	6, 0x0
	.amdhsa_kernel _ZN7rocprim17ROCPRIM_400000_NS6detail17trampoline_kernelINS0_14default_configENS1_35adjacent_difference_config_selectorILb1ExEEZNS1_24adjacent_difference_implIS3_Lb1ELb0EPxS7_N6thrust23THRUST_200600_302600_NS4plusIxEEEE10hipError_tPvRmT2_T3_mT4_P12ihipStream_tbEUlT_E_NS1_11comp_targetILNS1_3genE9ELNS1_11target_archE1100ELNS1_3gpuE3ELNS1_3repE0EEENS1_30default_config_static_selectorELNS0_4arch9wavefront6targetE1EEEvT1_
		.amdhsa_group_segment_fixed_size 0
		.amdhsa_private_segment_fixed_size 0
		.amdhsa_kernarg_size 56
		.amdhsa_user_sgpr_count 6
		.amdhsa_user_sgpr_private_segment_buffer 1
		.amdhsa_user_sgpr_dispatch_ptr 0
		.amdhsa_user_sgpr_queue_ptr 0
		.amdhsa_user_sgpr_kernarg_segment_ptr 1
		.amdhsa_user_sgpr_dispatch_id 0
		.amdhsa_user_sgpr_flat_scratch_init 0
		.amdhsa_user_sgpr_private_segment_size 0
		.amdhsa_uses_dynamic_stack 0
		.amdhsa_system_sgpr_private_segment_wavefront_offset 0
		.amdhsa_system_sgpr_workgroup_id_x 1
		.amdhsa_system_sgpr_workgroup_id_y 0
		.amdhsa_system_sgpr_workgroup_id_z 0
		.amdhsa_system_sgpr_workgroup_info 0
		.amdhsa_system_vgpr_workitem_id 0
		.amdhsa_next_free_vgpr 1
		.amdhsa_next_free_sgpr 0
		.amdhsa_reserve_vcc 0
		.amdhsa_reserve_flat_scratch 0
		.amdhsa_float_round_mode_32 0
		.amdhsa_float_round_mode_16_64 0
		.amdhsa_float_denorm_mode_32 3
		.amdhsa_float_denorm_mode_16_64 3
		.amdhsa_dx10_clamp 1
		.amdhsa_ieee_mode 1
		.amdhsa_fp16_overflow 0
		.amdhsa_exception_fp_ieee_invalid_op 0
		.amdhsa_exception_fp_denorm_src 0
		.amdhsa_exception_fp_ieee_div_zero 0
		.amdhsa_exception_fp_ieee_overflow 0
		.amdhsa_exception_fp_ieee_underflow 0
		.amdhsa_exception_fp_ieee_inexact 0
		.amdhsa_exception_int_div_zero 0
	.end_amdhsa_kernel
	.section	.text._ZN7rocprim17ROCPRIM_400000_NS6detail17trampoline_kernelINS0_14default_configENS1_35adjacent_difference_config_selectorILb1ExEEZNS1_24adjacent_difference_implIS3_Lb1ELb0EPxS7_N6thrust23THRUST_200600_302600_NS4plusIxEEEE10hipError_tPvRmT2_T3_mT4_P12ihipStream_tbEUlT_E_NS1_11comp_targetILNS1_3genE9ELNS1_11target_archE1100ELNS1_3gpuE3ELNS1_3repE0EEENS1_30default_config_static_selectorELNS0_4arch9wavefront6targetE1EEEvT1_,"axG",@progbits,_ZN7rocprim17ROCPRIM_400000_NS6detail17trampoline_kernelINS0_14default_configENS1_35adjacent_difference_config_selectorILb1ExEEZNS1_24adjacent_difference_implIS3_Lb1ELb0EPxS7_N6thrust23THRUST_200600_302600_NS4plusIxEEEE10hipError_tPvRmT2_T3_mT4_P12ihipStream_tbEUlT_E_NS1_11comp_targetILNS1_3genE9ELNS1_11target_archE1100ELNS1_3gpuE3ELNS1_3repE0EEENS1_30default_config_static_selectorELNS0_4arch9wavefront6targetE1EEEvT1_,comdat
.Lfunc_end305:
	.size	_ZN7rocprim17ROCPRIM_400000_NS6detail17trampoline_kernelINS0_14default_configENS1_35adjacent_difference_config_selectorILb1ExEEZNS1_24adjacent_difference_implIS3_Lb1ELb0EPxS7_N6thrust23THRUST_200600_302600_NS4plusIxEEEE10hipError_tPvRmT2_T3_mT4_P12ihipStream_tbEUlT_E_NS1_11comp_targetILNS1_3genE9ELNS1_11target_archE1100ELNS1_3gpuE3ELNS1_3repE0EEENS1_30default_config_static_selectorELNS0_4arch9wavefront6targetE1EEEvT1_, .Lfunc_end305-_ZN7rocprim17ROCPRIM_400000_NS6detail17trampoline_kernelINS0_14default_configENS1_35adjacent_difference_config_selectorILb1ExEEZNS1_24adjacent_difference_implIS3_Lb1ELb0EPxS7_N6thrust23THRUST_200600_302600_NS4plusIxEEEE10hipError_tPvRmT2_T3_mT4_P12ihipStream_tbEUlT_E_NS1_11comp_targetILNS1_3genE9ELNS1_11target_archE1100ELNS1_3gpuE3ELNS1_3repE0EEENS1_30default_config_static_selectorELNS0_4arch9wavefront6targetE1EEEvT1_
                                        ; -- End function
	.set _ZN7rocprim17ROCPRIM_400000_NS6detail17trampoline_kernelINS0_14default_configENS1_35adjacent_difference_config_selectorILb1ExEEZNS1_24adjacent_difference_implIS3_Lb1ELb0EPxS7_N6thrust23THRUST_200600_302600_NS4plusIxEEEE10hipError_tPvRmT2_T3_mT4_P12ihipStream_tbEUlT_E_NS1_11comp_targetILNS1_3genE9ELNS1_11target_archE1100ELNS1_3gpuE3ELNS1_3repE0EEENS1_30default_config_static_selectorELNS0_4arch9wavefront6targetE1EEEvT1_.num_vgpr, 0
	.set _ZN7rocprim17ROCPRIM_400000_NS6detail17trampoline_kernelINS0_14default_configENS1_35adjacent_difference_config_selectorILb1ExEEZNS1_24adjacent_difference_implIS3_Lb1ELb0EPxS7_N6thrust23THRUST_200600_302600_NS4plusIxEEEE10hipError_tPvRmT2_T3_mT4_P12ihipStream_tbEUlT_E_NS1_11comp_targetILNS1_3genE9ELNS1_11target_archE1100ELNS1_3gpuE3ELNS1_3repE0EEENS1_30default_config_static_selectorELNS0_4arch9wavefront6targetE1EEEvT1_.num_agpr, 0
	.set _ZN7rocprim17ROCPRIM_400000_NS6detail17trampoline_kernelINS0_14default_configENS1_35adjacent_difference_config_selectorILb1ExEEZNS1_24adjacent_difference_implIS3_Lb1ELb0EPxS7_N6thrust23THRUST_200600_302600_NS4plusIxEEEE10hipError_tPvRmT2_T3_mT4_P12ihipStream_tbEUlT_E_NS1_11comp_targetILNS1_3genE9ELNS1_11target_archE1100ELNS1_3gpuE3ELNS1_3repE0EEENS1_30default_config_static_selectorELNS0_4arch9wavefront6targetE1EEEvT1_.numbered_sgpr, 0
	.set _ZN7rocprim17ROCPRIM_400000_NS6detail17trampoline_kernelINS0_14default_configENS1_35adjacent_difference_config_selectorILb1ExEEZNS1_24adjacent_difference_implIS3_Lb1ELb0EPxS7_N6thrust23THRUST_200600_302600_NS4plusIxEEEE10hipError_tPvRmT2_T3_mT4_P12ihipStream_tbEUlT_E_NS1_11comp_targetILNS1_3genE9ELNS1_11target_archE1100ELNS1_3gpuE3ELNS1_3repE0EEENS1_30default_config_static_selectorELNS0_4arch9wavefront6targetE1EEEvT1_.num_named_barrier, 0
	.set _ZN7rocprim17ROCPRIM_400000_NS6detail17trampoline_kernelINS0_14default_configENS1_35adjacent_difference_config_selectorILb1ExEEZNS1_24adjacent_difference_implIS3_Lb1ELb0EPxS7_N6thrust23THRUST_200600_302600_NS4plusIxEEEE10hipError_tPvRmT2_T3_mT4_P12ihipStream_tbEUlT_E_NS1_11comp_targetILNS1_3genE9ELNS1_11target_archE1100ELNS1_3gpuE3ELNS1_3repE0EEENS1_30default_config_static_selectorELNS0_4arch9wavefront6targetE1EEEvT1_.private_seg_size, 0
	.set _ZN7rocprim17ROCPRIM_400000_NS6detail17trampoline_kernelINS0_14default_configENS1_35adjacent_difference_config_selectorILb1ExEEZNS1_24adjacent_difference_implIS3_Lb1ELb0EPxS7_N6thrust23THRUST_200600_302600_NS4plusIxEEEE10hipError_tPvRmT2_T3_mT4_P12ihipStream_tbEUlT_E_NS1_11comp_targetILNS1_3genE9ELNS1_11target_archE1100ELNS1_3gpuE3ELNS1_3repE0EEENS1_30default_config_static_selectorELNS0_4arch9wavefront6targetE1EEEvT1_.uses_vcc, 0
	.set _ZN7rocprim17ROCPRIM_400000_NS6detail17trampoline_kernelINS0_14default_configENS1_35adjacent_difference_config_selectorILb1ExEEZNS1_24adjacent_difference_implIS3_Lb1ELb0EPxS7_N6thrust23THRUST_200600_302600_NS4plusIxEEEE10hipError_tPvRmT2_T3_mT4_P12ihipStream_tbEUlT_E_NS1_11comp_targetILNS1_3genE9ELNS1_11target_archE1100ELNS1_3gpuE3ELNS1_3repE0EEENS1_30default_config_static_selectorELNS0_4arch9wavefront6targetE1EEEvT1_.uses_flat_scratch, 0
	.set _ZN7rocprim17ROCPRIM_400000_NS6detail17trampoline_kernelINS0_14default_configENS1_35adjacent_difference_config_selectorILb1ExEEZNS1_24adjacent_difference_implIS3_Lb1ELb0EPxS7_N6thrust23THRUST_200600_302600_NS4plusIxEEEE10hipError_tPvRmT2_T3_mT4_P12ihipStream_tbEUlT_E_NS1_11comp_targetILNS1_3genE9ELNS1_11target_archE1100ELNS1_3gpuE3ELNS1_3repE0EEENS1_30default_config_static_selectorELNS0_4arch9wavefront6targetE1EEEvT1_.has_dyn_sized_stack, 0
	.set _ZN7rocprim17ROCPRIM_400000_NS6detail17trampoline_kernelINS0_14default_configENS1_35adjacent_difference_config_selectorILb1ExEEZNS1_24adjacent_difference_implIS3_Lb1ELb0EPxS7_N6thrust23THRUST_200600_302600_NS4plusIxEEEE10hipError_tPvRmT2_T3_mT4_P12ihipStream_tbEUlT_E_NS1_11comp_targetILNS1_3genE9ELNS1_11target_archE1100ELNS1_3gpuE3ELNS1_3repE0EEENS1_30default_config_static_selectorELNS0_4arch9wavefront6targetE1EEEvT1_.has_recursion, 0
	.set _ZN7rocprim17ROCPRIM_400000_NS6detail17trampoline_kernelINS0_14default_configENS1_35adjacent_difference_config_selectorILb1ExEEZNS1_24adjacent_difference_implIS3_Lb1ELb0EPxS7_N6thrust23THRUST_200600_302600_NS4plusIxEEEE10hipError_tPvRmT2_T3_mT4_P12ihipStream_tbEUlT_E_NS1_11comp_targetILNS1_3genE9ELNS1_11target_archE1100ELNS1_3gpuE3ELNS1_3repE0EEENS1_30default_config_static_selectorELNS0_4arch9wavefront6targetE1EEEvT1_.has_indirect_call, 0
	.section	.AMDGPU.csdata,"",@progbits
; Kernel info:
; codeLenInByte = 0
; TotalNumSgprs: 4
; NumVgprs: 0
; ScratchSize: 0
; MemoryBound: 0
; FloatMode: 240
; IeeeMode: 1
; LDSByteSize: 0 bytes/workgroup (compile time only)
; SGPRBlocks: 0
; VGPRBlocks: 0
; NumSGPRsForWavesPerEU: 4
; NumVGPRsForWavesPerEU: 1
; Occupancy: 10
; WaveLimiterHint : 0
; COMPUTE_PGM_RSRC2:SCRATCH_EN: 0
; COMPUTE_PGM_RSRC2:USER_SGPR: 6
; COMPUTE_PGM_RSRC2:TRAP_HANDLER: 0
; COMPUTE_PGM_RSRC2:TGID_X_EN: 1
; COMPUTE_PGM_RSRC2:TGID_Y_EN: 0
; COMPUTE_PGM_RSRC2:TGID_Z_EN: 0
; COMPUTE_PGM_RSRC2:TIDIG_COMP_CNT: 0
	.section	.text._ZN7rocprim17ROCPRIM_400000_NS6detail17trampoline_kernelINS0_14default_configENS1_35adjacent_difference_config_selectorILb1ExEEZNS1_24adjacent_difference_implIS3_Lb1ELb0EPxS7_N6thrust23THRUST_200600_302600_NS4plusIxEEEE10hipError_tPvRmT2_T3_mT4_P12ihipStream_tbEUlT_E_NS1_11comp_targetILNS1_3genE8ELNS1_11target_archE1030ELNS1_3gpuE2ELNS1_3repE0EEENS1_30default_config_static_selectorELNS0_4arch9wavefront6targetE1EEEvT1_,"axG",@progbits,_ZN7rocprim17ROCPRIM_400000_NS6detail17trampoline_kernelINS0_14default_configENS1_35adjacent_difference_config_selectorILb1ExEEZNS1_24adjacent_difference_implIS3_Lb1ELb0EPxS7_N6thrust23THRUST_200600_302600_NS4plusIxEEEE10hipError_tPvRmT2_T3_mT4_P12ihipStream_tbEUlT_E_NS1_11comp_targetILNS1_3genE8ELNS1_11target_archE1030ELNS1_3gpuE2ELNS1_3repE0EEENS1_30default_config_static_selectorELNS0_4arch9wavefront6targetE1EEEvT1_,comdat
	.protected	_ZN7rocprim17ROCPRIM_400000_NS6detail17trampoline_kernelINS0_14default_configENS1_35adjacent_difference_config_selectorILb1ExEEZNS1_24adjacent_difference_implIS3_Lb1ELb0EPxS7_N6thrust23THRUST_200600_302600_NS4plusIxEEEE10hipError_tPvRmT2_T3_mT4_P12ihipStream_tbEUlT_E_NS1_11comp_targetILNS1_3genE8ELNS1_11target_archE1030ELNS1_3gpuE2ELNS1_3repE0EEENS1_30default_config_static_selectorELNS0_4arch9wavefront6targetE1EEEvT1_ ; -- Begin function _ZN7rocprim17ROCPRIM_400000_NS6detail17trampoline_kernelINS0_14default_configENS1_35adjacent_difference_config_selectorILb1ExEEZNS1_24adjacent_difference_implIS3_Lb1ELb0EPxS7_N6thrust23THRUST_200600_302600_NS4plusIxEEEE10hipError_tPvRmT2_T3_mT4_P12ihipStream_tbEUlT_E_NS1_11comp_targetILNS1_3genE8ELNS1_11target_archE1030ELNS1_3gpuE2ELNS1_3repE0EEENS1_30default_config_static_selectorELNS0_4arch9wavefront6targetE1EEEvT1_
	.globl	_ZN7rocprim17ROCPRIM_400000_NS6detail17trampoline_kernelINS0_14default_configENS1_35adjacent_difference_config_selectorILb1ExEEZNS1_24adjacent_difference_implIS3_Lb1ELb0EPxS7_N6thrust23THRUST_200600_302600_NS4plusIxEEEE10hipError_tPvRmT2_T3_mT4_P12ihipStream_tbEUlT_E_NS1_11comp_targetILNS1_3genE8ELNS1_11target_archE1030ELNS1_3gpuE2ELNS1_3repE0EEENS1_30default_config_static_selectorELNS0_4arch9wavefront6targetE1EEEvT1_
	.p2align	8
	.type	_ZN7rocprim17ROCPRIM_400000_NS6detail17trampoline_kernelINS0_14default_configENS1_35adjacent_difference_config_selectorILb1ExEEZNS1_24adjacent_difference_implIS3_Lb1ELb0EPxS7_N6thrust23THRUST_200600_302600_NS4plusIxEEEE10hipError_tPvRmT2_T3_mT4_P12ihipStream_tbEUlT_E_NS1_11comp_targetILNS1_3genE8ELNS1_11target_archE1030ELNS1_3gpuE2ELNS1_3repE0EEENS1_30default_config_static_selectorELNS0_4arch9wavefront6targetE1EEEvT1_,@function
_ZN7rocprim17ROCPRIM_400000_NS6detail17trampoline_kernelINS0_14default_configENS1_35adjacent_difference_config_selectorILb1ExEEZNS1_24adjacent_difference_implIS3_Lb1ELb0EPxS7_N6thrust23THRUST_200600_302600_NS4plusIxEEEE10hipError_tPvRmT2_T3_mT4_P12ihipStream_tbEUlT_E_NS1_11comp_targetILNS1_3genE8ELNS1_11target_archE1030ELNS1_3gpuE2ELNS1_3repE0EEENS1_30default_config_static_selectorELNS0_4arch9wavefront6targetE1EEEvT1_: ; @_ZN7rocprim17ROCPRIM_400000_NS6detail17trampoline_kernelINS0_14default_configENS1_35adjacent_difference_config_selectorILb1ExEEZNS1_24adjacent_difference_implIS3_Lb1ELb0EPxS7_N6thrust23THRUST_200600_302600_NS4plusIxEEEE10hipError_tPvRmT2_T3_mT4_P12ihipStream_tbEUlT_E_NS1_11comp_targetILNS1_3genE8ELNS1_11target_archE1030ELNS1_3gpuE2ELNS1_3repE0EEENS1_30default_config_static_selectorELNS0_4arch9wavefront6targetE1EEEvT1_
; %bb.0:
	.section	.rodata,"a",@progbits
	.p2align	6, 0x0
	.amdhsa_kernel _ZN7rocprim17ROCPRIM_400000_NS6detail17trampoline_kernelINS0_14default_configENS1_35adjacent_difference_config_selectorILb1ExEEZNS1_24adjacent_difference_implIS3_Lb1ELb0EPxS7_N6thrust23THRUST_200600_302600_NS4plusIxEEEE10hipError_tPvRmT2_T3_mT4_P12ihipStream_tbEUlT_E_NS1_11comp_targetILNS1_3genE8ELNS1_11target_archE1030ELNS1_3gpuE2ELNS1_3repE0EEENS1_30default_config_static_selectorELNS0_4arch9wavefront6targetE1EEEvT1_
		.amdhsa_group_segment_fixed_size 0
		.amdhsa_private_segment_fixed_size 0
		.amdhsa_kernarg_size 56
		.amdhsa_user_sgpr_count 6
		.amdhsa_user_sgpr_private_segment_buffer 1
		.amdhsa_user_sgpr_dispatch_ptr 0
		.amdhsa_user_sgpr_queue_ptr 0
		.amdhsa_user_sgpr_kernarg_segment_ptr 1
		.amdhsa_user_sgpr_dispatch_id 0
		.amdhsa_user_sgpr_flat_scratch_init 0
		.amdhsa_user_sgpr_private_segment_size 0
		.amdhsa_uses_dynamic_stack 0
		.amdhsa_system_sgpr_private_segment_wavefront_offset 0
		.amdhsa_system_sgpr_workgroup_id_x 1
		.amdhsa_system_sgpr_workgroup_id_y 0
		.amdhsa_system_sgpr_workgroup_id_z 0
		.amdhsa_system_sgpr_workgroup_info 0
		.amdhsa_system_vgpr_workitem_id 0
		.amdhsa_next_free_vgpr 1
		.amdhsa_next_free_sgpr 0
		.amdhsa_reserve_vcc 0
		.amdhsa_reserve_flat_scratch 0
		.amdhsa_float_round_mode_32 0
		.amdhsa_float_round_mode_16_64 0
		.amdhsa_float_denorm_mode_32 3
		.amdhsa_float_denorm_mode_16_64 3
		.amdhsa_dx10_clamp 1
		.amdhsa_ieee_mode 1
		.amdhsa_fp16_overflow 0
		.amdhsa_exception_fp_ieee_invalid_op 0
		.amdhsa_exception_fp_denorm_src 0
		.amdhsa_exception_fp_ieee_div_zero 0
		.amdhsa_exception_fp_ieee_overflow 0
		.amdhsa_exception_fp_ieee_underflow 0
		.amdhsa_exception_fp_ieee_inexact 0
		.amdhsa_exception_int_div_zero 0
	.end_amdhsa_kernel
	.section	.text._ZN7rocprim17ROCPRIM_400000_NS6detail17trampoline_kernelINS0_14default_configENS1_35adjacent_difference_config_selectorILb1ExEEZNS1_24adjacent_difference_implIS3_Lb1ELb0EPxS7_N6thrust23THRUST_200600_302600_NS4plusIxEEEE10hipError_tPvRmT2_T3_mT4_P12ihipStream_tbEUlT_E_NS1_11comp_targetILNS1_3genE8ELNS1_11target_archE1030ELNS1_3gpuE2ELNS1_3repE0EEENS1_30default_config_static_selectorELNS0_4arch9wavefront6targetE1EEEvT1_,"axG",@progbits,_ZN7rocprim17ROCPRIM_400000_NS6detail17trampoline_kernelINS0_14default_configENS1_35adjacent_difference_config_selectorILb1ExEEZNS1_24adjacent_difference_implIS3_Lb1ELb0EPxS7_N6thrust23THRUST_200600_302600_NS4plusIxEEEE10hipError_tPvRmT2_T3_mT4_P12ihipStream_tbEUlT_E_NS1_11comp_targetILNS1_3genE8ELNS1_11target_archE1030ELNS1_3gpuE2ELNS1_3repE0EEENS1_30default_config_static_selectorELNS0_4arch9wavefront6targetE1EEEvT1_,comdat
.Lfunc_end306:
	.size	_ZN7rocprim17ROCPRIM_400000_NS6detail17trampoline_kernelINS0_14default_configENS1_35adjacent_difference_config_selectorILb1ExEEZNS1_24adjacent_difference_implIS3_Lb1ELb0EPxS7_N6thrust23THRUST_200600_302600_NS4plusIxEEEE10hipError_tPvRmT2_T3_mT4_P12ihipStream_tbEUlT_E_NS1_11comp_targetILNS1_3genE8ELNS1_11target_archE1030ELNS1_3gpuE2ELNS1_3repE0EEENS1_30default_config_static_selectorELNS0_4arch9wavefront6targetE1EEEvT1_, .Lfunc_end306-_ZN7rocprim17ROCPRIM_400000_NS6detail17trampoline_kernelINS0_14default_configENS1_35adjacent_difference_config_selectorILb1ExEEZNS1_24adjacent_difference_implIS3_Lb1ELb0EPxS7_N6thrust23THRUST_200600_302600_NS4plusIxEEEE10hipError_tPvRmT2_T3_mT4_P12ihipStream_tbEUlT_E_NS1_11comp_targetILNS1_3genE8ELNS1_11target_archE1030ELNS1_3gpuE2ELNS1_3repE0EEENS1_30default_config_static_selectorELNS0_4arch9wavefront6targetE1EEEvT1_
                                        ; -- End function
	.set _ZN7rocprim17ROCPRIM_400000_NS6detail17trampoline_kernelINS0_14default_configENS1_35adjacent_difference_config_selectorILb1ExEEZNS1_24adjacent_difference_implIS3_Lb1ELb0EPxS7_N6thrust23THRUST_200600_302600_NS4plusIxEEEE10hipError_tPvRmT2_T3_mT4_P12ihipStream_tbEUlT_E_NS1_11comp_targetILNS1_3genE8ELNS1_11target_archE1030ELNS1_3gpuE2ELNS1_3repE0EEENS1_30default_config_static_selectorELNS0_4arch9wavefront6targetE1EEEvT1_.num_vgpr, 0
	.set _ZN7rocprim17ROCPRIM_400000_NS6detail17trampoline_kernelINS0_14default_configENS1_35adjacent_difference_config_selectorILb1ExEEZNS1_24adjacent_difference_implIS3_Lb1ELb0EPxS7_N6thrust23THRUST_200600_302600_NS4plusIxEEEE10hipError_tPvRmT2_T3_mT4_P12ihipStream_tbEUlT_E_NS1_11comp_targetILNS1_3genE8ELNS1_11target_archE1030ELNS1_3gpuE2ELNS1_3repE0EEENS1_30default_config_static_selectorELNS0_4arch9wavefront6targetE1EEEvT1_.num_agpr, 0
	.set _ZN7rocprim17ROCPRIM_400000_NS6detail17trampoline_kernelINS0_14default_configENS1_35adjacent_difference_config_selectorILb1ExEEZNS1_24adjacent_difference_implIS3_Lb1ELb0EPxS7_N6thrust23THRUST_200600_302600_NS4plusIxEEEE10hipError_tPvRmT2_T3_mT4_P12ihipStream_tbEUlT_E_NS1_11comp_targetILNS1_3genE8ELNS1_11target_archE1030ELNS1_3gpuE2ELNS1_3repE0EEENS1_30default_config_static_selectorELNS0_4arch9wavefront6targetE1EEEvT1_.numbered_sgpr, 0
	.set _ZN7rocprim17ROCPRIM_400000_NS6detail17trampoline_kernelINS0_14default_configENS1_35adjacent_difference_config_selectorILb1ExEEZNS1_24adjacent_difference_implIS3_Lb1ELb0EPxS7_N6thrust23THRUST_200600_302600_NS4plusIxEEEE10hipError_tPvRmT2_T3_mT4_P12ihipStream_tbEUlT_E_NS1_11comp_targetILNS1_3genE8ELNS1_11target_archE1030ELNS1_3gpuE2ELNS1_3repE0EEENS1_30default_config_static_selectorELNS0_4arch9wavefront6targetE1EEEvT1_.num_named_barrier, 0
	.set _ZN7rocprim17ROCPRIM_400000_NS6detail17trampoline_kernelINS0_14default_configENS1_35adjacent_difference_config_selectorILb1ExEEZNS1_24adjacent_difference_implIS3_Lb1ELb0EPxS7_N6thrust23THRUST_200600_302600_NS4plusIxEEEE10hipError_tPvRmT2_T3_mT4_P12ihipStream_tbEUlT_E_NS1_11comp_targetILNS1_3genE8ELNS1_11target_archE1030ELNS1_3gpuE2ELNS1_3repE0EEENS1_30default_config_static_selectorELNS0_4arch9wavefront6targetE1EEEvT1_.private_seg_size, 0
	.set _ZN7rocprim17ROCPRIM_400000_NS6detail17trampoline_kernelINS0_14default_configENS1_35adjacent_difference_config_selectorILb1ExEEZNS1_24adjacent_difference_implIS3_Lb1ELb0EPxS7_N6thrust23THRUST_200600_302600_NS4plusIxEEEE10hipError_tPvRmT2_T3_mT4_P12ihipStream_tbEUlT_E_NS1_11comp_targetILNS1_3genE8ELNS1_11target_archE1030ELNS1_3gpuE2ELNS1_3repE0EEENS1_30default_config_static_selectorELNS0_4arch9wavefront6targetE1EEEvT1_.uses_vcc, 0
	.set _ZN7rocprim17ROCPRIM_400000_NS6detail17trampoline_kernelINS0_14default_configENS1_35adjacent_difference_config_selectorILb1ExEEZNS1_24adjacent_difference_implIS3_Lb1ELb0EPxS7_N6thrust23THRUST_200600_302600_NS4plusIxEEEE10hipError_tPvRmT2_T3_mT4_P12ihipStream_tbEUlT_E_NS1_11comp_targetILNS1_3genE8ELNS1_11target_archE1030ELNS1_3gpuE2ELNS1_3repE0EEENS1_30default_config_static_selectorELNS0_4arch9wavefront6targetE1EEEvT1_.uses_flat_scratch, 0
	.set _ZN7rocprim17ROCPRIM_400000_NS6detail17trampoline_kernelINS0_14default_configENS1_35adjacent_difference_config_selectorILb1ExEEZNS1_24adjacent_difference_implIS3_Lb1ELb0EPxS7_N6thrust23THRUST_200600_302600_NS4plusIxEEEE10hipError_tPvRmT2_T3_mT4_P12ihipStream_tbEUlT_E_NS1_11comp_targetILNS1_3genE8ELNS1_11target_archE1030ELNS1_3gpuE2ELNS1_3repE0EEENS1_30default_config_static_selectorELNS0_4arch9wavefront6targetE1EEEvT1_.has_dyn_sized_stack, 0
	.set _ZN7rocprim17ROCPRIM_400000_NS6detail17trampoline_kernelINS0_14default_configENS1_35adjacent_difference_config_selectorILb1ExEEZNS1_24adjacent_difference_implIS3_Lb1ELb0EPxS7_N6thrust23THRUST_200600_302600_NS4plusIxEEEE10hipError_tPvRmT2_T3_mT4_P12ihipStream_tbEUlT_E_NS1_11comp_targetILNS1_3genE8ELNS1_11target_archE1030ELNS1_3gpuE2ELNS1_3repE0EEENS1_30default_config_static_selectorELNS0_4arch9wavefront6targetE1EEEvT1_.has_recursion, 0
	.set _ZN7rocprim17ROCPRIM_400000_NS6detail17trampoline_kernelINS0_14default_configENS1_35adjacent_difference_config_selectorILb1ExEEZNS1_24adjacent_difference_implIS3_Lb1ELb0EPxS7_N6thrust23THRUST_200600_302600_NS4plusIxEEEE10hipError_tPvRmT2_T3_mT4_P12ihipStream_tbEUlT_E_NS1_11comp_targetILNS1_3genE8ELNS1_11target_archE1030ELNS1_3gpuE2ELNS1_3repE0EEENS1_30default_config_static_selectorELNS0_4arch9wavefront6targetE1EEEvT1_.has_indirect_call, 0
	.section	.AMDGPU.csdata,"",@progbits
; Kernel info:
; codeLenInByte = 0
; TotalNumSgprs: 4
; NumVgprs: 0
; ScratchSize: 0
; MemoryBound: 0
; FloatMode: 240
; IeeeMode: 1
; LDSByteSize: 0 bytes/workgroup (compile time only)
; SGPRBlocks: 0
; VGPRBlocks: 0
; NumSGPRsForWavesPerEU: 4
; NumVGPRsForWavesPerEU: 1
; Occupancy: 10
; WaveLimiterHint : 0
; COMPUTE_PGM_RSRC2:SCRATCH_EN: 0
; COMPUTE_PGM_RSRC2:USER_SGPR: 6
; COMPUTE_PGM_RSRC2:TRAP_HANDLER: 0
; COMPUTE_PGM_RSRC2:TGID_X_EN: 1
; COMPUTE_PGM_RSRC2:TGID_Y_EN: 0
; COMPUTE_PGM_RSRC2:TGID_Z_EN: 0
; COMPUTE_PGM_RSRC2:TIDIG_COMP_CNT: 0
	.section	.text._ZN7rocprim17ROCPRIM_400000_NS6detail17trampoline_kernelINS0_14default_configENS1_35adjacent_difference_config_selectorILb0EiEEZNS1_24adjacent_difference_implIS3_Lb0ELb0EPiS7_N6thrust23THRUST_200600_302600_NS5minusIiEEEE10hipError_tPvRmT2_T3_mT4_P12ihipStream_tbEUlT_E_NS1_11comp_targetILNS1_3genE0ELNS1_11target_archE4294967295ELNS1_3gpuE0ELNS1_3repE0EEENS1_30default_config_static_selectorELNS0_4arch9wavefront6targetE1EEEvT1_,"axG",@progbits,_ZN7rocprim17ROCPRIM_400000_NS6detail17trampoline_kernelINS0_14default_configENS1_35adjacent_difference_config_selectorILb0EiEEZNS1_24adjacent_difference_implIS3_Lb0ELb0EPiS7_N6thrust23THRUST_200600_302600_NS5minusIiEEEE10hipError_tPvRmT2_T3_mT4_P12ihipStream_tbEUlT_E_NS1_11comp_targetILNS1_3genE0ELNS1_11target_archE4294967295ELNS1_3gpuE0ELNS1_3repE0EEENS1_30default_config_static_selectorELNS0_4arch9wavefront6targetE1EEEvT1_,comdat
	.protected	_ZN7rocprim17ROCPRIM_400000_NS6detail17trampoline_kernelINS0_14default_configENS1_35adjacent_difference_config_selectorILb0EiEEZNS1_24adjacent_difference_implIS3_Lb0ELb0EPiS7_N6thrust23THRUST_200600_302600_NS5minusIiEEEE10hipError_tPvRmT2_T3_mT4_P12ihipStream_tbEUlT_E_NS1_11comp_targetILNS1_3genE0ELNS1_11target_archE4294967295ELNS1_3gpuE0ELNS1_3repE0EEENS1_30default_config_static_selectorELNS0_4arch9wavefront6targetE1EEEvT1_ ; -- Begin function _ZN7rocprim17ROCPRIM_400000_NS6detail17trampoline_kernelINS0_14default_configENS1_35adjacent_difference_config_selectorILb0EiEEZNS1_24adjacent_difference_implIS3_Lb0ELb0EPiS7_N6thrust23THRUST_200600_302600_NS5minusIiEEEE10hipError_tPvRmT2_T3_mT4_P12ihipStream_tbEUlT_E_NS1_11comp_targetILNS1_3genE0ELNS1_11target_archE4294967295ELNS1_3gpuE0ELNS1_3repE0EEENS1_30default_config_static_selectorELNS0_4arch9wavefront6targetE1EEEvT1_
	.globl	_ZN7rocprim17ROCPRIM_400000_NS6detail17trampoline_kernelINS0_14default_configENS1_35adjacent_difference_config_selectorILb0EiEEZNS1_24adjacent_difference_implIS3_Lb0ELb0EPiS7_N6thrust23THRUST_200600_302600_NS5minusIiEEEE10hipError_tPvRmT2_T3_mT4_P12ihipStream_tbEUlT_E_NS1_11comp_targetILNS1_3genE0ELNS1_11target_archE4294967295ELNS1_3gpuE0ELNS1_3repE0EEENS1_30default_config_static_selectorELNS0_4arch9wavefront6targetE1EEEvT1_
	.p2align	8
	.type	_ZN7rocprim17ROCPRIM_400000_NS6detail17trampoline_kernelINS0_14default_configENS1_35adjacent_difference_config_selectorILb0EiEEZNS1_24adjacent_difference_implIS3_Lb0ELb0EPiS7_N6thrust23THRUST_200600_302600_NS5minusIiEEEE10hipError_tPvRmT2_T3_mT4_P12ihipStream_tbEUlT_E_NS1_11comp_targetILNS1_3genE0ELNS1_11target_archE4294967295ELNS1_3gpuE0ELNS1_3repE0EEENS1_30default_config_static_selectorELNS0_4arch9wavefront6targetE1EEEvT1_,@function
_ZN7rocprim17ROCPRIM_400000_NS6detail17trampoline_kernelINS0_14default_configENS1_35adjacent_difference_config_selectorILb0EiEEZNS1_24adjacent_difference_implIS3_Lb0ELb0EPiS7_N6thrust23THRUST_200600_302600_NS5minusIiEEEE10hipError_tPvRmT2_T3_mT4_P12ihipStream_tbEUlT_E_NS1_11comp_targetILNS1_3genE0ELNS1_11target_archE4294967295ELNS1_3gpuE0ELNS1_3repE0EEENS1_30default_config_static_selectorELNS0_4arch9wavefront6targetE1EEEvT1_: ; @_ZN7rocprim17ROCPRIM_400000_NS6detail17trampoline_kernelINS0_14default_configENS1_35adjacent_difference_config_selectorILb0EiEEZNS1_24adjacent_difference_implIS3_Lb0ELb0EPiS7_N6thrust23THRUST_200600_302600_NS5minusIiEEEE10hipError_tPvRmT2_T3_mT4_P12ihipStream_tbEUlT_E_NS1_11comp_targetILNS1_3genE0ELNS1_11target_archE4294967295ELNS1_3gpuE0ELNS1_3repE0EEENS1_30default_config_static_selectorELNS0_4arch9wavefront6targetE1EEEvT1_
; %bb.0:
	.section	.rodata,"a",@progbits
	.p2align	6, 0x0
	.amdhsa_kernel _ZN7rocprim17ROCPRIM_400000_NS6detail17trampoline_kernelINS0_14default_configENS1_35adjacent_difference_config_selectorILb0EiEEZNS1_24adjacent_difference_implIS3_Lb0ELb0EPiS7_N6thrust23THRUST_200600_302600_NS5minusIiEEEE10hipError_tPvRmT2_T3_mT4_P12ihipStream_tbEUlT_E_NS1_11comp_targetILNS1_3genE0ELNS1_11target_archE4294967295ELNS1_3gpuE0ELNS1_3repE0EEENS1_30default_config_static_selectorELNS0_4arch9wavefront6targetE1EEEvT1_
		.amdhsa_group_segment_fixed_size 0
		.amdhsa_private_segment_fixed_size 0
		.amdhsa_kernarg_size 56
		.amdhsa_user_sgpr_count 6
		.amdhsa_user_sgpr_private_segment_buffer 1
		.amdhsa_user_sgpr_dispatch_ptr 0
		.amdhsa_user_sgpr_queue_ptr 0
		.amdhsa_user_sgpr_kernarg_segment_ptr 1
		.amdhsa_user_sgpr_dispatch_id 0
		.amdhsa_user_sgpr_flat_scratch_init 0
		.amdhsa_user_sgpr_private_segment_size 0
		.amdhsa_uses_dynamic_stack 0
		.amdhsa_system_sgpr_private_segment_wavefront_offset 0
		.amdhsa_system_sgpr_workgroup_id_x 1
		.amdhsa_system_sgpr_workgroup_id_y 0
		.amdhsa_system_sgpr_workgroup_id_z 0
		.amdhsa_system_sgpr_workgroup_info 0
		.amdhsa_system_vgpr_workitem_id 0
		.amdhsa_next_free_vgpr 1
		.amdhsa_next_free_sgpr 0
		.amdhsa_reserve_vcc 0
		.amdhsa_reserve_flat_scratch 0
		.amdhsa_float_round_mode_32 0
		.amdhsa_float_round_mode_16_64 0
		.amdhsa_float_denorm_mode_32 3
		.amdhsa_float_denorm_mode_16_64 3
		.amdhsa_dx10_clamp 1
		.amdhsa_ieee_mode 1
		.amdhsa_fp16_overflow 0
		.amdhsa_exception_fp_ieee_invalid_op 0
		.amdhsa_exception_fp_denorm_src 0
		.amdhsa_exception_fp_ieee_div_zero 0
		.amdhsa_exception_fp_ieee_overflow 0
		.amdhsa_exception_fp_ieee_underflow 0
		.amdhsa_exception_fp_ieee_inexact 0
		.amdhsa_exception_int_div_zero 0
	.end_amdhsa_kernel
	.section	.text._ZN7rocprim17ROCPRIM_400000_NS6detail17trampoline_kernelINS0_14default_configENS1_35adjacent_difference_config_selectorILb0EiEEZNS1_24adjacent_difference_implIS3_Lb0ELb0EPiS7_N6thrust23THRUST_200600_302600_NS5minusIiEEEE10hipError_tPvRmT2_T3_mT4_P12ihipStream_tbEUlT_E_NS1_11comp_targetILNS1_3genE0ELNS1_11target_archE4294967295ELNS1_3gpuE0ELNS1_3repE0EEENS1_30default_config_static_selectorELNS0_4arch9wavefront6targetE1EEEvT1_,"axG",@progbits,_ZN7rocprim17ROCPRIM_400000_NS6detail17trampoline_kernelINS0_14default_configENS1_35adjacent_difference_config_selectorILb0EiEEZNS1_24adjacent_difference_implIS3_Lb0ELb0EPiS7_N6thrust23THRUST_200600_302600_NS5minusIiEEEE10hipError_tPvRmT2_T3_mT4_P12ihipStream_tbEUlT_E_NS1_11comp_targetILNS1_3genE0ELNS1_11target_archE4294967295ELNS1_3gpuE0ELNS1_3repE0EEENS1_30default_config_static_selectorELNS0_4arch9wavefront6targetE1EEEvT1_,comdat
.Lfunc_end307:
	.size	_ZN7rocprim17ROCPRIM_400000_NS6detail17trampoline_kernelINS0_14default_configENS1_35adjacent_difference_config_selectorILb0EiEEZNS1_24adjacent_difference_implIS3_Lb0ELb0EPiS7_N6thrust23THRUST_200600_302600_NS5minusIiEEEE10hipError_tPvRmT2_T3_mT4_P12ihipStream_tbEUlT_E_NS1_11comp_targetILNS1_3genE0ELNS1_11target_archE4294967295ELNS1_3gpuE0ELNS1_3repE0EEENS1_30default_config_static_selectorELNS0_4arch9wavefront6targetE1EEEvT1_, .Lfunc_end307-_ZN7rocprim17ROCPRIM_400000_NS6detail17trampoline_kernelINS0_14default_configENS1_35adjacent_difference_config_selectorILb0EiEEZNS1_24adjacent_difference_implIS3_Lb0ELb0EPiS7_N6thrust23THRUST_200600_302600_NS5minusIiEEEE10hipError_tPvRmT2_T3_mT4_P12ihipStream_tbEUlT_E_NS1_11comp_targetILNS1_3genE0ELNS1_11target_archE4294967295ELNS1_3gpuE0ELNS1_3repE0EEENS1_30default_config_static_selectorELNS0_4arch9wavefront6targetE1EEEvT1_
                                        ; -- End function
	.set _ZN7rocprim17ROCPRIM_400000_NS6detail17trampoline_kernelINS0_14default_configENS1_35adjacent_difference_config_selectorILb0EiEEZNS1_24adjacent_difference_implIS3_Lb0ELb0EPiS7_N6thrust23THRUST_200600_302600_NS5minusIiEEEE10hipError_tPvRmT2_T3_mT4_P12ihipStream_tbEUlT_E_NS1_11comp_targetILNS1_3genE0ELNS1_11target_archE4294967295ELNS1_3gpuE0ELNS1_3repE0EEENS1_30default_config_static_selectorELNS0_4arch9wavefront6targetE1EEEvT1_.num_vgpr, 0
	.set _ZN7rocprim17ROCPRIM_400000_NS6detail17trampoline_kernelINS0_14default_configENS1_35adjacent_difference_config_selectorILb0EiEEZNS1_24adjacent_difference_implIS3_Lb0ELb0EPiS7_N6thrust23THRUST_200600_302600_NS5minusIiEEEE10hipError_tPvRmT2_T3_mT4_P12ihipStream_tbEUlT_E_NS1_11comp_targetILNS1_3genE0ELNS1_11target_archE4294967295ELNS1_3gpuE0ELNS1_3repE0EEENS1_30default_config_static_selectorELNS0_4arch9wavefront6targetE1EEEvT1_.num_agpr, 0
	.set _ZN7rocprim17ROCPRIM_400000_NS6detail17trampoline_kernelINS0_14default_configENS1_35adjacent_difference_config_selectorILb0EiEEZNS1_24adjacent_difference_implIS3_Lb0ELb0EPiS7_N6thrust23THRUST_200600_302600_NS5minusIiEEEE10hipError_tPvRmT2_T3_mT4_P12ihipStream_tbEUlT_E_NS1_11comp_targetILNS1_3genE0ELNS1_11target_archE4294967295ELNS1_3gpuE0ELNS1_3repE0EEENS1_30default_config_static_selectorELNS0_4arch9wavefront6targetE1EEEvT1_.numbered_sgpr, 0
	.set _ZN7rocprim17ROCPRIM_400000_NS6detail17trampoline_kernelINS0_14default_configENS1_35adjacent_difference_config_selectorILb0EiEEZNS1_24adjacent_difference_implIS3_Lb0ELb0EPiS7_N6thrust23THRUST_200600_302600_NS5minusIiEEEE10hipError_tPvRmT2_T3_mT4_P12ihipStream_tbEUlT_E_NS1_11comp_targetILNS1_3genE0ELNS1_11target_archE4294967295ELNS1_3gpuE0ELNS1_3repE0EEENS1_30default_config_static_selectorELNS0_4arch9wavefront6targetE1EEEvT1_.num_named_barrier, 0
	.set _ZN7rocprim17ROCPRIM_400000_NS6detail17trampoline_kernelINS0_14default_configENS1_35adjacent_difference_config_selectorILb0EiEEZNS1_24adjacent_difference_implIS3_Lb0ELb0EPiS7_N6thrust23THRUST_200600_302600_NS5minusIiEEEE10hipError_tPvRmT2_T3_mT4_P12ihipStream_tbEUlT_E_NS1_11comp_targetILNS1_3genE0ELNS1_11target_archE4294967295ELNS1_3gpuE0ELNS1_3repE0EEENS1_30default_config_static_selectorELNS0_4arch9wavefront6targetE1EEEvT1_.private_seg_size, 0
	.set _ZN7rocprim17ROCPRIM_400000_NS6detail17trampoline_kernelINS0_14default_configENS1_35adjacent_difference_config_selectorILb0EiEEZNS1_24adjacent_difference_implIS3_Lb0ELb0EPiS7_N6thrust23THRUST_200600_302600_NS5minusIiEEEE10hipError_tPvRmT2_T3_mT4_P12ihipStream_tbEUlT_E_NS1_11comp_targetILNS1_3genE0ELNS1_11target_archE4294967295ELNS1_3gpuE0ELNS1_3repE0EEENS1_30default_config_static_selectorELNS0_4arch9wavefront6targetE1EEEvT1_.uses_vcc, 0
	.set _ZN7rocprim17ROCPRIM_400000_NS6detail17trampoline_kernelINS0_14default_configENS1_35adjacent_difference_config_selectorILb0EiEEZNS1_24adjacent_difference_implIS3_Lb0ELb0EPiS7_N6thrust23THRUST_200600_302600_NS5minusIiEEEE10hipError_tPvRmT2_T3_mT4_P12ihipStream_tbEUlT_E_NS1_11comp_targetILNS1_3genE0ELNS1_11target_archE4294967295ELNS1_3gpuE0ELNS1_3repE0EEENS1_30default_config_static_selectorELNS0_4arch9wavefront6targetE1EEEvT1_.uses_flat_scratch, 0
	.set _ZN7rocprim17ROCPRIM_400000_NS6detail17trampoline_kernelINS0_14default_configENS1_35adjacent_difference_config_selectorILb0EiEEZNS1_24adjacent_difference_implIS3_Lb0ELb0EPiS7_N6thrust23THRUST_200600_302600_NS5minusIiEEEE10hipError_tPvRmT2_T3_mT4_P12ihipStream_tbEUlT_E_NS1_11comp_targetILNS1_3genE0ELNS1_11target_archE4294967295ELNS1_3gpuE0ELNS1_3repE0EEENS1_30default_config_static_selectorELNS0_4arch9wavefront6targetE1EEEvT1_.has_dyn_sized_stack, 0
	.set _ZN7rocprim17ROCPRIM_400000_NS6detail17trampoline_kernelINS0_14default_configENS1_35adjacent_difference_config_selectorILb0EiEEZNS1_24adjacent_difference_implIS3_Lb0ELb0EPiS7_N6thrust23THRUST_200600_302600_NS5minusIiEEEE10hipError_tPvRmT2_T3_mT4_P12ihipStream_tbEUlT_E_NS1_11comp_targetILNS1_3genE0ELNS1_11target_archE4294967295ELNS1_3gpuE0ELNS1_3repE0EEENS1_30default_config_static_selectorELNS0_4arch9wavefront6targetE1EEEvT1_.has_recursion, 0
	.set _ZN7rocprim17ROCPRIM_400000_NS6detail17trampoline_kernelINS0_14default_configENS1_35adjacent_difference_config_selectorILb0EiEEZNS1_24adjacent_difference_implIS3_Lb0ELb0EPiS7_N6thrust23THRUST_200600_302600_NS5minusIiEEEE10hipError_tPvRmT2_T3_mT4_P12ihipStream_tbEUlT_E_NS1_11comp_targetILNS1_3genE0ELNS1_11target_archE4294967295ELNS1_3gpuE0ELNS1_3repE0EEENS1_30default_config_static_selectorELNS0_4arch9wavefront6targetE1EEEvT1_.has_indirect_call, 0
	.section	.AMDGPU.csdata,"",@progbits
; Kernel info:
; codeLenInByte = 0
; TotalNumSgprs: 4
; NumVgprs: 0
; ScratchSize: 0
; MemoryBound: 0
; FloatMode: 240
; IeeeMode: 1
; LDSByteSize: 0 bytes/workgroup (compile time only)
; SGPRBlocks: 0
; VGPRBlocks: 0
; NumSGPRsForWavesPerEU: 4
; NumVGPRsForWavesPerEU: 1
; Occupancy: 10
; WaveLimiterHint : 0
; COMPUTE_PGM_RSRC2:SCRATCH_EN: 0
; COMPUTE_PGM_RSRC2:USER_SGPR: 6
; COMPUTE_PGM_RSRC2:TRAP_HANDLER: 0
; COMPUTE_PGM_RSRC2:TGID_X_EN: 1
; COMPUTE_PGM_RSRC2:TGID_Y_EN: 0
; COMPUTE_PGM_RSRC2:TGID_Z_EN: 0
; COMPUTE_PGM_RSRC2:TIDIG_COMP_CNT: 0
	.section	.text._ZN7rocprim17ROCPRIM_400000_NS6detail17trampoline_kernelINS0_14default_configENS1_35adjacent_difference_config_selectorILb0EiEEZNS1_24adjacent_difference_implIS3_Lb0ELb0EPiS7_N6thrust23THRUST_200600_302600_NS5minusIiEEEE10hipError_tPvRmT2_T3_mT4_P12ihipStream_tbEUlT_E_NS1_11comp_targetILNS1_3genE10ELNS1_11target_archE1201ELNS1_3gpuE5ELNS1_3repE0EEENS1_30default_config_static_selectorELNS0_4arch9wavefront6targetE1EEEvT1_,"axG",@progbits,_ZN7rocprim17ROCPRIM_400000_NS6detail17trampoline_kernelINS0_14default_configENS1_35adjacent_difference_config_selectorILb0EiEEZNS1_24adjacent_difference_implIS3_Lb0ELb0EPiS7_N6thrust23THRUST_200600_302600_NS5minusIiEEEE10hipError_tPvRmT2_T3_mT4_P12ihipStream_tbEUlT_E_NS1_11comp_targetILNS1_3genE10ELNS1_11target_archE1201ELNS1_3gpuE5ELNS1_3repE0EEENS1_30default_config_static_selectorELNS0_4arch9wavefront6targetE1EEEvT1_,comdat
	.protected	_ZN7rocprim17ROCPRIM_400000_NS6detail17trampoline_kernelINS0_14default_configENS1_35adjacent_difference_config_selectorILb0EiEEZNS1_24adjacent_difference_implIS3_Lb0ELb0EPiS7_N6thrust23THRUST_200600_302600_NS5minusIiEEEE10hipError_tPvRmT2_T3_mT4_P12ihipStream_tbEUlT_E_NS1_11comp_targetILNS1_3genE10ELNS1_11target_archE1201ELNS1_3gpuE5ELNS1_3repE0EEENS1_30default_config_static_selectorELNS0_4arch9wavefront6targetE1EEEvT1_ ; -- Begin function _ZN7rocprim17ROCPRIM_400000_NS6detail17trampoline_kernelINS0_14default_configENS1_35adjacent_difference_config_selectorILb0EiEEZNS1_24adjacent_difference_implIS3_Lb0ELb0EPiS7_N6thrust23THRUST_200600_302600_NS5minusIiEEEE10hipError_tPvRmT2_T3_mT4_P12ihipStream_tbEUlT_E_NS1_11comp_targetILNS1_3genE10ELNS1_11target_archE1201ELNS1_3gpuE5ELNS1_3repE0EEENS1_30default_config_static_selectorELNS0_4arch9wavefront6targetE1EEEvT1_
	.globl	_ZN7rocprim17ROCPRIM_400000_NS6detail17trampoline_kernelINS0_14default_configENS1_35adjacent_difference_config_selectorILb0EiEEZNS1_24adjacent_difference_implIS3_Lb0ELb0EPiS7_N6thrust23THRUST_200600_302600_NS5minusIiEEEE10hipError_tPvRmT2_T3_mT4_P12ihipStream_tbEUlT_E_NS1_11comp_targetILNS1_3genE10ELNS1_11target_archE1201ELNS1_3gpuE5ELNS1_3repE0EEENS1_30default_config_static_selectorELNS0_4arch9wavefront6targetE1EEEvT1_
	.p2align	8
	.type	_ZN7rocprim17ROCPRIM_400000_NS6detail17trampoline_kernelINS0_14default_configENS1_35adjacent_difference_config_selectorILb0EiEEZNS1_24adjacent_difference_implIS3_Lb0ELb0EPiS7_N6thrust23THRUST_200600_302600_NS5minusIiEEEE10hipError_tPvRmT2_T3_mT4_P12ihipStream_tbEUlT_E_NS1_11comp_targetILNS1_3genE10ELNS1_11target_archE1201ELNS1_3gpuE5ELNS1_3repE0EEENS1_30default_config_static_selectorELNS0_4arch9wavefront6targetE1EEEvT1_,@function
_ZN7rocprim17ROCPRIM_400000_NS6detail17trampoline_kernelINS0_14default_configENS1_35adjacent_difference_config_selectorILb0EiEEZNS1_24adjacent_difference_implIS3_Lb0ELb0EPiS7_N6thrust23THRUST_200600_302600_NS5minusIiEEEE10hipError_tPvRmT2_T3_mT4_P12ihipStream_tbEUlT_E_NS1_11comp_targetILNS1_3genE10ELNS1_11target_archE1201ELNS1_3gpuE5ELNS1_3repE0EEENS1_30default_config_static_selectorELNS0_4arch9wavefront6targetE1EEEvT1_: ; @_ZN7rocprim17ROCPRIM_400000_NS6detail17trampoline_kernelINS0_14default_configENS1_35adjacent_difference_config_selectorILb0EiEEZNS1_24adjacent_difference_implIS3_Lb0ELb0EPiS7_N6thrust23THRUST_200600_302600_NS5minusIiEEEE10hipError_tPvRmT2_T3_mT4_P12ihipStream_tbEUlT_E_NS1_11comp_targetILNS1_3genE10ELNS1_11target_archE1201ELNS1_3gpuE5ELNS1_3repE0EEENS1_30default_config_static_selectorELNS0_4arch9wavefront6targetE1EEEvT1_
; %bb.0:
	.section	.rodata,"a",@progbits
	.p2align	6, 0x0
	.amdhsa_kernel _ZN7rocprim17ROCPRIM_400000_NS6detail17trampoline_kernelINS0_14default_configENS1_35adjacent_difference_config_selectorILb0EiEEZNS1_24adjacent_difference_implIS3_Lb0ELb0EPiS7_N6thrust23THRUST_200600_302600_NS5minusIiEEEE10hipError_tPvRmT2_T3_mT4_P12ihipStream_tbEUlT_E_NS1_11comp_targetILNS1_3genE10ELNS1_11target_archE1201ELNS1_3gpuE5ELNS1_3repE0EEENS1_30default_config_static_selectorELNS0_4arch9wavefront6targetE1EEEvT1_
		.amdhsa_group_segment_fixed_size 0
		.amdhsa_private_segment_fixed_size 0
		.amdhsa_kernarg_size 56
		.amdhsa_user_sgpr_count 6
		.amdhsa_user_sgpr_private_segment_buffer 1
		.amdhsa_user_sgpr_dispatch_ptr 0
		.amdhsa_user_sgpr_queue_ptr 0
		.amdhsa_user_sgpr_kernarg_segment_ptr 1
		.amdhsa_user_sgpr_dispatch_id 0
		.amdhsa_user_sgpr_flat_scratch_init 0
		.amdhsa_user_sgpr_private_segment_size 0
		.amdhsa_uses_dynamic_stack 0
		.amdhsa_system_sgpr_private_segment_wavefront_offset 0
		.amdhsa_system_sgpr_workgroup_id_x 1
		.amdhsa_system_sgpr_workgroup_id_y 0
		.amdhsa_system_sgpr_workgroup_id_z 0
		.amdhsa_system_sgpr_workgroup_info 0
		.amdhsa_system_vgpr_workitem_id 0
		.amdhsa_next_free_vgpr 1
		.amdhsa_next_free_sgpr 0
		.amdhsa_reserve_vcc 0
		.amdhsa_reserve_flat_scratch 0
		.amdhsa_float_round_mode_32 0
		.amdhsa_float_round_mode_16_64 0
		.amdhsa_float_denorm_mode_32 3
		.amdhsa_float_denorm_mode_16_64 3
		.amdhsa_dx10_clamp 1
		.amdhsa_ieee_mode 1
		.amdhsa_fp16_overflow 0
		.amdhsa_exception_fp_ieee_invalid_op 0
		.amdhsa_exception_fp_denorm_src 0
		.amdhsa_exception_fp_ieee_div_zero 0
		.amdhsa_exception_fp_ieee_overflow 0
		.amdhsa_exception_fp_ieee_underflow 0
		.amdhsa_exception_fp_ieee_inexact 0
		.amdhsa_exception_int_div_zero 0
	.end_amdhsa_kernel
	.section	.text._ZN7rocprim17ROCPRIM_400000_NS6detail17trampoline_kernelINS0_14default_configENS1_35adjacent_difference_config_selectorILb0EiEEZNS1_24adjacent_difference_implIS3_Lb0ELb0EPiS7_N6thrust23THRUST_200600_302600_NS5minusIiEEEE10hipError_tPvRmT2_T3_mT4_P12ihipStream_tbEUlT_E_NS1_11comp_targetILNS1_3genE10ELNS1_11target_archE1201ELNS1_3gpuE5ELNS1_3repE0EEENS1_30default_config_static_selectorELNS0_4arch9wavefront6targetE1EEEvT1_,"axG",@progbits,_ZN7rocprim17ROCPRIM_400000_NS6detail17trampoline_kernelINS0_14default_configENS1_35adjacent_difference_config_selectorILb0EiEEZNS1_24adjacent_difference_implIS3_Lb0ELb0EPiS7_N6thrust23THRUST_200600_302600_NS5minusIiEEEE10hipError_tPvRmT2_T3_mT4_P12ihipStream_tbEUlT_E_NS1_11comp_targetILNS1_3genE10ELNS1_11target_archE1201ELNS1_3gpuE5ELNS1_3repE0EEENS1_30default_config_static_selectorELNS0_4arch9wavefront6targetE1EEEvT1_,comdat
.Lfunc_end308:
	.size	_ZN7rocprim17ROCPRIM_400000_NS6detail17trampoline_kernelINS0_14default_configENS1_35adjacent_difference_config_selectorILb0EiEEZNS1_24adjacent_difference_implIS3_Lb0ELb0EPiS7_N6thrust23THRUST_200600_302600_NS5minusIiEEEE10hipError_tPvRmT2_T3_mT4_P12ihipStream_tbEUlT_E_NS1_11comp_targetILNS1_3genE10ELNS1_11target_archE1201ELNS1_3gpuE5ELNS1_3repE0EEENS1_30default_config_static_selectorELNS0_4arch9wavefront6targetE1EEEvT1_, .Lfunc_end308-_ZN7rocprim17ROCPRIM_400000_NS6detail17trampoline_kernelINS0_14default_configENS1_35adjacent_difference_config_selectorILb0EiEEZNS1_24adjacent_difference_implIS3_Lb0ELb0EPiS7_N6thrust23THRUST_200600_302600_NS5minusIiEEEE10hipError_tPvRmT2_T3_mT4_P12ihipStream_tbEUlT_E_NS1_11comp_targetILNS1_3genE10ELNS1_11target_archE1201ELNS1_3gpuE5ELNS1_3repE0EEENS1_30default_config_static_selectorELNS0_4arch9wavefront6targetE1EEEvT1_
                                        ; -- End function
	.set _ZN7rocprim17ROCPRIM_400000_NS6detail17trampoline_kernelINS0_14default_configENS1_35adjacent_difference_config_selectorILb0EiEEZNS1_24adjacent_difference_implIS3_Lb0ELb0EPiS7_N6thrust23THRUST_200600_302600_NS5minusIiEEEE10hipError_tPvRmT2_T3_mT4_P12ihipStream_tbEUlT_E_NS1_11comp_targetILNS1_3genE10ELNS1_11target_archE1201ELNS1_3gpuE5ELNS1_3repE0EEENS1_30default_config_static_selectorELNS0_4arch9wavefront6targetE1EEEvT1_.num_vgpr, 0
	.set _ZN7rocprim17ROCPRIM_400000_NS6detail17trampoline_kernelINS0_14default_configENS1_35adjacent_difference_config_selectorILb0EiEEZNS1_24adjacent_difference_implIS3_Lb0ELb0EPiS7_N6thrust23THRUST_200600_302600_NS5minusIiEEEE10hipError_tPvRmT2_T3_mT4_P12ihipStream_tbEUlT_E_NS1_11comp_targetILNS1_3genE10ELNS1_11target_archE1201ELNS1_3gpuE5ELNS1_3repE0EEENS1_30default_config_static_selectorELNS0_4arch9wavefront6targetE1EEEvT1_.num_agpr, 0
	.set _ZN7rocprim17ROCPRIM_400000_NS6detail17trampoline_kernelINS0_14default_configENS1_35adjacent_difference_config_selectorILb0EiEEZNS1_24adjacent_difference_implIS3_Lb0ELb0EPiS7_N6thrust23THRUST_200600_302600_NS5minusIiEEEE10hipError_tPvRmT2_T3_mT4_P12ihipStream_tbEUlT_E_NS1_11comp_targetILNS1_3genE10ELNS1_11target_archE1201ELNS1_3gpuE5ELNS1_3repE0EEENS1_30default_config_static_selectorELNS0_4arch9wavefront6targetE1EEEvT1_.numbered_sgpr, 0
	.set _ZN7rocprim17ROCPRIM_400000_NS6detail17trampoline_kernelINS0_14default_configENS1_35adjacent_difference_config_selectorILb0EiEEZNS1_24adjacent_difference_implIS3_Lb0ELb0EPiS7_N6thrust23THRUST_200600_302600_NS5minusIiEEEE10hipError_tPvRmT2_T3_mT4_P12ihipStream_tbEUlT_E_NS1_11comp_targetILNS1_3genE10ELNS1_11target_archE1201ELNS1_3gpuE5ELNS1_3repE0EEENS1_30default_config_static_selectorELNS0_4arch9wavefront6targetE1EEEvT1_.num_named_barrier, 0
	.set _ZN7rocprim17ROCPRIM_400000_NS6detail17trampoline_kernelINS0_14default_configENS1_35adjacent_difference_config_selectorILb0EiEEZNS1_24adjacent_difference_implIS3_Lb0ELb0EPiS7_N6thrust23THRUST_200600_302600_NS5minusIiEEEE10hipError_tPvRmT2_T3_mT4_P12ihipStream_tbEUlT_E_NS1_11comp_targetILNS1_3genE10ELNS1_11target_archE1201ELNS1_3gpuE5ELNS1_3repE0EEENS1_30default_config_static_selectorELNS0_4arch9wavefront6targetE1EEEvT1_.private_seg_size, 0
	.set _ZN7rocprim17ROCPRIM_400000_NS6detail17trampoline_kernelINS0_14default_configENS1_35adjacent_difference_config_selectorILb0EiEEZNS1_24adjacent_difference_implIS3_Lb0ELb0EPiS7_N6thrust23THRUST_200600_302600_NS5minusIiEEEE10hipError_tPvRmT2_T3_mT4_P12ihipStream_tbEUlT_E_NS1_11comp_targetILNS1_3genE10ELNS1_11target_archE1201ELNS1_3gpuE5ELNS1_3repE0EEENS1_30default_config_static_selectorELNS0_4arch9wavefront6targetE1EEEvT1_.uses_vcc, 0
	.set _ZN7rocprim17ROCPRIM_400000_NS6detail17trampoline_kernelINS0_14default_configENS1_35adjacent_difference_config_selectorILb0EiEEZNS1_24adjacent_difference_implIS3_Lb0ELb0EPiS7_N6thrust23THRUST_200600_302600_NS5minusIiEEEE10hipError_tPvRmT2_T3_mT4_P12ihipStream_tbEUlT_E_NS1_11comp_targetILNS1_3genE10ELNS1_11target_archE1201ELNS1_3gpuE5ELNS1_3repE0EEENS1_30default_config_static_selectorELNS0_4arch9wavefront6targetE1EEEvT1_.uses_flat_scratch, 0
	.set _ZN7rocprim17ROCPRIM_400000_NS6detail17trampoline_kernelINS0_14default_configENS1_35adjacent_difference_config_selectorILb0EiEEZNS1_24adjacent_difference_implIS3_Lb0ELb0EPiS7_N6thrust23THRUST_200600_302600_NS5minusIiEEEE10hipError_tPvRmT2_T3_mT4_P12ihipStream_tbEUlT_E_NS1_11comp_targetILNS1_3genE10ELNS1_11target_archE1201ELNS1_3gpuE5ELNS1_3repE0EEENS1_30default_config_static_selectorELNS0_4arch9wavefront6targetE1EEEvT1_.has_dyn_sized_stack, 0
	.set _ZN7rocprim17ROCPRIM_400000_NS6detail17trampoline_kernelINS0_14default_configENS1_35adjacent_difference_config_selectorILb0EiEEZNS1_24adjacent_difference_implIS3_Lb0ELb0EPiS7_N6thrust23THRUST_200600_302600_NS5minusIiEEEE10hipError_tPvRmT2_T3_mT4_P12ihipStream_tbEUlT_E_NS1_11comp_targetILNS1_3genE10ELNS1_11target_archE1201ELNS1_3gpuE5ELNS1_3repE0EEENS1_30default_config_static_selectorELNS0_4arch9wavefront6targetE1EEEvT1_.has_recursion, 0
	.set _ZN7rocprim17ROCPRIM_400000_NS6detail17trampoline_kernelINS0_14default_configENS1_35adjacent_difference_config_selectorILb0EiEEZNS1_24adjacent_difference_implIS3_Lb0ELb0EPiS7_N6thrust23THRUST_200600_302600_NS5minusIiEEEE10hipError_tPvRmT2_T3_mT4_P12ihipStream_tbEUlT_E_NS1_11comp_targetILNS1_3genE10ELNS1_11target_archE1201ELNS1_3gpuE5ELNS1_3repE0EEENS1_30default_config_static_selectorELNS0_4arch9wavefront6targetE1EEEvT1_.has_indirect_call, 0
	.section	.AMDGPU.csdata,"",@progbits
; Kernel info:
; codeLenInByte = 0
; TotalNumSgprs: 4
; NumVgprs: 0
; ScratchSize: 0
; MemoryBound: 0
; FloatMode: 240
; IeeeMode: 1
; LDSByteSize: 0 bytes/workgroup (compile time only)
; SGPRBlocks: 0
; VGPRBlocks: 0
; NumSGPRsForWavesPerEU: 4
; NumVGPRsForWavesPerEU: 1
; Occupancy: 10
; WaveLimiterHint : 0
; COMPUTE_PGM_RSRC2:SCRATCH_EN: 0
; COMPUTE_PGM_RSRC2:USER_SGPR: 6
; COMPUTE_PGM_RSRC2:TRAP_HANDLER: 0
; COMPUTE_PGM_RSRC2:TGID_X_EN: 1
; COMPUTE_PGM_RSRC2:TGID_Y_EN: 0
; COMPUTE_PGM_RSRC2:TGID_Z_EN: 0
; COMPUTE_PGM_RSRC2:TIDIG_COMP_CNT: 0
	.section	.text._ZN7rocprim17ROCPRIM_400000_NS6detail17trampoline_kernelINS0_14default_configENS1_35adjacent_difference_config_selectorILb0EiEEZNS1_24adjacent_difference_implIS3_Lb0ELb0EPiS7_N6thrust23THRUST_200600_302600_NS5minusIiEEEE10hipError_tPvRmT2_T3_mT4_P12ihipStream_tbEUlT_E_NS1_11comp_targetILNS1_3genE5ELNS1_11target_archE942ELNS1_3gpuE9ELNS1_3repE0EEENS1_30default_config_static_selectorELNS0_4arch9wavefront6targetE1EEEvT1_,"axG",@progbits,_ZN7rocprim17ROCPRIM_400000_NS6detail17trampoline_kernelINS0_14default_configENS1_35adjacent_difference_config_selectorILb0EiEEZNS1_24adjacent_difference_implIS3_Lb0ELb0EPiS7_N6thrust23THRUST_200600_302600_NS5minusIiEEEE10hipError_tPvRmT2_T3_mT4_P12ihipStream_tbEUlT_E_NS1_11comp_targetILNS1_3genE5ELNS1_11target_archE942ELNS1_3gpuE9ELNS1_3repE0EEENS1_30default_config_static_selectorELNS0_4arch9wavefront6targetE1EEEvT1_,comdat
	.protected	_ZN7rocprim17ROCPRIM_400000_NS6detail17trampoline_kernelINS0_14default_configENS1_35adjacent_difference_config_selectorILb0EiEEZNS1_24adjacent_difference_implIS3_Lb0ELb0EPiS7_N6thrust23THRUST_200600_302600_NS5minusIiEEEE10hipError_tPvRmT2_T3_mT4_P12ihipStream_tbEUlT_E_NS1_11comp_targetILNS1_3genE5ELNS1_11target_archE942ELNS1_3gpuE9ELNS1_3repE0EEENS1_30default_config_static_selectorELNS0_4arch9wavefront6targetE1EEEvT1_ ; -- Begin function _ZN7rocprim17ROCPRIM_400000_NS6detail17trampoline_kernelINS0_14default_configENS1_35adjacent_difference_config_selectorILb0EiEEZNS1_24adjacent_difference_implIS3_Lb0ELb0EPiS7_N6thrust23THRUST_200600_302600_NS5minusIiEEEE10hipError_tPvRmT2_T3_mT4_P12ihipStream_tbEUlT_E_NS1_11comp_targetILNS1_3genE5ELNS1_11target_archE942ELNS1_3gpuE9ELNS1_3repE0EEENS1_30default_config_static_selectorELNS0_4arch9wavefront6targetE1EEEvT1_
	.globl	_ZN7rocprim17ROCPRIM_400000_NS6detail17trampoline_kernelINS0_14default_configENS1_35adjacent_difference_config_selectorILb0EiEEZNS1_24adjacent_difference_implIS3_Lb0ELb0EPiS7_N6thrust23THRUST_200600_302600_NS5minusIiEEEE10hipError_tPvRmT2_T3_mT4_P12ihipStream_tbEUlT_E_NS1_11comp_targetILNS1_3genE5ELNS1_11target_archE942ELNS1_3gpuE9ELNS1_3repE0EEENS1_30default_config_static_selectorELNS0_4arch9wavefront6targetE1EEEvT1_
	.p2align	8
	.type	_ZN7rocprim17ROCPRIM_400000_NS6detail17trampoline_kernelINS0_14default_configENS1_35adjacent_difference_config_selectorILb0EiEEZNS1_24adjacent_difference_implIS3_Lb0ELb0EPiS7_N6thrust23THRUST_200600_302600_NS5minusIiEEEE10hipError_tPvRmT2_T3_mT4_P12ihipStream_tbEUlT_E_NS1_11comp_targetILNS1_3genE5ELNS1_11target_archE942ELNS1_3gpuE9ELNS1_3repE0EEENS1_30default_config_static_selectorELNS0_4arch9wavefront6targetE1EEEvT1_,@function
_ZN7rocprim17ROCPRIM_400000_NS6detail17trampoline_kernelINS0_14default_configENS1_35adjacent_difference_config_selectorILb0EiEEZNS1_24adjacent_difference_implIS3_Lb0ELb0EPiS7_N6thrust23THRUST_200600_302600_NS5minusIiEEEE10hipError_tPvRmT2_T3_mT4_P12ihipStream_tbEUlT_E_NS1_11comp_targetILNS1_3genE5ELNS1_11target_archE942ELNS1_3gpuE9ELNS1_3repE0EEENS1_30default_config_static_selectorELNS0_4arch9wavefront6targetE1EEEvT1_: ; @_ZN7rocprim17ROCPRIM_400000_NS6detail17trampoline_kernelINS0_14default_configENS1_35adjacent_difference_config_selectorILb0EiEEZNS1_24adjacent_difference_implIS3_Lb0ELb0EPiS7_N6thrust23THRUST_200600_302600_NS5minusIiEEEE10hipError_tPvRmT2_T3_mT4_P12ihipStream_tbEUlT_E_NS1_11comp_targetILNS1_3genE5ELNS1_11target_archE942ELNS1_3gpuE9ELNS1_3repE0EEENS1_30default_config_static_selectorELNS0_4arch9wavefront6targetE1EEEvT1_
; %bb.0:
	.section	.rodata,"a",@progbits
	.p2align	6, 0x0
	.amdhsa_kernel _ZN7rocprim17ROCPRIM_400000_NS6detail17trampoline_kernelINS0_14default_configENS1_35adjacent_difference_config_selectorILb0EiEEZNS1_24adjacent_difference_implIS3_Lb0ELb0EPiS7_N6thrust23THRUST_200600_302600_NS5minusIiEEEE10hipError_tPvRmT2_T3_mT4_P12ihipStream_tbEUlT_E_NS1_11comp_targetILNS1_3genE5ELNS1_11target_archE942ELNS1_3gpuE9ELNS1_3repE0EEENS1_30default_config_static_selectorELNS0_4arch9wavefront6targetE1EEEvT1_
		.amdhsa_group_segment_fixed_size 0
		.amdhsa_private_segment_fixed_size 0
		.amdhsa_kernarg_size 56
		.amdhsa_user_sgpr_count 6
		.amdhsa_user_sgpr_private_segment_buffer 1
		.amdhsa_user_sgpr_dispatch_ptr 0
		.amdhsa_user_sgpr_queue_ptr 0
		.amdhsa_user_sgpr_kernarg_segment_ptr 1
		.amdhsa_user_sgpr_dispatch_id 0
		.amdhsa_user_sgpr_flat_scratch_init 0
		.amdhsa_user_sgpr_private_segment_size 0
		.amdhsa_uses_dynamic_stack 0
		.amdhsa_system_sgpr_private_segment_wavefront_offset 0
		.amdhsa_system_sgpr_workgroup_id_x 1
		.amdhsa_system_sgpr_workgroup_id_y 0
		.amdhsa_system_sgpr_workgroup_id_z 0
		.amdhsa_system_sgpr_workgroup_info 0
		.amdhsa_system_vgpr_workitem_id 0
		.amdhsa_next_free_vgpr 1
		.amdhsa_next_free_sgpr 0
		.amdhsa_reserve_vcc 0
		.amdhsa_reserve_flat_scratch 0
		.amdhsa_float_round_mode_32 0
		.amdhsa_float_round_mode_16_64 0
		.amdhsa_float_denorm_mode_32 3
		.amdhsa_float_denorm_mode_16_64 3
		.amdhsa_dx10_clamp 1
		.amdhsa_ieee_mode 1
		.amdhsa_fp16_overflow 0
		.amdhsa_exception_fp_ieee_invalid_op 0
		.amdhsa_exception_fp_denorm_src 0
		.amdhsa_exception_fp_ieee_div_zero 0
		.amdhsa_exception_fp_ieee_overflow 0
		.amdhsa_exception_fp_ieee_underflow 0
		.amdhsa_exception_fp_ieee_inexact 0
		.amdhsa_exception_int_div_zero 0
	.end_amdhsa_kernel
	.section	.text._ZN7rocprim17ROCPRIM_400000_NS6detail17trampoline_kernelINS0_14default_configENS1_35adjacent_difference_config_selectorILb0EiEEZNS1_24adjacent_difference_implIS3_Lb0ELb0EPiS7_N6thrust23THRUST_200600_302600_NS5minusIiEEEE10hipError_tPvRmT2_T3_mT4_P12ihipStream_tbEUlT_E_NS1_11comp_targetILNS1_3genE5ELNS1_11target_archE942ELNS1_3gpuE9ELNS1_3repE0EEENS1_30default_config_static_selectorELNS0_4arch9wavefront6targetE1EEEvT1_,"axG",@progbits,_ZN7rocprim17ROCPRIM_400000_NS6detail17trampoline_kernelINS0_14default_configENS1_35adjacent_difference_config_selectorILb0EiEEZNS1_24adjacent_difference_implIS3_Lb0ELb0EPiS7_N6thrust23THRUST_200600_302600_NS5minusIiEEEE10hipError_tPvRmT2_T3_mT4_P12ihipStream_tbEUlT_E_NS1_11comp_targetILNS1_3genE5ELNS1_11target_archE942ELNS1_3gpuE9ELNS1_3repE0EEENS1_30default_config_static_selectorELNS0_4arch9wavefront6targetE1EEEvT1_,comdat
.Lfunc_end309:
	.size	_ZN7rocprim17ROCPRIM_400000_NS6detail17trampoline_kernelINS0_14default_configENS1_35adjacent_difference_config_selectorILb0EiEEZNS1_24adjacent_difference_implIS3_Lb0ELb0EPiS7_N6thrust23THRUST_200600_302600_NS5minusIiEEEE10hipError_tPvRmT2_T3_mT4_P12ihipStream_tbEUlT_E_NS1_11comp_targetILNS1_3genE5ELNS1_11target_archE942ELNS1_3gpuE9ELNS1_3repE0EEENS1_30default_config_static_selectorELNS0_4arch9wavefront6targetE1EEEvT1_, .Lfunc_end309-_ZN7rocprim17ROCPRIM_400000_NS6detail17trampoline_kernelINS0_14default_configENS1_35adjacent_difference_config_selectorILb0EiEEZNS1_24adjacent_difference_implIS3_Lb0ELb0EPiS7_N6thrust23THRUST_200600_302600_NS5minusIiEEEE10hipError_tPvRmT2_T3_mT4_P12ihipStream_tbEUlT_E_NS1_11comp_targetILNS1_3genE5ELNS1_11target_archE942ELNS1_3gpuE9ELNS1_3repE0EEENS1_30default_config_static_selectorELNS0_4arch9wavefront6targetE1EEEvT1_
                                        ; -- End function
	.set _ZN7rocprim17ROCPRIM_400000_NS6detail17trampoline_kernelINS0_14default_configENS1_35adjacent_difference_config_selectorILb0EiEEZNS1_24adjacent_difference_implIS3_Lb0ELb0EPiS7_N6thrust23THRUST_200600_302600_NS5minusIiEEEE10hipError_tPvRmT2_T3_mT4_P12ihipStream_tbEUlT_E_NS1_11comp_targetILNS1_3genE5ELNS1_11target_archE942ELNS1_3gpuE9ELNS1_3repE0EEENS1_30default_config_static_selectorELNS0_4arch9wavefront6targetE1EEEvT1_.num_vgpr, 0
	.set _ZN7rocprim17ROCPRIM_400000_NS6detail17trampoline_kernelINS0_14default_configENS1_35adjacent_difference_config_selectorILb0EiEEZNS1_24adjacent_difference_implIS3_Lb0ELb0EPiS7_N6thrust23THRUST_200600_302600_NS5minusIiEEEE10hipError_tPvRmT2_T3_mT4_P12ihipStream_tbEUlT_E_NS1_11comp_targetILNS1_3genE5ELNS1_11target_archE942ELNS1_3gpuE9ELNS1_3repE0EEENS1_30default_config_static_selectorELNS0_4arch9wavefront6targetE1EEEvT1_.num_agpr, 0
	.set _ZN7rocprim17ROCPRIM_400000_NS6detail17trampoline_kernelINS0_14default_configENS1_35adjacent_difference_config_selectorILb0EiEEZNS1_24adjacent_difference_implIS3_Lb0ELb0EPiS7_N6thrust23THRUST_200600_302600_NS5minusIiEEEE10hipError_tPvRmT2_T3_mT4_P12ihipStream_tbEUlT_E_NS1_11comp_targetILNS1_3genE5ELNS1_11target_archE942ELNS1_3gpuE9ELNS1_3repE0EEENS1_30default_config_static_selectorELNS0_4arch9wavefront6targetE1EEEvT1_.numbered_sgpr, 0
	.set _ZN7rocprim17ROCPRIM_400000_NS6detail17trampoline_kernelINS0_14default_configENS1_35adjacent_difference_config_selectorILb0EiEEZNS1_24adjacent_difference_implIS3_Lb0ELb0EPiS7_N6thrust23THRUST_200600_302600_NS5minusIiEEEE10hipError_tPvRmT2_T3_mT4_P12ihipStream_tbEUlT_E_NS1_11comp_targetILNS1_3genE5ELNS1_11target_archE942ELNS1_3gpuE9ELNS1_3repE0EEENS1_30default_config_static_selectorELNS0_4arch9wavefront6targetE1EEEvT1_.num_named_barrier, 0
	.set _ZN7rocprim17ROCPRIM_400000_NS6detail17trampoline_kernelINS0_14default_configENS1_35adjacent_difference_config_selectorILb0EiEEZNS1_24adjacent_difference_implIS3_Lb0ELb0EPiS7_N6thrust23THRUST_200600_302600_NS5minusIiEEEE10hipError_tPvRmT2_T3_mT4_P12ihipStream_tbEUlT_E_NS1_11comp_targetILNS1_3genE5ELNS1_11target_archE942ELNS1_3gpuE9ELNS1_3repE0EEENS1_30default_config_static_selectorELNS0_4arch9wavefront6targetE1EEEvT1_.private_seg_size, 0
	.set _ZN7rocprim17ROCPRIM_400000_NS6detail17trampoline_kernelINS0_14default_configENS1_35adjacent_difference_config_selectorILb0EiEEZNS1_24adjacent_difference_implIS3_Lb0ELb0EPiS7_N6thrust23THRUST_200600_302600_NS5minusIiEEEE10hipError_tPvRmT2_T3_mT4_P12ihipStream_tbEUlT_E_NS1_11comp_targetILNS1_3genE5ELNS1_11target_archE942ELNS1_3gpuE9ELNS1_3repE0EEENS1_30default_config_static_selectorELNS0_4arch9wavefront6targetE1EEEvT1_.uses_vcc, 0
	.set _ZN7rocprim17ROCPRIM_400000_NS6detail17trampoline_kernelINS0_14default_configENS1_35adjacent_difference_config_selectorILb0EiEEZNS1_24adjacent_difference_implIS3_Lb0ELb0EPiS7_N6thrust23THRUST_200600_302600_NS5minusIiEEEE10hipError_tPvRmT2_T3_mT4_P12ihipStream_tbEUlT_E_NS1_11comp_targetILNS1_3genE5ELNS1_11target_archE942ELNS1_3gpuE9ELNS1_3repE0EEENS1_30default_config_static_selectorELNS0_4arch9wavefront6targetE1EEEvT1_.uses_flat_scratch, 0
	.set _ZN7rocprim17ROCPRIM_400000_NS6detail17trampoline_kernelINS0_14default_configENS1_35adjacent_difference_config_selectorILb0EiEEZNS1_24adjacent_difference_implIS3_Lb0ELb0EPiS7_N6thrust23THRUST_200600_302600_NS5minusIiEEEE10hipError_tPvRmT2_T3_mT4_P12ihipStream_tbEUlT_E_NS1_11comp_targetILNS1_3genE5ELNS1_11target_archE942ELNS1_3gpuE9ELNS1_3repE0EEENS1_30default_config_static_selectorELNS0_4arch9wavefront6targetE1EEEvT1_.has_dyn_sized_stack, 0
	.set _ZN7rocprim17ROCPRIM_400000_NS6detail17trampoline_kernelINS0_14default_configENS1_35adjacent_difference_config_selectorILb0EiEEZNS1_24adjacent_difference_implIS3_Lb0ELb0EPiS7_N6thrust23THRUST_200600_302600_NS5minusIiEEEE10hipError_tPvRmT2_T3_mT4_P12ihipStream_tbEUlT_E_NS1_11comp_targetILNS1_3genE5ELNS1_11target_archE942ELNS1_3gpuE9ELNS1_3repE0EEENS1_30default_config_static_selectorELNS0_4arch9wavefront6targetE1EEEvT1_.has_recursion, 0
	.set _ZN7rocprim17ROCPRIM_400000_NS6detail17trampoline_kernelINS0_14default_configENS1_35adjacent_difference_config_selectorILb0EiEEZNS1_24adjacent_difference_implIS3_Lb0ELb0EPiS7_N6thrust23THRUST_200600_302600_NS5minusIiEEEE10hipError_tPvRmT2_T3_mT4_P12ihipStream_tbEUlT_E_NS1_11comp_targetILNS1_3genE5ELNS1_11target_archE942ELNS1_3gpuE9ELNS1_3repE0EEENS1_30default_config_static_selectorELNS0_4arch9wavefront6targetE1EEEvT1_.has_indirect_call, 0
	.section	.AMDGPU.csdata,"",@progbits
; Kernel info:
; codeLenInByte = 0
; TotalNumSgprs: 4
; NumVgprs: 0
; ScratchSize: 0
; MemoryBound: 0
; FloatMode: 240
; IeeeMode: 1
; LDSByteSize: 0 bytes/workgroup (compile time only)
; SGPRBlocks: 0
; VGPRBlocks: 0
; NumSGPRsForWavesPerEU: 4
; NumVGPRsForWavesPerEU: 1
; Occupancy: 10
; WaveLimiterHint : 0
; COMPUTE_PGM_RSRC2:SCRATCH_EN: 0
; COMPUTE_PGM_RSRC2:USER_SGPR: 6
; COMPUTE_PGM_RSRC2:TRAP_HANDLER: 0
; COMPUTE_PGM_RSRC2:TGID_X_EN: 1
; COMPUTE_PGM_RSRC2:TGID_Y_EN: 0
; COMPUTE_PGM_RSRC2:TGID_Z_EN: 0
; COMPUTE_PGM_RSRC2:TIDIG_COMP_CNT: 0
	.section	.text._ZN7rocprim17ROCPRIM_400000_NS6detail17trampoline_kernelINS0_14default_configENS1_35adjacent_difference_config_selectorILb0EiEEZNS1_24adjacent_difference_implIS3_Lb0ELb0EPiS7_N6thrust23THRUST_200600_302600_NS5minusIiEEEE10hipError_tPvRmT2_T3_mT4_P12ihipStream_tbEUlT_E_NS1_11comp_targetILNS1_3genE4ELNS1_11target_archE910ELNS1_3gpuE8ELNS1_3repE0EEENS1_30default_config_static_selectorELNS0_4arch9wavefront6targetE1EEEvT1_,"axG",@progbits,_ZN7rocprim17ROCPRIM_400000_NS6detail17trampoline_kernelINS0_14default_configENS1_35adjacent_difference_config_selectorILb0EiEEZNS1_24adjacent_difference_implIS3_Lb0ELb0EPiS7_N6thrust23THRUST_200600_302600_NS5minusIiEEEE10hipError_tPvRmT2_T3_mT4_P12ihipStream_tbEUlT_E_NS1_11comp_targetILNS1_3genE4ELNS1_11target_archE910ELNS1_3gpuE8ELNS1_3repE0EEENS1_30default_config_static_selectorELNS0_4arch9wavefront6targetE1EEEvT1_,comdat
	.protected	_ZN7rocprim17ROCPRIM_400000_NS6detail17trampoline_kernelINS0_14default_configENS1_35adjacent_difference_config_selectorILb0EiEEZNS1_24adjacent_difference_implIS3_Lb0ELb0EPiS7_N6thrust23THRUST_200600_302600_NS5minusIiEEEE10hipError_tPvRmT2_T3_mT4_P12ihipStream_tbEUlT_E_NS1_11comp_targetILNS1_3genE4ELNS1_11target_archE910ELNS1_3gpuE8ELNS1_3repE0EEENS1_30default_config_static_selectorELNS0_4arch9wavefront6targetE1EEEvT1_ ; -- Begin function _ZN7rocprim17ROCPRIM_400000_NS6detail17trampoline_kernelINS0_14default_configENS1_35adjacent_difference_config_selectorILb0EiEEZNS1_24adjacent_difference_implIS3_Lb0ELb0EPiS7_N6thrust23THRUST_200600_302600_NS5minusIiEEEE10hipError_tPvRmT2_T3_mT4_P12ihipStream_tbEUlT_E_NS1_11comp_targetILNS1_3genE4ELNS1_11target_archE910ELNS1_3gpuE8ELNS1_3repE0EEENS1_30default_config_static_selectorELNS0_4arch9wavefront6targetE1EEEvT1_
	.globl	_ZN7rocprim17ROCPRIM_400000_NS6detail17trampoline_kernelINS0_14default_configENS1_35adjacent_difference_config_selectorILb0EiEEZNS1_24adjacent_difference_implIS3_Lb0ELb0EPiS7_N6thrust23THRUST_200600_302600_NS5minusIiEEEE10hipError_tPvRmT2_T3_mT4_P12ihipStream_tbEUlT_E_NS1_11comp_targetILNS1_3genE4ELNS1_11target_archE910ELNS1_3gpuE8ELNS1_3repE0EEENS1_30default_config_static_selectorELNS0_4arch9wavefront6targetE1EEEvT1_
	.p2align	8
	.type	_ZN7rocprim17ROCPRIM_400000_NS6detail17trampoline_kernelINS0_14default_configENS1_35adjacent_difference_config_selectorILb0EiEEZNS1_24adjacent_difference_implIS3_Lb0ELb0EPiS7_N6thrust23THRUST_200600_302600_NS5minusIiEEEE10hipError_tPvRmT2_T3_mT4_P12ihipStream_tbEUlT_E_NS1_11comp_targetILNS1_3genE4ELNS1_11target_archE910ELNS1_3gpuE8ELNS1_3repE0EEENS1_30default_config_static_selectorELNS0_4arch9wavefront6targetE1EEEvT1_,@function
_ZN7rocprim17ROCPRIM_400000_NS6detail17trampoline_kernelINS0_14default_configENS1_35adjacent_difference_config_selectorILb0EiEEZNS1_24adjacent_difference_implIS3_Lb0ELb0EPiS7_N6thrust23THRUST_200600_302600_NS5minusIiEEEE10hipError_tPvRmT2_T3_mT4_P12ihipStream_tbEUlT_E_NS1_11comp_targetILNS1_3genE4ELNS1_11target_archE910ELNS1_3gpuE8ELNS1_3repE0EEENS1_30default_config_static_selectorELNS0_4arch9wavefront6targetE1EEEvT1_: ; @_ZN7rocprim17ROCPRIM_400000_NS6detail17trampoline_kernelINS0_14default_configENS1_35adjacent_difference_config_selectorILb0EiEEZNS1_24adjacent_difference_implIS3_Lb0ELb0EPiS7_N6thrust23THRUST_200600_302600_NS5minusIiEEEE10hipError_tPvRmT2_T3_mT4_P12ihipStream_tbEUlT_E_NS1_11comp_targetILNS1_3genE4ELNS1_11target_archE910ELNS1_3gpuE8ELNS1_3repE0EEENS1_30default_config_static_selectorELNS0_4arch9wavefront6targetE1EEEvT1_
; %bb.0:
	.section	.rodata,"a",@progbits
	.p2align	6, 0x0
	.amdhsa_kernel _ZN7rocprim17ROCPRIM_400000_NS6detail17trampoline_kernelINS0_14default_configENS1_35adjacent_difference_config_selectorILb0EiEEZNS1_24adjacent_difference_implIS3_Lb0ELb0EPiS7_N6thrust23THRUST_200600_302600_NS5minusIiEEEE10hipError_tPvRmT2_T3_mT4_P12ihipStream_tbEUlT_E_NS1_11comp_targetILNS1_3genE4ELNS1_11target_archE910ELNS1_3gpuE8ELNS1_3repE0EEENS1_30default_config_static_selectorELNS0_4arch9wavefront6targetE1EEEvT1_
		.amdhsa_group_segment_fixed_size 0
		.amdhsa_private_segment_fixed_size 0
		.amdhsa_kernarg_size 56
		.amdhsa_user_sgpr_count 6
		.amdhsa_user_sgpr_private_segment_buffer 1
		.amdhsa_user_sgpr_dispatch_ptr 0
		.amdhsa_user_sgpr_queue_ptr 0
		.amdhsa_user_sgpr_kernarg_segment_ptr 1
		.amdhsa_user_sgpr_dispatch_id 0
		.amdhsa_user_sgpr_flat_scratch_init 0
		.amdhsa_user_sgpr_private_segment_size 0
		.amdhsa_uses_dynamic_stack 0
		.amdhsa_system_sgpr_private_segment_wavefront_offset 0
		.amdhsa_system_sgpr_workgroup_id_x 1
		.amdhsa_system_sgpr_workgroup_id_y 0
		.amdhsa_system_sgpr_workgroup_id_z 0
		.amdhsa_system_sgpr_workgroup_info 0
		.amdhsa_system_vgpr_workitem_id 0
		.amdhsa_next_free_vgpr 1
		.amdhsa_next_free_sgpr 0
		.amdhsa_reserve_vcc 0
		.amdhsa_reserve_flat_scratch 0
		.amdhsa_float_round_mode_32 0
		.amdhsa_float_round_mode_16_64 0
		.amdhsa_float_denorm_mode_32 3
		.amdhsa_float_denorm_mode_16_64 3
		.amdhsa_dx10_clamp 1
		.amdhsa_ieee_mode 1
		.amdhsa_fp16_overflow 0
		.amdhsa_exception_fp_ieee_invalid_op 0
		.amdhsa_exception_fp_denorm_src 0
		.amdhsa_exception_fp_ieee_div_zero 0
		.amdhsa_exception_fp_ieee_overflow 0
		.amdhsa_exception_fp_ieee_underflow 0
		.amdhsa_exception_fp_ieee_inexact 0
		.amdhsa_exception_int_div_zero 0
	.end_amdhsa_kernel
	.section	.text._ZN7rocprim17ROCPRIM_400000_NS6detail17trampoline_kernelINS0_14default_configENS1_35adjacent_difference_config_selectorILb0EiEEZNS1_24adjacent_difference_implIS3_Lb0ELb0EPiS7_N6thrust23THRUST_200600_302600_NS5minusIiEEEE10hipError_tPvRmT2_T3_mT4_P12ihipStream_tbEUlT_E_NS1_11comp_targetILNS1_3genE4ELNS1_11target_archE910ELNS1_3gpuE8ELNS1_3repE0EEENS1_30default_config_static_selectorELNS0_4arch9wavefront6targetE1EEEvT1_,"axG",@progbits,_ZN7rocprim17ROCPRIM_400000_NS6detail17trampoline_kernelINS0_14default_configENS1_35adjacent_difference_config_selectorILb0EiEEZNS1_24adjacent_difference_implIS3_Lb0ELb0EPiS7_N6thrust23THRUST_200600_302600_NS5minusIiEEEE10hipError_tPvRmT2_T3_mT4_P12ihipStream_tbEUlT_E_NS1_11comp_targetILNS1_3genE4ELNS1_11target_archE910ELNS1_3gpuE8ELNS1_3repE0EEENS1_30default_config_static_selectorELNS0_4arch9wavefront6targetE1EEEvT1_,comdat
.Lfunc_end310:
	.size	_ZN7rocprim17ROCPRIM_400000_NS6detail17trampoline_kernelINS0_14default_configENS1_35adjacent_difference_config_selectorILb0EiEEZNS1_24adjacent_difference_implIS3_Lb0ELb0EPiS7_N6thrust23THRUST_200600_302600_NS5minusIiEEEE10hipError_tPvRmT2_T3_mT4_P12ihipStream_tbEUlT_E_NS1_11comp_targetILNS1_3genE4ELNS1_11target_archE910ELNS1_3gpuE8ELNS1_3repE0EEENS1_30default_config_static_selectorELNS0_4arch9wavefront6targetE1EEEvT1_, .Lfunc_end310-_ZN7rocprim17ROCPRIM_400000_NS6detail17trampoline_kernelINS0_14default_configENS1_35adjacent_difference_config_selectorILb0EiEEZNS1_24adjacent_difference_implIS3_Lb0ELb0EPiS7_N6thrust23THRUST_200600_302600_NS5minusIiEEEE10hipError_tPvRmT2_T3_mT4_P12ihipStream_tbEUlT_E_NS1_11comp_targetILNS1_3genE4ELNS1_11target_archE910ELNS1_3gpuE8ELNS1_3repE0EEENS1_30default_config_static_selectorELNS0_4arch9wavefront6targetE1EEEvT1_
                                        ; -- End function
	.set _ZN7rocprim17ROCPRIM_400000_NS6detail17trampoline_kernelINS0_14default_configENS1_35adjacent_difference_config_selectorILb0EiEEZNS1_24adjacent_difference_implIS3_Lb0ELb0EPiS7_N6thrust23THRUST_200600_302600_NS5minusIiEEEE10hipError_tPvRmT2_T3_mT4_P12ihipStream_tbEUlT_E_NS1_11comp_targetILNS1_3genE4ELNS1_11target_archE910ELNS1_3gpuE8ELNS1_3repE0EEENS1_30default_config_static_selectorELNS0_4arch9wavefront6targetE1EEEvT1_.num_vgpr, 0
	.set _ZN7rocprim17ROCPRIM_400000_NS6detail17trampoline_kernelINS0_14default_configENS1_35adjacent_difference_config_selectorILb0EiEEZNS1_24adjacent_difference_implIS3_Lb0ELb0EPiS7_N6thrust23THRUST_200600_302600_NS5minusIiEEEE10hipError_tPvRmT2_T3_mT4_P12ihipStream_tbEUlT_E_NS1_11comp_targetILNS1_3genE4ELNS1_11target_archE910ELNS1_3gpuE8ELNS1_3repE0EEENS1_30default_config_static_selectorELNS0_4arch9wavefront6targetE1EEEvT1_.num_agpr, 0
	.set _ZN7rocprim17ROCPRIM_400000_NS6detail17trampoline_kernelINS0_14default_configENS1_35adjacent_difference_config_selectorILb0EiEEZNS1_24adjacent_difference_implIS3_Lb0ELb0EPiS7_N6thrust23THRUST_200600_302600_NS5minusIiEEEE10hipError_tPvRmT2_T3_mT4_P12ihipStream_tbEUlT_E_NS1_11comp_targetILNS1_3genE4ELNS1_11target_archE910ELNS1_3gpuE8ELNS1_3repE0EEENS1_30default_config_static_selectorELNS0_4arch9wavefront6targetE1EEEvT1_.numbered_sgpr, 0
	.set _ZN7rocprim17ROCPRIM_400000_NS6detail17trampoline_kernelINS0_14default_configENS1_35adjacent_difference_config_selectorILb0EiEEZNS1_24adjacent_difference_implIS3_Lb0ELb0EPiS7_N6thrust23THRUST_200600_302600_NS5minusIiEEEE10hipError_tPvRmT2_T3_mT4_P12ihipStream_tbEUlT_E_NS1_11comp_targetILNS1_3genE4ELNS1_11target_archE910ELNS1_3gpuE8ELNS1_3repE0EEENS1_30default_config_static_selectorELNS0_4arch9wavefront6targetE1EEEvT1_.num_named_barrier, 0
	.set _ZN7rocprim17ROCPRIM_400000_NS6detail17trampoline_kernelINS0_14default_configENS1_35adjacent_difference_config_selectorILb0EiEEZNS1_24adjacent_difference_implIS3_Lb0ELb0EPiS7_N6thrust23THRUST_200600_302600_NS5minusIiEEEE10hipError_tPvRmT2_T3_mT4_P12ihipStream_tbEUlT_E_NS1_11comp_targetILNS1_3genE4ELNS1_11target_archE910ELNS1_3gpuE8ELNS1_3repE0EEENS1_30default_config_static_selectorELNS0_4arch9wavefront6targetE1EEEvT1_.private_seg_size, 0
	.set _ZN7rocprim17ROCPRIM_400000_NS6detail17trampoline_kernelINS0_14default_configENS1_35adjacent_difference_config_selectorILb0EiEEZNS1_24adjacent_difference_implIS3_Lb0ELb0EPiS7_N6thrust23THRUST_200600_302600_NS5minusIiEEEE10hipError_tPvRmT2_T3_mT4_P12ihipStream_tbEUlT_E_NS1_11comp_targetILNS1_3genE4ELNS1_11target_archE910ELNS1_3gpuE8ELNS1_3repE0EEENS1_30default_config_static_selectorELNS0_4arch9wavefront6targetE1EEEvT1_.uses_vcc, 0
	.set _ZN7rocprim17ROCPRIM_400000_NS6detail17trampoline_kernelINS0_14default_configENS1_35adjacent_difference_config_selectorILb0EiEEZNS1_24adjacent_difference_implIS3_Lb0ELb0EPiS7_N6thrust23THRUST_200600_302600_NS5minusIiEEEE10hipError_tPvRmT2_T3_mT4_P12ihipStream_tbEUlT_E_NS1_11comp_targetILNS1_3genE4ELNS1_11target_archE910ELNS1_3gpuE8ELNS1_3repE0EEENS1_30default_config_static_selectorELNS0_4arch9wavefront6targetE1EEEvT1_.uses_flat_scratch, 0
	.set _ZN7rocprim17ROCPRIM_400000_NS6detail17trampoline_kernelINS0_14default_configENS1_35adjacent_difference_config_selectorILb0EiEEZNS1_24adjacent_difference_implIS3_Lb0ELb0EPiS7_N6thrust23THRUST_200600_302600_NS5minusIiEEEE10hipError_tPvRmT2_T3_mT4_P12ihipStream_tbEUlT_E_NS1_11comp_targetILNS1_3genE4ELNS1_11target_archE910ELNS1_3gpuE8ELNS1_3repE0EEENS1_30default_config_static_selectorELNS0_4arch9wavefront6targetE1EEEvT1_.has_dyn_sized_stack, 0
	.set _ZN7rocprim17ROCPRIM_400000_NS6detail17trampoline_kernelINS0_14default_configENS1_35adjacent_difference_config_selectorILb0EiEEZNS1_24adjacent_difference_implIS3_Lb0ELb0EPiS7_N6thrust23THRUST_200600_302600_NS5minusIiEEEE10hipError_tPvRmT2_T3_mT4_P12ihipStream_tbEUlT_E_NS1_11comp_targetILNS1_3genE4ELNS1_11target_archE910ELNS1_3gpuE8ELNS1_3repE0EEENS1_30default_config_static_selectorELNS0_4arch9wavefront6targetE1EEEvT1_.has_recursion, 0
	.set _ZN7rocprim17ROCPRIM_400000_NS6detail17trampoline_kernelINS0_14default_configENS1_35adjacent_difference_config_selectorILb0EiEEZNS1_24adjacent_difference_implIS3_Lb0ELb0EPiS7_N6thrust23THRUST_200600_302600_NS5minusIiEEEE10hipError_tPvRmT2_T3_mT4_P12ihipStream_tbEUlT_E_NS1_11comp_targetILNS1_3genE4ELNS1_11target_archE910ELNS1_3gpuE8ELNS1_3repE0EEENS1_30default_config_static_selectorELNS0_4arch9wavefront6targetE1EEEvT1_.has_indirect_call, 0
	.section	.AMDGPU.csdata,"",@progbits
; Kernel info:
; codeLenInByte = 0
; TotalNumSgprs: 4
; NumVgprs: 0
; ScratchSize: 0
; MemoryBound: 0
; FloatMode: 240
; IeeeMode: 1
; LDSByteSize: 0 bytes/workgroup (compile time only)
; SGPRBlocks: 0
; VGPRBlocks: 0
; NumSGPRsForWavesPerEU: 4
; NumVGPRsForWavesPerEU: 1
; Occupancy: 10
; WaveLimiterHint : 0
; COMPUTE_PGM_RSRC2:SCRATCH_EN: 0
; COMPUTE_PGM_RSRC2:USER_SGPR: 6
; COMPUTE_PGM_RSRC2:TRAP_HANDLER: 0
; COMPUTE_PGM_RSRC2:TGID_X_EN: 1
; COMPUTE_PGM_RSRC2:TGID_Y_EN: 0
; COMPUTE_PGM_RSRC2:TGID_Z_EN: 0
; COMPUTE_PGM_RSRC2:TIDIG_COMP_CNT: 0
	.section	.text._ZN7rocprim17ROCPRIM_400000_NS6detail17trampoline_kernelINS0_14default_configENS1_35adjacent_difference_config_selectorILb0EiEEZNS1_24adjacent_difference_implIS3_Lb0ELb0EPiS7_N6thrust23THRUST_200600_302600_NS5minusIiEEEE10hipError_tPvRmT2_T3_mT4_P12ihipStream_tbEUlT_E_NS1_11comp_targetILNS1_3genE3ELNS1_11target_archE908ELNS1_3gpuE7ELNS1_3repE0EEENS1_30default_config_static_selectorELNS0_4arch9wavefront6targetE1EEEvT1_,"axG",@progbits,_ZN7rocprim17ROCPRIM_400000_NS6detail17trampoline_kernelINS0_14default_configENS1_35adjacent_difference_config_selectorILb0EiEEZNS1_24adjacent_difference_implIS3_Lb0ELb0EPiS7_N6thrust23THRUST_200600_302600_NS5minusIiEEEE10hipError_tPvRmT2_T3_mT4_P12ihipStream_tbEUlT_E_NS1_11comp_targetILNS1_3genE3ELNS1_11target_archE908ELNS1_3gpuE7ELNS1_3repE0EEENS1_30default_config_static_selectorELNS0_4arch9wavefront6targetE1EEEvT1_,comdat
	.protected	_ZN7rocprim17ROCPRIM_400000_NS6detail17trampoline_kernelINS0_14default_configENS1_35adjacent_difference_config_selectorILb0EiEEZNS1_24adjacent_difference_implIS3_Lb0ELb0EPiS7_N6thrust23THRUST_200600_302600_NS5minusIiEEEE10hipError_tPvRmT2_T3_mT4_P12ihipStream_tbEUlT_E_NS1_11comp_targetILNS1_3genE3ELNS1_11target_archE908ELNS1_3gpuE7ELNS1_3repE0EEENS1_30default_config_static_selectorELNS0_4arch9wavefront6targetE1EEEvT1_ ; -- Begin function _ZN7rocprim17ROCPRIM_400000_NS6detail17trampoline_kernelINS0_14default_configENS1_35adjacent_difference_config_selectorILb0EiEEZNS1_24adjacent_difference_implIS3_Lb0ELb0EPiS7_N6thrust23THRUST_200600_302600_NS5minusIiEEEE10hipError_tPvRmT2_T3_mT4_P12ihipStream_tbEUlT_E_NS1_11comp_targetILNS1_3genE3ELNS1_11target_archE908ELNS1_3gpuE7ELNS1_3repE0EEENS1_30default_config_static_selectorELNS0_4arch9wavefront6targetE1EEEvT1_
	.globl	_ZN7rocprim17ROCPRIM_400000_NS6detail17trampoline_kernelINS0_14default_configENS1_35adjacent_difference_config_selectorILb0EiEEZNS1_24adjacent_difference_implIS3_Lb0ELb0EPiS7_N6thrust23THRUST_200600_302600_NS5minusIiEEEE10hipError_tPvRmT2_T3_mT4_P12ihipStream_tbEUlT_E_NS1_11comp_targetILNS1_3genE3ELNS1_11target_archE908ELNS1_3gpuE7ELNS1_3repE0EEENS1_30default_config_static_selectorELNS0_4arch9wavefront6targetE1EEEvT1_
	.p2align	8
	.type	_ZN7rocprim17ROCPRIM_400000_NS6detail17trampoline_kernelINS0_14default_configENS1_35adjacent_difference_config_selectorILb0EiEEZNS1_24adjacent_difference_implIS3_Lb0ELb0EPiS7_N6thrust23THRUST_200600_302600_NS5minusIiEEEE10hipError_tPvRmT2_T3_mT4_P12ihipStream_tbEUlT_E_NS1_11comp_targetILNS1_3genE3ELNS1_11target_archE908ELNS1_3gpuE7ELNS1_3repE0EEENS1_30default_config_static_selectorELNS0_4arch9wavefront6targetE1EEEvT1_,@function
_ZN7rocprim17ROCPRIM_400000_NS6detail17trampoline_kernelINS0_14default_configENS1_35adjacent_difference_config_selectorILb0EiEEZNS1_24adjacent_difference_implIS3_Lb0ELb0EPiS7_N6thrust23THRUST_200600_302600_NS5minusIiEEEE10hipError_tPvRmT2_T3_mT4_P12ihipStream_tbEUlT_E_NS1_11comp_targetILNS1_3genE3ELNS1_11target_archE908ELNS1_3gpuE7ELNS1_3repE0EEENS1_30default_config_static_selectorELNS0_4arch9wavefront6targetE1EEEvT1_: ; @_ZN7rocprim17ROCPRIM_400000_NS6detail17trampoline_kernelINS0_14default_configENS1_35adjacent_difference_config_selectorILb0EiEEZNS1_24adjacent_difference_implIS3_Lb0ELb0EPiS7_N6thrust23THRUST_200600_302600_NS5minusIiEEEE10hipError_tPvRmT2_T3_mT4_P12ihipStream_tbEUlT_E_NS1_11comp_targetILNS1_3genE3ELNS1_11target_archE908ELNS1_3gpuE7ELNS1_3repE0EEENS1_30default_config_static_selectorELNS0_4arch9wavefront6targetE1EEEvT1_
; %bb.0:
	.section	.rodata,"a",@progbits
	.p2align	6, 0x0
	.amdhsa_kernel _ZN7rocprim17ROCPRIM_400000_NS6detail17trampoline_kernelINS0_14default_configENS1_35adjacent_difference_config_selectorILb0EiEEZNS1_24adjacent_difference_implIS3_Lb0ELb0EPiS7_N6thrust23THRUST_200600_302600_NS5minusIiEEEE10hipError_tPvRmT2_T3_mT4_P12ihipStream_tbEUlT_E_NS1_11comp_targetILNS1_3genE3ELNS1_11target_archE908ELNS1_3gpuE7ELNS1_3repE0EEENS1_30default_config_static_selectorELNS0_4arch9wavefront6targetE1EEEvT1_
		.amdhsa_group_segment_fixed_size 0
		.amdhsa_private_segment_fixed_size 0
		.amdhsa_kernarg_size 56
		.amdhsa_user_sgpr_count 6
		.amdhsa_user_sgpr_private_segment_buffer 1
		.amdhsa_user_sgpr_dispatch_ptr 0
		.amdhsa_user_sgpr_queue_ptr 0
		.amdhsa_user_sgpr_kernarg_segment_ptr 1
		.amdhsa_user_sgpr_dispatch_id 0
		.amdhsa_user_sgpr_flat_scratch_init 0
		.amdhsa_user_sgpr_private_segment_size 0
		.amdhsa_uses_dynamic_stack 0
		.amdhsa_system_sgpr_private_segment_wavefront_offset 0
		.amdhsa_system_sgpr_workgroup_id_x 1
		.amdhsa_system_sgpr_workgroup_id_y 0
		.amdhsa_system_sgpr_workgroup_id_z 0
		.amdhsa_system_sgpr_workgroup_info 0
		.amdhsa_system_vgpr_workitem_id 0
		.amdhsa_next_free_vgpr 1
		.amdhsa_next_free_sgpr 0
		.amdhsa_reserve_vcc 0
		.amdhsa_reserve_flat_scratch 0
		.amdhsa_float_round_mode_32 0
		.amdhsa_float_round_mode_16_64 0
		.amdhsa_float_denorm_mode_32 3
		.amdhsa_float_denorm_mode_16_64 3
		.amdhsa_dx10_clamp 1
		.amdhsa_ieee_mode 1
		.amdhsa_fp16_overflow 0
		.amdhsa_exception_fp_ieee_invalid_op 0
		.amdhsa_exception_fp_denorm_src 0
		.amdhsa_exception_fp_ieee_div_zero 0
		.amdhsa_exception_fp_ieee_overflow 0
		.amdhsa_exception_fp_ieee_underflow 0
		.amdhsa_exception_fp_ieee_inexact 0
		.amdhsa_exception_int_div_zero 0
	.end_amdhsa_kernel
	.section	.text._ZN7rocprim17ROCPRIM_400000_NS6detail17trampoline_kernelINS0_14default_configENS1_35adjacent_difference_config_selectorILb0EiEEZNS1_24adjacent_difference_implIS3_Lb0ELb0EPiS7_N6thrust23THRUST_200600_302600_NS5minusIiEEEE10hipError_tPvRmT2_T3_mT4_P12ihipStream_tbEUlT_E_NS1_11comp_targetILNS1_3genE3ELNS1_11target_archE908ELNS1_3gpuE7ELNS1_3repE0EEENS1_30default_config_static_selectorELNS0_4arch9wavefront6targetE1EEEvT1_,"axG",@progbits,_ZN7rocprim17ROCPRIM_400000_NS6detail17trampoline_kernelINS0_14default_configENS1_35adjacent_difference_config_selectorILb0EiEEZNS1_24adjacent_difference_implIS3_Lb0ELb0EPiS7_N6thrust23THRUST_200600_302600_NS5minusIiEEEE10hipError_tPvRmT2_T3_mT4_P12ihipStream_tbEUlT_E_NS1_11comp_targetILNS1_3genE3ELNS1_11target_archE908ELNS1_3gpuE7ELNS1_3repE0EEENS1_30default_config_static_selectorELNS0_4arch9wavefront6targetE1EEEvT1_,comdat
.Lfunc_end311:
	.size	_ZN7rocprim17ROCPRIM_400000_NS6detail17trampoline_kernelINS0_14default_configENS1_35adjacent_difference_config_selectorILb0EiEEZNS1_24adjacent_difference_implIS3_Lb0ELb0EPiS7_N6thrust23THRUST_200600_302600_NS5minusIiEEEE10hipError_tPvRmT2_T3_mT4_P12ihipStream_tbEUlT_E_NS1_11comp_targetILNS1_3genE3ELNS1_11target_archE908ELNS1_3gpuE7ELNS1_3repE0EEENS1_30default_config_static_selectorELNS0_4arch9wavefront6targetE1EEEvT1_, .Lfunc_end311-_ZN7rocprim17ROCPRIM_400000_NS6detail17trampoline_kernelINS0_14default_configENS1_35adjacent_difference_config_selectorILb0EiEEZNS1_24adjacent_difference_implIS3_Lb0ELb0EPiS7_N6thrust23THRUST_200600_302600_NS5minusIiEEEE10hipError_tPvRmT2_T3_mT4_P12ihipStream_tbEUlT_E_NS1_11comp_targetILNS1_3genE3ELNS1_11target_archE908ELNS1_3gpuE7ELNS1_3repE0EEENS1_30default_config_static_selectorELNS0_4arch9wavefront6targetE1EEEvT1_
                                        ; -- End function
	.set _ZN7rocprim17ROCPRIM_400000_NS6detail17trampoline_kernelINS0_14default_configENS1_35adjacent_difference_config_selectorILb0EiEEZNS1_24adjacent_difference_implIS3_Lb0ELb0EPiS7_N6thrust23THRUST_200600_302600_NS5minusIiEEEE10hipError_tPvRmT2_T3_mT4_P12ihipStream_tbEUlT_E_NS1_11comp_targetILNS1_3genE3ELNS1_11target_archE908ELNS1_3gpuE7ELNS1_3repE0EEENS1_30default_config_static_selectorELNS0_4arch9wavefront6targetE1EEEvT1_.num_vgpr, 0
	.set _ZN7rocprim17ROCPRIM_400000_NS6detail17trampoline_kernelINS0_14default_configENS1_35adjacent_difference_config_selectorILb0EiEEZNS1_24adjacent_difference_implIS3_Lb0ELb0EPiS7_N6thrust23THRUST_200600_302600_NS5minusIiEEEE10hipError_tPvRmT2_T3_mT4_P12ihipStream_tbEUlT_E_NS1_11comp_targetILNS1_3genE3ELNS1_11target_archE908ELNS1_3gpuE7ELNS1_3repE0EEENS1_30default_config_static_selectorELNS0_4arch9wavefront6targetE1EEEvT1_.num_agpr, 0
	.set _ZN7rocprim17ROCPRIM_400000_NS6detail17trampoline_kernelINS0_14default_configENS1_35adjacent_difference_config_selectorILb0EiEEZNS1_24adjacent_difference_implIS3_Lb0ELb0EPiS7_N6thrust23THRUST_200600_302600_NS5minusIiEEEE10hipError_tPvRmT2_T3_mT4_P12ihipStream_tbEUlT_E_NS1_11comp_targetILNS1_3genE3ELNS1_11target_archE908ELNS1_3gpuE7ELNS1_3repE0EEENS1_30default_config_static_selectorELNS0_4arch9wavefront6targetE1EEEvT1_.numbered_sgpr, 0
	.set _ZN7rocprim17ROCPRIM_400000_NS6detail17trampoline_kernelINS0_14default_configENS1_35adjacent_difference_config_selectorILb0EiEEZNS1_24adjacent_difference_implIS3_Lb0ELb0EPiS7_N6thrust23THRUST_200600_302600_NS5minusIiEEEE10hipError_tPvRmT2_T3_mT4_P12ihipStream_tbEUlT_E_NS1_11comp_targetILNS1_3genE3ELNS1_11target_archE908ELNS1_3gpuE7ELNS1_3repE0EEENS1_30default_config_static_selectorELNS0_4arch9wavefront6targetE1EEEvT1_.num_named_barrier, 0
	.set _ZN7rocprim17ROCPRIM_400000_NS6detail17trampoline_kernelINS0_14default_configENS1_35adjacent_difference_config_selectorILb0EiEEZNS1_24adjacent_difference_implIS3_Lb0ELb0EPiS7_N6thrust23THRUST_200600_302600_NS5minusIiEEEE10hipError_tPvRmT2_T3_mT4_P12ihipStream_tbEUlT_E_NS1_11comp_targetILNS1_3genE3ELNS1_11target_archE908ELNS1_3gpuE7ELNS1_3repE0EEENS1_30default_config_static_selectorELNS0_4arch9wavefront6targetE1EEEvT1_.private_seg_size, 0
	.set _ZN7rocprim17ROCPRIM_400000_NS6detail17trampoline_kernelINS0_14default_configENS1_35adjacent_difference_config_selectorILb0EiEEZNS1_24adjacent_difference_implIS3_Lb0ELb0EPiS7_N6thrust23THRUST_200600_302600_NS5minusIiEEEE10hipError_tPvRmT2_T3_mT4_P12ihipStream_tbEUlT_E_NS1_11comp_targetILNS1_3genE3ELNS1_11target_archE908ELNS1_3gpuE7ELNS1_3repE0EEENS1_30default_config_static_selectorELNS0_4arch9wavefront6targetE1EEEvT1_.uses_vcc, 0
	.set _ZN7rocprim17ROCPRIM_400000_NS6detail17trampoline_kernelINS0_14default_configENS1_35adjacent_difference_config_selectorILb0EiEEZNS1_24adjacent_difference_implIS3_Lb0ELb0EPiS7_N6thrust23THRUST_200600_302600_NS5minusIiEEEE10hipError_tPvRmT2_T3_mT4_P12ihipStream_tbEUlT_E_NS1_11comp_targetILNS1_3genE3ELNS1_11target_archE908ELNS1_3gpuE7ELNS1_3repE0EEENS1_30default_config_static_selectorELNS0_4arch9wavefront6targetE1EEEvT1_.uses_flat_scratch, 0
	.set _ZN7rocprim17ROCPRIM_400000_NS6detail17trampoline_kernelINS0_14default_configENS1_35adjacent_difference_config_selectorILb0EiEEZNS1_24adjacent_difference_implIS3_Lb0ELb0EPiS7_N6thrust23THRUST_200600_302600_NS5minusIiEEEE10hipError_tPvRmT2_T3_mT4_P12ihipStream_tbEUlT_E_NS1_11comp_targetILNS1_3genE3ELNS1_11target_archE908ELNS1_3gpuE7ELNS1_3repE0EEENS1_30default_config_static_selectorELNS0_4arch9wavefront6targetE1EEEvT1_.has_dyn_sized_stack, 0
	.set _ZN7rocprim17ROCPRIM_400000_NS6detail17trampoline_kernelINS0_14default_configENS1_35adjacent_difference_config_selectorILb0EiEEZNS1_24adjacent_difference_implIS3_Lb0ELb0EPiS7_N6thrust23THRUST_200600_302600_NS5minusIiEEEE10hipError_tPvRmT2_T3_mT4_P12ihipStream_tbEUlT_E_NS1_11comp_targetILNS1_3genE3ELNS1_11target_archE908ELNS1_3gpuE7ELNS1_3repE0EEENS1_30default_config_static_selectorELNS0_4arch9wavefront6targetE1EEEvT1_.has_recursion, 0
	.set _ZN7rocprim17ROCPRIM_400000_NS6detail17trampoline_kernelINS0_14default_configENS1_35adjacent_difference_config_selectorILb0EiEEZNS1_24adjacent_difference_implIS3_Lb0ELb0EPiS7_N6thrust23THRUST_200600_302600_NS5minusIiEEEE10hipError_tPvRmT2_T3_mT4_P12ihipStream_tbEUlT_E_NS1_11comp_targetILNS1_3genE3ELNS1_11target_archE908ELNS1_3gpuE7ELNS1_3repE0EEENS1_30default_config_static_selectorELNS0_4arch9wavefront6targetE1EEEvT1_.has_indirect_call, 0
	.section	.AMDGPU.csdata,"",@progbits
; Kernel info:
; codeLenInByte = 0
; TotalNumSgprs: 4
; NumVgprs: 0
; ScratchSize: 0
; MemoryBound: 0
; FloatMode: 240
; IeeeMode: 1
; LDSByteSize: 0 bytes/workgroup (compile time only)
; SGPRBlocks: 0
; VGPRBlocks: 0
; NumSGPRsForWavesPerEU: 4
; NumVGPRsForWavesPerEU: 1
; Occupancy: 10
; WaveLimiterHint : 0
; COMPUTE_PGM_RSRC2:SCRATCH_EN: 0
; COMPUTE_PGM_RSRC2:USER_SGPR: 6
; COMPUTE_PGM_RSRC2:TRAP_HANDLER: 0
; COMPUTE_PGM_RSRC2:TGID_X_EN: 1
; COMPUTE_PGM_RSRC2:TGID_Y_EN: 0
; COMPUTE_PGM_RSRC2:TGID_Z_EN: 0
; COMPUTE_PGM_RSRC2:TIDIG_COMP_CNT: 0
	.section	.text._ZN7rocprim17ROCPRIM_400000_NS6detail17trampoline_kernelINS0_14default_configENS1_35adjacent_difference_config_selectorILb0EiEEZNS1_24adjacent_difference_implIS3_Lb0ELb0EPiS7_N6thrust23THRUST_200600_302600_NS5minusIiEEEE10hipError_tPvRmT2_T3_mT4_P12ihipStream_tbEUlT_E_NS1_11comp_targetILNS1_3genE2ELNS1_11target_archE906ELNS1_3gpuE6ELNS1_3repE0EEENS1_30default_config_static_selectorELNS0_4arch9wavefront6targetE1EEEvT1_,"axG",@progbits,_ZN7rocprim17ROCPRIM_400000_NS6detail17trampoline_kernelINS0_14default_configENS1_35adjacent_difference_config_selectorILb0EiEEZNS1_24adjacent_difference_implIS3_Lb0ELb0EPiS7_N6thrust23THRUST_200600_302600_NS5minusIiEEEE10hipError_tPvRmT2_T3_mT4_P12ihipStream_tbEUlT_E_NS1_11comp_targetILNS1_3genE2ELNS1_11target_archE906ELNS1_3gpuE6ELNS1_3repE0EEENS1_30default_config_static_selectorELNS0_4arch9wavefront6targetE1EEEvT1_,comdat
	.protected	_ZN7rocprim17ROCPRIM_400000_NS6detail17trampoline_kernelINS0_14default_configENS1_35adjacent_difference_config_selectorILb0EiEEZNS1_24adjacent_difference_implIS3_Lb0ELb0EPiS7_N6thrust23THRUST_200600_302600_NS5minusIiEEEE10hipError_tPvRmT2_T3_mT4_P12ihipStream_tbEUlT_E_NS1_11comp_targetILNS1_3genE2ELNS1_11target_archE906ELNS1_3gpuE6ELNS1_3repE0EEENS1_30default_config_static_selectorELNS0_4arch9wavefront6targetE1EEEvT1_ ; -- Begin function _ZN7rocprim17ROCPRIM_400000_NS6detail17trampoline_kernelINS0_14default_configENS1_35adjacent_difference_config_selectorILb0EiEEZNS1_24adjacent_difference_implIS3_Lb0ELb0EPiS7_N6thrust23THRUST_200600_302600_NS5minusIiEEEE10hipError_tPvRmT2_T3_mT4_P12ihipStream_tbEUlT_E_NS1_11comp_targetILNS1_3genE2ELNS1_11target_archE906ELNS1_3gpuE6ELNS1_3repE0EEENS1_30default_config_static_selectorELNS0_4arch9wavefront6targetE1EEEvT1_
	.globl	_ZN7rocprim17ROCPRIM_400000_NS6detail17trampoline_kernelINS0_14default_configENS1_35adjacent_difference_config_selectorILb0EiEEZNS1_24adjacent_difference_implIS3_Lb0ELb0EPiS7_N6thrust23THRUST_200600_302600_NS5minusIiEEEE10hipError_tPvRmT2_T3_mT4_P12ihipStream_tbEUlT_E_NS1_11comp_targetILNS1_3genE2ELNS1_11target_archE906ELNS1_3gpuE6ELNS1_3repE0EEENS1_30default_config_static_selectorELNS0_4arch9wavefront6targetE1EEEvT1_
	.p2align	8
	.type	_ZN7rocprim17ROCPRIM_400000_NS6detail17trampoline_kernelINS0_14default_configENS1_35adjacent_difference_config_selectorILb0EiEEZNS1_24adjacent_difference_implIS3_Lb0ELb0EPiS7_N6thrust23THRUST_200600_302600_NS5minusIiEEEE10hipError_tPvRmT2_T3_mT4_P12ihipStream_tbEUlT_E_NS1_11comp_targetILNS1_3genE2ELNS1_11target_archE906ELNS1_3gpuE6ELNS1_3repE0EEENS1_30default_config_static_selectorELNS0_4arch9wavefront6targetE1EEEvT1_,@function
_ZN7rocprim17ROCPRIM_400000_NS6detail17trampoline_kernelINS0_14default_configENS1_35adjacent_difference_config_selectorILb0EiEEZNS1_24adjacent_difference_implIS3_Lb0ELb0EPiS7_N6thrust23THRUST_200600_302600_NS5minusIiEEEE10hipError_tPvRmT2_T3_mT4_P12ihipStream_tbEUlT_E_NS1_11comp_targetILNS1_3genE2ELNS1_11target_archE906ELNS1_3gpuE6ELNS1_3repE0EEENS1_30default_config_static_selectorELNS0_4arch9wavefront6targetE1EEEvT1_: ; @_ZN7rocprim17ROCPRIM_400000_NS6detail17trampoline_kernelINS0_14default_configENS1_35adjacent_difference_config_selectorILb0EiEEZNS1_24adjacent_difference_implIS3_Lb0ELb0EPiS7_N6thrust23THRUST_200600_302600_NS5minusIiEEEE10hipError_tPvRmT2_T3_mT4_P12ihipStream_tbEUlT_E_NS1_11comp_targetILNS1_3genE2ELNS1_11target_archE906ELNS1_3gpuE6ELNS1_3repE0EEENS1_30default_config_static_selectorELNS0_4arch9wavefront6targetE1EEEvT1_
; %bb.0:
	s_load_dwordx8 s[8:15], s[4:5], 0x0
	s_load_dwordx2 s[0:1], s[4:5], 0x30
	s_mul_i32 s16, s6, 0x1400
	s_mov_b32 s17, 0
	s_waitcnt lgkmcnt(0)
	s_lshl_b64 s[18:19], s[10:11], 2
	s_add_u32 s20, s8, s18
	s_addc_u32 s21, s9, s19
	s_mul_i32 s5, s15, 0xcccccccd
	s_mul_hi_u32 s7, s14, 0xcccccccd
	s_mul_hi_u32 s4, s15, 0xcccccccd
	s_add_u32 s5, s5, s7
	s_mul_i32 s3, s14, 0xcccccccc
	s_addc_u32 s4, s4, 0
	s_mul_hi_u32 s2, s14, 0xcccccccc
	s_add_u32 s3, s3, s5
	s_addc_u32 s2, s2, 0
	s_add_u32 s2, s4, s2
	s_addc_u32 s3, 0, 0
	s_mul_i32 s5, s15, 0xcccccccc
	s_mul_hi_u32 s4, s15, 0xcccccccc
	s_add_u32 s2, s5, s2
	s_addc_u32 s3, s4, s3
	s_lshr_b64 s[4:5], s[2:3], 12
	s_lshr_b32 s2, s3, 12
	s_mulk_i32 s2, 0x1400
	s_mul_hi_u32 s3, s4, 0x1400
	s_add_i32 s3, s3, s2
	s_mul_i32 s2, s4, 0x1400
	s_sub_u32 s2, s14, s2
	s_subb_u32 s3, s15, s3
	s_cmp_lg_u64 s[2:3], 0
	s_cselect_b64 s[2:3], -1, 0
	v_cndmask_b32_e64 v1, 0, 1, s[2:3]
	v_readfirstlane_b32 s2, v1
	s_add_u32 s2, s4, s2
	s_addc_u32 s3, s5, 0
	s_add_u32 s4, s0, s6
	s_addc_u32 s5, s1, 0
	s_add_u32 s6, s2, -1
	s_addc_u32 s7, s3, -1
	v_mov_b32_e32 v1, s6
	v_mov_b32_e32 v2, s7
	v_cmp_ge_u64_e64 s[0:1], s[4:5], v[1:2]
	s_mov_b64 s[8:9], -1
	s_and_b64 vcc, exec, s[0:1]
	s_mul_i32 s15, s6, 0xffffec00
	s_cbranch_vccz .LBB312_12
; %bb.1:
	s_add_i32 s22, s15, s14
	s_lshl_b64 s[8:9], s[16:17], 2
	s_add_u32 s8, s20, s8
	v_mov_b32_e32 v1, 0
	s_addc_u32 s9, s21, s9
	v_cmp_gt_u32_e32 vcc, s22, v0
	v_mov_b32_e32 v2, v1
	v_mov_b32_e32 v3, v1
	;; [unrolled: 1-line block ×4, first 2 shown]
	s_and_saveexec_b64 s[10:11], vcc
	s_cbranch_execz .LBB312_3
; %bb.2:
	v_lshlrev_b32_e32 v2, 2, v0
	global_load_dword v2, v2, s[8:9]
	v_mov_b32_e32 v3, v1
	v_mov_b32_e32 v4, v1
	;; [unrolled: 1-line block ×4, first 2 shown]
	s_waitcnt vmcnt(0)
	v_mov_b32_e32 v1, v2
	v_mov_b32_e32 v2, v3
	;; [unrolled: 1-line block ×5, first 2 shown]
.LBB312_3:
	s_or_b64 exec, exec, s[10:11]
	v_or_b32_e32 v6, 0x400, v0
	v_cmp_gt_u32_e32 vcc, s22, v6
	s_and_saveexec_b64 s[10:11], vcc
	s_cbranch_execz .LBB312_5
; %bb.4:
	v_lshlrev_b32_e32 v2, 2, v6
	global_load_dword v2, v2, s[8:9]
.LBB312_5:
	s_or_b64 exec, exec, s[10:11]
	v_or_b32_e32 v6, 0x800, v0
	v_cmp_gt_u32_e32 vcc, s22, v6
	s_and_saveexec_b64 s[10:11], vcc
	s_cbranch_execz .LBB312_7
; %bb.6:
	v_lshlrev_b32_e32 v3, 2, v6
	global_load_dword v3, v3, s[8:9]
.LBB312_7:
	;; [unrolled: 9-line block ×4, first 2 shown]
	s_or_b64 exec, exec, s[10:11]
	v_lshlrev_b32_e32 v6, 2, v0
	s_mov_b64 s[8:9], 0
	s_waitcnt vmcnt(0)
	ds_write2st64_b32 v6, v1, v2 offset1:16
	ds_write2st64_b32 v6, v3, v4 offset0:32 offset1:48
	ds_write_b32 v6, v5 offset:16384
	s_waitcnt lgkmcnt(0)
	s_barrier
.LBB312_12:
	s_and_b64 vcc, exec, s[8:9]
	v_lshlrev_b32_e32 v8, 2, v0
	s_cbranch_vccz .LBB312_14
; %bb.13:
	s_lshl_b64 s[8:9], s[16:17], 2
	s_add_u32 s8, s20, s8
	s_addc_u32 s9, s21, s9
	v_mov_b32_e32 v1, s9
	v_add_co_u32_e32 v7, vcc, s8, v8
	v_addc_co_u32_e32 v10, vcc, 0, v1, vcc
	v_add_co_u32_e32 v1, vcc, 0x1000, v7
	v_addc_co_u32_e32 v2, vcc, 0, v10, vcc
	;; [unrolled: 2-line block ×5, first 2 shown]
	global_load_dword v7, v8, s[8:9]
	global_load_dword v11, v[1:2], off
	global_load_dword v12, v[3:4], off
	;; [unrolled: 1-line block ×4, first 2 shown]
	s_waitcnt vmcnt(3)
	ds_write2st64_b32 v8, v7, v11 offset1:16
	s_waitcnt vmcnt(1)
	ds_write2st64_b32 v8, v12, v13 offset0:32 offset1:48
	s_waitcnt vmcnt(0)
	ds_write_b32 v8, v14 offset:16384
	s_waitcnt lgkmcnt(0)
	s_barrier
.LBB312_14:
	v_mul_u32_u24_e32 v9, 20, v0
	ds_read2_b32 v[1:2], v9 offset1:1
	ds_read2_b32 v[3:4], v9 offset0:2 offset1:3
	ds_read_b32 v5, v9 offset:16
	s_cmp_eq_u64 s[4:5], 0
	s_waitcnt lgkmcnt(0)
	s_barrier
	s_cbranch_scc1 .LBB312_19
; %bb.15:
	s_lshl_b64 s[8:9], s[16:17], 2
	s_add_u32 s8, s20, s8
	s_addc_u32 s9, s21, s9
	s_add_u32 s8, s8, -4
	s_addc_u32 s9, s9, -1
	s_load_dword s8, s[8:9], 0x0
	s_cmp_eq_u64 s[4:5], s[6:7]
	s_cbranch_scc1 .LBB312_20
; %bb.16:
	v_cmp_ne_u32_e32 vcc, 0, v0
	s_waitcnt lgkmcnt(0)
	v_mov_b32_e32 v6, s8
	ds_write_b32 v8, v5
	s_waitcnt lgkmcnt(0)
	s_barrier
	s_and_saveexec_b64 s[6:7], vcc
; %bb.17:
	v_add_u32_e32 v6, -4, v8
	ds_read_b32 v6, v6
; %bb.18:
	s_or_b64 exec, exec, s[6:7]
	v_sub_u32_e32 v10, v5, v4
	v_sub_u32_e32 v11, v4, v3
	;; [unrolled: 1-line block ×4, first 2 shown]
	s_cbranch_execz .LBB312_21
	s_branch .LBB312_24
.LBB312_19:
	s_mov_b64 s[20:21], 0
                                        ; implicit-def: $vgpr6
                                        ; implicit-def: $vgpr10
                                        ; implicit-def: $vgpr11
                                        ; implicit-def: $vgpr12
                                        ; implicit-def: $vgpr13
	s_branch .LBB312_25
.LBB312_20:
                                        ; implicit-def: $vgpr10
                                        ; implicit-def: $vgpr11
                                        ; implicit-def: $vgpr12
                                        ; implicit-def: $vgpr13
                                        ; implicit-def: $vgpr6
.LBB312_21:
	s_waitcnt lgkmcnt(0)
	v_mul_u32_u24_e32 v6, 5, v0
	v_cmp_ne_u32_e32 vcc, 0, v0
	v_mov_b32_e32 v7, s8
	ds_write_b32 v8, v5
	s_waitcnt lgkmcnt(0)
	s_barrier
	s_and_saveexec_b64 s[6:7], vcc
; %bb.22:
	v_add_u32_e32 v7, -4, v8
	ds_read_b32 v7, v7
; %bb.23:
	s_or_b64 exec, exec, s[6:7]
	s_mulk_i32 s4, 0xec00
	s_add_i32 s4, s4, s14
	v_add_u32_e32 v10, 4, v6
	v_sub_u32_e32 v11, v5, v4
	v_cmp_gt_u32_e32 vcc, s4, v10
	v_cndmask_b32_e32 v10, v5, v11, vcc
	v_add_u32_e32 v11, 3, v6
	v_sub_u32_e32 v12, v4, v3
	v_cmp_gt_u32_e32 vcc, s4, v11
	v_cndmask_b32_e32 v11, v4, v12, vcc
	;; [unrolled: 4-line block ×4, first 2 shown]
	v_cmp_gt_u32_e32 vcc, s4, v6
	s_waitcnt lgkmcnt(0)
	v_cndmask_b32_e32 v6, 0, v7, vcc
.LBB312_24:
	s_mov_b64 s[20:21], -1
	s_cbranch_execnz .LBB312_33
.LBB312_25:
	s_cmp_lg_u64 s[2:3], 1
	v_sub_u32_e32 v10, v5, v4
	v_sub_u32_e32 v11, v4, v3
	;; [unrolled: 1-line block ×4, first 2 shown]
	v_cmp_ne_u32_e32 vcc, 0, v0
	s_cbranch_scc0 .LBB312_29
; %bb.26:
	ds_write_b32 v8, v5
	s_waitcnt lgkmcnt(0)
	s_barrier
                                        ; implicit-def: $vgpr6
	s_and_saveexec_b64 s[2:3], vcc
; %bb.27:
	v_add_u32_e32 v6, -4, v8
	ds_read_b32 v6, v6
	s_or_b64 s[20:21], s[20:21], exec
; %bb.28:
	s_or_b64 exec, exec, s[2:3]
	s_branch .LBB312_33
.LBB312_29:
                                        ; implicit-def: $vgpr6
	s_cbranch_execz .LBB312_33
; %bb.30:
	v_mad_u32_u24 v7, v0, 5, 4
	v_cmp_gt_u32_e32 vcc, s14, v7
	v_mad_u32_u24 v7, v0, 5, 3
	s_waitcnt lgkmcnt(0)
	v_mul_u32_u24_e32 v6, 5, v0
	v_cmp_gt_u32_e64 s[2:3], s14, v7
	v_mad_u32_u24 v7, v0, 5, 2
	v_cmp_gt_u32_e64 s[4:5], s14, v7
	v_mad_u32_u24 v7, v0, 5, 1
	v_cmp_ne_u32_e64 s[8:9], 0, v0
	v_cmp_gt_u32_e64 s[10:11], s14, v6
	v_cmp_gt_u32_e64 s[6:7], s14, v7
	s_and_b64 s[10:11], s[8:9], s[10:11]
	ds_write_b32 v8, v5
	s_waitcnt lgkmcnt(0)
	s_barrier
                                        ; implicit-def: $vgpr6
	s_and_saveexec_b64 s[8:9], s[10:11]
; %bb.31:
	v_add_u32_e32 v6, -4, v8
	ds_read_b32 v6, v6
	s_or_b64 s[20:21], s[20:21], exec
; %bb.32:
	s_or_b64 exec, exec, s[8:9]
	v_cndmask_b32_e32 v10, v5, v10, vcc
	v_cndmask_b32_e64 v11, v4, v11, s[2:3]
	v_cndmask_b32_e64 v12, v3, v12, s[4:5]
	;; [unrolled: 1-line block ×3, first 2 shown]
.LBB312_33:
	s_and_saveexec_b64 s[2:3], s[20:21]
	s_cbranch_execz .LBB312_35
; %bb.34:
	s_waitcnt lgkmcnt(0)
	v_sub_u32_e32 v1, v1, v6
.LBB312_35:
	s_or_b64 exec, exec, s[2:3]
	s_add_u32 s4, s12, s18
	s_addc_u32 s5, s13, s19
	s_and_b64 vcc, exec, s[0:1]
	v_lshlrev_b32_e32 v14, 4, v0
	s_waitcnt lgkmcnt(0)
	s_barrier
	s_cbranch_vccz .LBB312_45
; %bb.36:
	s_add_i32 s15, s15, s14
	s_lshl_b64 s[0:1], s[16:17], 2
	v_sub_u32_e32 v2, v9, v14
	s_add_u32 s0, s4, s0
	ds_write2_b32 v9, v1, v13 offset1:1
	ds_write2_b32 v9, v12, v11 offset0:2 offset1:3
	ds_write_b32 v9, v10 offset:16
	s_waitcnt lgkmcnt(0)
	s_barrier
	ds_read2st64_b32 v[6:7], v2 offset0:16 offset1:32
	ds_read2st64_b32 v[2:3], v2 offset0:48 offset1:64
	s_addc_u32 s1, s5, s1
	v_mov_b32_e32 v5, s1
	v_add_co_u32_e32 v4, vcc, s0, v8
	v_addc_co_u32_e32 v5, vcc, 0, v5, vcc
	v_cmp_gt_u32_e32 vcc, s15, v0
	s_and_saveexec_b64 s[0:1], vcc
	s_cbranch_execz .LBB312_38
; %bb.37:
	v_sub_u32_e32 v15, 0, v14
	v_add_u32_e32 v15, v9, v15
	ds_read_b32 v15, v15
	s_waitcnt lgkmcnt(0)
	global_store_dword v[4:5], v15, off
.LBB312_38:
	s_or_b64 exec, exec, s[0:1]
	v_or_b32_e32 v15, 0x400, v0
	v_cmp_gt_u32_e32 vcc, s15, v15
	s_and_saveexec_b64 s[0:1], vcc
	s_cbranch_execz .LBB312_40
; %bb.39:
	v_add_co_u32_e32 v15, vcc, 0x1000, v4
	v_addc_co_u32_e32 v16, vcc, 0, v5, vcc
	s_waitcnt lgkmcnt(1)
	global_store_dword v[15:16], v6, off
.LBB312_40:
	s_or_b64 exec, exec, s[0:1]
	s_waitcnt lgkmcnt(1)
	v_or_b32_e32 v6, 0x800, v0
	v_cmp_gt_u32_e32 vcc, s15, v6
	s_and_saveexec_b64 s[0:1], vcc
	s_cbranch_execz .LBB312_42
; %bb.41:
	v_add_co_u32_e32 v15, vcc, 0x2000, v4
	v_addc_co_u32_e32 v16, vcc, 0, v5, vcc
	global_store_dword v[15:16], v7, off
.LBB312_42:
	s_or_b64 exec, exec, s[0:1]
	v_or_b32_e32 v6, 0xc00, v0
	v_cmp_gt_u32_e32 vcc, s15, v6
	s_and_saveexec_b64 s[0:1], vcc
	s_cbranch_execz .LBB312_44
; %bb.43:
	v_add_co_u32_e32 v6, vcc, 0x3000, v4
	v_addc_co_u32_e32 v7, vcc, 0, v5, vcc
	s_waitcnt lgkmcnt(0)
	global_store_dword v[6:7], v2, off
.LBB312_44:
	s_or_b64 exec, exec, s[0:1]
	v_or_b32_e32 v0, 0x1000, v0
	v_cmp_gt_u32_e64 s[0:1], s15, v0
	s_branch .LBB312_47
.LBB312_45:
	s_mov_b64 s[0:1], 0
                                        ; implicit-def: $vgpr3
                                        ; implicit-def: $vgpr4_vgpr5
	s_cbranch_execz .LBB312_47
; %bb.46:
	s_lshl_b64 s[2:3], s[16:17], 2
	s_waitcnt lgkmcnt(0)
	v_sub_u32_e32 v2, v9, v14
	s_add_u32 s2, s4, s2
	ds_write2_b32 v9, v1, v13 offset1:1
	ds_write2_b32 v9, v12, v11 offset0:2 offset1:3
	ds_write_b32 v9, v10 offset:16
	s_waitcnt vmcnt(0) lgkmcnt(0)
	s_barrier
	ds_read2st64_b32 v[0:1], v2 offset1:16
	ds_read2st64_b32 v[6:7], v2 offset0:32 offset1:48
	ds_read_b32 v3, v2 offset:16384
	s_addc_u32 s3, s5, s3
	v_mov_b32_e32 v2, s3
	v_add_co_u32_e32 v4, vcc, s2, v8
	v_addc_co_u32_e32 v5, vcc, 0, v2, vcc
	s_waitcnt lgkmcnt(2)
	global_store_dword v8, v0, s[2:3]
	s_movk_i32 s2, 0x1000
	v_add_co_u32_e32 v8, vcc, s2, v4
	v_addc_co_u32_e32 v9, vcc, 0, v5, vcc
	v_add_co_u32_e32 v0, vcc, 0x2000, v4
	global_store_dword v[8:9], v1, off
	v_addc_co_u32_e32 v1, vcc, 0, v5, vcc
	s_waitcnt lgkmcnt(1)
	global_store_dword v[0:1], v6, off
	v_add_co_u32_e32 v0, vcc, 0x3000, v4
	v_addc_co_u32_e32 v1, vcc, 0, v5, vcc
	s_or_b64 s[0:1], s[0:1], exec
	global_store_dword v[0:1], v7, off
.LBB312_47:
	s_and_saveexec_b64 s[2:3], s[0:1]
	s_cbranch_execnz .LBB312_49
; %bb.48:
	s_endpgm
.LBB312_49:
	v_add_co_u32_e32 v0, vcc, 0x4000, v4
	v_addc_co_u32_e32 v1, vcc, 0, v5, vcc
	s_waitcnt lgkmcnt(0)
	global_store_dword v[0:1], v3, off
	s_endpgm
	.section	.rodata,"a",@progbits
	.p2align	6, 0x0
	.amdhsa_kernel _ZN7rocprim17ROCPRIM_400000_NS6detail17trampoline_kernelINS0_14default_configENS1_35adjacent_difference_config_selectorILb0EiEEZNS1_24adjacent_difference_implIS3_Lb0ELb0EPiS7_N6thrust23THRUST_200600_302600_NS5minusIiEEEE10hipError_tPvRmT2_T3_mT4_P12ihipStream_tbEUlT_E_NS1_11comp_targetILNS1_3genE2ELNS1_11target_archE906ELNS1_3gpuE6ELNS1_3repE0EEENS1_30default_config_static_selectorELNS0_4arch9wavefront6targetE1EEEvT1_
		.amdhsa_group_segment_fixed_size 20480
		.amdhsa_private_segment_fixed_size 0
		.amdhsa_kernarg_size 56
		.amdhsa_user_sgpr_count 6
		.amdhsa_user_sgpr_private_segment_buffer 1
		.amdhsa_user_sgpr_dispatch_ptr 0
		.amdhsa_user_sgpr_queue_ptr 0
		.amdhsa_user_sgpr_kernarg_segment_ptr 1
		.amdhsa_user_sgpr_dispatch_id 0
		.amdhsa_user_sgpr_flat_scratch_init 0
		.amdhsa_user_sgpr_private_segment_size 0
		.amdhsa_uses_dynamic_stack 0
		.amdhsa_system_sgpr_private_segment_wavefront_offset 0
		.amdhsa_system_sgpr_workgroup_id_x 1
		.amdhsa_system_sgpr_workgroup_id_y 0
		.amdhsa_system_sgpr_workgroup_id_z 0
		.amdhsa_system_sgpr_workgroup_info 0
		.amdhsa_system_vgpr_workitem_id 0
		.amdhsa_next_free_vgpr 29
		.amdhsa_next_free_sgpr 61
		.amdhsa_reserve_vcc 1
		.amdhsa_reserve_flat_scratch 0
		.amdhsa_float_round_mode_32 0
		.amdhsa_float_round_mode_16_64 0
		.amdhsa_float_denorm_mode_32 3
		.amdhsa_float_denorm_mode_16_64 3
		.amdhsa_dx10_clamp 1
		.amdhsa_ieee_mode 1
		.amdhsa_fp16_overflow 0
		.amdhsa_exception_fp_ieee_invalid_op 0
		.amdhsa_exception_fp_denorm_src 0
		.amdhsa_exception_fp_ieee_div_zero 0
		.amdhsa_exception_fp_ieee_overflow 0
		.amdhsa_exception_fp_ieee_underflow 0
		.amdhsa_exception_fp_ieee_inexact 0
		.amdhsa_exception_int_div_zero 0
	.end_amdhsa_kernel
	.section	.text._ZN7rocprim17ROCPRIM_400000_NS6detail17trampoline_kernelINS0_14default_configENS1_35adjacent_difference_config_selectorILb0EiEEZNS1_24adjacent_difference_implIS3_Lb0ELb0EPiS7_N6thrust23THRUST_200600_302600_NS5minusIiEEEE10hipError_tPvRmT2_T3_mT4_P12ihipStream_tbEUlT_E_NS1_11comp_targetILNS1_3genE2ELNS1_11target_archE906ELNS1_3gpuE6ELNS1_3repE0EEENS1_30default_config_static_selectorELNS0_4arch9wavefront6targetE1EEEvT1_,"axG",@progbits,_ZN7rocprim17ROCPRIM_400000_NS6detail17trampoline_kernelINS0_14default_configENS1_35adjacent_difference_config_selectorILb0EiEEZNS1_24adjacent_difference_implIS3_Lb0ELb0EPiS7_N6thrust23THRUST_200600_302600_NS5minusIiEEEE10hipError_tPvRmT2_T3_mT4_P12ihipStream_tbEUlT_E_NS1_11comp_targetILNS1_3genE2ELNS1_11target_archE906ELNS1_3gpuE6ELNS1_3repE0EEENS1_30default_config_static_selectorELNS0_4arch9wavefront6targetE1EEEvT1_,comdat
.Lfunc_end312:
	.size	_ZN7rocprim17ROCPRIM_400000_NS6detail17trampoline_kernelINS0_14default_configENS1_35adjacent_difference_config_selectorILb0EiEEZNS1_24adjacent_difference_implIS3_Lb0ELb0EPiS7_N6thrust23THRUST_200600_302600_NS5minusIiEEEE10hipError_tPvRmT2_T3_mT4_P12ihipStream_tbEUlT_E_NS1_11comp_targetILNS1_3genE2ELNS1_11target_archE906ELNS1_3gpuE6ELNS1_3repE0EEENS1_30default_config_static_selectorELNS0_4arch9wavefront6targetE1EEEvT1_, .Lfunc_end312-_ZN7rocprim17ROCPRIM_400000_NS6detail17trampoline_kernelINS0_14default_configENS1_35adjacent_difference_config_selectorILb0EiEEZNS1_24adjacent_difference_implIS3_Lb0ELb0EPiS7_N6thrust23THRUST_200600_302600_NS5minusIiEEEE10hipError_tPvRmT2_T3_mT4_P12ihipStream_tbEUlT_E_NS1_11comp_targetILNS1_3genE2ELNS1_11target_archE906ELNS1_3gpuE6ELNS1_3repE0EEENS1_30default_config_static_selectorELNS0_4arch9wavefront6targetE1EEEvT1_
                                        ; -- End function
	.set _ZN7rocprim17ROCPRIM_400000_NS6detail17trampoline_kernelINS0_14default_configENS1_35adjacent_difference_config_selectorILb0EiEEZNS1_24adjacent_difference_implIS3_Lb0ELb0EPiS7_N6thrust23THRUST_200600_302600_NS5minusIiEEEE10hipError_tPvRmT2_T3_mT4_P12ihipStream_tbEUlT_E_NS1_11comp_targetILNS1_3genE2ELNS1_11target_archE906ELNS1_3gpuE6ELNS1_3repE0EEENS1_30default_config_static_selectorELNS0_4arch9wavefront6targetE1EEEvT1_.num_vgpr, 17
	.set _ZN7rocprim17ROCPRIM_400000_NS6detail17trampoline_kernelINS0_14default_configENS1_35adjacent_difference_config_selectorILb0EiEEZNS1_24adjacent_difference_implIS3_Lb0ELb0EPiS7_N6thrust23THRUST_200600_302600_NS5minusIiEEEE10hipError_tPvRmT2_T3_mT4_P12ihipStream_tbEUlT_E_NS1_11comp_targetILNS1_3genE2ELNS1_11target_archE906ELNS1_3gpuE6ELNS1_3repE0EEENS1_30default_config_static_selectorELNS0_4arch9wavefront6targetE1EEEvT1_.num_agpr, 0
	.set _ZN7rocprim17ROCPRIM_400000_NS6detail17trampoline_kernelINS0_14default_configENS1_35adjacent_difference_config_selectorILb0EiEEZNS1_24adjacent_difference_implIS3_Lb0ELb0EPiS7_N6thrust23THRUST_200600_302600_NS5minusIiEEEE10hipError_tPvRmT2_T3_mT4_P12ihipStream_tbEUlT_E_NS1_11comp_targetILNS1_3genE2ELNS1_11target_archE906ELNS1_3gpuE6ELNS1_3repE0EEENS1_30default_config_static_selectorELNS0_4arch9wavefront6targetE1EEEvT1_.numbered_sgpr, 23
	.set _ZN7rocprim17ROCPRIM_400000_NS6detail17trampoline_kernelINS0_14default_configENS1_35adjacent_difference_config_selectorILb0EiEEZNS1_24adjacent_difference_implIS3_Lb0ELb0EPiS7_N6thrust23THRUST_200600_302600_NS5minusIiEEEE10hipError_tPvRmT2_T3_mT4_P12ihipStream_tbEUlT_E_NS1_11comp_targetILNS1_3genE2ELNS1_11target_archE906ELNS1_3gpuE6ELNS1_3repE0EEENS1_30default_config_static_selectorELNS0_4arch9wavefront6targetE1EEEvT1_.num_named_barrier, 0
	.set _ZN7rocprim17ROCPRIM_400000_NS6detail17trampoline_kernelINS0_14default_configENS1_35adjacent_difference_config_selectorILb0EiEEZNS1_24adjacent_difference_implIS3_Lb0ELb0EPiS7_N6thrust23THRUST_200600_302600_NS5minusIiEEEE10hipError_tPvRmT2_T3_mT4_P12ihipStream_tbEUlT_E_NS1_11comp_targetILNS1_3genE2ELNS1_11target_archE906ELNS1_3gpuE6ELNS1_3repE0EEENS1_30default_config_static_selectorELNS0_4arch9wavefront6targetE1EEEvT1_.private_seg_size, 0
	.set _ZN7rocprim17ROCPRIM_400000_NS6detail17trampoline_kernelINS0_14default_configENS1_35adjacent_difference_config_selectorILb0EiEEZNS1_24adjacent_difference_implIS3_Lb0ELb0EPiS7_N6thrust23THRUST_200600_302600_NS5minusIiEEEE10hipError_tPvRmT2_T3_mT4_P12ihipStream_tbEUlT_E_NS1_11comp_targetILNS1_3genE2ELNS1_11target_archE906ELNS1_3gpuE6ELNS1_3repE0EEENS1_30default_config_static_selectorELNS0_4arch9wavefront6targetE1EEEvT1_.uses_vcc, 1
	.set _ZN7rocprim17ROCPRIM_400000_NS6detail17trampoline_kernelINS0_14default_configENS1_35adjacent_difference_config_selectorILb0EiEEZNS1_24adjacent_difference_implIS3_Lb0ELb0EPiS7_N6thrust23THRUST_200600_302600_NS5minusIiEEEE10hipError_tPvRmT2_T3_mT4_P12ihipStream_tbEUlT_E_NS1_11comp_targetILNS1_3genE2ELNS1_11target_archE906ELNS1_3gpuE6ELNS1_3repE0EEENS1_30default_config_static_selectorELNS0_4arch9wavefront6targetE1EEEvT1_.uses_flat_scratch, 0
	.set _ZN7rocprim17ROCPRIM_400000_NS6detail17trampoline_kernelINS0_14default_configENS1_35adjacent_difference_config_selectorILb0EiEEZNS1_24adjacent_difference_implIS3_Lb0ELb0EPiS7_N6thrust23THRUST_200600_302600_NS5minusIiEEEE10hipError_tPvRmT2_T3_mT4_P12ihipStream_tbEUlT_E_NS1_11comp_targetILNS1_3genE2ELNS1_11target_archE906ELNS1_3gpuE6ELNS1_3repE0EEENS1_30default_config_static_selectorELNS0_4arch9wavefront6targetE1EEEvT1_.has_dyn_sized_stack, 0
	.set _ZN7rocprim17ROCPRIM_400000_NS6detail17trampoline_kernelINS0_14default_configENS1_35adjacent_difference_config_selectorILb0EiEEZNS1_24adjacent_difference_implIS3_Lb0ELb0EPiS7_N6thrust23THRUST_200600_302600_NS5minusIiEEEE10hipError_tPvRmT2_T3_mT4_P12ihipStream_tbEUlT_E_NS1_11comp_targetILNS1_3genE2ELNS1_11target_archE906ELNS1_3gpuE6ELNS1_3repE0EEENS1_30default_config_static_selectorELNS0_4arch9wavefront6targetE1EEEvT1_.has_recursion, 0
	.set _ZN7rocprim17ROCPRIM_400000_NS6detail17trampoline_kernelINS0_14default_configENS1_35adjacent_difference_config_selectorILb0EiEEZNS1_24adjacent_difference_implIS3_Lb0ELb0EPiS7_N6thrust23THRUST_200600_302600_NS5minusIiEEEE10hipError_tPvRmT2_T3_mT4_P12ihipStream_tbEUlT_E_NS1_11comp_targetILNS1_3genE2ELNS1_11target_archE906ELNS1_3gpuE6ELNS1_3repE0EEENS1_30default_config_static_selectorELNS0_4arch9wavefront6targetE1EEEvT1_.has_indirect_call, 0
	.section	.AMDGPU.csdata,"",@progbits
; Kernel info:
; codeLenInByte = 1800
; TotalNumSgprs: 27
; NumVgprs: 17
; ScratchSize: 0
; MemoryBound: 0
; FloatMode: 240
; IeeeMode: 1
; LDSByteSize: 20480 bytes/workgroup (compile time only)
; SGPRBlocks: 8
; VGPRBlocks: 7
; NumSGPRsForWavesPerEU: 65
; NumVGPRsForWavesPerEU: 29
; Occupancy: 8
; WaveLimiterHint : 1
; COMPUTE_PGM_RSRC2:SCRATCH_EN: 0
; COMPUTE_PGM_RSRC2:USER_SGPR: 6
; COMPUTE_PGM_RSRC2:TRAP_HANDLER: 0
; COMPUTE_PGM_RSRC2:TGID_X_EN: 1
; COMPUTE_PGM_RSRC2:TGID_Y_EN: 0
; COMPUTE_PGM_RSRC2:TGID_Z_EN: 0
; COMPUTE_PGM_RSRC2:TIDIG_COMP_CNT: 0
	.section	.text._ZN7rocprim17ROCPRIM_400000_NS6detail17trampoline_kernelINS0_14default_configENS1_35adjacent_difference_config_selectorILb0EiEEZNS1_24adjacent_difference_implIS3_Lb0ELb0EPiS7_N6thrust23THRUST_200600_302600_NS5minusIiEEEE10hipError_tPvRmT2_T3_mT4_P12ihipStream_tbEUlT_E_NS1_11comp_targetILNS1_3genE9ELNS1_11target_archE1100ELNS1_3gpuE3ELNS1_3repE0EEENS1_30default_config_static_selectorELNS0_4arch9wavefront6targetE1EEEvT1_,"axG",@progbits,_ZN7rocprim17ROCPRIM_400000_NS6detail17trampoline_kernelINS0_14default_configENS1_35adjacent_difference_config_selectorILb0EiEEZNS1_24adjacent_difference_implIS3_Lb0ELb0EPiS7_N6thrust23THRUST_200600_302600_NS5minusIiEEEE10hipError_tPvRmT2_T3_mT4_P12ihipStream_tbEUlT_E_NS1_11comp_targetILNS1_3genE9ELNS1_11target_archE1100ELNS1_3gpuE3ELNS1_3repE0EEENS1_30default_config_static_selectorELNS0_4arch9wavefront6targetE1EEEvT1_,comdat
	.protected	_ZN7rocprim17ROCPRIM_400000_NS6detail17trampoline_kernelINS0_14default_configENS1_35adjacent_difference_config_selectorILb0EiEEZNS1_24adjacent_difference_implIS3_Lb0ELb0EPiS7_N6thrust23THRUST_200600_302600_NS5minusIiEEEE10hipError_tPvRmT2_T3_mT4_P12ihipStream_tbEUlT_E_NS1_11comp_targetILNS1_3genE9ELNS1_11target_archE1100ELNS1_3gpuE3ELNS1_3repE0EEENS1_30default_config_static_selectorELNS0_4arch9wavefront6targetE1EEEvT1_ ; -- Begin function _ZN7rocprim17ROCPRIM_400000_NS6detail17trampoline_kernelINS0_14default_configENS1_35adjacent_difference_config_selectorILb0EiEEZNS1_24adjacent_difference_implIS3_Lb0ELb0EPiS7_N6thrust23THRUST_200600_302600_NS5minusIiEEEE10hipError_tPvRmT2_T3_mT4_P12ihipStream_tbEUlT_E_NS1_11comp_targetILNS1_3genE9ELNS1_11target_archE1100ELNS1_3gpuE3ELNS1_3repE0EEENS1_30default_config_static_selectorELNS0_4arch9wavefront6targetE1EEEvT1_
	.globl	_ZN7rocprim17ROCPRIM_400000_NS6detail17trampoline_kernelINS0_14default_configENS1_35adjacent_difference_config_selectorILb0EiEEZNS1_24adjacent_difference_implIS3_Lb0ELb0EPiS7_N6thrust23THRUST_200600_302600_NS5minusIiEEEE10hipError_tPvRmT2_T3_mT4_P12ihipStream_tbEUlT_E_NS1_11comp_targetILNS1_3genE9ELNS1_11target_archE1100ELNS1_3gpuE3ELNS1_3repE0EEENS1_30default_config_static_selectorELNS0_4arch9wavefront6targetE1EEEvT1_
	.p2align	8
	.type	_ZN7rocprim17ROCPRIM_400000_NS6detail17trampoline_kernelINS0_14default_configENS1_35adjacent_difference_config_selectorILb0EiEEZNS1_24adjacent_difference_implIS3_Lb0ELb0EPiS7_N6thrust23THRUST_200600_302600_NS5minusIiEEEE10hipError_tPvRmT2_T3_mT4_P12ihipStream_tbEUlT_E_NS1_11comp_targetILNS1_3genE9ELNS1_11target_archE1100ELNS1_3gpuE3ELNS1_3repE0EEENS1_30default_config_static_selectorELNS0_4arch9wavefront6targetE1EEEvT1_,@function
_ZN7rocprim17ROCPRIM_400000_NS6detail17trampoline_kernelINS0_14default_configENS1_35adjacent_difference_config_selectorILb0EiEEZNS1_24adjacent_difference_implIS3_Lb0ELb0EPiS7_N6thrust23THRUST_200600_302600_NS5minusIiEEEE10hipError_tPvRmT2_T3_mT4_P12ihipStream_tbEUlT_E_NS1_11comp_targetILNS1_3genE9ELNS1_11target_archE1100ELNS1_3gpuE3ELNS1_3repE0EEENS1_30default_config_static_selectorELNS0_4arch9wavefront6targetE1EEEvT1_: ; @_ZN7rocprim17ROCPRIM_400000_NS6detail17trampoline_kernelINS0_14default_configENS1_35adjacent_difference_config_selectorILb0EiEEZNS1_24adjacent_difference_implIS3_Lb0ELb0EPiS7_N6thrust23THRUST_200600_302600_NS5minusIiEEEE10hipError_tPvRmT2_T3_mT4_P12ihipStream_tbEUlT_E_NS1_11comp_targetILNS1_3genE9ELNS1_11target_archE1100ELNS1_3gpuE3ELNS1_3repE0EEENS1_30default_config_static_selectorELNS0_4arch9wavefront6targetE1EEEvT1_
; %bb.0:
	.section	.rodata,"a",@progbits
	.p2align	6, 0x0
	.amdhsa_kernel _ZN7rocprim17ROCPRIM_400000_NS6detail17trampoline_kernelINS0_14default_configENS1_35adjacent_difference_config_selectorILb0EiEEZNS1_24adjacent_difference_implIS3_Lb0ELb0EPiS7_N6thrust23THRUST_200600_302600_NS5minusIiEEEE10hipError_tPvRmT2_T3_mT4_P12ihipStream_tbEUlT_E_NS1_11comp_targetILNS1_3genE9ELNS1_11target_archE1100ELNS1_3gpuE3ELNS1_3repE0EEENS1_30default_config_static_selectorELNS0_4arch9wavefront6targetE1EEEvT1_
		.amdhsa_group_segment_fixed_size 0
		.amdhsa_private_segment_fixed_size 0
		.amdhsa_kernarg_size 56
		.amdhsa_user_sgpr_count 6
		.amdhsa_user_sgpr_private_segment_buffer 1
		.amdhsa_user_sgpr_dispatch_ptr 0
		.amdhsa_user_sgpr_queue_ptr 0
		.amdhsa_user_sgpr_kernarg_segment_ptr 1
		.amdhsa_user_sgpr_dispatch_id 0
		.amdhsa_user_sgpr_flat_scratch_init 0
		.amdhsa_user_sgpr_private_segment_size 0
		.amdhsa_uses_dynamic_stack 0
		.amdhsa_system_sgpr_private_segment_wavefront_offset 0
		.amdhsa_system_sgpr_workgroup_id_x 1
		.amdhsa_system_sgpr_workgroup_id_y 0
		.amdhsa_system_sgpr_workgroup_id_z 0
		.amdhsa_system_sgpr_workgroup_info 0
		.amdhsa_system_vgpr_workitem_id 0
		.amdhsa_next_free_vgpr 1
		.amdhsa_next_free_sgpr 0
		.amdhsa_reserve_vcc 0
		.amdhsa_reserve_flat_scratch 0
		.amdhsa_float_round_mode_32 0
		.amdhsa_float_round_mode_16_64 0
		.amdhsa_float_denorm_mode_32 3
		.amdhsa_float_denorm_mode_16_64 3
		.amdhsa_dx10_clamp 1
		.amdhsa_ieee_mode 1
		.amdhsa_fp16_overflow 0
		.amdhsa_exception_fp_ieee_invalid_op 0
		.amdhsa_exception_fp_denorm_src 0
		.amdhsa_exception_fp_ieee_div_zero 0
		.amdhsa_exception_fp_ieee_overflow 0
		.amdhsa_exception_fp_ieee_underflow 0
		.amdhsa_exception_fp_ieee_inexact 0
		.amdhsa_exception_int_div_zero 0
	.end_amdhsa_kernel
	.section	.text._ZN7rocprim17ROCPRIM_400000_NS6detail17trampoline_kernelINS0_14default_configENS1_35adjacent_difference_config_selectorILb0EiEEZNS1_24adjacent_difference_implIS3_Lb0ELb0EPiS7_N6thrust23THRUST_200600_302600_NS5minusIiEEEE10hipError_tPvRmT2_T3_mT4_P12ihipStream_tbEUlT_E_NS1_11comp_targetILNS1_3genE9ELNS1_11target_archE1100ELNS1_3gpuE3ELNS1_3repE0EEENS1_30default_config_static_selectorELNS0_4arch9wavefront6targetE1EEEvT1_,"axG",@progbits,_ZN7rocprim17ROCPRIM_400000_NS6detail17trampoline_kernelINS0_14default_configENS1_35adjacent_difference_config_selectorILb0EiEEZNS1_24adjacent_difference_implIS3_Lb0ELb0EPiS7_N6thrust23THRUST_200600_302600_NS5minusIiEEEE10hipError_tPvRmT2_T3_mT4_P12ihipStream_tbEUlT_E_NS1_11comp_targetILNS1_3genE9ELNS1_11target_archE1100ELNS1_3gpuE3ELNS1_3repE0EEENS1_30default_config_static_selectorELNS0_4arch9wavefront6targetE1EEEvT1_,comdat
.Lfunc_end313:
	.size	_ZN7rocprim17ROCPRIM_400000_NS6detail17trampoline_kernelINS0_14default_configENS1_35adjacent_difference_config_selectorILb0EiEEZNS1_24adjacent_difference_implIS3_Lb0ELb0EPiS7_N6thrust23THRUST_200600_302600_NS5minusIiEEEE10hipError_tPvRmT2_T3_mT4_P12ihipStream_tbEUlT_E_NS1_11comp_targetILNS1_3genE9ELNS1_11target_archE1100ELNS1_3gpuE3ELNS1_3repE0EEENS1_30default_config_static_selectorELNS0_4arch9wavefront6targetE1EEEvT1_, .Lfunc_end313-_ZN7rocprim17ROCPRIM_400000_NS6detail17trampoline_kernelINS0_14default_configENS1_35adjacent_difference_config_selectorILb0EiEEZNS1_24adjacent_difference_implIS3_Lb0ELb0EPiS7_N6thrust23THRUST_200600_302600_NS5minusIiEEEE10hipError_tPvRmT2_T3_mT4_P12ihipStream_tbEUlT_E_NS1_11comp_targetILNS1_3genE9ELNS1_11target_archE1100ELNS1_3gpuE3ELNS1_3repE0EEENS1_30default_config_static_selectorELNS0_4arch9wavefront6targetE1EEEvT1_
                                        ; -- End function
	.set _ZN7rocprim17ROCPRIM_400000_NS6detail17trampoline_kernelINS0_14default_configENS1_35adjacent_difference_config_selectorILb0EiEEZNS1_24adjacent_difference_implIS3_Lb0ELb0EPiS7_N6thrust23THRUST_200600_302600_NS5minusIiEEEE10hipError_tPvRmT2_T3_mT4_P12ihipStream_tbEUlT_E_NS1_11comp_targetILNS1_3genE9ELNS1_11target_archE1100ELNS1_3gpuE3ELNS1_3repE0EEENS1_30default_config_static_selectorELNS0_4arch9wavefront6targetE1EEEvT1_.num_vgpr, 0
	.set _ZN7rocprim17ROCPRIM_400000_NS6detail17trampoline_kernelINS0_14default_configENS1_35adjacent_difference_config_selectorILb0EiEEZNS1_24adjacent_difference_implIS3_Lb0ELb0EPiS7_N6thrust23THRUST_200600_302600_NS5minusIiEEEE10hipError_tPvRmT2_T3_mT4_P12ihipStream_tbEUlT_E_NS1_11comp_targetILNS1_3genE9ELNS1_11target_archE1100ELNS1_3gpuE3ELNS1_3repE0EEENS1_30default_config_static_selectorELNS0_4arch9wavefront6targetE1EEEvT1_.num_agpr, 0
	.set _ZN7rocprim17ROCPRIM_400000_NS6detail17trampoline_kernelINS0_14default_configENS1_35adjacent_difference_config_selectorILb0EiEEZNS1_24adjacent_difference_implIS3_Lb0ELb0EPiS7_N6thrust23THRUST_200600_302600_NS5minusIiEEEE10hipError_tPvRmT2_T3_mT4_P12ihipStream_tbEUlT_E_NS1_11comp_targetILNS1_3genE9ELNS1_11target_archE1100ELNS1_3gpuE3ELNS1_3repE0EEENS1_30default_config_static_selectorELNS0_4arch9wavefront6targetE1EEEvT1_.numbered_sgpr, 0
	.set _ZN7rocprim17ROCPRIM_400000_NS6detail17trampoline_kernelINS0_14default_configENS1_35adjacent_difference_config_selectorILb0EiEEZNS1_24adjacent_difference_implIS3_Lb0ELb0EPiS7_N6thrust23THRUST_200600_302600_NS5minusIiEEEE10hipError_tPvRmT2_T3_mT4_P12ihipStream_tbEUlT_E_NS1_11comp_targetILNS1_3genE9ELNS1_11target_archE1100ELNS1_3gpuE3ELNS1_3repE0EEENS1_30default_config_static_selectorELNS0_4arch9wavefront6targetE1EEEvT1_.num_named_barrier, 0
	.set _ZN7rocprim17ROCPRIM_400000_NS6detail17trampoline_kernelINS0_14default_configENS1_35adjacent_difference_config_selectorILb0EiEEZNS1_24adjacent_difference_implIS3_Lb0ELb0EPiS7_N6thrust23THRUST_200600_302600_NS5minusIiEEEE10hipError_tPvRmT2_T3_mT4_P12ihipStream_tbEUlT_E_NS1_11comp_targetILNS1_3genE9ELNS1_11target_archE1100ELNS1_3gpuE3ELNS1_3repE0EEENS1_30default_config_static_selectorELNS0_4arch9wavefront6targetE1EEEvT1_.private_seg_size, 0
	.set _ZN7rocprim17ROCPRIM_400000_NS6detail17trampoline_kernelINS0_14default_configENS1_35adjacent_difference_config_selectorILb0EiEEZNS1_24adjacent_difference_implIS3_Lb0ELb0EPiS7_N6thrust23THRUST_200600_302600_NS5minusIiEEEE10hipError_tPvRmT2_T3_mT4_P12ihipStream_tbEUlT_E_NS1_11comp_targetILNS1_3genE9ELNS1_11target_archE1100ELNS1_3gpuE3ELNS1_3repE0EEENS1_30default_config_static_selectorELNS0_4arch9wavefront6targetE1EEEvT1_.uses_vcc, 0
	.set _ZN7rocprim17ROCPRIM_400000_NS6detail17trampoline_kernelINS0_14default_configENS1_35adjacent_difference_config_selectorILb0EiEEZNS1_24adjacent_difference_implIS3_Lb0ELb0EPiS7_N6thrust23THRUST_200600_302600_NS5minusIiEEEE10hipError_tPvRmT2_T3_mT4_P12ihipStream_tbEUlT_E_NS1_11comp_targetILNS1_3genE9ELNS1_11target_archE1100ELNS1_3gpuE3ELNS1_3repE0EEENS1_30default_config_static_selectorELNS0_4arch9wavefront6targetE1EEEvT1_.uses_flat_scratch, 0
	.set _ZN7rocprim17ROCPRIM_400000_NS6detail17trampoline_kernelINS0_14default_configENS1_35adjacent_difference_config_selectorILb0EiEEZNS1_24adjacent_difference_implIS3_Lb0ELb0EPiS7_N6thrust23THRUST_200600_302600_NS5minusIiEEEE10hipError_tPvRmT2_T3_mT4_P12ihipStream_tbEUlT_E_NS1_11comp_targetILNS1_3genE9ELNS1_11target_archE1100ELNS1_3gpuE3ELNS1_3repE0EEENS1_30default_config_static_selectorELNS0_4arch9wavefront6targetE1EEEvT1_.has_dyn_sized_stack, 0
	.set _ZN7rocprim17ROCPRIM_400000_NS6detail17trampoline_kernelINS0_14default_configENS1_35adjacent_difference_config_selectorILb0EiEEZNS1_24adjacent_difference_implIS3_Lb0ELb0EPiS7_N6thrust23THRUST_200600_302600_NS5minusIiEEEE10hipError_tPvRmT2_T3_mT4_P12ihipStream_tbEUlT_E_NS1_11comp_targetILNS1_3genE9ELNS1_11target_archE1100ELNS1_3gpuE3ELNS1_3repE0EEENS1_30default_config_static_selectorELNS0_4arch9wavefront6targetE1EEEvT1_.has_recursion, 0
	.set _ZN7rocprim17ROCPRIM_400000_NS6detail17trampoline_kernelINS0_14default_configENS1_35adjacent_difference_config_selectorILb0EiEEZNS1_24adjacent_difference_implIS3_Lb0ELb0EPiS7_N6thrust23THRUST_200600_302600_NS5minusIiEEEE10hipError_tPvRmT2_T3_mT4_P12ihipStream_tbEUlT_E_NS1_11comp_targetILNS1_3genE9ELNS1_11target_archE1100ELNS1_3gpuE3ELNS1_3repE0EEENS1_30default_config_static_selectorELNS0_4arch9wavefront6targetE1EEEvT1_.has_indirect_call, 0
	.section	.AMDGPU.csdata,"",@progbits
; Kernel info:
; codeLenInByte = 0
; TotalNumSgprs: 4
; NumVgprs: 0
; ScratchSize: 0
; MemoryBound: 0
; FloatMode: 240
; IeeeMode: 1
; LDSByteSize: 0 bytes/workgroup (compile time only)
; SGPRBlocks: 0
; VGPRBlocks: 0
; NumSGPRsForWavesPerEU: 4
; NumVGPRsForWavesPerEU: 1
; Occupancy: 10
; WaveLimiterHint : 0
; COMPUTE_PGM_RSRC2:SCRATCH_EN: 0
; COMPUTE_PGM_RSRC2:USER_SGPR: 6
; COMPUTE_PGM_RSRC2:TRAP_HANDLER: 0
; COMPUTE_PGM_RSRC2:TGID_X_EN: 1
; COMPUTE_PGM_RSRC2:TGID_Y_EN: 0
; COMPUTE_PGM_RSRC2:TGID_Z_EN: 0
; COMPUTE_PGM_RSRC2:TIDIG_COMP_CNT: 0
	.section	.text._ZN7rocprim17ROCPRIM_400000_NS6detail17trampoline_kernelINS0_14default_configENS1_35adjacent_difference_config_selectorILb0EiEEZNS1_24adjacent_difference_implIS3_Lb0ELb0EPiS7_N6thrust23THRUST_200600_302600_NS5minusIiEEEE10hipError_tPvRmT2_T3_mT4_P12ihipStream_tbEUlT_E_NS1_11comp_targetILNS1_3genE8ELNS1_11target_archE1030ELNS1_3gpuE2ELNS1_3repE0EEENS1_30default_config_static_selectorELNS0_4arch9wavefront6targetE1EEEvT1_,"axG",@progbits,_ZN7rocprim17ROCPRIM_400000_NS6detail17trampoline_kernelINS0_14default_configENS1_35adjacent_difference_config_selectorILb0EiEEZNS1_24adjacent_difference_implIS3_Lb0ELb0EPiS7_N6thrust23THRUST_200600_302600_NS5minusIiEEEE10hipError_tPvRmT2_T3_mT4_P12ihipStream_tbEUlT_E_NS1_11comp_targetILNS1_3genE8ELNS1_11target_archE1030ELNS1_3gpuE2ELNS1_3repE0EEENS1_30default_config_static_selectorELNS0_4arch9wavefront6targetE1EEEvT1_,comdat
	.protected	_ZN7rocprim17ROCPRIM_400000_NS6detail17trampoline_kernelINS0_14default_configENS1_35adjacent_difference_config_selectorILb0EiEEZNS1_24adjacent_difference_implIS3_Lb0ELb0EPiS7_N6thrust23THRUST_200600_302600_NS5minusIiEEEE10hipError_tPvRmT2_T3_mT4_P12ihipStream_tbEUlT_E_NS1_11comp_targetILNS1_3genE8ELNS1_11target_archE1030ELNS1_3gpuE2ELNS1_3repE0EEENS1_30default_config_static_selectorELNS0_4arch9wavefront6targetE1EEEvT1_ ; -- Begin function _ZN7rocprim17ROCPRIM_400000_NS6detail17trampoline_kernelINS0_14default_configENS1_35adjacent_difference_config_selectorILb0EiEEZNS1_24adjacent_difference_implIS3_Lb0ELb0EPiS7_N6thrust23THRUST_200600_302600_NS5minusIiEEEE10hipError_tPvRmT2_T3_mT4_P12ihipStream_tbEUlT_E_NS1_11comp_targetILNS1_3genE8ELNS1_11target_archE1030ELNS1_3gpuE2ELNS1_3repE0EEENS1_30default_config_static_selectorELNS0_4arch9wavefront6targetE1EEEvT1_
	.globl	_ZN7rocprim17ROCPRIM_400000_NS6detail17trampoline_kernelINS0_14default_configENS1_35adjacent_difference_config_selectorILb0EiEEZNS1_24adjacent_difference_implIS3_Lb0ELb0EPiS7_N6thrust23THRUST_200600_302600_NS5minusIiEEEE10hipError_tPvRmT2_T3_mT4_P12ihipStream_tbEUlT_E_NS1_11comp_targetILNS1_3genE8ELNS1_11target_archE1030ELNS1_3gpuE2ELNS1_3repE0EEENS1_30default_config_static_selectorELNS0_4arch9wavefront6targetE1EEEvT1_
	.p2align	8
	.type	_ZN7rocprim17ROCPRIM_400000_NS6detail17trampoline_kernelINS0_14default_configENS1_35adjacent_difference_config_selectorILb0EiEEZNS1_24adjacent_difference_implIS3_Lb0ELb0EPiS7_N6thrust23THRUST_200600_302600_NS5minusIiEEEE10hipError_tPvRmT2_T3_mT4_P12ihipStream_tbEUlT_E_NS1_11comp_targetILNS1_3genE8ELNS1_11target_archE1030ELNS1_3gpuE2ELNS1_3repE0EEENS1_30default_config_static_selectorELNS0_4arch9wavefront6targetE1EEEvT1_,@function
_ZN7rocprim17ROCPRIM_400000_NS6detail17trampoline_kernelINS0_14default_configENS1_35adjacent_difference_config_selectorILb0EiEEZNS1_24adjacent_difference_implIS3_Lb0ELb0EPiS7_N6thrust23THRUST_200600_302600_NS5minusIiEEEE10hipError_tPvRmT2_T3_mT4_P12ihipStream_tbEUlT_E_NS1_11comp_targetILNS1_3genE8ELNS1_11target_archE1030ELNS1_3gpuE2ELNS1_3repE0EEENS1_30default_config_static_selectorELNS0_4arch9wavefront6targetE1EEEvT1_: ; @_ZN7rocprim17ROCPRIM_400000_NS6detail17trampoline_kernelINS0_14default_configENS1_35adjacent_difference_config_selectorILb0EiEEZNS1_24adjacent_difference_implIS3_Lb0ELb0EPiS7_N6thrust23THRUST_200600_302600_NS5minusIiEEEE10hipError_tPvRmT2_T3_mT4_P12ihipStream_tbEUlT_E_NS1_11comp_targetILNS1_3genE8ELNS1_11target_archE1030ELNS1_3gpuE2ELNS1_3repE0EEENS1_30default_config_static_selectorELNS0_4arch9wavefront6targetE1EEEvT1_
; %bb.0:
	.section	.rodata,"a",@progbits
	.p2align	6, 0x0
	.amdhsa_kernel _ZN7rocprim17ROCPRIM_400000_NS6detail17trampoline_kernelINS0_14default_configENS1_35adjacent_difference_config_selectorILb0EiEEZNS1_24adjacent_difference_implIS3_Lb0ELb0EPiS7_N6thrust23THRUST_200600_302600_NS5minusIiEEEE10hipError_tPvRmT2_T3_mT4_P12ihipStream_tbEUlT_E_NS1_11comp_targetILNS1_3genE8ELNS1_11target_archE1030ELNS1_3gpuE2ELNS1_3repE0EEENS1_30default_config_static_selectorELNS0_4arch9wavefront6targetE1EEEvT1_
		.amdhsa_group_segment_fixed_size 0
		.amdhsa_private_segment_fixed_size 0
		.amdhsa_kernarg_size 56
		.amdhsa_user_sgpr_count 6
		.amdhsa_user_sgpr_private_segment_buffer 1
		.amdhsa_user_sgpr_dispatch_ptr 0
		.amdhsa_user_sgpr_queue_ptr 0
		.amdhsa_user_sgpr_kernarg_segment_ptr 1
		.amdhsa_user_sgpr_dispatch_id 0
		.amdhsa_user_sgpr_flat_scratch_init 0
		.amdhsa_user_sgpr_private_segment_size 0
		.amdhsa_uses_dynamic_stack 0
		.amdhsa_system_sgpr_private_segment_wavefront_offset 0
		.amdhsa_system_sgpr_workgroup_id_x 1
		.amdhsa_system_sgpr_workgroup_id_y 0
		.amdhsa_system_sgpr_workgroup_id_z 0
		.amdhsa_system_sgpr_workgroup_info 0
		.amdhsa_system_vgpr_workitem_id 0
		.amdhsa_next_free_vgpr 1
		.amdhsa_next_free_sgpr 0
		.amdhsa_reserve_vcc 0
		.amdhsa_reserve_flat_scratch 0
		.amdhsa_float_round_mode_32 0
		.amdhsa_float_round_mode_16_64 0
		.amdhsa_float_denorm_mode_32 3
		.amdhsa_float_denorm_mode_16_64 3
		.amdhsa_dx10_clamp 1
		.amdhsa_ieee_mode 1
		.amdhsa_fp16_overflow 0
		.amdhsa_exception_fp_ieee_invalid_op 0
		.amdhsa_exception_fp_denorm_src 0
		.amdhsa_exception_fp_ieee_div_zero 0
		.amdhsa_exception_fp_ieee_overflow 0
		.amdhsa_exception_fp_ieee_underflow 0
		.amdhsa_exception_fp_ieee_inexact 0
		.amdhsa_exception_int_div_zero 0
	.end_amdhsa_kernel
	.section	.text._ZN7rocprim17ROCPRIM_400000_NS6detail17trampoline_kernelINS0_14default_configENS1_35adjacent_difference_config_selectorILb0EiEEZNS1_24adjacent_difference_implIS3_Lb0ELb0EPiS7_N6thrust23THRUST_200600_302600_NS5minusIiEEEE10hipError_tPvRmT2_T3_mT4_P12ihipStream_tbEUlT_E_NS1_11comp_targetILNS1_3genE8ELNS1_11target_archE1030ELNS1_3gpuE2ELNS1_3repE0EEENS1_30default_config_static_selectorELNS0_4arch9wavefront6targetE1EEEvT1_,"axG",@progbits,_ZN7rocprim17ROCPRIM_400000_NS6detail17trampoline_kernelINS0_14default_configENS1_35adjacent_difference_config_selectorILb0EiEEZNS1_24adjacent_difference_implIS3_Lb0ELb0EPiS7_N6thrust23THRUST_200600_302600_NS5minusIiEEEE10hipError_tPvRmT2_T3_mT4_P12ihipStream_tbEUlT_E_NS1_11comp_targetILNS1_3genE8ELNS1_11target_archE1030ELNS1_3gpuE2ELNS1_3repE0EEENS1_30default_config_static_selectorELNS0_4arch9wavefront6targetE1EEEvT1_,comdat
.Lfunc_end314:
	.size	_ZN7rocprim17ROCPRIM_400000_NS6detail17trampoline_kernelINS0_14default_configENS1_35adjacent_difference_config_selectorILb0EiEEZNS1_24adjacent_difference_implIS3_Lb0ELb0EPiS7_N6thrust23THRUST_200600_302600_NS5minusIiEEEE10hipError_tPvRmT2_T3_mT4_P12ihipStream_tbEUlT_E_NS1_11comp_targetILNS1_3genE8ELNS1_11target_archE1030ELNS1_3gpuE2ELNS1_3repE0EEENS1_30default_config_static_selectorELNS0_4arch9wavefront6targetE1EEEvT1_, .Lfunc_end314-_ZN7rocprim17ROCPRIM_400000_NS6detail17trampoline_kernelINS0_14default_configENS1_35adjacent_difference_config_selectorILb0EiEEZNS1_24adjacent_difference_implIS3_Lb0ELb0EPiS7_N6thrust23THRUST_200600_302600_NS5minusIiEEEE10hipError_tPvRmT2_T3_mT4_P12ihipStream_tbEUlT_E_NS1_11comp_targetILNS1_3genE8ELNS1_11target_archE1030ELNS1_3gpuE2ELNS1_3repE0EEENS1_30default_config_static_selectorELNS0_4arch9wavefront6targetE1EEEvT1_
                                        ; -- End function
	.set _ZN7rocprim17ROCPRIM_400000_NS6detail17trampoline_kernelINS0_14default_configENS1_35adjacent_difference_config_selectorILb0EiEEZNS1_24adjacent_difference_implIS3_Lb0ELb0EPiS7_N6thrust23THRUST_200600_302600_NS5minusIiEEEE10hipError_tPvRmT2_T3_mT4_P12ihipStream_tbEUlT_E_NS1_11comp_targetILNS1_3genE8ELNS1_11target_archE1030ELNS1_3gpuE2ELNS1_3repE0EEENS1_30default_config_static_selectorELNS0_4arch9wavefront6targetE1EEEvT1_.num_vgpr, 0
	.set _ZN7rocprim17ROCPRIM_400000_NS6detail17trampoline_kernelINS0_14default_configENS1_35adjacent_difference_config_selectorILb0EiEEZNS1_24adjacent_difference_implIS3_Lb0ELb0EPiS7_N6thrust23THRUST_200600_302600_NS5minusIiEEEE10hipError_tPvRmT2_T3_mT4_P12ihipStream_tbEUlT_E_NS1_11comp_targetILNS1_3genE8ELNS1_11target_archE1030ELNS1_3gpuE2ELNS1_3repE0EEENS1_30default_config_static_selectorELNS0_4arch9wavefront6targetE1EEEvT1_.num_agpr, 0
	.set _ZN7rocprim17ROCPRIM_400000_NS6detail17trampoline_kernelINS0_14default_configENS1_35adjacent_difference_config_selectorILb0EiEEZNS1_24adjacent_difference_implIS3_Lb0ELb0EPiS7_N6thrust23THRUST_200600_302600_NS5minusIiEEEE10hipError_tPvRmT2_T3_mT4_P12ihipStream_tbEUlT_E_NS1_11comp_targetILNS1_3genE8ELNS1_11target_archE1030ELNS1_3gpuE2ELNS1_3repE0EEENS1_30default_config_static_selectorELNS0_4arch9wavefront6targetE1EEEvT1_.numbered_sgpr, 0
	.set _ZN7rocprim17ROCPRIM_400000_NS6detail17trampoline_kernelINS0_14default_configENS1_35adjacent_difference_config_selectorILb0EiEEZNS1_24adjacent_difference_implIS3_Lb0ELb0EPiS7_N6thrust23THRUST_200600_302600_NS5minusIiEEEE10hipError_tPvRmT2_T3_mT4_P12ihipStream_tbEUlT_E_NS1_11comp_targetILNS1_3genE8ELNS1_11target_archE1030ELNS1_3gpuE2ELNS1_3repE0EEENS1_30default_config_static_selectorELNS0_4arch9wavefront6targetE1EEEvT1_.num_named_barrier, 0
	.set _ZN7rocprim17ROCPRIM_400000_NS6detail17trampoline_kernelINS0_14default_configENS1_35adjacent_difference_config_selectorILb0EiEEZNS1_24adjacent_difference_implIS3_Lb0ELb0EPiS7_N6thrust23THRUST_200600_302600_NS5minusIiEEEE10hipError_tPvRmT2_T3_mT4_P12ihipStream_tbEUlT_E_NS1_11comp_targetILNS1_3genE8ELNS1_11target_archE1030ELNS1_3gpuE2ELNS1_3repE0EEENS1_30default_config_static_selectorELNS0_4arch9wavefront6targetE1EEEvT1_.private_seg_size, 0
	.set _ZN7rocprim17ROCPRIM_400000_NS6detail17trampoline_kernelINS0_14default_configENS1_35adjacent_difference_config_selectorILb0EiEEZNS1_24adjacent_difference_implIS3_Lb0ELb0EPiS7_N6thrust23THRUST_200600_302600_NS5minusIiEEEE10hipError_tPvRmT2_T3_mT4_P12ihipStream_tbEUlT_E_NS1_11comp_targetILNS1_3genE8ELNS1_11target_archE1030ELNS1_3gpuE2ELNS1_3repE0EEENS1_30default_config_static_selectorELNS0_4arch9wavefront6targetE1EEEvT1_.uses_vcc, 0
	.set _ZN7rocprim17ROCPRIM_400000_NS6detail17trampoline_kernelINS0_14default_configENS1_35adjacent_difference_config_selectorILb0EiEEZNS1_24adjacent_difference_implIS3_Lb0ELb0EPiS7_N6thrust23THRUST_200600_302600_NS5minusIiEEEE10hipError_tPvRmT2_T3_mT4_P12ihipStream_tbEUlT_E_NS1_11comp_targetILNS1_3genE8ELNS1_11target_archE1030ELNS1_3gpuE2ELNS1_3repE0EEENS1_30default_config_static_selectorELNS0_4arch9wavefront6targetE1EEEvT1_.uses_flat_scratch, 0
	.set _ZN7rocprim17ROCPRIM_400000_NS6detail17trampoline_kernelINS0_14default_configENS1_35adjacent_difference_config_selectorILb0EiEEZNS1_24adjacent_difference_implIS3_Lb0ELb0EPiS7_N6thrust23THRUST_200600_302600_NS5minusIiEEEE10hipError_tPvRmT2_T3_mT4_P12ihipStream_tbEUlT_E_NS1_11comp_targetILNS1_3genE8ELNS1_11target_archE1030ELNS1_3gpuE2ELNS1_3repE0EEENS1_30default_config_static_selectorELNS0_4arch9wavefront6targetE1EEEvT1_.has_dyn_sized_stack, 0
	.set _ZN7rocprim17ROCPRIM_400000_NS6detail17trampoline_kernelINS0_14default_configENS1_35adjacent_difference_config_selectorILb0EiEEZNS1_24adjacent_difference_implIS3_Lb0ELb0EPiS7_N6thrust23THRUST_200600_302600_NS5minusIiEEEE10hipError_tPvRmT2_T3_mT4_P12ihipStream_tbEUlT_E_NS1_11comp_targetILNS1_3genE8ELNS1_11target_archE1030ELNS1_3gpuE2ELNS1_3repE0EEENS1_30default_config_static_selectorELNS0_4arch9wavefront6targetE1EEEvT1_.has_recursion, 0
	.set _ZN7rocprim17ROCPRIM_400000_NS6detail17trampoline_kernelINS0_14default_configENS1_35adjacent_difference_config_selectorILb0EiEEZNS1_24adjacent_difference_implIS3_Lb0ELb0EPiS7_N6thrust23THRUST_200600_302600_NS5minusIiEEEE10hipError_tPvRmT2_T3_mT4_P12ihipStream_tbEUlT_E_NS1_11comp_targetILNS1_3genE8ELNS1_11target_archE1030ELNS1_3gpuE2ELNS1_3repE0EEENS1_30default_config_static_selectorELNS0_4arch9wavefront6targetE1EEEvT1_.has_indirect_call, 0
	.section	.AMDGPU.csdata,"",@progbits
; Kernel info:
; codeLenInByte = 0
; TotalNumSgprs: 4
; NumVgprs: 0
; ScratchSize: 0
; MemoryBound: 0
; FloatMode: 240
; IeeeMode: 1
; LDSByteSize: 0 bytes/workgroup (compile time only)
; SGPRBlocks: 0
; VGPRBlocks: 0
; NumSGPRsForWavesPerEU: 4
; NumVGPRsForWavesPerEU: 1
; Occupancy: 10
; WaveLimiterHint : 0
; COMPUTE_PGM_RSRC2:SCRATCH_EN: 0
; COMPUTE_PGM_RSRC2:USER_SGPR: 6
; COMPUTE_PGM_RSRC2:TRAP_HANDLER: 0
; COMPUTE_PGM_RSRC2:TGID_X_EN: 1
; COMPUTE_PGM_RSRC2:TGID_Y_EN: 0
; COMPUTE_PGM_RSRC2:TGID_Z_EN: 0
; COMPUTE_PGM_RSRC2:TIDIG_COMP_CNT: 0
	.section	.text._ZN7rocprim17ROCPRIM_400000_NS6detail17trampoline_kernelINS0_14default_configENS1_25transform_config_selectorIiLb0EEEZNS1_14transform_implILb0ES3_S5_NS0_18transform_iteratorINS0_17counting_iteratorImlEEZNS1_24adjacent_difference_implIS3_Lb1ELb0EPiSB_N6thrust23THRUST_200600_302600_NS5minusIiEEEE10hipError_tPvRmT2_T3_mT4_P12ihipStream_tbEUlmE_iEESB_NS0_8identityIvEEEESG_SJ_SK_mSL_SN_bEUlT_E_NS1_11comp_targetILNS1_3genE0ELNS1_11target_archE4294967295ELNS1_3gpuE0ELNS1_3repE0EEENS1_30default_config_static_selectorELNS0_4arch9wavefront6targetE1EEEvT1_,"axG",@progbits,_ZN7rocprim17ROCPRIM_400000_NS6detail17trampoline_kernelINS0_14default_configENS1_25transform_config_selectorIiLb0EEEZNS1_14transform_implILb0ES3_S5_NS0_18transform_iteratorINS0_17counting_iteratorImlEEZNS1_24adjacent_difference_implIS3_Lb1ELb0EPiSB_N6thrust23THRUST_200600_302600_NS5minusIiEEEE10hipError_tPvRmT2_T3_mT4_P12ihipStream_tbEUlmE_iEESB_NS0_8identityIvEEEESG_SJ_SK_mSL_SN_bEUlT_E_NS1_11comp_targetILNS1_3genE0ELNS1_11target_archE4294967295ELNS1_3gpuE0ELNS1_3repE0EEENS1_30default_config_static_selectorELNS0_4arch9wavefront6targetE1EEEvT1_,comdat
	.protected	_ZN7rocprim17ROCPRIM_400000_NS6detail17trampoline_kernelINS0_14default_configENS1_25transform_config_selectorIiLb0EEEZNS1_14transform_implILb0ES3_S5_NS0_18transform_iteratorINS0_17counting_iteratorImlEEZNS1_24adjacent_difference_implIS3_Lb1ELb0EPiSB_N6thrust23THRUST_200600_302600_NS5minusIiEEEE10hipError_tPvRmT2_T3_mT4_P12ihipStream_tbEUlmE_iEESB_NS0_8identityIvEEEESG_SJ_SK_mSL_SN_bEUlT_E_NS1_11comp_targetILNS1_3genE0ELNS1_11target_archE4294967295ELNS1_3gpuE0ELNS1_3repE0EEENS1_30default_config_static_selectorELNS0_4arch9wavefront6targetE1EEEvT1_ ; -- Begin function _ZN7rocprim17ROCPRIM_400000_NS6detail17trampoline_kernelINS0_14default_configENS1_25transform_config_selectorIiLb0EEEZNS1_14transform_implILb0ES3_S5_NS0_18transform_iteratorINS0_17counting_iteratorImlEEZNS1_24adjacent_difference_implIS3_Lb1ELb0EPiSB_N6thrust23THRUST_200600_302600_NS5minusIiEEEE10hipError_tPvRmT2_T3_mT4_P12ihipStream_tbEUlmE_iEESB_NS0_8identityIvEEEESG_SJ_SK_mSL_SN_bEUlT_E_NS1_11comp_targetILNS1_3genE0ELNS1_11target_archE4294967295ELNS1_3gpuE0ELNS1_3repE0EEENS1_30default_config_static_selectorELNS0_4arch9wavefront6targetE1EEEvT1_
	.globl	_ZN7rocprim17ROCPRIM_400000_NS6detail17trampoline_kernelINS0_14default_configENS1_25transform_config_selectorIiLb0EEEZNS1_14transform_implILb0ES3_S5_NS0_18transform_iteratorINS0_17counting_iteratorImlEEZNS1_24adjacent_difference_implIS3_Lb1ELb0EPiSB_N6thrust23THRUST_200600_302600_NS5minusIiEEEE10hipError_tPvRmT2_T3_mT4_P12ihipStream_tbEUlmE_iEESB_NS0_8identityIvEEEESG_SJ_SK_mSL_SN_bEUlT_E_NS1_11comp_targetILNS1_3genE0ELNS1_11target_archE4294967295ELNS1_3gpuE0ELNS1_3repE0EEENS1_30default_config_static_selectorELNS0_4arch9wavefront6targetE1EEEvT1_
	.p2align	8
	.type	_ZN7rocprim17ROCPRIM_400000_NS6detail17trampoline_kernelINS0_14default_configENS1_25transform_config_selectorIiLb0EEEZNS1_14transform_implILb0ES3_S5_NS0_18transform_iteratorINS0_17counting_iteratorImlEEZNS1_24adjacent_difference_implIS3_Lb1ELb0EPiSB_N6thrust23THRUST_200600_302600_NS5minusIiEEEE10hipError_tPvRmT2_T3_mT4_P12ihipStream_tbEUlmE_iEESB_NS0_8identityIvEEEESG_SJ_SK_mSL_SN_bEUlT_E_NS1_11comp_targetILNS1_3genE0ELNS1_11target_archE4294967295ELNS1_3gpuE0ELNS1_3repE0EEENS1_30default_config_static_selectorELNS0_4arch9wavefront6targetE1EEEvT1_,@function
_ZN7rocprim17ROCPRIM_400000_NS6detail17trampoline_kernelINS0_14default_configENS1_25transform_config_selectorIiLb0EEEZNS1_14transform_implILb0ES3_S5_NS0_18transform_iteratorINS0_17counting_iteratorImlEEZNS1_24adjacent_difference_implIS3_Lb1ELb0EPiSB_N6thrust23THRUST_200600_302600_NS5minusIiEEEE10hipError_tPvRmT2_T3_mT4_P12ihipStream_tbEUlmE_iEESB_NS0_8identityIvEEEESG_SJ_SK_mSL_SN_bEUlT_E_NS1_11comp_targetILNS1_3genE0ELNS1_11target_archE4294967295ELNS1_3gpuE0ELNS1_3repE0EEENS1_30default_config_static_selectorELNS0_4arch9wavefront6targetE1EEEvT1_: ; @_ZN7rocprim17ROCPRIM_400000_NS6detail17trampoline_kernelINS0_14default_configENS1_25transform_config_selectorIiLb0EEEZNS1_14transform_implILb0ES3_S5_NS0_18transform_iteratorINS0_17counting_iteratorImlEEZNS1_24adjacent_difference_implIS3_Lb1ELb0EPiSB_N6thrust23THRUST_200600_302600_NS5minusIiEEEE10hipError_tPvRmT2_T3_mT4_P12ihipStream_tbEUlmE_iEESB_NS0_8identityIvEEEESG_SJ_SK_mSL_SN_bEUlT_E_NS1_11comp_targetILNS1_3genE0ELNS1_11target_archE4294967295ELNS1_3gpuE0ELNS1_3repE0EEENS1_30default_config_static_selectorELNS0_4arch9wavefront6targetE1EEEvT1_
; %bb.0:
	.section	.rodata,"a",@progbits
	.p2align	6, 0x0
	.amdhsa_kernel _ZN7rocprim17ROCPRIM_400000_NS6detail17trampoline_kernelINS0_14default_configENS1_25transform_config_selectorIiLb0EEEZNS1_14transform_implILb0ES3_S5_NS0_18transform_iteratorINS0_17counting_iteratorImlEEZNS1_24adjacent_difference_implIS3_Lb1ELb0EPiSB_N6thrust23THRUST_200600_302600_NS5minusIiEEEE10hipError_tPvRmT2_T3_mT4_P12ihipStream_tbEUlmE_iEESB_NS0_8identityIvEEEESG_SJ_SK_mSL_SN_bEUlT_E_NS1_11comp_targetILNS1_3genE0ELNS1_11target_archE4294967295ELNS1_3gpuE0ELNS1_3repE0EEENS1_30default_config_static_selectorELNS0_4arch9wavefront6targetE1EEEvT1_
		.amdhsa_group_segment_fixed_size 0
		.amdhsa_private_segment_fixed_size 0
		.amdhsa_kernarg_size 56
		.amdhsa_user_sgpr_count 6
		.amdhsa_user_sgpr_private_segment_buffer 1
		.amdhsa_user_sgpr_dispatch_ptr 0
		.amdhsa_user_sgpr_queue_ptr 0
		.amdhsa_user_sgpr_kernarg_segment_ptr 1
		.amdhsa_user_sgpr_dispatch_id 0
		.amdhsa_user_sgpr_flat_scratch_init 0
		.amdhsa_user_sgpr_private_segment_size 0
		.amdhsa_uses_dynamic_stack 0
		.amdhsa_system_sgpr_private_segment_wavefront_offset 0
		.amdhsa_system_sgpr_workgroup_id_x 1
		.amdhsa_system_sgpr_workgroup_id_y 0
		.amdhsa_system_sgpr_workgroup_id_z 0
		.amdhsa_system_sgpr_workgroup_info 0
		.amdhsa_system_vgpr_workitem_id 0
		.amdhsa_next_free_vgpr 1
		.amdhsa_next_free_sgpr 0
		.amdhsa_reserve_vcc 0
		.amdhsa_reserve_flat_scratch 0
		.amdhsa_float_round_mode_32 0
		.amdhsa_float_round_mode_16_64 0
		.amdhsa_float_denorm_mode_32 3
		.amdhsa_float_denorm_mode_16_64 3
		.amdhsa_dx10_clamp 1
		.amdhsa_ieee_mode 1
		.amdhsa_fp16_overflow 0
		.amdhsa_exception_fp_ieee_invalid_op 0
		.amdhsa_exception_fp_denorm_src 0
		.amdhsa_exception_fp_ieee_div_zero 0
		.amdhsa_exception_fp_ieee_overflow 0
		.amdhsa_exception_fp_ieee_underflow 0
		.amdhsa_exception_fp_ieee_inexact 0
		.amdhsa_exception_int_div_zero 0
	.end_amdhsa_kernel
	.section	.text._ZN7rocprim17ROCPRIM_400000_NS6detail17trampoline_kernelINS0_14default_configENS1_25transform_config_selectorIiLb0EEEZNS1_14transform_implILb0ES3_S5_NS0_18transform_iteratorINS0_17counting_iteratorImlEEZNS1_24adjacent_difference_implIS3_Lb1ELb0EPiSB_N6thrust23THRUST_200600_302600_NS5minusIiEEEE10hipError_tPvRmT2_T3_mT4_P12ihipStream_tbEUlmE_iEESB_NS0_8identityIvEEEESG_SJ_SK_mSL_SN_bEUlT_E_NS1_11comp_targetILNS1_3genE0ELNS1_11target_archE4294967295ELNS1_3gpuE0ELNS1_3repE0EEENS1_30default_config_static_selectorELNS0_4arch9wavefront6targetE1EEEvT1_,"axG",@progbits,_ZN7rocprim17ROCPRIM_400000_NS6detail17trampoline_kernelINS0_14default_configENS1_25transform_config_selectorIiLb0EEEZNS1_14transform_implILb0ES3_S5_NS0_18transform_iteratorINS0_17counting_iteratorImlEEZNS1_24adjacent_difference_implIS3_Lb1ELb0EPiSB_N6thrust23THRUST_200600_302600_NS5minusIiEEEE10hipError_tPvRmT2_T3_mT4_P12ihipStream_tbEUlmE_iEESB_NS0_8identityIvEEEESG_SJ_SK_mSL_SN_bEUlT_E_NS1_11comp_targetILNS1_3genE0ELNS1_11target_archE4294967295ELNS1_3gpuE0ELNS1_3repE0EEENS1_30default_config_static_selectorELNS0_4arch9wavefront6targetE1EEEvT1_,comdat
.Lfunc_end315:
	.size	_ZN7rocprim17ROCPRIM_400000_NS6detail17trampoline_kernelINS0_14default_configENS1_25transform_config_selectorIiLb0EEEZNS1_14transform_implILb0ES3_S5_NS0_18transform_iteratorINS0_17counting_iteratorImlEEZNS1_24adjacent_difference_implIS3_Lb1ELb0EPiSB_N6thrust23THRUST_200600_302600_NS5minusIiEEEE10hipError_tPvRmT2_T3_mT4_P12ihipStream_tbEUlmE_iEESB_NS0_8identityIvEEEESG_SJ_SK_mSL_SN_bEUlT_E_NS1_11comp_targetILNS1_3genE0ELNS1_11target_archE4294967295ELNS1_3gpuE0ELNS1_3repE0EEENS1_30default_config_static_selectorELNS0_4arch9wavefront6targetE1EEEvT1_, .Lfunc_end315-_ZN7rocprim17ROCPRIM_400000_NS6detail17trampoline_kernelINS0_14default_configENS1_25transform_config_selectorIiLb0EEEZNS1_14transform_implILb0ES3_S5_NS0_18transform_iteratorINS0_17counting_iteratorImlEEZNS1_24adjacent_difference_implIS3_Lb1ELb0EPiSB_N6thrust23THRUST_200600_302600_NS5minusIiEEEE10hipError_tPvRmT2_T3_mT4_P12ihipStream_tbEUlmE_iEESB_NS0_8identityIvEEEESG_SJ_SK_mSL_SN_bEUlT_E_NS1_11comp_targetILNS1_3genE0ELNS1_11target_archE4294967295ELNS1_3gpuE0ELNS1_3repE0EEENS1_30default_config_static_selectorELNS0_4arch9wavefront6targetE1EEEvT1_
                                        ; -- End function
	.set _ZN7rocprim17ROCPRIM_400000_NS6detail17trampoline_kernelINS0_14default_configENS1_25transform_config_selectorIiLb0EEEZNS1_14transform_implILb0ES3_S5_NS0_18transform_iteratorINS0_17counting_iteratorImlEEZNS1_24adjacent_difference_implIS3_Lb1ELb0EPiSB_N6thrust23THRUST_200600_302600_NS5minusIiEEEE10hipError_tPvRmT2_T3_mT4_P12ihipStream_tbEUlmE_iEESB_NS0_8identityIvEEEESG_SJ_SK_mSL_SN_bEUlT_E_NS1_11comp_targetILNS1_3genE0ELNS1_11target_archE4294967295ELNS1_3gpuE0ELNS1_3repE0EEENS1_30default_config_static_selectorELNS0_4arch9wavefront6targetE1EEEvT1_.num_vgpr, 0
	.set _ZN7rocprim17ROCPRIM_400000_NS6detail17trampoline_kernelINS0_14default_configENS1_25transform_config_selectorIiLb0EEEZNS1_14transform_implILb0ES3_S5_NS0_18transform_iteratorINS0_17counting_iteratorImlEEZNS1_24adjacent_difference_implIS3_Lb1ELb0EPiSB_N6thrust23THRUST_200600_302600_NS5minusIiEEEE10hipError_tPvRmT2_T3_mT4_P12ihipStream_tbEUlmE_iEESB_NS0_8identityIvEEEESG_SJ_SK_mSL_SN_bEUlT_E_NS1_11comp_targetILNS1_3genE0ELNS1_11target_archE4294967295ELNS1_3gpuE0ELNS1_3repE0EEENS1_30default_config_static_selectorELNS0_4arch9wavefront6targetE1EEEvT1_.num_agpr, 0
	.set _ZN7rocprim17ROCPRIM_400000_NS6detail17trampoline_kernelINS0_14default_configENS1_25transform_config_selectorIiLb0EEEZNS1_14transform_implILb0ES3_S5_NS0_18transform_iteratorINS0_17counting_iteratorImlEEZNS1_24adjacent_difference_implIS3_Lb1ELb0EPiSB_N6thrust23THRUST_200600_302600_NS5minusIiEEEE10hipError_tPvRmT2_T3_mT4_P12ihipStream_tbEUlmE_iEESB_NS0_8identityIvEEEESG_SJ_SK_mSL_SN_bEUlT_E_NS1_11comp_targetILNS1_3genE0ELNS1_11target_archE4294967295ELNS1_3gpuE0ELNS1_3repE0EEENS1_30default_config_static_selectorELNS0_4arch9wavefront6targetE1EEEvT1_.numbered_sgpr, 0
	.set _ZN7rocprim17ROCPRIM_400000_NS6detail17trampoline_kernelINS0_14default_configENS1_25transform_config_selectorIiLb0EEEZNS1_14transform_implILb0ES3_S5_NS0_18transform_iteratorINS0_17counting_iteratorImlEEZNS1_24adjacent_difference_implIS3_Lb1ELb0EPiSB_N6thrust23THRUST_200600_302600_NS5minusIiEEEE10hipError_tPvRmT2_T3_mT4_P12ihipStream_tbEUlmE_iEESB_NS0_8identityIvEEEESG_SJ_SK_mSL_SN_bEUlT_E_NS1_11comp_targetILNS1_3genE0ELNS1_11target_archE4294967295ELNS1_3gpuE0ELNS1_3repE0EEENS1_30default_config_static_selectorELNS0_4arch9wavefront6targetE1EEEvT1_.num_named_barrier, 0
	.set _ZN7rocprim17ROCPRIM_400000_NS6detail17trampoline_kernelINS0_14default_configENS1_25transform_config_selectorIiLb0EEEZNS1_14transform_implILb0ES3_S5_NS0_18transform_iteratorINS0_17counting_iteratorImlEEZNS1_24adjacent_difference_implIS3_Lb1ELb0EPiSB_N6thrust23THRUST_200600_302600_NS5minusIiEEEE10hipError_tPvRmT2_T3_mT4_P12ihipStream_tbEUlmE_iEESB_NS0_8identityIvEEEESG_SJ_SK_mSL_SN_bEUlT_E_NS1_11comp_targetILNS1_3genE0ELNS1_11target_archE4294967295ELNS1_3gpuE0ELNS1_3repE0EEENS1_30default_config_static_selectorELNS0_4arch9wavefront6targetE1EEEvT1_.private_seg_size, 0
	.set _ZN7rocprim17ROCPRIM_400000_NS6detail17trampoline_kernelINS0_14default_configENS1_25transform_config_selectorIiLb0EEEZNS1_14transform_implILb0ES3_S5_NS0_18transform_iteratorINS0_17counting_iteratorImlEEZNS1_24adjacent_difference_implIS3_Lb1ELb0EPiSB_N6thrust23THRUST_200600_302600_NS5minusIiEEEE10hipError_tPvRmT2_T3_mT4_P12ihipStream_tbEUlmE_iEESB_NS0_8identityIvEEEESG_SJ_SK_mSL_SN_bEUlT_E_NS1_11comp_targetILNS1_3genE0ELNS1_11target_archE4294967295ELNS1_3gpuE0ELNS1_3repE0EEENS1_30default_config_static_selectorELNS0_4arch9wavefront6targetE1EEEvT1_.uses_vcc, 0
	.set _ZN7rocprim17ROCPRIM_400000_NS6detail17trampoline_kernelINS0_14default_configENS1_25transform_config_selectorIiLb0EEEZNS1_14transform_implILb0ES3_S5_NS0_18transform_iteratorINS0_17counting_iteratorImlEEZNS1_24adjacent_difference_implIS3_Lb1ELb0EPiSB_N6thrust23THRUST_200600_302600_NS5minusIiEEEE10hipError_tPvRmT2_T3_mT4_P12ihipStream_tbEUlmE_iEESB_NS0_8identityIvEEEESG_SJ_SK_mSL_SN_bEUlT_E_NS1_11comp_targetILNS1_3genE0ELNS1_11target_archE4294967295ELNS1_3gpuE0ELNS1_3repE0EEENS1_30default_config_static_selectorELNS0_4arch9wavefront6targetE1EEEvT1_.uses_flat_scratch, 0
	.set _ZN7rocprim17ROCPRIM_400000_NS6detail17trampoline_kernelINS0_14default_configENS1_25transform_config_selectorIiLb0EEEZNS1_14transform_implILb0ES3_S5_NS0_18transform_iteratorINS0_17counting_iteratorImlEEZNS1_24adjacent_difference_implIS3_Lb1ELb0EPiSB_N6thrust23THRUST_200600_302600_NS5minusIiEEEE10hipError_tPvRmT2_T3_mT4_P12ihipStream_tbEUlmE_iEESB_NS0_8identityIvEEEESG_SJ_SK_mSL_SN_bEUlT_E_NS1_11comp_targetILNS1_3genE0ELNS1_11target_archE4294967295ELNS1_3gpuE0ELNS1_3repE0EEENS1_30default_config_static_selectorELNS0_4arch9wavefront6targetE1EEEvT1_.has_dyn_sized_stack, 0
	.set _ZN7rocprim17ROCPRIM_400000_NS6detail17trampoline_kernelINS0_14default_configENS1_25transform_config_selectorIiLb0EEEZNS1_14transform_implILb0ES3_S5_NS0_18transform_iteratorINS0_17counting_iteratorImlEEZNS1_24adjacent_difference_implIS3_Lb1ELb0EPiSB_N6thrust23THRUST_200600_302600_NS5minusIiEEEE10hipError_tPvRmT2_T3_mT4_P12ihipStream_tbEUlmE_iEESB_NS0_8identityIvEEEESG_SJ_SK_mSL_SN_bEUlT_E_NS1_11comp_targetILNS1_3genE0ELNS1_11target_archE4294967295ELNS1_3gpuE0ELNS1_3repE0EEENS1_30default_config_static_selectorELNS0_4arch9wavefront6targetE1EEEvT1_.has_recursion, 0
	.set _ZN7rocprim17ROCPRIM_400000_NS6detail17trampoline_kernelINS0_14default_configENS1_25transform_config_selectorIiLb0EEEZNS1_14transform_implILb0ES3_S5_NS0_18transform_iteratorINS0_17counting_iteratorImlEEZNS1_24adjacent_difference_implIS3_Lb1ELb0EPiSB_N6thrust23THRUST_200600_302600_NS5minusIiEEEE10hipError_tPvRmT2_T3_mT4_P12ihipStream_tbEUlmE_iEESB_NS0_8identityIvEEEESG_SJ_SK_mSL_SN_bEUlT_E_NS1_11comp_targetILNS1_3genE0ELNS1_11target_archE4294967295ELNS1_3gpuE0ELNS1_3repE0EEENS1_30default_config_static_selectorELNS0_4arch9wavefront6targetE1EEEvT1_.has_indirect_call, 0
	.section	.AMDGPU.csdata,"",@progbits
; Kernel info:
; codeLenInByte = 0
; TotalNumSgprs: 4
; NumVgprs: 0
; ScratchSize: 0
; MemoryBound: 0
; FloatMode: 240
; IeeeMode: 1
; LDSByteSize: 0 bytes/workgroup (compile time only)
; SGPRBlocks: 0
; VGPRBlocks: 0
; NumSGPRsForWavesPerEU: 4
; NumVGPRsForWavesPerEU: 1
; Occupancy: 10
; WaveLimiterHint : 0
; COMPUTE_PGM_RSRC2:SCRATCH_EN: 0
; COMPUTE_PGM_RSRC2:USER_SGPR: 6
; COMPUTE_PGM_RSRC2:TRAP_HANDLER: 0
; COMPUTE_PGM_RSRC2:TGID_X_EN: 1
; COMPUTE_PGM_RSRC2:TGID_Y_EN: 0
; COMPUTE_PGM_RSRC2:TGID_Z_EN: 0
; COMPUTE_PGM_RSRC2:TIDIG_COMP_CNT: 0
	.section	.text._ZN7rocprim17ROCPRIM_400000_NS6detail17trampoline_kernelINS0_14default_configENS1_25transform_config_selectorIiLb0EEEZNS1_14transform_implILb0ES3_S5_NS0_18transform_iteratorINS0_17counting_iteratorImlEEZNS1_24adjacent_difference_implIS3_Lb1ELb0EPiSB_N6thrust23THRUST_200600_302600_NS5minusIiEEEE10hipError_tPvRmT2_T3_mT4_P12ihipStream_tbEUlmE_iEESB_NS0_8identityIvEEEESG_SJ_SK_mSL_SN_bEUlT_E_NS1_11comp_targetILNS1_3genE5ELNS1_11target_archE942ELNS1_3gpuE9ELNS1_3repE0EEENS1_30default_config_static_selectorELNS0_4arch9wavefront6targetE1EEEvT1_,"axG",@progbits,_ZN7rocprim17ROCPRIM_400000_NS6detail17trampoline_kernelINS0_14default_configENS1_25transform_config_selectorIiLb0EEEZNS1_14transform_implILb0ES3_S5_NS0_18transform_iteratorINS0_17counting_iteratorImlEEZNS1_24adjacent_difference_implIS3_Lb1ELb0EPiSB_N6thrust23THRUST_200600_302600_NS5minusIiEEEE10hipError_tPvRmT2_T3_mT4_P12ihipStream_tbEUlmE_iEESB_NS0_8identityIvEEEESG_SJ_SK_mSL_SN_bEUlT_E_NS1_11comp_targetILNS1_3genE5ELNS1_11target_archE942ELNS1_3gpuE9ELNS1_3repE0EEENS1_30default_config_static_selectorELNS0_4arch9wavefront6targetE1EEEvT1_,comdat
	.protected	_ZN7rocprim17ROCPRIM_400000_NS6detail17trampoline_kernelINS0_14default_configENS1_25transform_config_selectorIiLb0EEEZNS1_14transform_implILb0ES3_S5_NS0_18transform_iteratorINS0_17counting_iteratorImlEEZNS1_24adjacent_difference_implIS3_Lb1ELb0EPiSB_N6thrust23THRUST_200600_302600_NS5minusIiEEEE10hipError_tPvRmT2_T3_mT4_P12ihipStream_tbEUlmE_iEESB_NS0_8identityIvEEEESG_SJ_SK_mSL_SN_bEUlT_E_NS1_11comp_targetILNS1_3genE5ELNS1_11target_archE942ELNS1_3gpuE9ELNS1_3repE0EEENS1_30default_config_static_selectorELNS0_4arch9wavefront6targetE1EEEvT1_ ; -- Begin function _ZN7rocprim17ROCPRIM_400000_NS6detail17trampoline_kernelINS0_14default_configENS1_25transform_config_selectorIiLb0EEEZNS1_14transform_implILb0ES3_S5_NS0_18transform_iteratorINS0_17counting_iteratorImlEEZNS1_24adjacent_difference_implIS3_Lb1ELb0EPiSB_N6thrust23THRUST_200600_302600_NS5minusIiEEEE10hipError_tPvRmT2_T3_mT4_P12ihipStream_tbEUlmE_iEESB_NS0_8identityIvEEEESG_SJ_SK_mSL_SN_bEUlT_E_NS1_11comp_targetILNS1_3genE5ELNS1_11target_archE942ELNS1_3gpuE9ELNS1_3repE0EEENS1_30default_config_static_selectorELNS0_4arch9wavefront6targetE1EEEvT1_
	.globl	_ZN7rocprim17ROCPRIM_400000_NS6detail17trampoline_kernelINS0_14default_configENS1_25transform_config_selectorIiLb0EEEZNS1_14transform_implILb0ES3_S5_NS0_18transform_iteratorINS0_17counting_iteratorImlEEZNS1_24adjacent_difference_implIS3_Lb1ELb0EPiSB_N6thrust23THRUST_200600_302600_NS5minusIiEEEE10hipError_tPvRmT2_T3_mT4_P12ihipStream_tbEUlmE_iEESB_NS0_8identityIvEEEESG_SJ_SK_mSL_SN_bEUlT_E_NS1_11comp_targetILNS1_3genE5ELNS1_11target_archE942ELNS1_3gpuE9ELNS1_3repE0EEENS1_30default_config_static_selectorELNS0_4arch9wavefront6targetE1EEEvT1_
	.p2align	8
	.type	_ZN7rocprim17ROCPRIM_400000_NS6detail17trampoline_kernelINS0_14default_configENS1_25transform_config_selectorIiLb0EEEZNS1_14transform_implILb0ES3_S5_NS0_18transform_iteratorINS0_17counting_iteratorImlEEZNS1_24adjacent_difference_implIS3_Lb1ELb0EPiSB_N6thrust23THRUST_200600_302600_NS5minusIiEEEE10hipError_tPvRmT2_T3_mT4_P12ihipStream_tbEUlmE_iEESB_NS0_8identityIvEEEESG_SJ_SK_mSL_SN_bEUlT_E_NS1_11comp_targetILNS1_3genE5ELNS1_11target_archE942ELNS1_3gpuE9ELNS1_3repE0EEENS1_30default_config_static_selectorELNS0_4arch9wavefront6targetE1EEEvT1_,@function
_ZN7rocprim17ROCPRIM_400000_NS6detail17trampoline_kernelINS0_14default_configENS1_25transform_config_selectorIiLb0EEEZNS1_14transform_implILb0ES3_S5_NS0_18transform_iteratorINS0_17counting_iteratorImlEEZNS1_24adjacent_difference_implIS3_Lb1ELb0EPiSB_N6thrust23THRUST_200600_302600_NS5minusIiEEEE10hipError_tPvRmT2_T3_mT4_P12ihipStream_tbEUlmE_iEESB_NS0_8identityIvEEEESG_SJ_SK_mSL_SN_bEUlT_E_NS1_11comp_targetILNS1_3genE5ELNS1_11target_archE942ELNS1_3gpuE9ELNS1_3repE0EEENS1_30default_config_static_selectorELNS0_4arch9wavefront6targetE1EEEvT1_: ; @_ZN7rocprim17ROCPRIM_400000_NS6detail17trampoline_kernelINS0_14default_configENS1_25transform_config_selectorIiLb0EEEZNS1_14transform_implILb0ES3_S5_NS0_18transform_iteratorINS0_17counting_iteratorImlEEZNS1_24adjacent_difference_implIS3_Lb1ELb0EPiSB_N6thrust23THRUST_200600_302600_NS5minusIiEEEE10hipError_tPvRmT2_T3_mT4_P12ihipStream_tbEUlmE_iEESB_NS0_8identityIvEEEESG_SJ_SK_mSL_SN_bEUlT_E_NS1_11comp_targetILNS1_3genE5ELNS1_11target_archE942ELNS1_3gpuE9ELNS1_3repE0EEENS1_30default_config_static_selectorELNS0_4arch9wavefront6targetE1EEEvT1_
; %bb.0:
	.section	.rodata,"a",@progbits
	.p2align	6, 0x0
	.amdhsa_kernel _ZN7rocprim17ROCPRIM_400000_NS6detail17trampoline_kernelINS0_14default_configENS1_25transform_config_selectorIiLb0EEEZNS1_14transform_implILb0ES3_S5_NS0_18transform_iteratorINS0_17counting_iteratorImlEEZNS1_24adjacent_difference_implIS3_Lb1ELb0EPiSB_N6thrust23THRUST_200600_302600_NS5minusIiEEEE10hipError_tPvRmT2_T3_mT4_P12ihipStream_tbEUlmE_iEESB_NS0_8identityIvEEEESG_SJ_SK_mSL_SN_bEUlT_E_NS1_11comp_targetILNS1_3genE5ELNS1_11target_archE942ELNS1_3gpuE9ELNS1_3repE0EEENS1_30default_config_static_selectorELNS0_4arch9wavefront6targetE1EEEvT1_
		.amdhsa_group_segment_fixed_size 0
		.amdhsa_private_segment_fixed_size 0
		.amdhsa_kernarg_size 56
		.amdhsa_user_sgpr_count 6
		.amdhsa_user_sgpr_private_segment_buffer 1
		.amdhsa_user_sgpr_dispatch_ptr 0
		.amdhsa_user_sgpr_queue_ptr 0
		.amdhsa_user_sgpr_kernarg_segment_ptr 1
		.amdhsa_user_sgpr_dispatch_id 0
		.amdhsa_user_sgpr_flat_scratch_init 0
		.amdhsa_user_sgpr_private_segment_size 0
		.amdhsa_uses_dynamic_stack 0
		.amdhsa_system_sgpr_private_segment_wavefront_offset 0
		.amdhsa_system_sgpr_workgroup_id_x 1
		.amdhsa_system_sgpr_workgroup_id_y 0
		.amdhsa_system_sgpr_workgroup_id_z 0
		.amdhsa_system_sgpr_workgroup_info 0
		.amdhsa_system_vgpr_workitem_id 0
		.amdhsa_next_free_vgpr 1
		.amdhsa_next_free_sgpr 0
		.amdhsa_reserve_vcc 0
		.amdhsa_reserve_flat_scratch 0
		.amdhsa_float_round_mode_32 0
		.amdhsa_float_round_mode_16_64 0
		.amdhsa_float_denorm_mode_32 3
		.amdhsa_float_denorm_mode_16_64 3
		.amdhsa_dx10_clamp 1
		.amdhsa_ieee_mode 1
		.amdhsa_fp16_overflow 0
		.amdhsa_exception_fp_ieee_invalid_op 0
		.amdhsa_exception_fp_denorm_src 0
		.amdhsa_exception_fp_ieee_div_zero 0
		.amdhsa_exception_fp_ieee_overflow 0
		.amdhsa_exception_fp_ieee_underflow 0
		.amdhsa_exception_fp_ieee_inexact 0
		.amdhsa_exception_int_div_zero 0
	.end_amdhsa_kernel
	.section	.text._ZN7rocprim17ROCPRIM_400000_NS6detail17trampoline_kernelINS0_14default_configENS1_25transform_config_selectorIiLb0EEEZNS1_14transform_implILb0ES3_S5_NS0_18transform_iteratorINS0_17counting_iteratorImlEEZNS1_24adjacent_difference_implIS3_Lb1ELb0EPiSB_N6thrust23THRUST_200600_302600_NS5minusIiEEEE10hipError_tPvRmT2_T3_mT4_P12ihipStream_tbEUlmE_iEESB_NS0_8identityIvEEEESG_SJ_SK_mSL_SN_bEUlT_E_NS1_11comp_targetILNS1_3genE5ELNS1_11target_archE942ELNS1_3gpuE9ELNS1_3repE0EEENS1_30default_config_static_selectorELNS0_4arch9wavefront6targetE1EEEvT1_,"axG",@progbits,_ZN7rocprim17ROCPRIM_400000_NS6detail17trampoline_kernelINS0_14default_configENS1_25transform_config_selectorIiLb0EEEZNS1_14transform_implILb0ES3_S5_NS0_18transform_iteratorINS0_17counting_iteratorImlEEZNS1_24adjacent_difference_implIS3_Lb1ELb0EPiSB_N6thrust23THRUST_200600_302600_NS5minusIiEEEE10hipError_tPvRmT2_T3_mT4_P12ihipStream_tbEUlmE_iEESB_NS0_8identityIvEEEESG_SJ_SK_mSL_SN_bEUlT_E_NS1_11comp_targetILNS1_3genE5ELNS1_11target_archE942ELNS1_3gpuE9ELNS1_3repE0EEENS1_30default_config_static_selectorELNS0_4arch9wavefront6targetE1EEEvT1_,comdat
.Lfunc_end316:
	.size	_ZN7rocprim17ROCPRIM_400000_NS6detail17trampoline_kernelINS0_14default_configENS1_25transform_config_selectorIiLb0EEEZNS1_14transform_implILb0ES3_S5_NS0_18transform_iteratorINS0_17counting_iteratorImlEEZNS1_24adjacent_difference_implIS3_Lb1ELb0EPiSB_N6thrust23THRUST_200600_302600_NS5minusIiEEEE10hipError_tPvRmT2_T3_mT4_P12ihipStream_tbEUlmE_iEESB_NS0_8identityIvEEEESG_SJ_SK_mSL_SN_bEUlT_E_NS1_11comp_targetILNS1_3genE5ELNS1_11target_archE942ELNS1_3gpuE9ELNS1_3repE0EEENS1_30default_config_static_selectorELNS0_4arch9wavefront6targetE1EEEvT1_, .Lfunc_end316-_ZN7rocprim17ROCPRIM_400000_NS6detail17trampoline_kernelINS0_14default_configENS1_25transform_config_selectorIiLb0EEEZNS1_14transform_implILb0ES3_S5_NS0_18transform_iteratorINS0_17counting_iteratorImlEEZNS1_24adjacent_difference_implIS3_Lb1ELb0EPiSB_N6thrust23THRUST_200600_302600_NS5minusIiEEEE10hipError_tPvRmT2_T3_mT4_P12ihipStream_tbEUlmE_iEESB_NS0_8identityIvEEEESG_SJ_SK_mSL_SN_bEUlT_E_NS1_11comp_targetILNS1_3genE5ELNS1_11target_archE942ELNS1_3gpuE9ELNS1_3repE0EEENS1_30default_config_static_selectorELNS0_4arch9wavefront6targetE1EEEvT1_
                                        ; -- End function
	.set _ZN7rocprim17ROCPRIM_400000_NS6detail17trampoline_kernelINS0_14default_configENS1_25transform_config_selectorIiLb0EEEZNS1_14transform_implILb0ES3_S5_NS0_18transform_iteratorINS0_17counting_iteratorImlEEZNS1_24adjacent_difference_implIS3_Lb1ELb0EPiSB_N6thrust23THRUST_200600_302600_NS5minusIiEEEE10hipError_tPvRmT2_T3_mT4_P12ihipStream_tbEUlmE_iEESB_NS0_8identityIvEEEESG_SJ_SK_mSL_SN_bEUlT_E_NS1_11comp_targetILNS1_3genE5ELNS1_11target_archE942ELNS1_3gpuE9ELNS1_3repE0EEENS1_30default_config_static_selectorELNS0_4arch9wavefront6targetE1EEEvT1_.num_vgpr, 0
	.set _ZN7rocprim17ROCPRIM_400000_NS6detail17trampoline_kernelINS0_14default_configENS1_25transform_config_selectorIiLb0EEEZNS1_14transform_implILb0ES3_S5_NS0_18transform_iteratorINS0_17counting_iteratorImlEEZNS1_24adjacent_difference_implIS3_Lb1ELb0EPiSB_N6thrust23THRUST_200600_302600_NS5minusIiEEEE10hipError_tPvRmT2_T3_mT4_P12ihipStream_tbEUlmE_iEESB_NS0_8identityIvEEEESG_SJ_SK_mSL_SN_bEUlT_E_NS1_11comp_targetILNS1_3genE5ELNS1_11target_archE942ELNS1_3gpuE9ELNS1_3repE0EEENS1_30default_config_static_selectorELNS0_4arch9wavefront6targetE1EEEvT1_.num_agpr, 0
	.set _ZN7rocprim17ROCPRIM_400000_NS6detail17trampoline_kernelINS0_14default_configENS1_25transform_config_selectorIiLb0EEEZNS1_14transform_implILb0ES3_S5_NS0_18transform_iteratorINS0_17counting_iteratorImlEEZNS1_24adjacent_difference_implIS3_Lb1ELb0EPiSB_N6thrust23THRUST_200600_302600_NS5minusIiEEEE10hipError_tPvRmT2_T3_mT4_P12ihipStream_tbEUlmE_iEESB_NS0_8identityIvEEEESG_SJ_SK_mSL_SN_bEUlT_E_NS1_11comp_targetILNS1_3genE5ELNS1_11target_archE942ELNS1_3gpuE9ELNS1_3repE0EEENS1_30default_config_static_selectorELNS0_4arch9wavefront6targetE1EEEvT1_.numbered_sgpr, 0
	.set _ZN7rocprim17ROCPRIM_400000_NS6detail17trampoline_kernelINS0_14default_configENS1_25transform_config_selectorIiLb0EEEZNS1_14transform_implILb0ES3_S5_NS0_18transform_iteratorINS0_17counting_iteratorImlEEZNS1_24adjacent_difference_implIS3_Lb1ELb0EPiSB_N6thrust23THRUST_200600_302600_NS5minusIiEEEE10hipError_tPvRmT2_T3_mT4_P12ihipStream_tbEUlmE_iEESB_NS0_8identityIvEEEESG_SJ_SK_mSL_SN_bEUlT_E_NS1_11comp_targetILNS1_3genE5ELNS1_11target_archE942ELNS1_3gpuE9ELNS1_3repE0EEENS1_30default_config_static_selectorELNS0_4arch9wavefront6targetE1EEEvT1_.num_named_barrier, 0
	.set _ZN7rocprim17ROCPRIM_400000_NS6detail17trampoline_kernelINS0_14default_configENS1_25transform_config_selectorIiLb0EEEZNS1_14transform_implILb0ES3_S5_NS0_18transform_iteratorINS0_17counting_iteratorImlEEZNS1_24adjacent_difference_implIS3_Lb1ELb0EPiSB_N6thrust23THRUST_200600_302600_NS5minusIiEEEE10hipError_tPvRmT2_T3_mT4_P12ihipStream_tbEUlmE_iEESB_NS0_8identityIvEEEESG_SJ_SK_mSL_SN_bEUlT_E_NS1_11comp_targetILNS1_3genE5ELNS1_11target_archE942ELNS1_3gpuE9ELNS1_3repE0EEENS1_30default_config_static_selectorELNS0_4arch9wavefront6targetE1EEEvT1_.private_seg_size, 0
	.set _ZN7rocprim17ROCPRIM_400000_NS6detail17trampoline_kernelINS0_14default_configENS1_25transform_config_selectorIiLb0EEEZNS1_14transform_implILb0ES3_S5_NS0_18transform_iteratorINS0_17counting_iteratorImlEEZNS1_24adjacent_difference_implIS3_Lb1ELb0EPiSB_N6thrust23THRUST_200600_302600_NS5minusIiEEEE10hipError_tPvRmT2_T3_mT4_P12ihipStream_tbEUlmE_iEESB_NS0_8identityIvEEEESG_SJ_SK_mSL_SN_bEUlT_E_NS1_11comp_targetILNS1_3genE5ELNS1_11target_archE942ELNS1_3gpuE9ELNS1_3repE0EEENS1_30default_config_static_selectorELNS0_4arch9wavefront6targetE1EEEvT1_.uses_vcc, 0
	.set _ZN7rocprim17ROCPRIM_400000_NS6detail17trampoline_kernelINS0_14default_configENS1_25transform_config_selectorIiLb0EEEZNS1_14transform_implILb0ES3_S5_NS0_18transform_iteratorINS0_17counting_iteratorImlEEZNS1_24adjacent_difference_implIS3_Lb1ELb0EPiSB_N6thrust23THRUST_200600_302600_NS5minusIiEEEE10hipError_tPvRmT2_T3_mT4_P12ihipStream_tbEUlmE_iEESB_NS0_8identityIvEEEESG_SJ_SK_mSL_SN_bEUlT_E_NS1_11comp_targetILNS1_3genE5ELNS1_11target_archE942ELNS1_3gpuE9ELNS1_3repE0EEENS1_30default_config_static_selectorELNS0_4arch9wavefront6targetE1EEEvT1_.uses_flat_scratch, 0
	.set _ZN7rocprim17ROCPRIM_400000_NS6detail17trampoline_kernelINS0_14default_configENS1_25transform_config_selectorIiLb0EEEZNS1_14transform_implILb0ES3_S5_NS0_18transform_iteratorINS0_17counting_iteratorImlEEZNS1_24adjacent_difference_implIS3_Lb1ELb0EPiSB_N6thrust23THRUST_200600_302600_NS5minusIiEEEE10hipError_tPvRmT2_T3_mT4_P12ihipStream_tbEUlmE_iEESB_NS0_8identityIvEEEESG_SJ_SK_mSL_SN_bEUlT_E_NS1_11comp_targetILNS1_3genE5ELNS1_11target_archE942ELNS1_3gpuE9ELNS1_3repE0EEENS1_30default_config_static_selectorELNS0_4arch9wavefront6targetE1EEEvT1_.has_dyn_sized_stack, 0
	.set _ZN7rocprim17ROCPRIM_400000_NS6detail17trampoline_kernelINS0_14default_configENS1_25transform_config_selectorIiLb0EEEZNS1_14transform_implILb0ES3_S5_NS0_18transform_iteratorINS0_17counting_iteratorImlEEZNS1_24adjacent_difference_implIS3_Lb1ELb0EPiSB_N6thrust23THRUST_200600_302600_NS5minusIiEEEE10hipError_tPvRmT2_T3_mT4_P12ihipStream_tbEUlmE_iEESB_NS0_8identityIvEEEESG_SJ_SK_mSL_SN_bEUlT_E_NS1_11comp_targetILNS1_3genE5ELNS1_11target_archE942ELNS1_3gpuE9ELNS1_3repE0EEENS1_30default_config_static_selectorELNS0_4arch9wavefront6targetE1EEEvT1_.has_recursion, 0
	.set _ZN7rocprim17ROCPRIM_400000_NS6detail17trampoline_kernelINS0_14default_configENS1_25transform_config_selectorIiLb0EEEZNS1_14transform_implILb0ES3_S5_NS0_18transform_iteratorINS0_17counting_iteratorImlEEZNS1_24adjacent_difference_implIS3_Lb1ELb0EPiSB_N6thrust23THRUST_200600_302600_NS5minusIiEEEE10hipError_tPvRmT2_T3_mT4_P12ihipStream_tbEUlmE_iEESB_NS0_8identityIvEEEESG_SJ_SK_mSL_SN_bEUlT_E_NS1_11comp_targetILNS1_3genE5ELNS1_11target_archE942ELNS1_3gpuE9ELNS1_3repE0EEENS1_30default_config_static_selectorELNS0_4arch9wavefront6targetE1EEEvT1_.has_indirect_call, 0
	.section	.AMDGPU.csdata,"",@progbits
; Kernel info:
; codeLenInByte = 0
; TotalNumSgprs: 4
; NumVgprs: 0
; ScratchSize: 0
; MemoryBound: 0
; FloatMode: 240
; IeeeMode: 1
; LDSByteSize: 0 bytes/workgroup (compile time only)
; SGPRBlocks: 0
; VGPRBlocks: 0
; NumSGPRsForWavesPerEU: 4
; NumVGPRsForWavesPerEU: 1
; Occupancy: 10
; WaveLimiterHint : 0
; COMPUTE_PGM_RSRC2:SCRATCH_EN: 0
; COMPUTE_PGM_RSRC2:USER_SGPR: 6
; COMPUTE_PGM_RSRC2:TRAP_HANDLER: 0
; COMPUTE_PGM_RSRC2:TGID_X_EN: 1
; COMPUTE_PGM_RSRC2:TGID_Y_EN: 0
; COMPUTE_PGM_RSRC2:TGID_Z_EN: 0
; COMPUTE_PGM_RSRC2:TIDIG_COMP_CNT: 0
	.section	.text._ZN7rocprim17ROCPRIM_400000_NS6detail17trampoline_kernelINS0_14default_configENS1_25transform_config_selectorIiLb0EEEZNS1_14transform_implILb0ES3_S5_NS0_18transform_iteratorINS0_17counting_iteratorImlEEZNS1_24adjacent_difference_implIS3_Lb1ELb0EPiSB_N6thrust23THRUST_200600_302600_NS5minusIiEEEE10hipError_tPvRmT2_T3_mT4_P12ihipStream_tbEUlmE_iEESB_NS0_8identityIvEEEESG_SJ_SK_mSL_SN_bEUlT_E_NS1_11comp_targetILNS1_3genE4ELNS1_11target_archE910ELNS1_3gpuE8ELNS1_3repE0EEENS1_30default_config_static_selectorELNS0_4arch9wavefront6targetE1EEEvT1_,"axG",@progbits,_ZN7rocprim17ROCPRIM_400000_NS6detail17trampoline_kernelINS0_14default_configENS1_25transform_config_selectorIiLb0EEEZNS1_14transform_implILb0ES3_S5_NS0_18transform_iteratorINS0_17counting_iteratorImlEEZNS1_24adjacent_difference_implIS3_Lb1ELb0EPiSB_N6thrust23THRUST_200600_302600_NS5minusIiEEEE10hipError_tPvRmT2_T3_mT4_P12ihipStream_tbEUlmE_iEESB_NS0_8identityIvEEEESG_SJ_SK_mSL_SN_bEUlT_E_NS1_11comp_targetILNS1_3genE4ELNS1_11target_archE910ELNS1_3gpuE8ELNS1_3repE0EEENS1_30default_config_static_selectorELNS0_4arch9wavefront6targetE1EEEvT1_,comdat
	.protected	_ZN7rocprim17ROCPRIM_400000_NS6detail17trampoline_kernelINS0_14default_configENS1_25transform_config_selectorIiLb0EEEZNS1_14transform_implILb0ES3_S5_NS0_18transform_iteratorINS0_17counting_iteratorImlEEZNS1_24adjacent_difference_implIS3_Lb1ELb0EPiSB_N6thrust23THRUST_200600_302600_NS5minusIiEEEE10hipError_tPvRmT2_T3_mT4_P12ihipStream_tbEUlmE_iEESB_NS0_8identityIvEEEESG_SJ_SK_mSL_SN_bEUlT_E_NS1_11comp_targetILNS1_3genE4ELNS1_11target_archE910ELNS1_3gpuE8ELNS1_3repE0EEENS1_30default_config_static_selectorELNS0_4arch9wavefront6targetE1EEEvT1_ ; -- Begin function _ZN7rocprim17ROCPRIM_400000_NS6detail17trampoline_kernelINS0_14default_configENS1_25transform_config_selectorIiLb0EEEZNS1_14transform_implILb0ES3_S5_NS0_18transform_iteratorINS0_17counting_iteratorImlEEZNS1_24adjacent_difference_implIS3_Lb1ELb0EPiSB_N6thrust23THRUST_200600_302600_NS5minusIiEEEE10hipError_tPvRmT2_T3_mT4_P12ihipStream_tbEUlmE_iEESB_NS0_8identityIvEEEESG_SJ_SK_mSL_SN_bEUlT_E_NS1_11comp_targetILNS1_3genE4ELNS1_11target_archE910ELNS1_3gpuE8ELNS1_3repE0EEENS1_30default_config_static_selectorELNS0_4arch9wavefront6targetE1EEEvT1_
	.globl	_ZN7rocprim17ROCPRIM_400000_NS6detail17trampoline_kernelINS0_14default_configENS1_25transform_config_selectorIiLb0EEEZNS1_14transform_implILb0ES3_S5_NS0_18transform_iteratorINS0_17counting_iteratorImlEEZNS1_24adjacent_difference_implIS3_Lb1ELb0EPiSB_N6thrust23THRUST_200600_302600_NS5minusIiEEEE10hipError_tPvRmT2_T3_mT4_P12ihipStream_tbEUlmE_iEESB_NS0_8identityIvEEEESG_SJ_SK_mSL_SN_bEUlT_E_NS1_11comp_targetILNS1_3genE4ELNS1_11target_archE910ELNS1_3gpuE8ELNS1_3repE0EEENS1_30default_config_static_selectorELNS0_4arch9wavefront6targetE1EEEvT1_
	.p2align	8
	.type	_ZN7rocprim17ROCPRIM_400000_NS6detail17trampoline_kernelINS0_14default_configENS1_25transform_config_selectorIiLb0EEEZNS1_14transform_implILb0ES3_S5_NS0_18transform_iteratorINS0_17counting_iteratorImlEEZNS1_24adjacent_difference_implIS3_Lb1ELb0EPiSB_N6thrust23THRUST_200600_302600_NS5minusIiEEEE10hipError_tPvRmT2_T3_mT4_P12ihipStream_tbEUlmE_iEESB_NS0_8identityIvEEEESG_SJ_SK_mSL_SN_bEUlT_E_NS1_11comp_targetILNS1_3genE4ELNS1_11target_archE910ELNS1_3gpuE8ELNS1_3repE0EEENS1_30default_config_static_selectorELNS0_4arch9wavefront6targetE1EEEvT1_,@function
_ZN7rocprim17ROCPRIM_400000_NS6detail17trampoline_kernelINS0_14default_configENS1_25transform_config_selectorIiLb0EEEZNS1_14transform_implILb0ES3_S5_NS0_18transform_iteratorINS0_17counting_iteratorImlEEZNS1_24adjacent_difference_implIS3_Lb1ELb0EPiSB_N6thrust23THRUST_200600_302600_NS5minusIiEEEE10hipError_tPvRmT2_T3_mT4_P12ihipStream_tbEUlmE_iEESB_NS0_8identityIvEEEESG_SJ_SK_mSL_SN_bEUlT_E_NS1_11comp_targetILNS1_3genE4ELNS1_11target_archE910ELNS1_3gpuE8ELNS1_3repE0EEENS1_30default_config_static_selectorELNS0_4arch9wavefront6targetE1EEEvT1_: ; @_ZN7rocprim17ROCPRIM_400000_NS6detail17trampoline_kernelINS0_14default_configENS1_25transform_config_selectorIiLb0EEEZNS1_14transform_implILb0ES3_S5_NS0_18transform_iteratorINS0_17counting_iteratorImlEEZNS1_24adjacent_difference_implIS3_Lb1ELb0EPiSB_N6thrust23THRUST_200600_302600_NS5minusIiEEEE10hipError_tPvRmT2_T3_mT4_P12ihipStream_tbEUlmE_iEESB_NS0_8identityIvEEEESG_SJ_SK_mSL_SN_bEUlT_E_NS1_11comp_targetILNS1_3genE4ELNS1_11target_archE910ELNS1_3gpuE8ELNS1_3repE0EEENS1_30default_config_static_selectorELNS0_4arch9wavefront6targetE1EEEvT1_
; %bb.0:
	.section	.rodata,"a",@progbits
	.p2align	6, 0x0
	.amdhsa_kernel _ZN7rocprim17ROCPRIM_400000_NS6detail17trampoline_kernelINS0_14default_configENS1_25transform_config_selectorIiLb0EEEZNS1_14transform_implILb0ES3_S5_NS0_18transform_iteratorINS0_17counting_iteratorImlEEZNS1_24adjacent_difference_implIS3_Lb1ELb0EPiSB_N6thrust23THRUST_200600_302600_NS5minusIiEEEE10hipError_tPvRmT2_T3_mT4_P12ihipStream_tbEUlmE_iEESB_NS0_8identityIvEEEESG_SJ_SK_mSL_SN_bEUlT_E_NS1_11comp_targetILNS1_3genE4ELNS1_11target_archE910ELNS1_3gpuE8ELNS1_3repE0EEENS1_30default_config_static_selectorELNS0_4arch9wavefront6targetE1EEEvT1_
		.amdhsa_group_segment_fixed_size 0
		.amdhsa_private_segment_fixed_size 0
		.amdhsa_kernarg_size 56
		.amdhsa_user_sgpr_count 6
		.amdhsa_user_sgpr_private_segment_buffer 1
		.amdhsa_user_sgpr_dispatch_ptr 0
		.amdhsa_user_sgpr_queue_ptr 0
		.amdhsa_user_sgpr_kernarg_segment_ptr 1
		.amdhsa_user_sgpr_dispatch_id 0
		.amdhsa_user_sgpr_flat_scratch_init 0
		.amdhsa_user_sgpr_private_segment_size 0
		.amdhsa_uses_dynamic_stack 0
		.amdhsa_system_sgpr_private_segment_wavefront_offset 0
		.amdhsa_system_sgpr_workgroup_id_x 1
		.amdhsa_system_sgpr_workgroup_id_y 0
		.amdhsa_system_sgpr_workgroup_id_z 0
		.amdhsa_system_sgpr_workgroup_info 0
		.amdhsa_system_vgpr_workitem_id 0
		.amdhsa_next_free_vgpr 1
		.amdhsa_next_free_sgpr 0
		.amdhsa_reserve_vcc 0
		.amdhsa_reserve_flat_scratch 0
		.amdhsa_float_round_mode_32 0
		.amdhsa_float_round_mode_16_64 0
		.amdhsa_float_denorm_mode_32 3
		.amdhsa_float_denorm_mode_16_64 3
		.amdhsa_dx10_clamp 1
		.amdhsa_ieee_mode 1
		.amdhsa_fp16_overflow 0
		.amdhsa_exception_fp_ieee_invalid_op 0
		.amdhsa_exception_fp_denorm_src 0
		.amdhsa_exception_fp_ieee_div_zero 0
		.amdhsa_exception_fp_ieee_overflow 0
		.amdhsa_exception_fp_ieee_underflow 0
		.amdhsa_exception_fp_ieee_inexact 0
		.amdhsa_exception_int_div_zero 0
	.end_amdhsa_kernel
	.section	.text._ZN7rocprim17ROCPRIM_400000_NS6detail17trampoline_kernelINS0_14default_configENS1_25transform_config_selectorIiLb0EEEZNS1_14transform_implILb0ES3_S5_NS0_18transform_iteratorINS0_17counting_iteratorImlEEZNS1_24adjacent_difference_implIS3_Lb1ELb0EPiSB_N6thrust23THRUST_200600_302600_NS5minusIiEEEE10hipError_tPvRmT2_T3_mT4_P12ihipStream_tbEUlmE_iEESB_NS0_8identityIvEEEESG_SJ_SK_mSL_SN_bEUlT_E_NS1_11comp_targetILNS1_3genE4ELNS1_11target_archE910ELNS1_3gpuE8ELNS1_3repE0EEENS1_30default_config_static_selectorELNS0_4arch9wavefront6targetE1EEEvT1_,"axG",@progbits,_ZN7rocprim17ROCPRIM_400000_NS6detail17trampoline_kernelINS0_14default_configENS1_25transform_config_selectorIiLb0EEEZNS1_14transform_implILb0ES3_S5_NS0_18transform_iteratorINS0_17counting_iteratorImlEEZNS1_24adjacent_difference_implIS3_Lb1ELb0EPiSB_N6thrust23THRUST_200600_302600_NS5minusIiEEEE10hipError_tPvRmT2_T3_mT4_P12ihipStream_tbEUlmE_iEESB_NS0_8identityIvEEEESG_SJ_SK_mSL_SN_bEUlT_E_NS1_11comp_targetILNS1_3genE4ELNS1_11target_archE910ELNS1_3gpuE8ELNS1_3repE0EEENS1_30default_config_static_selectorELNS0_4arch9wavefront6targetE1EEEvT1_,comdat
.Lfunc_end317:
	.size	_ZN7rocprim17ROCPRIM_400000_NS6detail17trampoline_kernelINS0_14default_configENS1_25transform_config_selectorIiLb0EEEZNS1_14transform_implILb0ES3_S5_NS0_18transform_iteratorINS0_17counting_iteratorImlEEZNS1_24adjacent_difference_implIS3_Lb1ELb0EPiSB_N6thrust23THRUST_200600_302600_NS5minusIiEEEE10hipError_tPvRmT2_T3_mT4_P12ihipStream_tbEUlmE_iEESB_NS0_8identityIvEEEESG_SJ_SK_mSL_SN_bEUlT_E_NS1_11comp_targetILNS1_3genE4ELNS1_11target_archE910ELNS1_3gpuE8ELNS1_3repE0EEENS1_30default_config_static_selectorELNS0_4arch9wavefront6targetE1EEEvT1_, .Lfunc_end317-_ZN7rocprim17ROCPRIM_400000_NS6detail17trampoline_kernelINS0_14default_configENS1_25transform_config_selectorIiLb0EEEZNS1_14transform_implILb0ES3_S5_NS0_18transform_iteratorINS0_17counting_iteratorImlEEZNS1_24adjacent_difference_implIS3_Lb1ELb0EPiSB_N6thrust23THRUST_200600_302600_NS5minusIiEEEE10hipError_tPvRmT2_T3_mT4_P12ihipStream_tbEUlmE_iEESB_NS0_8identityIvEEEESG_SJ_SK_mSL_SN_bEUlT_E_NS1_11comp_targetILNS1_3genE4ELNS1_11target_archE910ELNS1_3gpuE8ELNS1_3repE0EEENS1_30default_config_static_selectorELNS0_4arch9wavefront6targetE1EEEvT1_
                                        ; -- End function
	.set _ZN7rocprim17ROCPRIM_400000_NS6detail17trampoline_kernelINS0_14default_configENS1_25transform_config_selectorIiLb0EEEZNS1_14transform_implILb0ES3_S5_NS0_18transform_iteratorINS0_17counting_iteratorImlEEZNS1_24adjacent_difference_implIS3_Lb1ELb0EPiSB_N6thrust23THRUST_200600_302600_NS5minusIiEEEE10hipError_tPvRmT2_T3_mT4_P12ihipStream_tbEUlmE_iEESB_NS0_8identityIvEEEESG_SJ_SK_mSL_SN_bEUlT_E_NS1_11comp_targetILNS1_3genE4ELNS1_11target_archE910ELNS1_3gpuE8ELNS1_3repE0EEENS1_30default_config_static_selectorELNS0_4arch9wavefront6targetE1EEEvT1_.num_vgpr, 0
	.set _ZN7rocprim17ROCPRIM_400000_NS6detail17trampoline_kernelINS0_14default_configENS1_25transform_config_selectorIiLb0EEEZNS1_14transform_implILb0ES3_S5_NS0_18transform_iteratorINS0_17counting_iteratorImlEEZNS1_24adjacent_difference_implIS3_Lb1ELb0EPiSB_N6thrust23THRUST_200600_302600_NS5minusIiEEEE10hipError_tPvRmT2_T3_mT4_P12ihipStream_tbEUlmE_iEESB_NS0_8identityIvEEEESG_SJ_SK_mSL_SN_bEUlT_E_NS1_11comp_targetILNS1_3genE4ELNS1_11target_archE910ELNS1_3gpuE8ELNS1_3repE0EEENS1_30default_config_static_selectorELNS0_4arch9wavefront6targetE1EEEvT1_.num_agpr, 0
	.set _ZN7rocprim17ROCPRIM_400000_NS6detail17trampoline_kernelINS0_14default_configENS1_25transform_config_selectorIiLb0EEEZNS1_14transform_implILb0ES3_S5_NS0_18transform_iteratorINS0_17counting_iteratorImlEEZNS1_24adjacent_difference_implIS3_Lb1ELb0EPiSB_N6thrust23THRUST_200600_302600_NS5minusIiEEEE10hipError_tPvRmT2_T3_mT4_P12ihipStream_tbEUlmE_iEESB_NS0_8identityIvEEEESG_SJ_SK_mSL_SN_bEUlT_E_NS1_11comp_targetILNS1_3genE4ELNS1_11target_archE910ELNS1_3gpuE8ELNS1_3repE0EEENS1_30default_config_static_selectorELNS0_4arch9wavefront6targetE1EEEvT1_.numbered_sgpr, 0
	.set _ZN7rocprim17ROCPRIM_400000_NS6detail17trampoline_kernelINS0_14default_configENS1_25transform_config_selectorIiLb0EEEZNS1_14transform_implILb0ES3_S5_NS0_18transform_iteratorINS0_17counting_iteratorImlEEZNS1_24adjacent_difference_implIS3_Lb1ELb0EPiSB_N6thrust23THRUST_200600_302600_NS5minusIiEEEE10hipError_tPvRmT2_T3_mT4_P12ihipStream_tbEUlmE_iEESB_NS0_8identityIvEEEESG_SJ_SK_mSL_SN_bEUlT_E_NS1_11comp_targetILNS1_3genE4ELNS1_11target_archE910ELNS1_3gpuE8ELNS1_3repE0EEENS1_30default_config_static_selectorELNS0_4arch9wavefront6targetE1EEEvT1_.num_named_barrier, 0
	.set _ZN7rocprim17ROCPRIM_400000_NS6detail17trampoline_kernelINS0_14default_configENS1_25transform_config_selectorIiLb0EEEZNS1_14transform_implILb0ES3_S5_NS0_18transform_iteratorINS0_17counting_iteratorImlEEZNS1_24adjacent_difference_implIS3_Lb1ELb0EPiSB_N6thrust23THRUST_200600_302600_NS5minusIiEEEE10hipError_tPvRmT2_T3_mT4_P12ihipStream_tbEUlmE_iEESB_NS0_8identityIvEEEESG_SJ_SK_mSL_SN_bEUlT_E_NS1_11comp_targetILNS1_3genE4ELNS1_11target_archE910ELNS1_3gpuE8ELNS1_3repE0EEENS1_30default_config_static_selectorELNS0_4arch9wavefront6targetE1EEEvT1_.private_seg_size, 0
	.set _ZN7rocprim17ROCPRIM_400000_NS6detail17trampoline_kernelINS0_14default_configENS1_25transform_config_selectorIiLb0EEEZNS1_14transform_implILb0ES3_S5_NS0_18transform_iteratorINS0_17counting_iteratorImlEEZNS1_24adjacent_difference_implIS3_Lb1ELb0EPiSB_N6thrust23THRUST_200600_302600_NS5minusIiEEEE10hipError_tPvRmT2_T3_mT4_P12ihipStream_tbEUlmE_iEESB_NS0_8identityIvEEEESG_SJ_SK_mSL_SN_bEUlT_E_NS1_11comp_targetILNS1_3genE4ELNS1_11target_archE910ELNS1_3gpuE8ELNS1_3repE0EEENS1_30default_config_static_selectorELNS0_4arch9wavefront6targetE1EEEvT1_.uses_vcc, 0
	.set _ZN7rocprim17ROCPRIM_400000_NS6detail17trampoline_kernelINS0_14default_configENS1_25transform_config_selectorIiLb0EEEZNS1_14transform_implILb0ES3_S5_NS0_18transform_iteratorINS0_17counting_iteratorImlEEZNS1_24adjacent_difference_implIS3_Lb1ELb0EPiSB_N6thrust23THRUST_200600_302600_NS5minusIiEEEE10hipError_tPvRmT2_T3_mT4_P12ihipStream_tbEUlmE_iEESB_NS0_8identityIvEEEESG_SJ_SK_mSL_SN_bEUlT_E_NS1_11comp_targetILNS1_3genE4ELNS1_11target_archE910ELNS1_3gpuE8ELNS1_3repE0EEENS1_30default_config_static_selectorELNS0_4arch9wavefront6targetE1EEEvT1_.uses_flat_scratch, 0
	.set _ZN7rocprim17ROCPRIM_400000_NS6detail17trampoline_kernelINS0_14default_configENS1_25transform_config_selectorIiLb0EEEZNS1_14transform_implILb0ES3_S5_NS0_18transform_iteratorINS0_17counting_iteratorImlEEZNS1_24adjacent_difference_implIS3_Lb1ELb0EPiSB_N6thrust23THRUST_200600_302600_NS5minusIiEEEE10hipError_tPvRmT2_T3_mT4_P12ihipStream_tbEUlmE_iEESB_NS0_8identityIvEEEESG_SJ_SK_mSL_SN_bEUlT_E_NS1_11comp_targetILNS1_3genE4ELNS1_11target_archE910ELNS1_3gpuE8ELNS1_3repE0EEENS1_30default_config_static_selectorELNS0_4arch9wavefront6targetE1EEEvT1_.has_dyn_sized_stack, 0
	.set _ZN7rocprim17ROCPRIM_400000_NS6detail17trampoline_kernelINS0_14default_configENS1_25transform_config_selectorIiLb0EEEZNS1_14transform_implILb0ES3_S5_NS0_18transform_iteratorINS0_17counting_iteratorImlEEZNS1_24adjacent_difference_implIS3_Lb1ELb0EPiSB_N6thrust23THRUST_200600_302600_NS5minusIiEEEE10hipError_tPvRmT2_T3_mT4_P12ihipStream_tbEUlmE_iEESB_NS0_8identityIvEEEESG_SJ_SK_mSL_SN_bEUlT_E_NS1_11comp_targetILNS1_3genE4ELNS1_11target_archE910ELNS1_3gpuE8ELNS1_3repE0EEENS1_30default_config_static_selectorELNS0_4arch9wavefront6targetE1EEEvT1_.has_recursion, 0
	.set _ZN7rocprim17ROCPRIM_400000_NS6detail17trampoline_kernelINS0_14default_configENS1_25transform_config_selectorIiLb0EEEZNS1_14transform_implILb0ES3_S5_NS0_18transform_iteratorINS0_17counting_iteratorImlEEZNS1_24adjacent_difference_implIS3_Lb1ELb0EPiSB_N6thrust23THRUST_200600_302600_NS5minusIiEEEE10hipError_tPvRmT2_T3_mT4_P12ihipStream_tbEUlmE_iEESB_NS0_8identityIvEEEESG_SJ_SK_mSL_SN_bEUlT_E_NS1_11comp_targetILNS1_3genE4ELNS1_11target_archE910ELNS1_3gpuE8ELNS1_3repE0EEENS1_30default_config_static_selectorELNS0_4arch9wavefront6targetE1EEEvT1_.has_indirect_call, 0
	.section	.AMDGPU.csdata,"",@progbits
; Kernel info:
; codeLenInByte = 0
; TotalNumSgprs: 4
; NumVgprs: 0
; ScratchSize: 0
; MemoryBound: 0
; FloatMode: 240
; IeeeMode: 1
; LDSByteSize: 0 bytes/workgroup (compile time only)
; SGPRBlocks: 0
; VGPRBlocks: 0
; NumSGPRsForWavesPerEU: 4
; NumVGPRsForWavesPerEU: 1
; Occupancy: 10
; WaveLimiterHint : 0
; COMPUTE_PGM_RSRC2:SCRATCH_EN: 0
; COMPUTE_PGM_RSRC2:USER_SGPR: 6
; COMPUTE_PGM_RSRC2:TRAP_HANDLER: 0
; COMPUTE_PGM_RSRC2:TGID_X_EN: 1
; COMPUTE_PGM_RSRC2:TGID_Y_EN: 0
; COMPUTE_PGM_RSRC2:TGID_Z_EN: 0
; COMPUTE_PGM_RSRC2:TIDIG_COMP_CNT: 0
	.section	.text._ZN7rocprim17ROCPRIM_400000_NS6detail17trampoline_kernelINS0_14default_configENS1_25transform_config_selectorIiLb0EEEZNS1_14transform_implILb0ES3_S5_NS0_18transform_iteratorINS0_17counting_iteratorImlEEZNS1_24adjacent_difference_implIS3_Lb1ELb0EPiSB_N6thrust23THRUST_200600_302600_NS5minusIiEEEE10hipError_tPvRmT2_T3_mT4_P12ihipStream_tbEUlmE_iEESB_NS0_8identityIvEEEESG_SJ_SK_mSL_SN_bEUlT_E_NS1_11comp_targetILNS1_3genE3ELNS1_11target_archE908ELNS1_3gpuE7ELNS1_3repE0EEENS1_30default_config_static_selectorELNS0_4arch9wavefront6targetE1EEEvT1_,"axG",@progbits,_ZN7rocprim17ROCPRIM_400000_NS6detail17trampoline_kernelINS0_14default_configENS1_25transform_config_selectorIiLb0EEEZNS1_14transform_implILb0ES3_S5_NS0_18transform_iteratorINS0_17counting_iteratorImlEEZNS1_24adjacent_difference_implIS3_Lb1ELb0EPiSB_N6thrust23THRUST_200600_302600_NS5minusIiEEEE10hipError_tPvRmT2_T3_mT4_P12ihipStream_tbEUlmE_iEESB_NS0_8identityIvEEEESG_SJ_SK_mSL_SN_bEUlT_E_NS1_11comp_targetILNS1_3genE3ELNS1_11target_archE908ELNS1_3gpuE7ELNS1_3repE0EEENS1_30default_config_static_selectorELNS0_4arch9wavefront6targetE1EEEvT1_,comdat
	.protected	_ZN7rocprim17ROCPRIM_400000_NS6detail17trampoline_kernelINS0_14default_configENS1_25transform_config_selectorIiLb0EEEZNS1_14transform_implILb0ES3_S5_NS0_18transform_iteratorINS0_17counting_iteratorImlEEZNS1_24adjacent_difference_implIS3_Lb1ELb0EPiSB_N6thrust23THRUST_200600_302600_NS5minusIiEEEE10hipError_tPvRmT2_T3_mT4_P12ihipStream_tbEUlmE_iEESB_NS0_8identityIvEEEESG_SJ_SK_mSL_SN_bEUlT_E_NS1_11comp_targetILNS1_3genE3ELNS1_11target_archE908ELNS1_3gpuE7ELNS1_3repE0EEENS1_30default_config_static_selectorELNS0_4arch9wavefront6targetE1EEEvT1_ ; -- Begin function _ZN7rocprim17ROCPRIM_400000_NS6detail17trampoline_kernelINS0_14default_configENS1_25transform_config_selectorIiLb0EEEZNS1_14transform_implILb0ES3_S5_NS0_18transform_iteratorINS0_17counting_iteratorImlEEZNS1_24adjacent_difference_implIS3_Lb1ELb0EPiSB_N6thrust23THRUST_200600_302600_NS5minusIiEEEE10hipError_tPvRmT2_T3_mT4_P12ihipStream_tbEUlmE_iEESB_NS0_8identityIvEEEESG_SJ_SK_mSL_SN_bEUlT_E_NS1_11comp_targetILNS1_3genE3ELNS1_11target_archE908ELNS1_3gpuE7ELNS1_3repE0EEENS1_30default_config_static_selectorELNS0_4arch9wavefront6targetE1EEEvT1_
	.globl	_ZN7rocprim17ROCPRIM_400000_NS6detail17trampoline_kernelINS0_14default_configENS1_25transform_config_selectorIiLb0EEEZNS1_14transform_implILb0ES3_S5_NS0_18transform_iteratorINS0_17counting_iteratorImlEEZNS1_24adjacent_difference_implIS3_Lb1ELb0EPiSB_N6thrust23THRUST_200600_302600_NS5minusIiEEEE10hipError_tPvRmT2_T3_mT4_P12ihipStream_tbEUlmE_iEESB_NS0_8identityIvEEEESG_SJ_SK_mSL_SN_bEUlT_E_NS1_11comp_targetILNS1_3genE3ELNS1_11target_archE908ELNS1_3gpuE7ELNS1_3repE0EEENS1_30default_config_static_selectorELNS0_4arch9wavefront6targetE1EEEvT1_
	.p2align	8
	.type	_ZN7rocprim17ROCPRIM_400000_NS6detail17trampoline_kernelINS0_14default_configENS1_25transform_config_selectorIiLb0EEEZNS1_14transform_implILb0ES3_S5_NS0_18transform_iteratorINS0_17counting_iteratorImlEEZNS1_24adjacent_difference_implIS3_Lb1ELb0EPiSB_N6thrust23THRUST_200600_302600_NS5minusIiEEEE10hipError_tPvRmT2_T3_mT4_P12ihipStream_tbEUlmE_iEESB_NS0_8identityIvEEEESG_SJ_SK_mSL_SN_bEUlT_E_NS1_11comp_targetILNS1_3genE3ELNS1_11target_archE908ELNS1_3gpuE7ELNS1_3repE0EEENS1_30default_config_static_selectorELNS0_4arch9wavefront6targetE1EEEvT1_,@function
_ZN7rocprim17ROCPRIM_400000_NS6detail17trampoline_kernelINS0_14default_configENS1_25transform_config_selectorIiLb0EEEZNS1_14transform_implILb0ES3_S5_NS0_18transform_iteratorINS0_17counting_iteratorImlEEZNS1_24adjacent_difference_implIS3_Lb1ELb0EPiSB_N6thrust23THRUST_200600_302600_NS5minusIiEEEE10hipError_tPvRmT2_T3_mT4_P12ihipStream_tbEUlmE_iEESB_NS0_8identityIvEEEESG_SJ_SK_mSL_SN_bEUlT_E_NS1_11comp_targetILNS1_3genE3ELNS1_11target_archE908ELNS1_3gpuE7ELNS1_3repE0EEENS1_30default_config_static_selectorELNS0_4arch9wavefront6targetE1EEEvT1_: ; @_ZN7rocprim17ROCPRIM_400000_NS6detail17trampoline_kernelINS0_14default_configENS1_25transform_config_selectorIiLb0EEEZNS1_14transform_implILb0ES3_S5_NS0_18transform_iteratorINS0_17counting_iteratorImlEEZNS1_24adjacent_difference_implIS3_Lb1ELb0EPiSB_N6thrust23THRUST_200600_302600_NS5minusIiEEEE10hipError_tPvRmT2_T3_mT4_P12ihipStream_tbEUlmE_iEESB_NS0_8identityIvEEEESG_SJ_SK_mSL_SN_bEUlT_E_NS1_11comp_targetILNS1_3genE3ELNS1_11target_archE908ELNS1_3gpuE7ELNS1_3repE0EEENS1_30default_config_static_selectorELNS0_4arch9wavefront6targetE1EEEvT1_
; %bb.0:
	.section	.rodata,"a",@progbits
	.p2align	6, 0x0
	.amdhsa_kernel _ZN7rocprim17ROCPRIM_400000_NS6detail17trampoline_kernelINS0_14default_configENS1_25transform_config_selectorIiLb0EEEZNS1_14transform_implILb0ES3_S5_NS0_18transform_iteratorINS0_17counting_iteratorImlEEZNS1_24adjacent_difference_implIS3_Lb1ELb0EPiSB_N6thrust23THRUST_200600_302600_NS5minusIiEEEE10hipError_tPvRmT2_T3_mT4_P12ihipStream_tbEUlmE_iEESB_NS0_8identityIvEEEESG_SJ_SK_mSL_SN_bEUlT_E_NS1_11comp_targetILNS1_3genE3ELNS1_11target_archE908ELNS1_3gpuE7ELNS1_3repE0EEENS1_30default_config_static_selectorELNS0_4arch9wavefront6targetE1EEEvT1_
		.amdhsa_group_segment_fixed_size 0
		.amdhsa_private_segment_fixed_size 0
		.amdhsa_kernarg_size 56
		.amdhsa_user_sgpr_count 6
		.amdhsa_user_sgpr_private_segment_buffer 1
		.amdhsa_user_sgpr_dispatch_ptr 0
		.amdhsa_user_sgpr_queue_ptr 0
		.amdhsa_user_sgpr_kernarg_segment_ptr 1
		.amdhsa_user_sgpr_dispatch_id 0
		.amdhsa_user_sgpr_flat_scratch_init 0
		.amdhsa_user_sgpr_private_segment_size 0
		.amdhsa_uses_dynamic_stack 0
		.amdhsa_system_sgpr_private_segment_wavefront_offset 0
		.amdhsa_system_sgpr_workgroup_id_x 1
		.amdhsa_system_sgpr_workgroup_id_y 0
		.amdhsa_system_sgpr_workgroup_id_z 0
		.amdhsa_system_sgpr_workgroup_info 0
		.amdhsa_system_vgpr_workitem_id 0
		.amdhsa_next_free_vgpr 1
		.amdhsa_next_free_sgpr 0
		.amdhsa_reserve_vcc 0
		.amdhsa_reserve_flat_scratch 0
		.amdhsa_float_round_mode_32 0
		.amdhsa_float_round_mode_16_64 0
		.amdhsa_float_denorm_mode_32 3
		.amdhsa_float_denorm_mode_16_64 3
		.amdhsa_dx10_clamp 1
		.amdhsa_ieee_mode 1
		.amdhsa_fp16_overflow 0
		.amdhsa_exception_fp_ieee_invalid_op 0
		.amdhsa_exception_fp_denorm_src 0
		.amdhsa_exception_fp_ieee_div_zero 0
		.amdhsa_exception_fp_ieee_overflow 0
		.amdhsa_exception_fp_ieee_underflow 0
		.amdhsa_exception_fp_ieee_inexact 0
		.amdhsa_exception_int_div_zero 0
	.end_amdhsa_kernel
	.section	.text._ZN7rocprim17ROCPRIM_400000_NS6detail17trampoline_kernelINS0_14default_configENS1_25transform_config_selectorIiLb0EEEZNS1_14transform_implILb0ES3_S5_NS0_18transform_iteratorINS0_17counting_iteratorImlEEZNS1_24adjacent_difference_implIS3_Lb1ELb0EPiSB_N6thrust23THRUST_200600_302600_NS5minusIiEEEE10hipError_tPvRmT2_T3_mT4_P12ihipStream_tbEUlmE_iEESB_NS0_8identityIvEEEESG_SJ_SK_mSL_SN_bEUlT_E_NS1_11comp_targetILNS1_3genE3ELNS1_11target_archE908ELNS1_3gpuE7ELNS1_3repE0EEENS1_30default_config_static_selectorELNS0_4arch9wavefront6targetE1EEEvT1_,"axG",@progbits,_ZN7rocprim17ROCPRIM_400000_NS6detail17trampoline_kernelINS0_14default_configENS1_25transform_config_selectorIiLb0EEEZNS1_14transform_implILb0ES3_S5_NS0_18transform_iteratorINS0_17counting_iteratorImlEEZNS1_24adjacent_difference_implIS3_Lb1ELb0EPiSB_N6thrust23THRUST_200600_302600_NS5minusIiEEEE10hipError_tPvRmT2_T3_mT4_P12ihipStream_tbEUlmE_iEESB_NS0_8identityIvEEEESG_SJ_SK_mSL_SN_bEUlT_E_NS1_11comp_targetILNS1_3genE3ELNS1_11target_archE908ELNS1_3gpuE7ELNS1_3repE0EEENS1_30default_config_static_selectorELNS0_4arch9wavefront6targetE1EEEvT1_,comdat
.Lfunc_end318:
	.size	_ZN7rocprim17ROCPRIM_400000_NS6detail17trampoline_kernelINS0_14default_configENS1_25transform_config_selectorIiLb0EEEZNS1_14transform_implILb0ES3_S5_NS0_18transform_iteratorINS0_17counting_iteratorImlEEZNS1_24adjacent_difference_implIS3_Lb1ELb0EPiSB_N6thrust23THRUST_200600_302600_NS5minusIiEEEE10hipError_tPvRmT2_T3_mT4_P12ihipStream_tbEUlmE_iEESB_NS0_8identityIvEEEESG_SJ_SK_mSL_SN_bEUlT_E_NS1_11comp_targetILNS1_3genE3ELNS1_11target_archE908ELNS1_3gpuE7ELNS1_3repE0EEENS1_30default_config_static_selectorELNS0_4arch9wavefront6targetE1EEEvT1_, .Lfunc_end318-_ZN7rocprim17ROCPRIM_400000_NS6detail17trampoline_kernelINS0_14default_configENS1_25transform_config_selectorIiLb0EEEZNS1_14transform_implILb0ES3_S5_NS0_18transform_iteratorINS0_17counting_iteratorImlEEZNS1_24adjacent_difference_implIS3_Lb1ELb0EPiSB_N6thrust23THRUST_200600_302600_NS5minusIiEEEE10hipError_tPvRmT2_T3_mT4_P12ihipStream_tbEUlmE_iEESB_NS0_8identityIvEEEESG_SJ_SK_mSL_SN_bEUlT_E_NS1_11comp_targetILNS1_3genE3ELNS1_11target_archE908ELNS1_3gpuE7ELNS1_3repE0EEENS1_30default_config_static_selectorELNS0_4arch9wavefront6targetE1EEEvT1_
                                        ; -- End function
	.set _ZN7rocprim17ROCPRIM_400000_NS6detail17trampoline_kernelINS0_14default_configENS1_25transform_config_selectorIiLb0EEEZNS1_14transform_implILb0ES3_S5_NS0_18transform_iteratorINS0_17counting_iteratorImlEEZNS1_24adjacent_difference_implIS3_Lb1ELb0EPiSB_N6thrust23THRUST_200600_302600_NS5minusIiEEEE10hipError_tPvRmT2_T3_mT4_P12ihipStream_tbEUlmE_iEESB_NS0_8identityIvEEEESG_SJ_SK_mSL_SN_bEUlT_E_NS1_11comp_targetILNS1_3genE3ELNS1_11target_archE908ELNS1_3gpuE7ELNS1_3repE0EEENS1_30default_config_static_selectorELNS0_4arch9wavefront6targetE1EEEvT1_.num_vgpr, 0
	.set _ZN7rocprim17ROCPRIM_400000_NS6detail17trampoline_kernelINS0_14default_configENS1_25transform_config_selectorIiLb0EEEZNS1_14transform_implILb0ES3_S5_NS0_18transform_iteratorINS0_17counting_iteratorImlEEZNS1_24adjacent_difference_implIS3_Lb1ELb0EPiSB_N6thrust23THRUST_200600_302600_NS5minusIiEEEE10hipError_tPvRmT2_T3_mT4_P12ihipStream_tbEUlmE_iEESB_NS0_8identityIvEEEESG_SJ_SK_mSL_SN_bEUlT_E_NS1_11comp_targetILNS1_3genE3ELNS1_11target_archE908ELNS1_3gpuE7ELNS1_3repE0EEENS1_30default_config_static_selectorELNS0_4arch9wavefront6targetE1EEEvT1_.num_agpr, 0
	.set _ZN7rocprim17ROCPRIM_400000_NS6detail17trampoline_kernelINS0_14default_configENS1_25transform_config_selectorIiLb0EEEZNS1_14transform_implILb0ES3_S5_NS0_18transform_iteratorINS0_17counting_iteratorImlEEZNS1_24adjacent_difference_implIS3_Lb1ELb0EPiSB_N6thrust23THRUST_200600_302600_NS5minusIiEEEE10hipError_tPvRmT2_T3_mT4_P12ihipStream_tbEUlmE_iEESB_NS0_8identityIvEEEESG_SJ_SK_mSL_SN_bEUlT_E_NS1_11comp_targetILNS1_3genE3ELNS1_11target_archE908ELNS1_3gpuE7ELNS1_3repE0EEENS1_30default_config_static_selectorELNS0_4arch9wavefront6targetE1EEEvT1_.numbered_sgpr, 0
	.set _ZN7rocprim17ROCPRIM_400000_NS6detail17trampoline_kernelINS0_14default_configENS1_25transform_config_selectorIiLb0EEEZNS1_14transform_implILb0ES3_S5_NS0_18transform_iteratorINS0_17counting_iteratorImlEEZNS1_24adjacent_difference_implIS3_Lb1ELb0EPiSB_N6thrust23THRUST_200600_302600_NS5minusIiEEEE10hipError_tPvRmT2_T3_mT4_P12ihipStream_tbEUlmE_iEESB_NS0_8identityIvEEEESG_SJ_SK_mSL_SN_bEUlT_E_NS1_11comp_targetILNS1_3genE3ELNS1_11target_archE908ELNS1_3gpuE7ELNS1_3repE0EEENS1_30default_config_static_selectorELNS0_4arch9wavefront6targetE1EEEvT1_.num_named_barrier, 0
	.set _ZN7rocprim17ROCPRIM_400000_NS6detail17trampoline_kernelINS0_14default_configENS1_25transform_config_selectorIiLb0EEEZNS1_14transform_implILb0ES3_S5_NS0_18transform_iteratorINS0_17counting_iteratorImlEEZNS1_24adjacent_difference_implIS3_Lb1ELb0EPiSB_N6thrust23THRUST_200600_302600_NS5minusIiEEEE10hipError_tPvRmT2_T3_mT4_P12ihipStream_tbEUlmE_iEESB_NS0_8identityIvEEEESG_SJ_SK_mSL_SN_bEUlT_E_NS1_11comp_targetILNS1_3genE3ELNS1_11target_archE908ELNS1_3gpuE7ELNS1_3repE0EEENS1_30default_config_static_selectorELNS0_4arch9wavefront6targetE1EEEvT1_.private_seg_size, 0
	.set _ZN7rocprim17ROCPRIM_400000_NS6detail17trampoline_kernelINS0_14default_configENS1_25transform_config_selectorIiLb0EEEZNS1_14transform_implILb0ES3_S5_NS0_18transform_iteratorINS0_17counting_iteratorImlEEZNS1_24adjacent_difference_implIS3_Lb1ELb0EPiSB_N6thrust23THRUST_200600_302600_NS5minusIiEEEE10hipError_tPvRmT2_T3_mT4_P12ihipStream_tbEUlmE_iEESB_NS0_8identityIvEEEESG_SJ_SK_mSL_SN_bEUlT_E_NS1_11comp_targetILNS1_3genE3ELNS1_11target_archE908ELNS1_3gpuE7ELNS1_3repE0EEENS1_30default_config_static_selectorELNS0_4arch9wavefront6targetE1EEEvT1_.uses_vcc, 0
	.set _ZN7rocprim17ROCPRIM_400000_NS6detail17trampoline_kernelINS0_14default_configENS1_25transform_config_selectorIiLb0EEEZNS1_14transform_implILb0ES3_S5_NS0_18transform_iteratorINS0_17counting_iteratorImlEEZNS1_24adjacent_difference_implIS3_Lb1ELb0EPiSB_N6thrust23THRUST_200600_302600_NS5minusIiEEEE10hipError_tPvRmT2_T3_mT4_P12ihipStream_tbEUlmE_iEESB_NS0_8identityIvEEEESG_SJ_SK_mSL_SN_bEUlT_E_NS1_11comp_targetILNS1_3genE3ELNS1_11target_archE908ELNS1_3gpuE7ELNS1_3repE0EEENS1_30default_config_static_selectorELNS0_4arch9wavefront6targetE1EEEvT1_.uses_flat_scratch, 0
	.set _ZN7rocprim17ROCPRIM_400000_NS6detail17trampoline_kernelINS0_14default_configENS1_25transform_config_selectorIiLb0EEEZNS1_14transform_implILb0ES3_S5_NS0_18transform_iteratorINS0_17counting_iteratorImlEEZNS1_24adjacent_difference_implIS3_Lb1ELb0EPiSB_N6thrust23THRUST_200600_302600_NS5minusIiEEEE10hipError_tPvRmT2_T3_mT4_P12ihipStream_tbEUlmE_iEESB_NS0_8identityIvEEEESG_SJ_SK_mSL_SN_bEUlT_E_NS1_11comp_targetILNS1_3genE3ELNS1_11target_archE908ELNS1_3gpuE7ELNS1_3repE0EEENS1_30default_config_static_selectorELNS0_4arch9wavefront6targetE1EEEvT1_.has_dyn_sized_stack, 0
	.set _ZN7rocprim17ROCPRIM_400000_NS6detail17trampoline_kernelINS0_14default_configENS1_25transform_config_selectorIiLb0EEEZNS1_14transform_implILb0ES3_S5_NS0_18transform_iteratorINS0_17counting_iteratorImlEEZNS1_24adjacent_difference_implIS3_Lb1ELb0EPiSB_N6thrust23THRUST_200600_302600_NS5minusIiEEEE10hipError_tPvRmT2_T3_mT4_P12ihipStream_tbEUlmE_iEESB_NS0_8identityIvEEEESG_SJ_SK_mSL_SN_bEUlT_E_NS1_11comp_targetILNS1_3genE3ELNS1_11target_archE908ELNS1_3gpuE7ELNS1_3repE0EEENS1_30default_config_static_selectorELNS0_4arch9wavefront6targetE1EEEvT1_.has_recursion, 0
	.set _ZN7rocprim17ROCPRIM_400000_NS6detail17trampoline_kernelINS0_14default_configENS1_25transform_config_selectorIiLb0EEEZNS1_14transform_implILb0ES3_S5_NS0_18transform_iteratorINS0_17counting_iteratorImlEEZNS1_24adjacent_difference_implIS3_Lb1ELb0EPiSB_N6thrust23THRUST_200600_302600_NS5minusIiEEEE10hipError_tPvRmT2_T3_mT4_P12ihipStream_tbEUlmE_iEESB_NS0_8identityIvEEEESG_SJ_SK_mSL_SN_bEUlT_E_NS1_11comp_targetILNS1_3genE3ELNS1_11target_archE908ELNS1_3gpuE7ELNS1_3repE0EEENS1_30default_config_static_selectorELNS0_4arch9wavefront6targetE1EEEvT1_.has_indirect_call, 0
	.section	.AMDGPU.csdata,"",@progbits
; Kernel info:
; codeLenInByte = 0
; TotalNumSgprs: 4
; NumVgprs: 0
; ScratchSize: 0
; MemoryBound: 0
; FloatMode: 240
; IeeeMode: 1
; LDSByteSize: 0 bytes/workgroup (compile time only)
; SGPRBlocks: 0
; VGPRBlocks: 0
; NumSGPRsForWavesPerEU: 4
; NumVGPRsForWavesPerEU: 1
; Occupancy: 10
; WaveLimiterHint : 0
; COMPUTE_PGM_RSRC2:SCRATCH_EN: 0
; COMPUTE_PGM_RSRC2:USER_SGPR: 6
; COMPUTE_PGM_RSRC2:TRAP_HANDLER: 0
; COMPUTE_PGM_RSRC2:TGID_X_EN: 1
; COMPUTE_PGM_RSRC2:TGID_Y_EN: 0
; COMPUTE_PGM_RSRC2:TGID_Z_EN: 0
; COMPUTE_PGM_RSRC2:TIDIG_COMP_CNT: 0
	.section	.text._ZN7rocprim17ROCPRIM_400000_NS6detail17trampoline_kernelINS0_14default_configENS1_25transform_config_selectorIiLb0EEEZNS1_14transform_implILb0ES3_S5_NS0_18transform_iteratorINS0_17counting_iteratorImlEEZNS1_24adjacent_difference_implIS3_Lb1ELb0EPiSB_N6thrust23THRUST_200600_302600_NS5minusIiEEEE10hipError_tPvRmT2_T3_mT4_P12ihipStream_tbEUlmE_iEESB_NS0_8identityIvEEEESG_SJ_SK_mSL_SN_bEUlT_E_NS1_11comp_targetILNS1_3genE2ELNS1_11target_archE906ELNS1_3gpuE6ELNS1_3repE0EEENS1_30default_config_static_selectorELNS0_4arch9wavefront6targetE1EEEvT1_,"axG",@progbits,_ZN7rocprim17ROCPRIM_400000_NS6detail17trampoline_kernelINS0_14default_configENS1_25transform_config_selectorIiLb0EEEZNS1_14transform_implILb0ES3_S5_NS0_18transform_iteratorINS0_17counting_iteratorImlEEZNS1_24adjacent_difference_implIS3_Lb1ELb0EPiSB_N6thrust23THRUST_200600_302600_NS5minusIiEEEE10hipError_tPvRmT2_T3_mT4_P12ihipStream_tbEUlmE_iEESB_NS0_8identityIvEEEESG_SJ_SK_mSL_SN_bEUlT_E_NS1_11comp_targetILNS1_3genE2ELNS1_11target_archE906ELNS1_3gpuE6ELNS1_3repE0EEENS1_30default_config_static_selectorELNS0_4arch9wavefront6targetE1EEEvT1_,comdat
	.protected	_ZN7rocprim17ROCPRIM_400000_NS6detail17trampoline_kernelINS0_14default_configENS1_25transform_config_selectorIiLb0EEEZNS1_14transform_implILb0ES3_S5_NS0_18transform_iteratorINS0_17counting_iteratorImlEEZNS1_24adjacent_difference_implIS3_Lb1ELb0EPiSB_N6thrust23THRUST_200600_302600_NS5minusIiEEEE10hipError_tPvRmT2_T3_mT4_P12ihipStream_tbEUlmE_iEESB_NS0_8identityIvEEEESG_SJ_SK_mSL_SN_bEUlT_E_NS1_11comp_targetILNS1_3genE2ELNS1_11target_archE906ELNS1_3gpuE6ELNS1_3repE0EEENS1_30default_config_static_selectorELNS0_4arch9wavefront6targetE1EEEvT1_ ; -- Begin function _ZN7rocprim17ROCPRIM_400000_NS6detail17trampoline_kernelINS0_14default_configENS1_25transform_config_selectorIiLb0EEEZNS1_14transform_implILb0ES3_S5_NS0_18transform_iteratorINS0_17counting_iteratorImlEEZNS1_24adjacent_difference_implIS3_Lb1ELb0EPiSB_N6thrust23THRUST_200600_302600_NS5minusIiEEEE10hipError_tPvRmT2_T3_mT4_P12ihipStream_tbEUlmE_iEESB_NS0_8identityIvEEEESG_SJ_SK_mSL_SN_bEUlT_E_NS1_11comp_targetILNS1_3genE2ELNS1_11target_archE906ELNS1_3gpuE6ELNS1_3repE0EEENS1_30default_config_static_selectorELNS0_4arch9wavefront6targetE1EEEvT1_
	.globl	_ZN7rocprim17ROCPRIM_400000_NS6detail17trampoline_kernelINS0_14default_configENS1_25transform_config_selectorIiLb0EEEZNS1_14transform_implILb0ES3_S5_NS0_18transform_iteratorINS0_17counting_iteratorImlEEZNS1_24adjacent_difference_implIS3_Lb1ELb0EPiSB_N6thrust23THRUST_200600_302600_NS5minusIiEEEE10hipError_tPvRmT2_T3_mT4_P12ihipStream_tbEUlmE_iEESB_NS0_8identityIvEEEESG_SJ_SK_mSL_SN_bEUlT_E_NS1_11comp_targetILNS1_3genE2ELNS1_11target_archE906ELNS1_3gpuE6ELNS1_3repE0EEENS1_30default_config_static_selectorELNS0_4arch9wavefront6targetE1EEEvT1_
	.p2align	8
	.type	_ZN7rocprim17ROCPRIM_400000_NS6detail17trampoline_kernelINS0_14default_configENS1_25transform_config_selectorIiLb0EEEZNS1_14transform_implILb0ES3_S5_NS0_18transform_iteratorINS0_17counting_iteratorImlEEZNS1_24adjacent_difference_implIS3_Lb1ELb0EPiSB_N6thrust23THRUST_200600_302600_NS5minusIiEEEE10hipError_tPvRmT2_T3_mT4_P12ihipStream_tbEUlmE_iEESB_NS0_8identityIvEEEESG_SJ_SK_mSL_SN_bEUlT_E_NS1_11comp_targetILNS1_3genE2ELNS1_11target_archE906ELNS1_3gpuE6ELNS1_3repE0EEENS1_30default_config_static_selectorELNS0_4arch9wavefront6targetE1EEEvT1_,@function
_ZN7rocprim17ROCPRIM_400000_NS6detail17trampoline_kernelINS0_14default_configENS1_25transform_config_selectorIiLb0EEEZNS1_14transform_implILb0ES3_S5_NS0_18transform_iteratorINS0_17counting_iteratorImlEEZNS1_24adjacent_difference_implIS3_Lb1ELb0EPiSB_N6thrust23THRUST_200600_302600_NS5minusIiEEEE10hipError_tPvRmT2_T3_mT4_P12ihipStream_tbEUlmE_iEESB_NS0_8identityIvEEEESG_SJ_SK_mSL_SN_bEUlT_E_NS1_11comp_targetILNS1_3genE2ELNS1_11target_archE906ELNS1_3gpuE6ELNS1_3repE0EEENS1_30default_config_static_selectorELNS0_4arch9wavefront6targetE1EEEvT1_: ; @_ZN7rocprim17ROCPRIM_400000_NS6detail17trampoline_kernelINS0_14default_configENS1_25transform_config_selectorIiLb0EEEZNS1_14transform_implILb0ES3_S5_NS0_18transform_iteratorINS0_17counting_iteratorImlEEZNS1_24adjacent_difference_implIS3_Lb1ELb0EPiSB_N6thrust23THRUST_200600_302600_NS5minusIiEEEE10hipError_tPvRmT2_T3_mT4_P12ihipStream_tbEUlmE_iEESB_NS0_8identityIvEEEESG_SJ_SK_mSL_SN_bEUlT_E_NS1_11comp_targetILNS1_3genE2ELNS1_11target_archE906ELNS1_3gpuE6ELNS1_3repE0EEENS1_30default_config_static_selectorELNS0_4arch9wavefront6targetE1EEEvT1_
; %bb.0:
	s_load_dwordx4 s[0:3], s[4:5], 0x18
	s_load_dwordx2 s[14:15], s[4:5], 0x28
	s_load_dwordx4 s[8:11], s[4:5], 0x0
	s_load_dword s12, s[4:5], 0x10
	s_waitcnt lgkmcnt(0)
	s_load_dword s3, s[4:5], 0x38
                                        ; kill: killed $sgpr4_sgpr5
	s_lshl_b64 s[4:5], s[0:1], 2
	s_add_u32 s14, s14, s4
	s_addc_u32 s15, s15, s5
	s_lshl_b32 s4, s6, 11
	s_waitcnt lgkmcnt(0)
	s_add_i32 s3, s3, -1
	s_add_u32 s7, s8, s4
	s_addc_u32 s8, s9, 0
	s_add_u32 s16, s7, s0
	s_addc_u32 s17, s8, s1
	s_mov_b32 s5, 0
	s_cmp_lg_u32 s6, s3
	v_lshlrev_b32_e32 v5, 2, v0
	s_cbranch_scc0 .LBB319_2
; %bb.1:
	v_mov_b32_e32 v1, s17
	v_add_co_u32_e32 v2, vcc, s16, v0
	v_addc_co_u32_e32 v3, vcc, 0, v1, vcc
	v_mad_u64_u32 v[1:2], s[0:1], v2, s12, 0
	s_mov_b32 s13, s5
	s_lshl_b64 s[6:7], s[4:5], 2
	v_mad_u64_u32 v[2:3], s[0:1], v3, s12, v[2:3]
	v_mov_b32_e32 v3, s11
	s_lshl_b64 s[0:1], s[12:13], 12
	v_lshlrev_b64 v[1:2], 2, v[1:2]
	s_add_u32 s6, s14, s6
	v_add_co_u32_e32 v1, vcc, s10, v1
	v_addc_co_u32_e32 v2, vcc, v3, v2, vcc
	global_load_dword v6, v[1:2], off
	v_mov_b32_e32 v3, s1
	v_add_co_u32_e32 v1, vcc, s0, v1
	v_addc_co_u32_e32 v2, vcc, v2, v3, vcc
	global_load_dword v1, v[1:2], off
	s_addc_u32 s7, s15, s7
	v_mov_b32_e32 v2, s7
	v_add_co_u32_e32 v3, vcc, s6, v5
	v_addc_co_u32_e32 v4, vcc, 0, v2, vcc
	s_waitcnt vmcnt(1)
	global_store_dword v5, v6, s[6:7]
	s_mov_b64 s[6:7], -1
	s_cbranch_execz .LBB319_3
	s_branch .LBB319_12
.LBB319_2:
	s_mov_b64 s[6:7], 0
                                        ; implicit-def: $vgpr1
                                        ; implicit-def: $vgpr3_vgpr4
.LBB319_3:
	s_sub_i32 s8, s2, s4
	s_waitcnt vmcnt(1)
	v_mov_b32_e32 v1, 0
	v_cmp_gt_u32_e32 vcc, s8, v0
	v_mov_b32_e32 v2, v1
	s_and_saveexec_b64 s[2:3], vcc
	s_cbranch_execz .LBB319_5
; %bb.4:
	v_mov_b32_e32 v2, s17
	v_add_co_u32_e64 v3, s[0:1], s16, v0
	v_addc_co_u32_e64 v4, s[0:1], 0, v2, s[0:1]
	v_mad_u64_u32 v[2:3], s[0:1], v3, s12, 0
	v_mad_u64_u32 v[3:4], s[0:1], v4, s12, v[3:4]
	v_mov_b32_e32 v4, s11
	v_lshlrev_b64 v[2:3], 2, v[2:3]
	v_add_co_u32_e64 v2, s[0:1], s10, v2
	v_addc_co_u32_e64 v3, s[0:1], v4, v3, s[0:1]
	global_load_dword v2, v[2:3], off
	v_mov_b32_e32 v3, v1
	s_waitcnt vmcnt(0)
	v_mov_b32_e32 v1, v2
	v_mov_b32_e32 v2, v3
.LBB319_5:
	s_or_b64 exec, exec, s[2:3]
	v_or_b32_e32 v0, 0x400, v0
	v_cmp_gt_u32_e64 s[0:1], s8, v0
	s_and_saveexec_b64 s[8:9], s[0:1]
	s_cbranch_execz .LBB319_7
; %bb.6:
	v_mov_b32_e32 v2, s17
	v_add_co_u32_e64 v0, s[2:3], s16, v0
	v_addc_co_u32_e64 v4, s[2:3], 0, v2, s[2:3]
	v_mad_u64_u32 v[2:3], s[2:3], v0, s12, 0
	v_mov_b32_e32 v0, v3
	v_mad_u64_u32 v[3:4], s[2:3], v4, s12, v[0:1]
	v_mov_b32_e32 v0, s11
	v_lshlrev_b64 v[2:3], 2, v[2:3]
	v_add_co_u32_e64 v2, s[2:3], s10, v2
	v_addc_co_u32_e64 v3, s[2:3], v0, v3, s[2:3]
	global_load_dword v2, v[2:3], off
.LBB319_7:
	s_or_b64 exec, exec, s[8:9]
	s_lshl_b64 s[2:3], s[4:5], 2
	s_add_u32 s2, s14, s2
	s_addc_u32 s3, s15, s3
	v_cndmask_b32_e32 v0, 0, v1, vcc
	v_mov_b32_e32 v1, s3
	v_add_co_u32_e64 v3, s[2:3], s2, v5
	v_addc_co_u32_e64 v4, s[2:3], 0, v1, s[2:3]
	s_and_saveexec_b64 s[2:3], vcc
	s_cbranch_execz .LBB319_9
; %bb.8:
	global_store_dword v[3:4], v0, off
.LBB319_9:
	s_or_b64 exec, exec, s[2:3]
                                        ; implicit-def: $vgpr1
	s_and_saveexec_b64 s[2:3], s[0:1]
	s_cbranch_execz .LBB319_11
; %bb.10:
	s_waitcnt vmcnt(0)
	v_cndmask_b32_e64 v1, 0, v2, s[0:1]
	s_or_b64 s[6:7], s[6:7], exec
.LBB319_11:
	s_or_b64 exec, exec, s[2:3]
.LBB319_12:
	s_and_saveexec_b64 s[0:1], s[6:7]
	s_cbranch_execnz .LBB319_14
; %bb.13:
	s_endpgm
.LBB319_14:
	s_waitcnt vmcnt(0)
	v_add_co_u32_e32 v2, vcc, 0x1000, v3
	v_addc_co_u32_e32 v3, vcc, 0, v4, vcc
	global_store_dword v[2:3], v1, off
	s_endpgm
	.section	.rodata,"a",@progbits
	.p2align	6, 0x0
	.amdhsa_kernel _ZN7rocprim17ROCPRIM_400000_NS6detail17trampoline_kernelINS0_14default_configENS1_25transform_config_selectorIiLb0EEEZNS1_14transform_implILb0ES3_S5_NS0_18transform_iteratorINS0_17counting_iteratorImlEEZNS1_24adjacent_difference_implIS3_Lb1ELb0EPiSB_N6thrust23THRUST_200600_302600_NS5minusIiEEEE10hipError_tPvRmT2_T3_mT4_P12ihipStream_tbEUlmE_iEESB_NS0_8identityIvEEEESG_SJ_SK_mSL_SN_bEUlT_E_NS1_11comp_targetILNS1_3genE2ELNS1_11target_archE906ELNS1_3gpuE6ELNS1_3repE0EEENS1_30default_config_static_selectorELNS0_4arch9wavefront6targetE1EEEvT1_
		.amdhsa_group_segment_fixed_size 0
		.amdhsa_private_segment_fixed_size 0
		.amdhsa_kernarg_size 312
		.amdhsa_user_sgpr_count 6
		.amdhsa_user_sgpr_private_segment_buffer 1
		.amdhsa_user_sgpr_dispatch_ptr 0
		.amdhsa_user_sgpr_queue_ptr 0
		.amdhsa_user_sgpr_kernarg_segment_ptr 1
		.amdhsa_user_sgpr_dispatch_id 0
		.amdhsa_user_sgpr_flat_scratch_init 0
		.amdhsa_user_sgpr_private_segment_size 0
		.amdhsa_uses_dynamic_stack 0
		.amdhsa_system_sgpr_private_segment_wavefront_offset 0
		.amdhsa_system_sgpr_workgroup_id_x 1
		.amdhsa_system_sgpr_workgroup_id_y 0
		.amdhsa_system_sgpr_workgroup_id_z 0
		.amdhsa_system_sgpr_workgroup_info 0
		.amdhsa_system_vgpr_workitem_id 0
		.amdhsa_next_free_vgpr 7
		.amdhsa_next_free_sgpr 18
		.amdhsa_reserve_vcc 1
		.amdhsa_reserve_flat_scratch 0
		.amdhsa_float_round_mode_32 0
		.amdhsa_float_round_mode_16_64 0
		.amdhsa_float_denorm_mode_32 3
		.amdhsa_float_denorm_mode_16_64 3
		.amdhsa_dx10_clamp 1
		.amdhsa_ieee_mode 1
		.amdhsa_fp16_overflow 0
		.amdhsa_exception_fp_ieee_invalid_op 0
		.amdhsa_exception_fp_denorm_src 0
		.amdhsa_exception_fp_ieee_div_zero 0
		.amdhsa_exception_fp_ieee_overflow 0
		.amdhsa_exception_fp_ieee_underflow 0
		.amdhsa_exception_fp_ieee_inexact 0
		.amdhsa_exception_int_div_zero 0
	.end_amdhsa_kernel
	.section	.text._ZN7rocprim17ROCPRIM_400000_NS6detail17trampoline_kernelINS0_14default_configENS1_25transform_config_selectorIiLb0EEEZNS1_14transform_implILb0ES3_S5_NS0_18transform_iteratorINS0_17counting_iteratorImlEEZNS1_24adjacent_difference_implIS3_Lb1ELb0EPiSB_N6thrust23THRUST_200600_302600_NS5minusIiEEEE10hipError_tPvRmT2_T3_mT4_P12ihipStream_tbEUlmE_iEESB_NS0_8identityIvEEEESG_SJ_SK_mSL_SN_bEUlT_E_NS1_11comp_targetILNS1_3genE2ELNS1_11target_archE906ELNS1_3gpuE6ELNS1_3repE0EEENS1_30default_config_static_selectorELNS0_4arch9wavefront6targetE1EEEvT1_,"axG",@progbits,_ZN7rocprim17ROCPRIM_400000_NS6detail17trampoline_kernelINS0_14default_configENS1_25transform_config_selectorIiLb0EEEZNS1_14transform_implILb0ES3_S5_NS0_18transform_iteratorINS0_17counting_iteratorImlEEZNS1_24adjacent_difference_implIS3_Lb1ELb0EPiSB_N6thrust23THRUST_200600_302600_NS5minusIiEEEE10hipError_tPvRmT2_T3_mT4_P12ihipStream_tbEUlmE_iEESB_NS0_8identityIvEEEESG_SJ_SK_mSL_SN_bEUlT_E_NS1_11comp_targetILNS1_3genE2ELNS1_11target_archE906ELNS1_3gpuE6ELNS1_3repE0EEENS1_30default_config_static_selectorELNS0_4arch9wavefront6targetE1EEEvT1_,comdat
.Lfunc_end319:
	.size	_ZN7rocprim17ROCPRIM_400000_NS6detail17trampoline_kernelINS0_14default_configENS1_25transform_config_selectorIiLb0EEEZNS1_14transform_implILb0ES3_S5_NS0_18transform_iteratorINS0_17counting_iteratorImlEEZNS1_24adjacent_difference_implIS3_Lb1ELb0EPiSB_N6thrust23THRUST_200600_302600_NS5minusIiEEEE10hipError_tPvRmT2_T3_mT4_P12ihipStream_tbEUlmE_iEESB_NS0_8identityIvEEEESG_SJ_SK_mSL_SN_bEUlT_E_NS1_11comp_targetILNS1_3genE2ELNS1_11target_archE906ELNS1_3gpuE6ELNS1_3repE0EEENS1_30default_config_static_selectorELNS0_4arch9wavefront6targetE1EEEvT1_, .Lfunc_end319-_ZN7rocprim17ROCPRIM_400000_NS6detail17trampoline_kernelINS0_14default_configENS1_25transform_config_selectorIiLb0EEEZNS1_14transform_implILb0ES3_S5_NS0_18transform_iteratorINS0_17counting_iteratorImlEEZNS1_24adjacent_difference_implIS3_Lb1ELb0EPiSB_N6thrust23THRUST_200600_302600_NS5minusIiEEEE10hipError_tPvRmT2_T3_mT4_P12ihipStream_tbEUlmE_iEESB_NS0_8identityIvEEEESG_SJ_SK_mSL_SN_bEUlT_E_NS1_11comp_targetILNS1_3genE2ELNS1_11target_archE906ELNS1_3gpuE6ELNS1_3repE0EEENS1_30default_config_static_selectorELNS0_4arch9wavefront6targetE1EEEvT1_
                                        ; -- End function
	.set _ZN7rocprim17ROCPRIM_400000_NS6detail17trampoline_kernelINS0_14default_configENS1_25transform_config_selectorIiLb0EEEZNS1_14transform_implILb0ES3_S5_NS0_18transform_iteratorINS0_17counting_iteratorImlEEZNS1_24adjacent_difference_implIS3_Lb1ELb0EPiSB_N6thrust23THRUST_200600_302600_NS5minusIiEEEE10hipError_tPvRmT2_T3_mT4_P12ihipStream_tbEUlmE_iEESB_NS0_8identityIvEEEESG_SJ_SK_mSL_SN_bEUlT_E_NS1_11comp_targetILNS1_3genE2ELNS1_11target_archE906ELNS1_3gpuE6ELNS1_3repE0EEENS1_30default_config_static_selectorELNS0_4arch9wavefront6targetE1EEEvT1_.num_vgpr, 7
	.set _ZN7rocprim17ROCPRIM_400000_NS6detail17trampoline_kernelINS0_14default_configENS1_25transform_config_selectorIiLb0EEEZNS1_14transform_implILb0ES3_S5_NS0_18transform_iteratorINS0_17counting_iteratorImlEEZNS1_24adjacent_difference_implIS3_Lb1ELb0EPiSB_N6thrust23THRUST_200600_302600_NS5minusIiEEEE10hipError_tPvRmT2_T3_mT4_P12ihipStream_tbEUlmE_iEESB_NS0_8identityIvEEEESG_SJ_SK_mSL_SN_bEUlT_E_NS1_11comp_targetILNS1_3genE2ELNS1_11target_archE906ELNS1_3gpuE6ELNS1_3repE0EEENS1_30default_config_static_selectorELNS0_4arch9wavefront6targetE1EEEvT1_.num_agpr, 0
	.set _ZN7rocprim17ROCPRIM_400000_NS6detail17trampoline_kernelINS0_14default_configENS1_25transform_config_selectorIiLb0EEEZNS1_14transform_implILb0ES3_S5_NS0_18transform_iteratorINS0_17counting_iteratorImlEEZNS1_24adjacent_difference_implIS3_Lb1ELb0EPiSB_N6thrust23THRUST_200600_302600_NS5minusIiEEEE10hipError_tPvRmT2_T3_mT4_P12ihipStream_tbEUlmE_iEESB_NS0_8identityIvEEEESG_SJ_SK_mSL_SN_bEUlT_E_NS1_11comp_targetILNS1_3genE2ELNS1_11target_archE906ELNS1_3gpuE6ELNS1_3repE0EEENS1_30default_config_static_selectorELNS0_4arch9wavefront6targetE1EEEvT1_.numbered_sgpr, 18
	.set _ZN7rocprim17ROCPRIM_400000_NS6detail17trampoline_kernelINS0_14default_configENS1_25transform_config_selectorIiLb0EEEZNS1_14transform_implILb0ES3_S5_NS0_18transform_iteratorINS0_17counting_iteratorImlEEZNS1_24adjacent_difference_implIS3_Lb1ELb0EPiSB_N6thrust23THRUST_200600_302600_NS5minusIiEEEE10hipError_tPvRmT2_T3_mT4_P12ihipStream_tbEUlmE_iEESB_NS0_8identityIvEEEESG_SJ_SK_mSL_SN_bEUlT_E_NS1_11comp_targetILNS1_3genE2ELNS1_11target_archE906ELNS1_3gpuE6ELNS1_3repE0EEENS1_30default_config_static_selectorELNS0_4arch9wavefront6targetE1EEEvT1_.num_named_barrier, 0
	.set _ZN7rocprim17ROCPRIM_400000_NS6detail17trampoline_kernelINS0_14default_configENS1_25transform_config_selectorIiLb0EEEZNS1_14transform_implILb0ES3_S5_NS0_18transform_iteratorINS0_17counting_iteratorImlEEZNS1_24adjacent_difference_implIS3_Lb1ELb0EPiSB_N6thrust23THRUST_200600_302600_NS5minusIiEEEE10hipError_tPvRmT2_T3_mT4_P12ihipStream_tbEUlmE_iEESB_NS0_8identityIvEEEESG_SJ_SK_mSL_SN_bEUlT_E_NS1_11comp_targetILNS1_3genE2ELNS1_11target_archE906ELNS1_3gpuE6ELNS1_3repE0EEENS1_30default_config_static_selectorELNS0_4arch9wavefront6targetE1EEEvT1_.private_seg_size, 0
	.set _ZN7rocprim17ROCPRIM_400000_NS6detail17trampoline_kernelINS0_14default_configENS1_25transform_config_selectorIiLb0EEEZNS1_14transform_implILb0ES3_S5_NS0_18transform_iteratorINS0_17counting_iteratorImlEEZNS1_24adjacent_difference_implIS3_Lb1ELb0EPiSB_N6thrust23THRUST_200600_302600_NS5minusIiEEEE10hipError_tPvRmT2_T3_mT4_P12ihipStream_tbEUlmE_iEESB_NS0_8identityIvEEEESG_SJ_SK_mSL_SN_bEUlT_E_NS1_11comp_targetILNS1_3genE2ELNS1_11target_archE906ELNS1_3gpuE6ELNS1_3repE0EEENS1_30default_config_static_selectorELNS0_4arch9wavefront6targetE1EEEvT1_.uses_vcc, 1
	.set _ZN7rocprim17ROCPRIM_400000_NS6detail17trampoline_kernelINS0_14default_configENS1_25transform_config_selectorIiLb0EEEZNS1_14transform_implILb0ES3_S5_NS0_18transform_iteratorINS0_17counting_iteratorImlEEZNS1_24adjacent_difference_implIS3_Lb1ELb0EPiSB_N6thrust23THRUST_200600_302600_NS5minusIiEEEE10hipError_tPvRmT2_T3_mT4_P12ihipStream_tbEUlmE_iEESB_NS0_8identityIvEEEESG_SJ_SK_mSL_SN_bEUlT_E_NS1_11comp_targetILNS1_3genE2ELNS1_11target_archE906ELNS1_3gpuE6ELNS1_3repE0EEENS1_30default_config_static_selectorELNS0_4arch9wavefront6targetE1EEEvT1_.uses_flat_scratch, 0
	.set _ZN7rocprim17ROCPRIM_400000_NS6detail17trampoline_kernelINS0_14default_configENS1_25transform_config_selectorIiLb0EEEZNS1_14transform_implILb0ES3_S5_NS0_18transform_iteratorINS0_17counting_iteratorImlEEZNS1_24adjacent_difference_implIS3_Lb1ELb0EPiSB_N6thrust23THRUST_200600_302600_NS5minusIiEEEE10hipError_tPvRmT2_T3_mT4_P12ihipStream_tbEUlmE_iEESB_NS0_8identityIvEEEESG_SJ_SK_mSL_SN_bEUlT_E_NS1_11comp_targetILNS1_3genE2ELNS1_11target_archE906ELNS1_3gpuE6ELNS1_3repE0EEENS1_30default_config_static_selectorELNS0_4arch9wavefront6targetE1EEEvT1_.has_dyn_sized_stack, 0
	.set _ZN7rocprim17ROCPRIM_400000_NS6detail17trampoline_kernelINS0_14default_configENS1_25transform_config_selectorIiLb0EEEZNS1_14transform_implILb0ES3_S5_NS0_18transform_iteratorINS0_17counting_iteratorImlEEZNS1_24adjacent_difference_implIS3_Lb1ELb0EPiSB_N6thrust23THRUST_200600_302600_NS5minusIiEEEE10hipError_tPvRmT2_T3_mT4_P12ihipStream_tbEUlmE_iEESB_NS0_8identityIvEEEESG_SJ_SK_mSL_SN_bEUlT_E_NS1_11comp_targetILNS1_3genE2ELNS1_11target_archE906ELNS1_3gpuE6ELNS1_3repE0EEENS1_30default_config_static_selectorELNS0_4arch9wavefront6targetE1EEEvT1_.has_recursion, 0
	.set _ZN7rocprim17ROCPRIM_400000_NS6detail17trampoline_kernelINS0_14default_configENS1_25transform_config_selectorIiLb0EEEZNS1_14transform_implILb0ES3_S5_NS0_18transform_iteratorINS0_17counting_iteratorImlEEZNS1_24adjacent_difference_implIS3_Lb1ELb0EPiSB_N6thrust23THRUST_200600_302600_NS5minusIiEEEE10hipError_tPvRmT2_T3_mT4_P12ihipStream_tbEUlmE_iEESB_NS0_8identityIvEEEESG_SJ_SK_mSL_SN_bEUlT_E_NS1_11comp_targetILNS1_3genE2ELNS1_11target_archE906ELNS1_3gpuE6ELNS1_3repE0EEENS1_30default_config_static_selectorELNS0_4arch9wavefront6targetE1EEEvT1_.has_indirect_call, 0
	.section	.AMDGPU.csdata,"",@progbits
; Kernel info:
; codeLenInByte = 584
; TotalNumSgprs: 22
; NumVgprs: 7
; ScratchSize: 0
; MemoryBound: 0
; FloatMode: 240
; IeeeMode: 1
; LDSByteSize: 0 bytes/workgroup (compile time only)
; SGPRBlocks: 2
; VGPRBlocks: 1
; NumSGPRsForWavesPerEU: 22
; NumVGPRsForWavesPerEU: 7
; Occupancy: 10
; WaveLimiterHint : 0
; COMPUTE_PGM_RSRC2:SCRATCH_EN: 0
; COMPUTE_PGM_RSRC2:USER_SGPR: 6
; COMPUTE_PGM_RSRC2:TRAP_HANDLER: 0
; COMPUTE_PGM_RSRC2:TGID_X_EN: 1
; COMPUTE_PGM_RSRC2:TGID_Y_EN: 0
; COMPUTE_PGM_RSRC2:TGID_Z_EN: 0
; COMPUTE_PGM_RSRC2:TIDIG_COMP_CNT: 0
	.section	.text._ZN7rocprim17ROCPRIM_400000_NS6detail17trampoline_kernelINS0_14default_configENS1_25transform_config_selectorIiLb0EEEZNS1_14transform_implILb0ES3_S5_NS0_18transform_iteratorINS0_17counting_iteratorImlEEZNS1_24adjacent_difference_implIS3_Lb1ELb0EPiSB_N6thrust23THRUST_200600_302600_NS5minusIiEEEE10hipError_tPvRmT2_T3_mT4_P12ihipStream_tbEUlmE_iEESB_NS0_8identityIvEEEESG_SJ_SK_mSL_SN_bEUlT_E_NS1_11comp_targetILNS1_3genE10ELNS1_11target_archE1201ELNS1_3gpuE5ELNS1_3repE0EEENS1_30default_config_static_selectorELNS0_4arch9wavefront6targetE1EEEvT1_,"axG",@progbits,_ZN7rocprim17ROCPRIM_400000_NS6detail17trampoline_kernelINS0_14default_configENS1_25transform_config_selectorIiLb0EEEZNS1_14transform_implILb0ES3_S5_NS0_18transform_iteratorINS0_17counting_iteratorImlEEZNS1_24adjacent_difference_implIS3_Lb1ELb0EPiSB_N6thrust23THRUST_200600_302600_NS5minusIiEEEE10hipError_tPvRmT2_T3_mT4_P12ihipStream_tbEUlmE_iEESB_NS0_8identityIvEEEESG_SJ_SK_mSL_SN_bEUlT_E_NS1_11comp_targetILNS1_3genE10ELNS1_11target_archE1201ELNS1_3gpuE5ELNS1_3repE0EEENS1_30default_config_static_selectorELNS0_4arch9wavefront6targetE1EEEvT1_,comdat
	.protected	_ZN7rocprim17ROCPRIM_400000_NS6detail17trampoline_kernelINS0_14default_configENS1_25transform_config_selectorIiLb0EEEZNS1_14transform_implILb0ES3_S5_NS0_18transform_iteratorINS0_17counting_iteratorImlEEZNS1_24adjacent_difference_implIS3_Lb1ELb0EPiSB_N6thrust23THRUST_200600_302600_NS5minusIiEEEE10hipError_tPvRmT2_T3_mT4_P12ihipStream_tbEUlmE_iEESB_NS0_8identityIvEEEESG_SJ_SK_mSL_SN_bEUlT_E_NS1_11comp_targetILNS1_3genE10ELNS1_11target_archE1201ELNS1_3gpuE5ELNS1_3repE0EEENS1_30default_config_static_selectorELNS0_4arch9wavefront6targetE1EEEvT1_ ; -- Begin function _ZN7rocprim17ROCPRIM_400000_NS6detail17trampoline_kernelINS0_14default_configENS1_25transform_config_selectorIiLb0EEEZNS1_14transform_implILb0ES3_S5_NS0_18transform_iteratorINS0_17counting_iteratorImlEEZNS1_24adjacent_difference_implIS3_Lb1ELb0EPiSB_N6thrust23THRUST_200600_302600_NS5minusIiEEEE10hipError_tPvRmT2_T3_mT4_P12ihipStream_tbEUlmE_iEESB_NS0_8identityIvEEEESG_SJ_SK_mSL_SN_bEUlT_E_NS1_11comp_targetILNS1_3genE10ELNS1_11target_archE1201ELNS1_3gpuE5ELNS1_3repE0EEENS1_30default_config_static_selectorELNS0_4arch9wavefront6targetE1EEEvT1_
	.globl	_ZN7rocprim17ROCPRIM_400000_NS6detail17trampoline_kernelINS0_14default_configENS1_25transform_config_selectorIiLb0EEEZNS1_14transform_implILb0ES3_S5_NS0_18transform_iteratorINS0_17counting_iteratorImlEEZNS1_24adjacent_difference_implIS3_Lb1ELb0EPiSB_N6thrust23THRUST_200600_302600_NS5minusIiEEEE10hipError_tPvRmT2_T3_mT4_P12ihipStream_tbEUlmE_iEESB_NS0_8identityIvEEEESG_SJ_SK_mSL_SN_bEUlT_E_NS1_11comp_targetILNS1_3genE10ELNS1_11target_archE1201ELNS1_3gpuE5ELNS1_3repE0EEENS1_30default_config_static_selectorELNS0_4arch9wavefront6targetE1EEEvT1_
	.p2align	8
	.type	_ZN7rocprim17ROCPRIM_400000_NS6detail17trampoline_kernelINS0_14default_configENS1_25transform_config_selectorIiLb0EEEZNS1_14transform_implILb0ES3_S5_NS0_18transform_iteratorINS0_17counting_iteratorImlEEZNS1_24adjacent_difference_implIS3_Lb1ELb0EPiSB_N6thrust23THRUST_200600_302600_NS5minusIiEEEE10hipError_tPvRmT2_T3_mT4_P12ihipStream_tbEUlmE_iEESB_NS0_8identityIvEEEESG_SJ_SK_mSL_SN_bEUlT_E_NS1_11comp_targetILNS1_3genE10ELNS1_11target_archE1201ELNS1_3gpuE5ELNS1_3repE0EEENS1_30default_config_static_selectorELNS0_4arch9wavefront6targetE1EEEvT1_,@function
_ZN7rocprim17ROCPRIM_400000_NS6detail17trampoline_kernelINS0_14default_configENS1_25transform_config_selectorIiLb0EEEZNS1_14transform_implILb0ES3_S5_NS0_18transform_iteratorINS0_17counting_iteratorImlEEZNS1_24adjacent_difference_implIS3_Lb1ELb0EPiSB_N6thrust23THRUST_200600_302600_NS5minusIiEEEE10hipError_tPvRmT2_T3_mT4_P12ihipStream_tbEUlmE_iEESB_NS0_8identityIvEEEESG_SJ_SK_mSL_SN_bEUlT_E_NS1_11comp_targetILNS1_3genE10ELNS1_11target_archE1201ELNS1_3gpuE5ELNS1_3repE0EEENS1_30default_config_static_selectorELNS0_4arch9wavefront6targetE1EEEvT1_: ; @_ZN7rocprim17ROCPRIM_400000_NS6detail17trampoline_kernelINS0_14default_configENS1_25transform_config_selectorIiLb0EEEZNS1_14transform_implILb0ES3_S5_NS0_18transform_iteratorINS0_17counting_iteratorImlEEZNS1_24adjacent_difference_implIS3_Lb1ELb0EPiSB_N6thrust23THRUST_200600_302600_NS5minusIiEEEE10hipError_tPvRmT2_T3_mT4_P12ihipStream_tbEUlmE_iEESB_NS0_8identityIvEEEESG_SJ_SK_mSL_SN_bEUlT_E_NS1_11comp_targetILNS1_3genE10ELNS1_11target_archE1201ELNS1_3gpuE5ELNS1_3repE0EEENS1_30default_config_static_selectorELNS0_4arch9wavefront6targetE1EEEvT1_
; %bb.0:
	.section	.rodata,"a",@progbits
	.p2align	6, 0x0
	.amdhsa_kernel _ZN7rocprim17ROCPRIM_400000_NS6detail17trampoline_kernelINS0_14default_configENS1_25transform_config_selectorIiLb0EEEZNS1_14transform_implILb0ES3_S5_NS0_18transform_iteratorINS0_17counting_iteratorImlEEZNS1_24adjacent_difference_implIS3_Lb1ELb0EPiSB_N6thrust23THRUST_200600_302600_NS5minusIiEEEE10hipError_tPvRmT2_T3_mT4_P12ihipStream_tbEUlmE_iEESB_NS0_8identityIvEEEESG_SJ_SK_mSL_SN_bEUlT_E_NS1_11comp_targetILNS1_3genE10ELNS1_11target_archE1201ELNS1_3gpuE5ELNS1_3repE0EEENS1_30default_config_static_selectorELNS0_4arch9wavefront6targetE1EEEvT1_
		.amdhsa_group_segment_fixed_size 0
		.amdhsa_private_segment_fixed_size 0
		.amdhsa_kernarg_size 56
		.amdhsa_user_sgpr_count 6
		.amdhsa_user_sgpr_private_segment_buffer 1
		.amdhsa_user_sgpr_dispatch_ptr 0
		.amdhsa_user_sgpr_queue_ptr 0
		.amdhsa_user_sgpr_kernarg_segment_ptr 1
		.amdhsa_user_sgpr_dispatch_id 0
		.amdhsa_user_sgpr_flat_scratch_init 0
		.amdhsa_user_sgpr_private_segment_size 0
		.amdhsa_uses_dynamic_stack 0
		.amdhsa_system_sgpr_private_segment_wavefront_offset 0
		.amdhsa_system_sgpr_workgroup_id_x 1
		.amdhsa_system_sgpr_workgroup_id_y 0
		.amdhsa_system_sgpr_workgroup_id_z 0
		.amdhsa_system_sgpr_workgroup_info 0
		.amdhsa_system_vgpr_workitem_id 0
		.amdhsa_next_free_vgpr 1
		.amdhsa_next_free_sgpr 0
		.amdhsa_reserve_vcc 0
		.amdhsa_reserve_flat_scratch 0
		.amdhsa_float_round_mode_32 0
		.amdhsa_float_round_mode_16_64 0
		.amdhsa_float_denorm_mode_32 3
		.amdhsa_float_denorm_mode_16_64 3
		.amdhsa_dx10_clamp 1
		.amdhsa_ieee_mode 1
		.amdhsa_fp16_overflow 0
		.amdhsa_exception_fp_ieee_invalid_op 0
		.amdhsa_exception_fp_denorm_src 0
		.amdhsa_exception_fp_ieee_div_zero 0
		.amdhsa_exception_fp_ieee_overflow 0
		.amdhsa_exception_fp_ieee_underflow 0
		.amdhsa_exception_fp_ieee_inexact 0
		.amdhsa_exception_int_div_zero 0
	.end_amdhsa_kernel
	.section	.text._ZN7rocprim17ROCPRIM_400000_NS6detail17trampoline_kernelINS0_14default_configENS1_25transform_config_selectorIiLb0EEEZNS1_14transform_implILb0ES3_S5_NS0_18transform_iteratorINS0_17counting_iteratorImlEEZNS1_24adjacent_difference_implIS3_Lb1ELb0EPiSB_N6thrust23THRUST_200600_302600_NS5minusIiEEEE10hipError_tPvRmT2_T3_mT4_P12ihipStream_tbEUlmE_iEESB_NS0_8identityIvEEEESG_SJ_SK_mSL_SN_bEUlT_E_NS1_11comp_targetILNS1_3genE10ELNS1_11target_archE1201ELNS1_3gpuE5ELNS1_3repE0EEENS1_30default_config_static_selectorELNS0_4arch9wavefront6targetE1EEEvT1_,"axG",@progbits,_ZN7rocprim17ROCPRIM_400000_NS6detail17trampoline_kernelINS0_14default_configENS1_25transform_config_selectorIiLb0EEEZNS1_14transform_implILb0ES3_S5_NS0_18transform_iteratorINS0_17counting_iteratorImlEEZNS1_24adjacent_difference_implIS3_Lb1ELb0EPiSB_N6thrust23THRUST_200600_302600_NS5minusIiEEEE10hipError_tPvRmT2_T3_mT4_P12ihipStream_tbEUlmE_iEESB_NS0_8identityIvEEEESG_SJ_SK_mSL_SN_bEUlT_E_NS1_11comp_targetILNS1_3genE10ELNS1_11target_archE1201ELNS1_3gpuE5ELNS1_3repE0EEENS1_30default_config_static_selectorELNS0_4arch9wavefront6targetE1EEEvT1_,comdat
.Lfunc_end320:
	.size	_ZN7rocprim17ROCPRIM_400000_NS6detail17trampoline_kernelINS0_14default_configENS1_25transform_config_selectorIiLb0EEEZNS1_14transform_implILb0ES3_S5_NS0_18transform_iteratorINS0_17counting_iteratorImlEEZNS1_24adjacent_difference_implIS3_Lb1ELb0EPiSB_N6thrust23THRUST_200600_302600_NS5minusIiEEEE10hipError_tPvRmT2_T3_mT4_P12ihipStream_tbEUlmE_iEESB_NS0_8identityIvEEEESG_SJ_SK_mSL_SN_bEUlT_E_NS1_11comp_targetILNS1_3genE10ELNS1_11target_archE1201ELNS1_3gpuE5ELNS1_3repE0EEENS1_30default_config_static_selectorELNS0_4arch9wavefront6targetE1EEEvT1_, .Lfunc_end320-_ZN7rocprim17ROCPRIM_400000_NS6detail17trampoline_kernelINS0_14default_configENS1_25transform_config_selectorIiLb0EEEZNS1_14transform_implILb0ES3_S5_NS0_18transform_iteratorINS0_17counting_iteratorImlEEZNS1_24adjacent_difference_implIS3_Lb1ELb0EPiSB_N6thrust23THRUST_200600_302600_NS5minusIiEEEE10hipError_tPvRmT2_T3_mT4_P12ihipStream_tbEUlmE_iEESB_NS0_8identityIvEEEESG_SJ_SK_mSL_SN_bEUlT_E_NS1_11comp_targetILNS1_3genE10ELNS1_11target_archE1201ELNS1_3gpuE5ELNS1_3repE0EEENS1_30default_config_static_selectorELNS0_4arch9wavefront6targetE1EEEvT1_
                                        ; -- End function
	.set _ZN7rocprim17ROCPRIM_400000_NS6detail17trampoline_kernelINS0_14default_configENS1_25transform_config_selectorIiLb0EEEZNS1_14transform_implILb0ES3_S5_NS0_18transform_iteratorINS0_17counting_iteratorImlEEZNS1_24adjacent_difference_implIS3_Lb1ELb0EPiSB_N6thrust23THRUST_200600_302600_NS5minusIiEEEE10hipError_tPvRmT2_T3_mT4_P12ihipStream_tbEUlmE_iEESB_NS0_8identityIvEEEESG_SJ_SK_mSL_SN_bEUlT_E_NS1_11comp_targetILNS1_3genE10ELNS1_11target_archE1201ELNS1_3gpuE5ELNS1_3repE0EEENS1_30default_config_static_selectorELNS0_4arch9wavefront6targetE1EEEvT1_.num_vgpr, 0
	.set _ZN7rocprim17ROCPRIM_400000_NS6detail17trampoline_kernelINS0_14default_configENS1_25transform_config_selectorIiLb0EEEZNS1_14transform_implILb0ES3_S5_NS0_18transform_iteratorINS0_17counting_iteratorImlEEZNS1_24adjacent_difference_implIS3_Lb1ELb0EPiSB_N6thrust23THRUST_200600_302600_NS5minusIiEEEE10hipError_tPvRmT2_T3_mT4_P12ihipStream_tbEUlmE_iEESB_NS0_8identityIvEEEESG_SJ_SK_mSL_SN_bEUlT_E_NS1_11comp_targetILNS1_3genE10ELNS1_11target_archE1201ELNS1_3gpuE5ELNS1_3repE0EEENS1_30default_config_static_selectorELNS0_4arch9wavefront6targetE1EEEvT1_.num_agpr, 0
	.set _ZN7rocprim17ROCPRIM_400000_NS6detail17trampoline_kernelINS0_14default_configENS1_25transform_config_selectorIiLb0EEEZNS1_14transform_implILb0ES3_S5_NS0_18transform_iteratorINS0_17counting_iteratorImlEEZNS1_24adjacent_difference_implIS3_Lb1ELb0EPiSB_N6thrust23THRUST_200600_302600_NS5minusIiEEEE10hipError_tPvRmT2_T3_mT4_P12ihipStream_tbEUlmE_iEESB_NS0_8identityIvEEEESG_SJ_SK_mSL_SN_bEUlT_E_NS1_11comp_targetILNS1_3genE10ELNS1_11target_archE1201ELNS1_3gpuE5ELNS1_3repE0EEENS1_30default_config_static_selectorELNS0_4arch9wavefront6targetE1EEEvT1_.numbered_sgpr, 0
	.set _ZN7rocprim17ROCPRIM_400000_NS6detail17trampoline_kernelINS0_14default_configENS1_25transform_config_selectorIiLb0EEEZNS1_14transform_implILb0ES3_S5_NS0_18transform_iteratorINS0_17counting_iteratorImlEEZNS1_24adjacent_difference_implIS3_Lb1ELb0EPiSB_N6thrust23THRUST_200600_302600_NS5minusIiEEEE10hipError_tPvRmT2_T3_mT4_P12ihipStream_tbEUlmE_iEESB_NS0_8identityIvEEEESG_SJ_SK_mSL_SN_bEUlT_E_NS1_11comp_targetILNS1_3genE10ELNS1_11target_archE1201ELNS1_3gpuE5ELNS1_3repE0EEENS1_30default_config_static_selectorELNS0_4arch9wavefront6targetE1EEEvT1_.num_named_barrier, 0
	.set _ZN7rocprim17ROCPRIM_400000_NS6detail17trampoline_kernelINS0_14default_configENS1_25transform_config_selectorIiLb0EEEZNS1_14transform_implILb0ES3_S5_NS0_18transform_iteratorINS0_17counting_iteratorImlEEZNS1_24adjacent_difference_implIS3_Lb1ELb0EPiSB_N6thrust23THRUST_200600_302600_NS5minusIiEEEE10hipError_tPvRmT2_T3_mT4_P12ihipStream_tbEUlmE_iEESB_NS0_8identityIvEEEESG_SJ_SK_mSL_SN_bEUlT_E_NS1_11comp_targetILNS1_3genE10ELNS1_11target_archE1201ELNS1_3gpuE5ELNS1_3repE0EEENS1_30default_config_static_selectorELNS0_4arch9wavefront6targetE1EEEvT1_.private_seg_size, 0
	.set _ZN7rocprim17ROCPRIM_400000_NS6detail17trampoline_kernelINS0_14default_configENS1_25transform_config_selectorIiLb0EEEZNS1_14transform_implILb0ES3_S5_NS0_18transform_iteratorINS0_17counting_iteratorImlEEZNS1_24adjacent_difference_implIS3_Lb1ELb0EPiSB_N6thrust23THRUST_200600_302600_NS5minusIiEEEE10hipError_tPvRmT2_T3_mT4_P12ihipStream_tbEUlmE_iEESB_NS0_8identityIvEEEESG_SJ_SK_mSL_SN_bEUlT_E_NS1_11comp_targetILNS1_3genE10ELNS1_11target_archE1201ELNS1_3gpuE5ELNS1_3repE0EEENS1_30default_config_static_selectorELNS0_4arch9wavefront6targetE1EEEvT1_.uses_vcc, 0
	.set _ZN7rocprim17ROCPRIM_400000_NS6detail17trampoline_kernelINS0_14default_configENS1_25transform_config_selectorIiLb0EEEZNS1_14transform_implILb0ES3_S5_NS0_18transform_iteratorINS0_17counting_iteratorImlEEZNS1_24adjacent_difference_implIS3_Lb1ELb0EPiSB_N6thrust23THRUST_200600_302600_NS5minusIiEEEE10hipError_tPvRmT2_T3_mT4_P12ihipStream_tbEUlmE_iEESB_NS0_8identityIvEEEESG_SJ_SK_mSL_SN_bEUlT_E_NS1_11comp_targetILNS1_3genE10ELNS1_11target_archE1201ELNS1_3gpuE5ELNS1_3repE0EEENS1_30default_config_static_selectorELNS0_4arch9wavefront6targetE1EEEvT1_.uses_flat_scratch, 0
	.set _ZN7rocprim17ROCPRIM_400000_NS6detail17trampoline_kernelINS0_14default_configENS1_25transform_config_selectorIiLb0EEEZNS1_14transform_implILb0ES3_S5_NS0_18transform_iteratorINS0_17counting_iteratorImlEEZNS1_24adjacent_difference_implIS3_Lb1ELb0EPiSB_N6thrust23THRUST_200600_302600_NS5minusIiEEEE10hipError_tPvRmT2_T3_mT4_P12ihipStream_tbEUlmE_iEESB_NS0_8identityIvEEEESG_SJ_SK_mSL_SN_bEUlT_E_NS1_11comp_targetILNS1_3genE10ELNS1_11target_archE1201ELNS1_3gpuE5ELNS1_3repE0EEENS1_30default_config_static_selectorELNS0_4arch9wavefront6targetE1EEEvT1_.has_dyn_sized_stack, 0
	.set _ZN7rocprim17ROCPRIM_400000_NS6detail17trampoline_kernelINS0_14default_configENS1_25transform_config_selectorIiLb0EEEZNS1_14transform_implILb0ES3_S5_NS0_18transform_iteratorINS0_17counting_iteratorImlEEZNS1_24adjacent_difference_implIS3_Lb1ELb0EPiSB_N6thrust23THRUST_200600_302600_NS5minusIiEEEE10hipError_tPvRmT2_T3_mT4_P12ihipStream_tbEUlmE_iEESB_NS0_8identityIvEEEESG_SJ_SK_mSL_SN_bEUlT_E_NS1_11comp_targetILNS1_3genE10ELNS1_11target_archE1201ELNS1_3gpuE5ELNS1_3repE0EEENS1_30default_config_static_selectorELNS0_4arch9wavefront6targetE1EEEvT1_.has_recursion, 0
	.set _ZN7rocprim17ROCPRIM_400000_NS6detail17trampoline_kernelINS0_14default_configENS1_25transform_config_selectorIiLb0EEEZNS1_14transform_implILb0ES3_S5_NS0_18transform_iteratorINS0_17counting_iteratorImlEEZNS1_24adjacent_difference_implIS3_Lb1ELb0EPiSB_N6thrust23THRUST_200600_302600_NS5minusIiEEEE10hipError_tPvRmT2_T3_mT4_P12ihipStream_tbEUlmE_iEESB_NS0_8identityIvEEEESG_SJ_SK_mSL_SN_bEUlT_E_NS1_11comp_targetILNS1_3genE10ELNS1_11target_archE1201ELNS1_3gpuE5ELNS1_3repE0EEENS1_30default_config_static_selectorELNS0_4arch9wavefront6targetE1EEEvT1_.has_indirect_call, 0
	.section	.AMDGPU.csdata,"",@progbits
; Kernel info:
; codeLenInByte = 0
; TotalNumSgprs: 4
; NumVgprs: 0
; ScratchSize: 0
; MemoryBound: 0
; FloatMode: 240
; IeeeMode: 1
; LDSByteSize: 0 bytes/workgroup (compile time only)
; SGPRBlocks: 0
; VGPRBlocks: 0
; NumSGPRsForWavesPerEU: 4
; NumVGPRsForWavesPerEU: 1
; Occupancy: 10
; WaveLimiterHint : 0
; COMPUTE_PGM_RSRC2:SCRATCH_EN: 0
; COMPUTE_PGM_RSRC2:USER_SGPR: 6
; COMPUTE_PGM_RSRC2:TRAP_HANDLER: 0
; COMPUTE_PGM_RSRC2:TGID_X_EN: 1
; COMPUTE_PGM_RSRC2:TGID_Y_EN: 0
; COMPUTE_PGM_RSRC2:TGID_Z_EN: 0
; COMPUTE_PGM_RSRC2:TIDIG_COMP_CNT: 0
	.section	.text._ZN7rocprim17ROCPRIM_400000_NS6detail17trampoline_kernelINS0_14default_configENS1_25transform_config_selectorIiLb0EEEZNS1_14transform_implILb0ES3_S5_NS0_18transform_iteratorINS0_17counting_iteratorImlEEZNS1_24adjacent_difference_implIS3_Lb1ELb0EPiSB_N6thrust23THRUST_200600_302600_NS5minusIiEEEE10hipError_tPvRmT2_T3_mT4_P12ihipStream_tbEUlmE_iEESB_NS0_8identityIvEEEESG_SJ_SK_mSL_SN_bEUlT_E_NS1_11comp_targetILNS1_3genE10ELNS1_11target_archE1200ELNS1_3gpuE4ELNS1_3repE0EEENS1_30default_config_static_selectorELNS0_4arch9wavefront6targetE1EEEvT1_,"axG",@progbits,_ZN7rocprim17ROCPRIM_400000_NS6detail17trampoline_kernelINS0_14default_configENS1_25transform_config_selectorIiLb0EEEZNS1_14transform_implILb0ES3_S5_NS0_18transform_iteratorINS0_17counting_iteratorImlEEZNS1_24adjacent_difference_implIS3_Lb1ELb0EPiSB_N6thrust23THRUST_200600_302600_NS5minusIiEEEE10hipError_tPvRmT2_T3_mT4_P12ihipStream_tbEUlmE_iEESB_NS0_8identityIvEEEESG_SJ_SK_mSL_SN_bEUlT_E_NS1_11comp_targetILNS1_3genE10ELNS1_11target_archE1200ELNS1_3gpuE4ELNS1_3repE0EEENS1_30default_config_static_selectorELNS0_4arch9wavefront6targetE1EEEvT1_,comdat
	.protected	_ZN7rocprim17ROCPRIM_400000_NS6detail17trampoline_kernelINS0_14default_configENS1_25transform_config_selectorIiLb0EEEZNS1_14transform_implILb0ES3_S5_NS0_18transform_iteratorINS0_17counting_iteratorImlEEZNS1_24adjacent_difference_implIS3_Lb1ELb0EPiSB_N6thrust23THRUST_200600_302600_NS5minusIiEEEE10hipError_tPvRmT2_T3_mT4_P12ihipStream_tbEUlmE_iEESB_NS0_8identityIvEEEESG_SJ_SK_mSL_SN_bEUlT_E_NS1_11comp_targetILNS1_3genE10ELNS1_11target_archE1200ELNS1_3gpuE4ELNS1_3repE0EEENS1_30default_config_static_selectorELNS0_4arch9wavefront6targetE1EEEvT1_ ; -- Begin function _ZN7rocprim17ROCPRIM_400000_NS6detail17trampoline_kernelINS0_14default_configENS1_25transform_config_selectorIiLb0EEEZNS1_14transform_implILb0ES3_S5_NS0_18transform_iteratorINS0_17counting_iteratorImlEEZNS1_24adjacent_difference_implIS3_Lb1ELb0EPiSB_N6thrust23THRUST_200600_302600_NS5minusIiEEEE10hipError_tPvRmT2_T3_mT4_P12ihipStream_tbEUlmE_iEESB_NS0_8identityIvEEEESG_SJ_SK_mSL_SN_bEUlT_E_NS1_11comp_targetILNS1_3genE10ELNS1_11target_archE1200ELNS1_3gpuE4ELNS1_3repE0EEENS1_30default_config_static_selectorELNS0_4arch9wavefront6targetE1EEEvT1_
	.globl	_ZN7rocprim17ROCPRIM_400000_NS6detail17trampoline_kernelINS0_14default_configENS1_25transform_config_selectorIiLb0EEEZNS1_14transform_implILb0ES3_S5_NS0_18transform_iteratorINS0_17counting_iteratorImlEEZNS1_24adjacent_difference_implIS3_Lb1ELb0EPiSB_N6thrust23THRUST_200600_302600_NS5minusIiEEEE10hipError_tPvRmT2_T3_mT4_P12ihipStream_tbEUlmE_iEESB_NS0_8identityIvEEEESG_SJ_SK_mSL_SN_bEUlT_E_NS1_11comp_targetILNS1_3genE10ELNS1_11target_archE1200ELNS1_3gpuE4ELNS1_3repE0EEENS1_30default_config_static_selectorELNS0_4arch9wavefront6targetE1EEEvT1_
	.p2align	8
	.type	_ZN7rocprim17ROCPRIM_400000_NS6detail17trampoline_kernelINS0_14default_configENS1_25transform_config_selectorIiLb0EEEZNS1_14transform_implILb0ES3_S5_NS0_18transform_iteratorINS0_17counting_iteratorImlEEZNS1_24adjacent_difference_implIS3_Lb1ELb0EPiSB_N6thrust23THRUST_200600_302600_NS5minusIiEEEE10hipError_tPvRmT2_T3_mT4_P12ihipStream_tbEUlmE_iEESB_NS0_8identityIvEEEESG_SJ_SK_mSL_SN_bEUlT_E_NS1_11comp_targetILNS1_3genE10ELNS1_11target_archE1200ELNS1_3gpuE4ELNS1_3repE0EEENS1_30default_config_static_selectorELNS0_4arch9wavefront6targetE1EEEvT1_,@function
_ZN7rocprim17ROCPRIM_400000_NS6detail17trampoline_kernelINS0_14default_configENS1_25transform_config_selectorIiLb0EEEZNS1_14transform_implILb0ES3_S5_NS0_18transform_iteratorINS0_17counting_iteratorImlEEZNS1_24adjacent_difference_implIS3_Lb1ELb0EPiSB_N6thrust23THRUST_200600_302600_NS5minusIiEEEE10hipError_tPvRmT2_T3_mT4_P12ihipStream_tbEUlmE_iEESB_NS0_8identityIvEEEESG_SJ_SK_mSL_SN_bEUlT_E_NS1_11comp_targetILNS1_3genE10ELNS1_11target_archE1200ELNS1_3gpuE4ELNS1_3repE0EEENS1_30default_config_static_selectorELNS0_4arch9wavefront6targetE1EEEvT1_: ; @_ZN7rocprim17ROCPRIM_400000_NS6detail17trampoline_kernelINS0_14default_configENS1_25transform_config_selectorIiLb0EEEZNS1_14transform_implILb0ES3_S5_NS0_18transform_iteratorINS0_17counting_iteratorImlEEZNS1_24adjacent_difference_implIS3_Lb1ELb0EPiSB_N6thrust23THRUST_200600_302600_NS5minusIiEEEE10hipError_tPvRmT2_T3_mT4_P12ihipStream_tbEUlmE_iEESB_NS0_8identityIvEEEESG_SJ_SK_mSL_SN_bEUlT_E_NS1_11comp_targetILNS1_3genE10ELNS1_11target_archE1200ELNS1_3gpuE4ELNS1_3repE0EEENS1_30default_config_static_selectorELNS0_4arch9wavefront6targetE1EEEvT1_
; %bb.0:
	.section	.rodata,"a",@progbits
	.p2align	6, 0x0
	.amdhsa_kernel _ZN7rocprim17ROCPRIM_400000_NS6detail17trampoline_kernelINS0_14default_configENS1_25transform_config_selectorIiLb0EEEZNS1_14transform_implILb0ES3_S5_NS0_18transform_iteratorINS0_17counting_iteratorImlEEZNS1_24adjacent_difference_implIS3_Lb1ELb0EPiSB_N6thrust23THRUST_200600_302600_NS5minusIiEEEE10hipError_tPvRmT2_T3_mT4_P12ihipStream_tbEUlmE_iEESB_NS0_8identityIvEEEESG_SJ_SK_mSL_SN_bEUlT_E_NS1_11comp_targetILNS1_3genE10ELNS1_11target_archE1200ELNS1_3gpuE4ELNS1_3repE0EEENS1_30default_config_static_selectorELNS0_4arch9wavefront6targetE1EEEvT1_
		.amdhsa_group_segment_fixed_size 0
		.amdhsa_private_segment_fixed_size 0
		.amdhsa_kernarg_size 56
		.amdhsa_user_sgpr_count 6
		.amdhsa_user_sgpr_private_segment_buffer 1
		.amdhsa_user_sgpr_dispatch_ptr 0
		.amdhsa_user_sgpr_queue_ptr 0
		.amdhsa_user_sgpr_kernarg_segment_ptr 1
		.amdhsa_user_sgpr_dispatch_id 0
		.amdhsa_user_sgpr_flat_scratch_init 0
		.amdhsa_user_sgpr_private_segment_size 0
		.amdhsa_uses_dynamic_stack 0
		.amdhsa_system_sgpr_private_segment_wavefront_offset 0
		.amdhsa_system_sgpr_workgroup_id_x 1
		.amdhsa_system_sgpr_workgroup_id_y 0
		.amdhsa_system_sgpr_workgroup_id_z 0
		.amdhsa_system_sgpr_workgroup_info 0
		.amdhsa_system_vgpr_workitem_id 0
		.amdhsa_next_free_vgpr 1
		.amdhsa_next_free_sgpr 0
		.amdhsa_reserve_vcc 0
		.amdhsa_reserve_flat_scratch 0
		.amdhsa_float_round_mode_32 0
		.amdhsa_float_round_mode_16_64 0
		.amdhsa_float_denorm_mode_32 3
		.amdhsa_float_denorm_mode_16_64 3
		.amdhsa_dx10_clamp 1
		.amdhsa_ieee_mode 1
		.amdhsa_fp16_overflow 0
		.amdhsa_exception_fp_ieee_invalid_op 0
		.amdhsa_exception_fp_denorm_src 0
		.amdhsa_exception_fp_ieee_div_zero 0
		.amdhsa_exception_fp_ieee_overflow 0
		.amdhsa_exception_fp_ieee_underflow 0
		.amdhsa_exception_fp_ieee_inexact 0
		.amdhsa_exception_int_div_zero 0
	.end_amdhsa_kernel
	.section	.text._ZN7rocprim17ROCPRIM_400000_NS6detail17trampoline_kernelINS0_14default_configENS1_25transform_config_selectorIiLb0EEEZNS1_14transform_implILb0ES3_S5_NS0_18transform_iteratorINS0_17counting_iteratorImlEEZNS1_24adjacent_difference_implIS3_Lb1ELb0EPiSB_N6thrust23THRUST_200600_302600_NS5minusIiEEEE10hipError_tPvRmT2_T3_mT4_P12ihipStream_tbEUlmE_iEESB_NS0_8identityIvEEEESG_SJ_SK_mSL_SN_bEUlT_E_NS1_11comp_targetILNS1_3genE10ELNS1_11target_archE1200ELNS1_3gpuE4ELNS1_3repE0EEENS1_30default_config_static_selectorELNS0_4arch9wavefront6targetE1EEEvT1_,"axG",@progbits,_ZN7rocprim17ROCPRIM_400000_NS6detail17trampoline_kernelINS0_14default_configENS1_25transform_config_selectorIiLb0EEEZNS1_14transform_implILb0ES3_S5_NS0_18transform_iteratorINS0_17counting_iteratorImlEEZNS1_24adjacent_difference_implIS3_Lb1ELb0EPiSB_N6thrust23THRUST_200600_302600_NS5minusIiEEEE10hipError_tPvRmT2_T3_mT4_P12ihipStream_tbEUlmE_iEESB_NS0_8identityIvEEEESG_SJ_SK_mSL_SN_bEUlT_E_NS1_11comp_targetILNS1_3genE10ELNS1_11target_archE1200ELNS1_3gpuE4ELNS1_3repE0EEENS1_30default_config_static_selectorELNS0_4arch9wavefront6targetE1EEEvT1_,comdat
.Lfunc_end321:
	.size	_ZN7rocprim17ROCPRIM_400000_NS6detail17trampoline_kernelINS0_14default_configENS1_25transform_config_selectorIiLb0EEEZNS1_14transform_implILb0ES3_S5_NS0_18transform_iteratorINS0_17counting_iteratorImlEEZNS1_24adjacent_difference_implIS3_Lb1ELb0EPiSB_N6thrust23THRUST_200600_302600_NS5minusIiEEEE10hipError_tPvRmT2_T3_mT4_P12ihipStream_tbEUlmE_iEESB_NS0_8identityIvEEEESG_SJ_SK_mSL_SN_bEUlT_E_NS1_11comp_targetILNS1_3genE10ELNS1_11target_archE1200ELNS1_3gpuE4ELNS1_3repE0EEENS1_30default_config_static_selectorELNS0_4arch9wavefront6targetE1EEEvT1_, .Lfunc_end321-_ZN7rocprim17ROCPRIM_400000_NS6detail17trampoline_kernelINS0_14default_configENS1_25transform_config_selectorIiLb0EEEZNS1_14transform_implILb0ES3_S5_NS0_18transform_iteratorINS0_17counting_iteratorImlEEZNS1_24adjacent_difference_implIS3_Lb1ELb0EPiSB_N6thrust23THRUST_200600_302600_NS5minusIiEEEE10hipError_tPvRmT2_T3_mT4_P12ihipStream_tbEUlmE_iEESB_NS0_8identityIvEEEESG_SJ_SK_mSL_SN_bEUlT_E_NS1_11comp_targetILNS1_3genE10ELNS1_11target_archE1200ELNS1_3gpuE4ELNS1_3repE0EEENS1_30default_config_static_selectorELNS0_4arch9wavefront6targetE1EEEvT1_
                                        ; -- End function
	.set _ZN7rocprim17ROCPRIM_400000_NS6detail17trampoline_kernelINS0_14default_configENS1_25transform_config_selectorIiLb0EEEZNS1_14transform_implILb0ES3_S5_NS0_18transform_iteratorINS0_17counting_iteratorImlEEZNS1_24adjacent_difference_implIS3_Lb1ELb0EPiSB_N6thrust23THRUST_200600_302600_NS5minusIiEEEE10hipError_tPvRmT2_T3_mT4_P12ihipStream_tbEUlmE_iEESB_NS0_8identityIvEEEESG_SJ_SK_mSL_SN_bEUlT_E_NS1_11comp_targetILNS1_3genE10ELNS1_11target_archE1200ELNS1_3gpuE4ELNS1_3repE0EEENS1_30default_config_static_selectorELNS0_4arch9wavefront6targetE1EEEvT1_.num_vgpr, 0
	.set _ZN7rocprim17ROCPRIM_400000_NS6detail17trampoline_kernelINS0_14default_configENS1_25transform_config_selectorIiLb0EEEZNS1_14transform_implILb0ES3_S5_NS0_18transform_iteratorINS0_17counting_iteratorImlEEZNS1_24adjacent_difference_implIS3_Lb1ELb0EPiSB_N6thrust23THRUST_200600_302600_NS5minusIiEEEE10hipError_tPvRmT2_T3_mT4_P12ihipStream_tbEUlmE_iEESB_NS0_8identityIvEEEESG_SJ_SK_mSL_SN_bEUlT_E_NS1_11comp_targetILNS1_3genE10ELNS1_11target_archE1200ELNS1_3gpuE4ELNS1_3repE0EEENS1_30default_config_static_selectorELNS0_4arch9wavefront6targetE1EEEvT1_.num_agpr, 0
	.set _ZN7rocprim17ROCPRIM_400000_NS6detail17trampoline_kernelINS0_14default_configENS1_25transform_config_selectorIiLb0EEEZNS1_14transform_implILb0ES3_S5_NS0_18transform_iteratorINS0_17counting_iteratorImlEEZNS1_24adjacent_difference_implIS3_Lb1ELb0EPiSB_N6thrust23THRUST_200600_302600_NS5minusIiEEEE10hipError_tPvRmT2_T3_mT4_P12ihipStream_tbEUlmE_iEESB_NS0_8identityIvEEEESG_SJ_SK_mSL_SN_bEUlT_E_NS1_11comp_targetILNS1_3genE10ELNS1_11target_archE1200ELNS1_3gpuE4ELNS1_3repE0EEENS1_30default_config_static_selectorELNS0_4arch9wavefront6targetE1EEEvT1_.numbered_sgpr, 0
	.set _ZN7rocprim17ROCPRIM_400000_NS6detail17trampoline_kernelINS0_14default_configENS1_25transform_config_selectorIiLb0EEEZNS1_14transform_implILb0ES3_S5_NS0_18transform_iteratorINS0_17counting_iteratorImlEEZNS1_24adjacent_difference_implIS3_Lb1ELb0EPiSB_N6thrust23THRUST_200600_302600_NS5minusIiEEEE10hipError_tPvRmT2_T3_mT4_P12ihipStream_tbEUlmE_iEESB_NS0_8identityIvEEEESG_SJ_SK_mSL_SN_bEUlT_E_NS1_11comp_targetILNS1_3genE10ELNS1_11target_archE1200ELNS1_3gpuE4ELNS1_3repE0EEENS1_30default_config_static_selectorELNS0_4arch9wavefront6targetE1EEEvT1_.num_named_barrier, 0
	.set _ZN7rocprim17ROCPRIM_400000_NS6detail17trampoline_kernelINS0_14default_configENS1_25transform_config_selectorIiLb0EEEZNS1_14transform_implILb0ES3_S5_NS0_18transform_iteratorINS0_17counting_iteratorImlEEZNS1_24adjacent_difference_implIS3_Lb1ELb0EPiSB_N6thrust23THRUST_200600_302600_NS5minusIiEEEE10hipError_tPvRmT2_T3_mT4_P12ihipStream_tbEUlmE_iEESB_NS0_8identityIvEEEESG_SJ_SK_mSL_SN_bEUlT_E_NS1_11comp_targetILNS1_3genE10ELNS1_11target_archE1200ELNS1_3gpuE4ELNS1_3repE0EEENS1_30default_config_static_selectorELNS0_4arch9wavefront6targetE1EEEvT1_.private_seg_size, 0
	.set _ZN7rocprim17ROCPRIM_400000_NS6detail17trampoline_kernelINS0_14default_configENS1_25transform_config_selectorIiLb0EEEZNS1_14transform_implILb0ES3_S5_NS0_18transform_iteratorINS0_17counting_iteratorImlEEZNS1_24adjacent_difference_implIS3_Lb1ELb0EPiSB_N6thrust23THRUST_200600_302600_NS5minusIiEEEE10hipError_tPvRmT2_T3_mT4_P12ihipStream_tbEUlmE_iEESB_NS0_8identityIvEEEESG_SJ_SK_mSL_SN_bEUlT_E_NS1_11comp_targetILNS1_3genE10ELNS1_11target_archE1200ELNS1_3gpuE4ELNS1_3repE0EEENS1_30default_config_static_selectorELNS0_4arch9wavefront6targetE1EEEvT1_.uses_vcc, 0
	.set _ZN7rocprim17ROCPRIM_400000_NS6detail17trampoline_kernelINS0_14default_configENS1_25transform_config_selectorIiLb0EEEZNS1_14transform_implILb0ES3_S5_NS0_18transform_iteratorINS0_17counting_iteratorImlEEZNS1_24adjacent_difference_implIS3_Lb1ELb0EPiSB_N6thrust23THRUST_200600_302600_NS5minusIiEEEE10hipError_tPvRmT2_T3_mT4_P12ihipStream_tbEUlmE_iEESB_NS0_8identityIvEEEESG_SJ_SK_mSL_SN_bEUlT_E_NS1_11comp_targetILNS1_3genE10ELNS1_11target_archE1200ELNS1_3gpuE4ELNS1_3repE0EEENS1_30default_config_static_selectorELNS0_4arch9wavefront6targetE1EEEvT1_.uses_flat_scratch, 0
	.set _ZN7rocprim17ROCPRIM_400000_NS6detail17trampoline_kernelINS0_14default_configENS1_25transform_config_selectorIiLb0EEEZNS1_14transform_implILb0ES3_S5_NS0_18transform_iteratorINS0_17counting_iteratorImlEEZNS1_24adjacent_difference_implIS3_Lb1ELb0EPiSB_N6thrust23THRUST_200600_302600_NS5minusIiEEEE10hipError_tPvRmT2_T3_mT4_P12ihipStream_tbEUlmE_iEESB_NS0_8identityIvEEEESG_SJ_SK_mSL_SN_bEUlT_E_NS1_11comp_targetILNS1_3genE10ELNS1_11target_archE1200ELNS1_3gpuE4ELNS1_3repE0EEENS1_30default_config_static_selectorELNS0_4arch9wavefront6targetE1EEEvT1_.has_dyn_sized_stack, 0
	.set _ZN7rocprim17ROCPRIM_400000_NS6detail17trampoline_kernelINS0_14default_configENS1_25transform_config_selectorIiLb0EEEZNS1_14transform_implILb0ES3_S5_NS0_18transform_iteratorINS0_17counting_iteratorImlEEZNS1_24adjacent_difference_implIS3_Lb1ELb0EPiSB_N6thrust23THRUST_200600_302600_NS5minusIiEEEE10hipError_tPvRmT2_T3_mT4_P12ihipStream_tbEUlmE_iEESB_NS0_8identityIvEEEESG_SJ_SK_mSL_SN_bEUlT_E_NS1_11comp_targetILNS1_3genE10ELNS1_11target_archE1200ELNS1_3gpuE4ELNS1_3repE0EEENS1_30default_config_static_selectorELNS0_4arch9wavefront6targetE1EEEvT1_.has_recursion, 0
	.set _ZN7rocprim17ROCPRIM_400000_NS6detail17trampoline_kernelINS0_14default_configENS1_25transform_config_selectorIiLb0EEEZNS1_14transform_implILb0ES3_S5_NS0_18transform_iteratorINS0_17counting_iteratorImlEEZNS1_24adjacent_difference_implIS3_Lb1ELb0EPiSB_N6thrust23THRUST_200600_302600_NS5minusIiEEEE10hipError_tPvRmT2_T3_mT4_P12ihipStream_tbEUlmE_iEESB_NS0_8identityIvEEEESG_SJ_SK_mSL_SN_bEUlT_E_NS1_11comp_targetILNS1_3genE10ELNS1_11target_archE1200ELNS1_3gpuE4ELNS1_3repE0EEENS1_30default_config_static_selectorELNS0_4arch9wavefront6targetE1EEEvT1_.has_indirect_call, 0
	.section	.AMDGPU.csdata,"",@progbits
; Kernel info:
; codeLenInByte = 0
; TotalNumSgprs: 4
; NumVgprs: 0
; ScratchSize: 0
; MemoryBound: 0
; FloatMode: 240
; IeeeMode: 1
; LDSByteSize: 0 bytes/workgroup (compile time only)
; SGPRBlocks: 0
; VGPRBlocks: 0
; NumSGPRsForWavesPerEU: 4
; NumVGPRsForWavesPerEU: 1
; Occupancy: 10
; WaveLimiterHint : 0
; COMPUTE_PGM_RSRC2:SCRATCH_EN: 0
; COMPUTE_PGM_RSRC2:USER_SGPR: 6
; COMPUTE_PGM_RSRC2:TRAP_HANDLER: 0
; COMPUTE_PGM_RSRC2:TGID_X_EN: 1
; COMPUTE_PGM_RSRC2:TGID_Y_EN: 0
; COMPUTE_PGM_RSRC2:TGID_Z_EN: 0
; COMPUTE_PGM_RSRC2:TIDIG_COMP_CNT: 0
	.section	.text._ZN7rocprim17ROCPRIM_400000_NS6detail17trampoline_kernelINS0_14default_configENS1_25transform_config_selectorIiLb0EEEZNS1_14transform_implILb0ES3_S5_NS0_18transform_iteratorINS0_17counting_iteratorImlEEZNS1_24adjacent_difference_implIS3_Lb1ELb0EPiSB_N6thrust23THRUST_200600_302600_NS5minusIiEEEE10hipError_tPvRmT2_T3_mT4_P12ihipStream_tbEUlmE_iEESB_NS0_8identityIvEEEESG_SJ_SK_mSL_SN_bEUlT_E_NS1_11comp_targetILNS1_3genE9ELNS1_11target_archE1100ELNS1_3gpuE3ELNS1_3repE0EEENS1_30default_config_static_selectorELNS0_4arch9wavefront6targetE1EEEvT1_,"axG",@progbits,_ZN7rocprim17ROCPRIM_400000_NS6detail17trampoline_kernelINS0_14default_configENS1_25transform_config_selectorIiLb0EEEZNS1_14transform_implILb0ES3_S5_NS0_18transform_iteratorINS0_17counting_iteratorImlEEZNS1_24adjacent_difference_implIS3_Lb1ELb0EPiSB_N6thrust23THRUST_200600_302600_NS5minusIiEEEE10hipError_tPvRmT2_T3_mT4_P12ihipStream_tbEUlmE_iEESB_NS0_8identityIvEEEESG_SJ_SK_mSL_SN_bEUlT_E_NS1_11comp_targetILNS1_3genE9ELNS1_11target_archE1100ELNS1_3gpuE3ELNS1_3repE0EEENS1_30default_config_static_selectorELNS0_4arch9wavefront6targetE1EEEvT1_,comdat
	.protected	_ZN7rocprim17ROCPRIM_400000_NS6detail17trampoline_kernelINS0_14default_configENS1_25transform_config_selectorIiLb0EEEZNS1_14transform_implILb0ES3_S5_NS0_18transform_iteratorINS0_17counting_iteratorImlEEZNS1_24adjacent_difference_implIS3_Lb1ELb0EPiSB_N6thrust23THRUST_200600_302600_NS5minusIiEEEE10hipError_tPvRmT2_T3_mT4_P12ihipStream_tbEUlmE_iEESB_NS0_8identityIvEEEESG_SJ_SK_mSL_SN_bEUlT_E_NS1_11comp_targetILNS1_3genE9ELNS1_11target_archE1100ELNS1_3gpuE3ELNS1_3repE0EEENS1_30default_config_static_selectorELNS0_4arch9wavefront6targetE1EEEvT1_ ; -- Begin function _ZN7rocprim17ROCPRIM_400000_NS6detail17trampoline_kernelINS0_14default_configENS1_25transform_config_selectorIiLb0EEEZNS1_14transform_implILb0ES3_S5_NS0_18transform_iteratorINS0_17counting_iteratorImlEEZNS1_24adjacent_difference_implIS3_Lb1ELb0EPiSB_N6thrust23THRUST_200600_302600_NS5minusIiEEEE10hipError_tPvRmT2_T3_mT4_P12ihipStream_tbEUlmE_iEESB_NS0_8identityIvEEEESG_SJ_SK_mSL_SN_bEUlT_E_NS1_11comp_targetILNS1_3genE9ELNS1_11target_archE1100ELNS1_3gpuE3ELNS1_3repE0EEENS1_30default_config_static_selectorELNS0_4arch9wavefront6targetE1EEEvT1_
	.globl	_ZN7rocprim17ROCPRIM_400000_NS6detail17trampoline_kernelINS0_14default_configENS1_25transform_config_selectorIiLb0EEEZNS1_14transform_implILb0ES3_S5_NS0_18transform_iteratorINS0_17counting_iteratorImlEEZNS1_24adjacent_difference_implIS3_Lb1ELb0EPiSB_N6thrust23THRUST_200600_302600_NS5minusIiEEEE10hipError_tPvRmT2_T3_mT4_P12ihipStream_tbEUlmE_iEESB_NS0_8identityIvEEEESG_SJ_SK_mSL_SN_bEUlT_E_NS1_11comp_targetILNS1_3genE9ELNS1_11target_archE1100ELNS1_3gpuE3ELNS1_3repE0EEENS1_30default_config_static_selectorELNS0_4arch9wavefront6targetE1EEEvT1_
	.p2align	8
	.type	_ZN7rocprim17ROCPRIM_400000_NS6detail17trampoline_kernelINS0_14default_configENS1_25transform_config_selectorIiLb0EEEZNS1_14transform_implILb0ES3_S5_NS0_18transform_iteratorINS0_17counting_iteratorImlEEZNS1_24adjacent_difference_implIS3_Lb1ELb0EPiSB_N6thrust23THRUST_200600_302600_NS5minusIiEEEE10hipError_tPvRmT2_T3_mT4_P12ihipStream_tbEUlmE_iEESB_NS0_8identityIvEEEESG_SJ_SK_mSL_SN_bEUlT_E_NS1_11comp_targetILNS1_3genE9ELNS1_11target_archE1100ELNS1_3gpuE3ELNS1_3repE0EEENS1_30default_config_static_selectorELNS0_4arch9wavefront6targetE1EEEvT1_,@function
_ZN7rocprim17ROCPRIM_400000_NS6detail17trampoline_kernelINS0_14default_configENS1_25transform_config_selectorIiLb0EEEZNS1_14transform_implILb0ES3_S5_NS0_18transform_iteratorINS0_17counting_iteratorImlEEZNS1_24adjacent_difference_implIS3_Lb1ELb0EPiSB_N6thrust23THRUST_200600_302600_NS5minusIiEEEE10hipError_tPvRmT2_T3_mT4_P12ihipStream_tbEUlmE_iEESB_NS0_8identityIvEEEESG_SJ_SK_mSL_SN_bEUlT_E_NS1_11comp_targetILNS1_3genE9ELNS1_11target_archE1100ELNS1_3gpuE3ELNS1_3repE0EEENS1_30default_config_static_selectorELNS0_4arch9wavefront6targetE1EEEvT1_: ; @_ZN7rocprim17ROCPRIM_400000_NS6detail17trampoline_kernelINS0_14default_configENS1_25transform_config_selectorIiLb0EEEZNS1_14transform_implILb0ES3_S5_NS0_18transform_iteratorINS0_17counting_iteratorImlEEZNS1_24adjacent_difference_implIS3_Lb1ELb0EPiSB_N6thrust23THRUST_200600_302600_NS5minusIiEEEE10hipError_tPvRmT2_T3_mT4_P12ihipStream_tbEUlmE_iEESB_NS0_8identityIvEEEESG_SJ_SK_mSL_SN_bEUlT_E_NS1_11comp_targetILNS1_3genE9ELNS1_11target_archE1100ELNS1_3gpuE3ELNS1_3repE0EEENS1_30default_config_static_selectorELNS0_4arch9wavefront6targetE1EEEvT1_
; %bb.0:
	.section	.rodata,"a",@progbits
	.p2align	6, 0x0
	.amdhsa_kernel _ZN7rocprim17ROCPRIM_400000_NS6detail17trampoline_kernelINS0_14default_configENS1_25transform_config_selectorIiLb0EEEZNS1_14transform_implILb0ES3_S5_NS0_18transform_iteratorINS0_17counting_iteratorImlEEZNS1_24adjacent_difference_implIS3_Lb1ELb0EPiSB_N6thrust23THRUST_200600_302600_NS5minusIiEEEE10hipError_tPvRmT2_T3_mT4_P12ihipStream_tbEUlmE_iEESB_NS0_8identityIvEEEESG_SJ_SK_mSL_SN_bEUlT_E_NS1_11comp_targetILNS1_3genE9ELNS1_11target_archE1100ELNS1_3gpuE3ELNS1_3repE0EEENS1_30default_config_static_selectorELNS0_4arch9wavefront6targetE1EEEvT1_
		.amdhsa_group_segment_fixed_size 0
		.amdhsa_private_segment_fixed_size 0
		.amdhsa_kernarg_size 56
		.amdhsa_user_sgpr_count 6
		.amdhsa_user_sgpr_private_segment_buffer 1
		.amdhsa_user_sgpr_dispatch_ptr 0
		.amdhsa_user_sgpr_queue_ptr 0
		.amdhsa_user_sgpr_kernarg_segment_ptr 1
		.amdhsa_user_sgpr_dispatch_id 0
		.amdhsa_user_sgpr_flat_scratch_init 0
		.amdhsa_user_sgpr_private_segment_size 0
		.amdhsa_uses_dynamic_stack 0
		.amdhsa_system_sgpr_private_segment_wavefront_offset 0
		.amdhsa_system_sgpr_workgroup_id_x 1
		.amdhsa_system_sgpr_workgroup_id_y 0
		.amdhsa_system_sgpr_workgroup_id_z 0
		.amdhsa_system_sgpr_workgroup_info 0
		.amdhsa_system_vgpr_workitem_id 0
		.amdhsa_next_free_vgpr 1
		.amdhsa_next_free_sgpr 0
		.amdhsa_reserve_vcc 0
		.amdhsa_reserve_flat_scratch 0
		.amdhsa_float_round_mode_32 0
		.amdhsa_float_round_mode_16_64 0
		.amdhsa_float_denorm_mode_32 3
		.amdhsa_float_denorm_mode_16_64 3
		.amdhsa_dx10_clamp 1
		.amdhsa_ieee_mode 1
		.amdhsa_fp16_overflow 0
		.amdhsa_exception_fp_ieee_invalid_op 0
		.amdhsa_exception_fp_denorm_src 0
		.amdhsa_exception_fp_ieee_div_zero 0
		.amdhsa_exception_fp_ieee_overflow 0
		.amdhsa_exception_fp_ieee_underflow 0
		.amdhsa_exception_fp_ieee_inexact 0
		.amdhsa_exception_int_div_zero 0
	.end_amdhsa_kernel
	.section	.text._ZN7rocprim17ROCPRIM_400000_NS6detail17trampoline_kernelINS0_14default_configENS1_25transform_config_selectorIiLb0EEEZNS1_14transform_implILb0ES3_S5_NS0_18transform_iteratorINS0_17counting_iteratorImlEEZNS1_24adjacent_difference_implIS3_Lb1ELb0EPiSB_N6thrust23THRUST_200600_302600_NS5minusIiEEEE10hipError_tPvRmT2_T3_mT4_P12ihipStream_tbEUlmE_iEESB_NS0_8identityIvEEEESG_SJ_SK_mSL_SN_bEUlT_E_NS1_11comp_targetILNS1_3genE9ELNS1_11target_archE1100ELNS1_3gpuE3ELNS1_3repE0EEENS1_30default_config_static_selectorELNS0_4arch9wavefront6targetE1EEEvT1_,"axG",@progbits,_ZN7rocprim17ROCPRIM_400000_NS6detail17trampoline_kernelINS0_14default_configENS1_25transform_config_selectorIiLb0EEEZNS1_14transform_implILb0ES3_S5_NS0_18transform_iteratorINS0_17counting_iteratorImlEEZNS1_24adjacent_difference_implIS3_Lb1ELb0EPiSB_N6thrust23THRUST_200600_302600_NS5minusIiEEEE10hipError_tPvRmT2_T3_mT4_P12ihipStream_tbEUlmE_iEESB_NS0_8identityIvEEEESG_SJ_SK_mSL_SN_bEUlT_E_NS1_11comp_targetILNS1_3genE9ELNS1_11target_archE1100ELNS1_3gpuE3ELNS1_3repE0EEENS1_30default_config_static_selectorELNS0_4arch9wavefront6targetE1EEEvT1_,comdat
.Lfunc_end322:
	.size	_ZN7rocprim17ROCPRIM_400000_NS6detail17trampoline_kernelINS0_14default_configENS1_25transform_config_selectorIiLb0EEEZNS1_14transform_implILb0ES3_S5_NS0_18transform_iteratorINS0_17counting_iteratorImlEEZNS1_24adjacent_difference_implIS3_Lb1ELb0EPiSB_N6thrust23THRUST_200600_302600_NS5minusIiEEEE10hipError_tPvRmT2_T3_mT4_P12ihipStream_tbEUlmE_iEESB_NS0_8identityIvEEEESG_SJ_SK_mSL_SN_bEUlT_E_NS1_11comp_targetILNS1_3genE9ELNS1_11target_archE1100ELNS1_3gpuE3ELNS1_3repE0EEENS1_30default_config_static_selectorELNS0_4arch9wavefront6targetE1EEEvT1_, .Lfunc_end322-_ZN7rocprim17ROCPRIM_400000_NS6detail17trampoline_kernelINS0_14default_configENS1_25transform_config_selectorIiLb0EEEZNS1_14transform_implILb0ES3_S5_NS0_18transform_iteratorINS0_17counting_iteratorImlEEZNS1_24adjacent_difference_implIS3_Lb1ELb0EPiSB_N6thrust23THRUST_200600_302600_NS5minusIiEEEE10hipError_tPvRmT2_T3_mT4_P12ihipStream_tbEUlmE_iEESB_NS0_8identityIvEEEESG_SJ_SK_mSL_SN_bEUlT_E_NS1_11comp_targetILNS1_3genE9ELNS1_11target_archE1100ELNS1_3gpuE3ELNS1_3repE0EEENS1_30default_config_static_selectorELNS0_4arch9wavefront6targetE1EEEvT1_
                                        ; -- End function
	.set _ZN7rocprim17ROCPRIM_400000_NS6detail17trampoline_kernelINS0_14default_configENS1_25transform_config_selectorIiLb0EEEZNS1_14transform_implILb0ES3_S5_NS0_18transform_iteratorINS0_17counting_iteratorImlEEZNS1_24adjacent_difference_implIS3_Lb1ELb0EPiSB_N6thrust23THRUST_200600_302600_NS5minusIiEEEE10hipError_tPvRmT2_T3_mT4_P12ihipStream_tbEUlmE_iEESB_NS0_8identityIvEEEESG_SJ_SK_mSL_SN_bEUlT_E_NS1_11comp_targetILNS1_3genE9ELNS1_11target_archE1100ELNS1_3gpuE3ELNS1_3repE0EEENS1_30default_config_static_selectorELNS0_4arch9wavefront6targetE1EEEvT1_.num_vgpr, 0
	.set _ZN7rocprim17ROCPRIM_400000_NS6detail17trampoline_kernelINS0_14default_configENS1_25transform_config_selectorIiLb0EEEZNS1_14transform_implILb0ES3_S5_NS0_18transform_iteratorINS0_17counting_iteratorImlEEZNS1_24adjacent_difference_implIS3_Lb1ELb0EPiSB_N6thrust23THRUST_200600_302600_NS5minusIiEEEE10hipError_tPvRmT2_T3_mT4_P12ihipStream_tbEUlmE_iEESB_NS0_8identityIvEEEESG_SJ_SK_mSL_SN_bEUlT_E_NS1_11comp_targetILNS1_3genE9ELNS1_11target_archE1100ELNS1_3gpuE3ELNS1_3repE0EEENS1_30default_config_static_selectorELNS0_4arch9wavefront6targetE1EEEvT1_.num_agpr, 0
	.set _ZN7rocprim17ROCPRIM_400000_NS6detail17trampoline_kernelINS0_14default_configENS1_25transform_config_selectorIiLb0EEEZNS1_14transform_implILb0ES3_S5_NS0_18transform_iteratorINS0_17counting_iteratorImlEEZNS1_24adjacent_difference_implIS3_Lb1ELb0EPiSB_N6thrust23THRUST_200600_302600_NS5minusIiEEEE10hipError_tPvRmT2_T3_mT4_P12ihipStream_tbEUlmE_iEESB_NS0_8identityIvEEEESG_SJ_SK_mSL_SN_bEUlT_E_NS1_11comp_targetILNS1_3genE9ELNS1_11target_archE1100ELNS1_3gpuE3ELNS1_3repE0EEENS1_30default_config_static_selectorELNS0_4arch9wavefront6targetE1EEEvT1_.numbered_sgpr, 0
	.set _ZN7rocprim17ROCPRIM_400000_NS6detail17trampoline_kernelINS0_14default_configENS1_25transform_config_selectorIiLb0EEEZNS1_14transform_implILb0ES3_S5_NS0_18transform_iteratorINS0_17counting_iteratorImlEEZNS1_24adjacent_difference_implIS3_Lb1ELb0EPiSB_N6thrust23THRUST_200600_302600_NS5minusIiEEEE10hipError_tPvRmT2_T3_mT4_P12ihipStream_tbEUlmE_iEESB_NS0_8identityIvEEEESG_SJ_SK_mSL_SN_bEUlT_E_NS1_11comp_targetILNS1_3genE9ELNS1_11target_archE1100ELNS1_3gpuE3ELNS1_3repE0EEENS1_30default_config_static_selectorELNS0_4arch9wavefront6targetE1EEEvT1_.num_named_barrier, 0
	.set _ZN7rocprim17ROCPRIM_400000_NS6detail17trampoline_kernelINS0_14default_configENS1_25transform_config_selectorIiLb0EEEZNS1_14transform_implILb0ES3_S5_NS0_18transform_iteratorINS0_17counting_iteratorImlEEZNS1_24adjacent_difference_implIS3_Lb1ELb0EPiSB_N6thrust23THRUST_200600_302600_NS5minusIiEEEE10hipError_tPvRmT2_T3_mT4_P12ihipStream_tbEUlmE_iEESB_NS0_8identityIvEEEESG_SJ_SK_mSL_SN_bEUlT_E_NS1_11comp_targetILNS1_3genE9ELNS1_11target_archE1100ELNS1_3gpuE3ELNS1_3repE0EEENS1_30default_config_static_selectorELNS0_4arch9wavefront6targetE1EEEvT1_.private_seg_size, 0
	.set _ZN7rocprim17ROCPRIM_400000_NS6detail17trampoline_kernelINS0_14default_configENS1_25transform_config_selectorIiLb0EEEZNS1_14transform_implILb0ES3_S5_NS0_18transform_iteratorINS0_17counting_iteratorImlEEZNS1_24adjacent_difference_implIS3_Lb1ELb0EPiSB_N6thrust23THRUST_200600_302600_NS5minusIiEEEE10hipError_tPvRmT2_T3_mT4_P12ihipStream_tbEUlmE_iEESB_NS0_8identityIvEEEESG_SJ_SK_mSL_SN_bEUlT_E_NS1_11comp_targetILNS1_3genE9ELNS1_11target_archE1100ELNS1_3gpuE3ELNS1_3repE0EEENS1_30default_config_static_selectorELNS0_4arch9wavefront6targetE1EEEvT1_.uses_vcc, 0
	.set _ZN7rocprim17ROCPRIM_400000_NS6detail17trampoline_kernelINS0_14default_configENS1_25transform_config_selectorIiLb0EEEZNS1_14transform_implILb0ES3_S5_NS0_18transform_iteratorINS0_17counting_iteratorImlEEZNS1_24adjacent_difference_implIS3_Lb1ELb0EPiSB_N6thrust23THRUST_200600_302600_NS5minusIiEEEE10hipError_tPvRmT2_T3_mT4_P12ihipStream_tbEUlmE_iEESB_NS0_8identityIvEEEESG_SJ_SK_mSL_SN_bEUlT_E_NS1_11comp_targetILNS1_3genE9ELNS1_11target_archE1100ELNS1_3gpuE3ELNS1_3repE0EEENS1_30default_config_static_selectorELNS0_4arch9wavefront6targetE1EEEvT1_.uses_flat_scratch, 0
	.set _ZN7rocprim17ROCPRIM_400000_NS6detail17trampoline_kernelINS0_14default_configENS1_25transform_config_selectorIiLb0EEEZNS1_14transform_implILb0ES3_S5_NS0_18transform_iteratorINS0_17counting_iteratorImlEEZNS1_24adjacent_difference_implIS3_Lb1ELb0EPiSB_N6thrust23THRUST_200600_302600_NS5minusIiEEEE10hipError_tPvRmT2_T3_mT4_P12ihipStream_tbEUlmE_iEESB_NS0_8identityIvEEEESG_SJ_SK_mSL_SN_bEUlT_E_NS1_11comp_targetILNS1_3genE9ELNS1_11target_archE1100ELNS1_3gpuE3ELNS1_3repE0EEENS1_30default_config_static_selectorELNS0_4arch9wavefront6targetE1EEEvT1_.has_dyn_sized_stack, 0
	.set _ZN7rocprim17ROCPRIM_400000_NS6detail17trampoline_kernelINS0_14default_configENS1_25transform_config_selectorIiLb0EEEZNS1_14transform_implILb0ES3_S5_NS0_18transform_iteratorINS0_17counting_iteratorImlEEZNS1_24adjacent_difference_implIS3_Lb1ELb0EPiSB_N6thrust23THRUST_200600_302600_NS5minusIiEEEE10hipError_tPvRmT2_T3_mT4_P12ihipStream_tbEUlmE_iEESB_NS0_8identityIvEEEESG_SJ_SK_mSL_SN_bEUlT_E_NS1_11comp_targetILNS1_3genE9ELNS1_11target_archE1100ELNS1_3gpuE3ELNS1_3repE0EEENS1_30default_config_static_selectorELNS0_4arch9wavefront6targetE1EEEvT1_.has_recursion, 0
	.set _ZN7rocprim17ROCPRIM_400000_NS6detail17trampoline_kernelINS0_14default_configENS1_25transform_config_selectorIiLb0EEEZNS1_14transform_implILb0ES3_S5_NS0_18transform_iteratorINS0_17counting_iteratorImlEEZNS1_24adjacent_difference_implIS3_Lb1ELb0EPiSB_N6thrust23THRUST_200600_302600_NS5minusIiEEEE10hipError_tPvRmT2_T3_mT4_P12ihipStream_tbEUlmE_iEESB_NS0_8identityIvEEEESG_SJ_SK_mSL_SN_bEUlT_E_NS1_11comp_targetILNS1_3genE9ELNS1_11target_archE1100ELNS1_3gpuE3ELNS1_3repE0EEENS1_30default_config_static_selectorELNS0_4arch9wavefront6targetE1EEEvT1_.has_indirect_call, 0
	.section	.AMDGPU.csdata,"",@progbits
; Kernel info:
; codeLenInByte = 0
; TotalNumSgprs: 4
; NumVgprs: 0
; ScratchSize: 0
; MemoryBound: 0
; FloatMode: 240
; IeeeMode: 1
; LDSByteSize: 0 bytes/workgroup (compile time only)
; SGPRBlocks: 0
; VGPRBlocks: 0
; NumSGPRsForWavesPerEU: 4
; NumVGPRsForWavesPerEU: 1
; Occupancy: 10
; WaveLimiterHint : 0
; COMPUTE_PGM_RSRC2:SCRATCH_EN: 0
; COMPUTE_PGM_RSRC2:USER_SGPR: 6
; COMPUTE_PGM_RSRC2:TRAP_HANDLER: 0
; COMPUTE_PGM_RSRC2:TGID_X_EN: 1
; COMPUTE_PGM_RSRC2:TGID_Y_EN: 0
; COMPUTE_PGM_RSRC2:TGID_Z_EN: 0
; COMPUTE_PGM_RSRC2:TIDIG_COMP_CNT: 0
	.section	.text._ZN7rocprim17ROCPRIM_400000_NS6detail17trampoline_kernelINS0_14default_configENS1_25transform_config_selectorIiLb0EEEZNS1_14transform_implILb0ES3_S5_NS0_18transform_iteratorINS0_17counting_iteratorImlEEZNS1_24adjacent_difference_implIS3_Lb1ELb0EPiSB_N6thrust23THRUST_200600_302600_NS5minusIiEEEE10hipError_tPvRmT2_T3_mT4_P12ihipStream_tbEUlmE_iEESB_NS0_8identityIvEEEESG_SJ_SK_mSL_SN_bEUlT_E_NS1_11comp_targetILNS1_3genE8ELNS1_11target_archE1030ELNS1_3gpuE2ELNS1_3repE0EEENS1_30default_config_static_selectorELNS0_4arch9wavefront6targetE1EEEvT1_,"axG",@progbits,_ZN7rocprim17ROCPRIM_400000_NS6detail17trampoline_kernelINS0_14default_configENS1_25transform_config_selectorIiLb0EEEZNS1_14transform_implILb0ES3_S5_NS0_18transform_iteratorINS0_17counting_iteratorImlEEZNS1_24adjacent_difference_implIS3_Lb1ELb0EPiSB_N6thrust23THRUST_200600_302600_NS5minusIiEEEE10hipError_tPvRmT2_T3_mT4_P12ihipStream_tbEUlmE_iEESB_NS0_8identityIvEEEESG_SJ_SK_mSL_SN_bEUlT_E_NS1_11comp_targetILNS1_3genE8ELNS1_11target_archE1030ELNS1_3gpuE2ELNS1_3repE0EEENS1_30default_config_static_selectorELNS0_4arch9wavefront6targetE1EEEvT1_,comdat
	.protected	_ZN7rocprim17ROCPRIM_400000_NS6detail17trampoline_kernelINS0_14default_configENS1_25transform_config_selectorIiLb0EEEZNS1_14transform_implILb0ES3_S5_NS0_18transform_iteratorINS0_17counting_iteratorImlEEZNS1_24adjacent_difference_implIS3_Lb1ELb0EPiSB_N6thrust23THRUST_200600_302600_NS5minusIiEEEE10hipError_tPvRmT2_T3_mT4_P12ihipStream_tbEUlmE_iEESB_NS0_8identityIvEEEESG_SJ_SK_mSL_SN_bEUlT_E_NS1_11comp_targetILNS1_3genE8ELNS1_11target_archE1030ELNS1_3gpuE2ELNS1_3repE0EEENS1_30default_config_static_selectorELNS0_4arch9wavefront6targetE1EEEvT1_ ; -- Begin function _ZN7rocprim17ROCPRIM_400000_NS6detail17trampoline_kernelINS0_14default_configENS1_25transform_config_selectorIiLb0EEEZNS1_14transform_implILb0ES3_S5_NS0_18transform_iteratorINS0_17counting_iteratorImlEEZNS1_24adjacent_difference_implIS3_Lb1ELb0EPiSB_N6thrust23THRUST_200600_302600_NS5minusIiEEEE10hipError_tPvRmT2_T3_mT4_P12ihipStream_tbEUlmE_iEESB_NS0_8identityIvEEEESG_SJ_SK_mSL_SN_bEUlT_E_NS1_11comp_targetILNS1_3genE8ELNS1_11target_archE1030ELNS1_3gpuE2ELNS1_3repE0EEENS1_30default_config_static_selectorELNS0_4arch9wavefront6targetE1EEEvT1_
	.globl	_ZN7rocprim17ROCPRIM_400000_NS6detail17trampoline_kernelINS0_14default_configENS1_25transform_config_selectorIiLb0EEEZNS1_14transform_implILb0ES3_S5_NS0_18transform_iteratorINS0_17counting_iteratorImlEEZNS1_24adjacent_difference_implIS3_Lb1ELb0EPiSB_N6thrust23THRUST_200600_302600_NS5minusIiEEEE10hipError_tPvRmT2_T3_mT4_P12ihipStream_tbEUlmE_iEESB_NS0_8identityIvEEEESG_SJ_SK_mSL_SN_bEUlT_E_NS1_11comp_targetILNS1_3genE8ELNS1_11target_archE1030ELNS1_3gpuE2ELNS1_3repE0EEENS1_30default_config_static_selectorELNS0_4arch9wavefront6targetE1EEEvT1_
	.p2align	8
	.type	_ZN7rocprim17ROCPRIM_400000_NS6detail17trampoline_kernelINS0_14default_configENS1_25transform_config_selectorIiLb0EEEZNS1_14transform_implILb0ES3_S5_NS0_18transform_iteratorINS0_17counting_iteratorImlEEZNS1_24adjacent_difference_implIS3_Lb1ELb0EPiSB_N6thrust23THRUST_200600_302600_NS5minusIiEEEE10hipError_tPvRmT2_T3_mT4_P12ihipStream_tbEUlmE_iEESB_NS0_8identityIvEEEESG_SJ_SK_mSL_SN_bEUlT_E_NS1_11comp_targetILNS1_3genE8ELNS1_11target_archE1030ELNS1_3gpuE2ELNS1_3repE0EEENS1_30default_config_static_selectorELNS0_4arch9wavefront6targetE1EEEvT1_,@function
_ZN7rocprim17ROCPRIM_400000_NS6detail17trampoline_kernelINS0_14default_configENS1_25transform_config_selectorIiLb0EEEZNS1_14transform_implILb0ES3_S5_NS0_18transform_iteratorINS0_17counting_iteratorImlEEZNS1_24adjacent_difference_implIS3_Lb1ELb0EPiSB_N6thrust23THRUST_200600_302600_NS5minusIiEEEE10hipError_tPvRmT2_T3_mT4_P12ihipStream_tbEUlmE_iEESB_NS0_8identityIvEEEESG_SJ_SK_mSL_SN_bEUlT_E_NS1_11comp_targetILNS1_3genE8ELNS1_11target_archE1030ELNS1_3gpuE2ELNS1_3repE0EEENS1_30default_config_static_selectorELNS0_4arch9wavefront6targetE1EEEvT1_: ; @_ZN7rocprim17ROCPRIM_400000_NS6detail17trampoline_kernelINS0_14default_configENS1_25transform_config_selectorIiLb0EEEZNS1_14transform_implILb0ES3_S5_NS0_18transform_iteratorINS0_17counting_iteratorImlEEZNS1_24adjacent_difference_implIS3_Lb1ELb0EPiSB_N6thrust23THRUST_200600_302600_NS5minusIiEEEE10hipError_tPvRmT2_T3_mT4_P12ihipStream_tbEUlmE_iEESB_NS0_8identityIvEEEESG_SJ_SK_mSL_SN_bEUlT_E_NS1_11comp_targetILNS1_3genE8ELNS1_11target_archE1030ELNS1_3gpuE2ELNS1_3repE0EEENS1_30default_config_static_selectorELNS0_4arch9wavefront6targetE1EEEvT1_
; %bb.0:
	.section	.rodata,"a",@progbits
	.p2align	6, 0x0
	.amdhsa_kernel _ZN7rocprim17ROCPRIM_400000_NS6detail17trampoline_kernelINS0_14default_configENS1_25transform_config_selectorIiLb0EEEZNS1_14transform_implILb0ES3_S5_NS0_18transform_iteratorINS0_17counting_iteratorImlEEZNS1_24adjacent_difference_implIS3_Lb1ELb0EPiSB_N6thrust23THRUST_200600_302600_NS5minusIiEEEE10hipError_tPvRmT2_T3_mT4_P12ihipStream_tbEUlmE_iEESB_NS0_8identityIvEEEESG_SJ_SK_mSL_SN_bEUlT_E_NS1_11comp_targetILNS1_3genE8ELNS1_11target_archE1030ELNS1_3gpuE2ELNS1_3repE0EEENS1_30default_config_static_selectorELNS0_4arch9wavefront6targetE1EEEvT1_
		.amdhsa_group_segment_fixed_size 0
		.amdhsa_private_segment_fixed_size 0
		.amdhsa_kernarg_size 56
		.amdhsa_user_sgpr_count 6
		.amdhsa_user_sgpr_private_segment_buffer 1
		.amdhsa_user_sgpr_dispatch_ptr 0
		.amdhsa_user_sgpr_queue_ptr 0
		.amdhsa_user_sgpr_kernarg_segment_ptr 1
		.amdhsa_user_sgpr_dispatch_id 0
		.amdhsa_user_sgpr_flat_scratch_init 0
		.amdhsa_user_sgpr_private_segment_size 0
		.amdhsa_uses_dynamic_stack 0
		.amdhsa_system_sgpr_private_segment_wavefront_offset 0
		.amdhsa_system_sgpr_workgroup_id_x 1
		.amdhsa_system_sgpr_workgroup_id_y 0
		.amdhsa_system_sgpr_workgroup_id_z 0
		.amdhsa_system_sgpr_workgroup_info 0
		.amdhsa_system_vgpr_workitem_id 0
		.amdhsa_next_free_vgpr 1
		.amdhsa_next_free_sgpr 0
		.amdhsa_reserve_vcc 0
		.amdhsa_reserve_flat_scratch 0
		.amdhsa_float_round_mode_32 0
		.amdhsa_float_round_mode_16_64 0
		.amdhsa_float_denorm_mode_32 3
		.amdhsa_float_denorm_mode_16_64 3
		.amdhsa_dx10_clamp 1
		.amdhsa_ieee_mode 1
		.amdhsa_fp16_overflow 0
		.amdhsa_exception_fp_ieee_invalid_op 0
		.amdhsa_exception_fp_denorm_src 0
		.amdhsa_exception_fp_ieee_div_zero 0
		.amdhsa_exception_fp_ieee_overflow 0
		.amdhsa_exception_fp_ieee_underflow 0
		.amdhsa_exception_fp_ieee_inexact 0
		.amdhsa_exception_int_div_zero 0
	.end_amdhsa_kernel
	.section	.text._ZN7rocprim17ROCPRIM_400000_NS6detail17trampoline_kernelINS0_14default_configENS1_25transform_config_selectorIiLb0EEEZNS1_14transform_implILb0ES3_S5_NS0_18transform_iteratorINS0_17counting_iteratorImlEEZNS1_24adjacent_difference_implIS3_Lb1ELb0EPiSB_N6thrust23THRUST_200600_302600_NS5minusIiEEEE10hipError_tPvRmT2_T3_mT4_P12ihipStream_tbEUlmE_iEESB_NS0_8identityIvEEEESG_SJ_SK_mSL_SN_bEUlT_E_NS1_11comp_targetILNS1_3genE8ELNS1_11target_archE1030ELNS1_3gpuE2ELNS1_3repE0EEENS1_30default_config_static_selectorELNS0_4arch9wavefront6targetE1EEEvT1_,"axG",@progbits,_ZN7rocprim17ROCPRIM_400000_NS6detail17trampoline_kernelINS0_14default_configENS1_25transform_config_selectorIiLb0EEEZNS1_14transform_implILb0ES3_S5_NS0_18transform_iteratorINS0_17counting_iteratorImlEEZNS1_24adjacent_difference_implIS3_Lb1ELb0EPiSB_N6thrust23THRUST_200600_302600_NS5minusIiEEEE10hipError_tPvRmT2_T3_mT4_P12ihipStream_tbEUlmE_iEESB_NS0_8identityIvEEEESG_SJ_SK_mSL_SN_bEUlT_E_NS1_11comp_targetILNS1_3genE8ELNS1_11target_archE1030ELNS1_3gpuE2ELNS1_3repE0EEENS1_30default_config_static_selectorELNS0_4arch9wavefront6targetE1EEEvT1_,comdat
.Lfunc_end323:
	.size	_ZN7rocprim17ROCPRIM_400000_NS6detail17trampoline_kernelINS0_14default_configENS1_25transform_config_selectorIiLb0EEEZNS1_14transform_implILb0ES3_S5_NS0_18transform_iteratorINS0_17counting_iteratorImlEEZNS1_24adjacent_difference_implIS3_Lb1ELb0EPiSB_N6thrust23THRUST_200600_302600_NS5minusIiEEEE10hipError_tPvRmT2_T3_mT4_P12ihipStream_tbEUlmE_iEESB_NS0_8identityIvEEEESG_SJ_SK_mSL_SN_bEUlT_E_NS1_11comp_targetILNS1_3genE8ELNS1_11target_archE1030ELNS1_3gpuE2ELNS1_3repE0EEENS1_30default_config_static_selectorELNS0_4arch9wavefront6targetE1EEEvT1_, .Lfunc_end323-_ZN7rocprim17ROCPRIM_400000_NS6detail17trampoline_kernelINS0_14default_configENS1_25transform_config_selectorIiLb0EEEZNS1_14transform_implILb0ES3_S5_NS0_18transform_iteratorINS0_17counting_iteratorImlEEZNS1_24adjacent_difference_implIS3_Lb1ELb0EPiSB_N6thrust23THRUST_200600_302600_NS5minusIiEEEE10hipError_tPvRmT2_T3_mT4_P12ihipStream_tbEUlmE_iEESB_NS0_8identityIvEEEESG_SJ_SK_mSL_SN_bEUlT_E_NS1_11comp_targetILNS1_3genE8ELNS1_11target_archE1030ELNS1_3gpuE2ELNS1_3repE0EEENS1_30default_config_static_selectorELNS0_4arch9wavefront6targetE1EEEvT1_
                                        ; -- End function
	.set _ZN7rocprim17ROCPRIM_400000_NS6detail17trampoline_kernelINS0_14default_configENS1_25transform_config_selectorIiLb0EEEZNS1_14transform_implILb0ES3_S5_NS0_18transform_iteratorINS0_17counting_iteratorImlEEZNS1_24adjacent_difference_implIS3_Lb1ELb0EPiSB_N6thrust23THRUST_200600_302600_NS5minusIiEEEE10hipError_tPvRmT2_T3_mT4_P12ihipStream_tbEUlmE_iEESB_NS0_8identityIvEEEESG_SJ_SK_mSL_SN_bEUlT_E_NS1_11comp_targetILNS1_3genE8ELNS1_11target_archE1030ELNS1_3gpuE2ELNS1_3repE0EEENS1_30default_config_static_selectorELNS0_4arch9wavefront6targetE1EEEvT1_.num_vgpr, 0
	.set _ZN7rocprim17ROCPRIM_400000_NS6detail17trampoline_kernelINS0_14default_configENS1_25transform_config_selectorIiLb0EEEZNS1_14transform_implILb0ES3_S5_NS0_18transform_iteratorINS0_17counting_iteratorImlEEZNS1_24adjacent_difference_implIS3_Lb1ELb0EPiSB_N6thrust23THRUST_200600_302600_NS5minusIiEEEE10hipError_tPvRmT2_T3_mT4_P12ihipStream_tbEUlmE_iEESB_NS0_8identityIvEEEESG_SJ_SK_mSL_SN_bEUlT_E_NS1_11comp_targetILNS1_3genE8ELNS1_11target_archE1030ELNS1_3gpuE2ELNS1_3repE0EEENS1_30default_config_static_selectorELNS0_4arch9wavefront6targetE1EEEvT1_.num_agpr, 0
	.set _ZN7rocprim17ROCPRIM_400000_NS6detail17trampoline_kernelINS0_14default_configENS1_25transform_config_selectorIiLb0EEEZNS1_14transform_implILb0ES3_S5_NS0_18transform_iteratorINS0_17counting_iteratorImlEEZNS1_24adjacent_difference_implIS3_Lb1ELb0EPiSB_N6thrust23THRUST_200600_302600_NS5minusIiEEEE10hipError_tPvRmT2_T3_mT4_P12ihipStream_tbEUlmE_iEESB_NS0_8identityIvEEEESG_SJ_SK_mSL_SN_bEUlT_E_NS1_11comp_targetILNS1_3genE8ELNS1_11target_archE1030ELNS1_3gpuE2ELNS1_3repE0EEENS1_30default_config_static_selectorELNS0_4arch9wavefront6targetE1EEEvT1_.numbered_sgpr, 0
	.set _ZN7rocprim17ROCPRIM_400000_NS6detail17trampoline_kernelINS0_14default_configENS1_25transform_config_selectorIiLb0EEEZNS1_14transform_implILb0ES3_S5_NS0_18transform_iteratorINS0_17counting_iteratorImlEEZNS1_24adjacent_difference_implIS3_Lb1ELb0EPiSB_N6thrust23THRUST_200600_302600_NS5minusIiEEEE10hipError_tPvRmT2_T3_mT4_P12ihipStream_tbEUlmE_iEESB_NS0_8identityIvEEEESG_SJ_SK_mSL_SN_bEUlT_E_NS1_11comp_targetILNS1_3genE8ELNS1_11target_archE1030ELNS1_3gpuE2ELNS1_3repE0EEENS1_30default_config_static_selectorELNS0_4arch9wavefront6targetE1EEEvT1_.num_named_barrier, 0
	.set _ZN7rocprim17ROCPRIM_400000_NS6detail17trampoline_kernelINS0_14default_configENS1_25transform_config_selectorIiLb0EEEZNS1_14transform_implILb0ES3_S5_NS0_18transform_iteratorINS0_17counting_iteratorImlEEZNS1_24adjacent_difference_implIS3_Lb1ELb0EPiSB_N6thrust23THRUST_200600_302600_NS5minusIiEEEE10hipError_tPvRmT2_T3_mT4_P12ihipStream_tbEUlmE_iEESB_NS0_8identityIvEEEESG_SJ_SK_mSL_SN_bEUlT_E_NS1_11comp_targetILNS1_3genE8ELNS1_11target_archE1030ELNS1_3gpuE2ELNS1_3repE0EEENS1_30default_config_static_selectorELNS0_4arch9wavefront6targetE1EEEvT1_.private_seg_size, 0
	.set _ZN7rocprim17ROCPRIM_400000_NS6detail17trampoline_kernelINS0_14default_configENS1_25transform_config_selectorIiLb0EEEZNS1_14transform_implILb0ES3_S5_NS0_18transform_iteratorINS0_17counting_iteratorImlEEZNS1_24adjacent_difference_implIS3_Lb1ELb0EPiSB_N6thrust23THRUST_200600_302600_NS5minusIiEEEE10hipError_tPvRmT2_T3_mT4_P12ihipStream_tbEUlmE_iEESB_NS0_8identityIvEEEESG_SJ_SK_mSL_SN_bEUlT_E_NS1_11comp_targetILNS1_3genE8ELNS1_11target_archE1030ELNS1_3gpuE2ELNS1_3repE0EEENS1_30default_config_static_selectorELNS0_4arch9wavefront6targetE1EEEvT1_.uses_vcc, 0
	.set _ZN7rocprim17ROCPRIM_400000_NS6detail17trampoline_kernelINS0_14default_configENS1_25transform_config_selectorIiLb0EEEZNS1_14transform_implILb0ES3_S5_NS0_18transform_iteratorINS0_17counting_iteratorImlEEZNS1_24adjacent_difference_implIS3_Lb1ELb0EPiSB_N6thrust23THRUST_200600_302600_NS5minusIiEEEE10hipError_tPvRmT2_T3_mT4_P12ihipStream_tbEUlmE_iEESB_NS0_8identityIvEEEESG_SJ_SK_mSL_SN_bEUlT_E_NS1_11comp_targetILNS1_3genE8ELNS1_11target_archE1030ELNS1_3gpuE2ELNS1_3repE0EEENS1_30default_config_static_selectorELNS0_4arch9wavefront6targetE1EEEvT1_.uses_flat_scratch, 0
	.set _ZN7rocprim17ROCPRIM_400000_NS6detail17trampoline_kernelINS0_14default_configENS1_25transform_config_selectorIiLb0EEEZNS1_14transform_implILb0ES3_S5_NS0_18transform_iteratorINS0_17counting_iteratorImlEEZNS1_24adjacent_difference_implIS3_Lb1ELb0EPiSB_N6thrust23THRUST_200600_302600_NS5minusIiEEEE10hipError_tPvRmT2_T3_mT4_P12ihipStream_tbEUlmE_iEESB_NS0_8identityIvEEEESG_SJ_SK_mSL_SN_bEUlT_E_NS1_11comp_targetILNS1_3genE8ELNS1_11target_archE1030ELNS1_3gpuE2ELNS1_3repE0EEENS1_30default_config_static_selectorELNS0_4arch9wavefront6targetE1EEEvT1_.has_dyn_sized_stack, 0
	.set _ZN7rocprim17ROCPRIM_400000_NS6detail17trampoline_kernelINS0_14default_configENS1_25transform_config_selectorIiLb0EEEZNS1_14transform_implILb0ES3_S5_NS0_18transform_iteratorINS0_17counting_iteratorImlEEZNS1_24adjacent_difference_implIS3_Lb1ELb0EPiSB_N6thrust23THRUST_200600_302600_NS5minusIiEEEE10hipError_tPvRmT2_T3_mT4_P12ihipStream_tbEUlmE_iEESB_NS0_8identityIvEEEESG_SJ_SK_mSL_SN_bEUlT_E_NS1_11comp_targetILNS1_3genE8ELNS1_11target_archE1030ELNS1_3gpuE2ELNS1_3repE0EEENS1_30default_config_static_selectorELNS0_4arch9wavefront6targetE1EEEvT1_.has_recursion, 0
	.set _ZN7rocprim17ROCPRIM_400000_NS6detail17trampoline_kernelINS0_14default_configENS1_25transform_config_selectorIiLb0EEEZNS1_14transform_implILb0ES3_S5_NS0_18transform_iteratorINS0_17counting_iteratorImlEEZNS1_24adjacent_difference_implIS3_Lb1ELb0EPiSB_N6thrust23THRUST_200600_302600_NS5minusIiEEEE10hipError_tPvRmT2_T3_mT4_P12ihipStream_tbEUlmE_iEESB_NS0_8identityIvEEEESG_SJ_SK_mSL_SN_bEUlT_E_NS1_11comp_targetILNS1_3genE8ELNS1_11target_archE1030ELNS1_3gpuE2ELNS1_3repE0EEENS1_30default_config_static_selectorELNS0_4arch9wavefront6targetE1EEEvT1_.has_indirect_call, 0
	.section	.AMDGPU.csdata,"",@progbits
; Kernel info:
; codeLenInByte = 0
; TotalNumSgprs: 4
; NumVgprs: 0
; ScratchSize: 0
; MemoryBound: 0
; FloatMode: 240
; IeeeMode: 1
; LDSByteSize: 0 bytes/workgroup (compile time only)
; SGPRBlocks: 0
; VGPRBlocks: 0
; NumSGPRsForWavesPerEU: 4
; NumVGPRsForWavesPerEU: 1
; Occupancy: 10
; WaveLimiterHint : 0
; COMPUTE_PGM_RSRC2:SCRATCH_EN: 0
; COMPUTE_PGM_RSRC2:USER_SGPR: 6
; COMPUTE_PGM_RSRC2:TRAP_HANDLER: 0
; COMPUTE_PGM_RSRC2:TGID_X_EN: 1
; COMPUTE_PGM_RSRC2:TGID_Y_EN: 0
; COMPUTE_PGM_RSRC2:TGID_Z_EN: 0
; COMPUTE_PGM_RSRC2:TIDIG_COMP_CNT: 0
	.section	.text._ZN7rocprim17ROCPRIM_400000_NS6detail17trampoline_kernelINS0_14default_configENS1_35adjacent_difference_config_selectorILb1EiEEZNS1_24adjacent_difference_implIS3_Lb1ELb0EPiS7_N6thrust23THRUST_200600_302600_NS5minusIiEEEE10hipError_tPvRmT2_T3_mT4_P12ihipStream_tbEUlT_E_NS1_11comp_targetILNS1_3genE0ELNS1_11target_archE4294967295ELNS1_3gpuE0ELNS1_3repE0EEENS1_30default_config_static_selectorELNS0_4arch9wavefront6targetE1EEEvT1_,"axG",@progbits,_ZN7rocprim17ROCPRIM_400000_NS6detail17trampoline_kernelINS0_14default_configENS1_35adjacent_difference_config_selectorILb1EiEEZNS1_24adjacent_difference_implIS3_Lb1ELb0EPiS7_N6thrust23THRUST_200600_302600_NS5minusIiEEEE10hipError_tPvRmT2_T3_mT4_P12ihipStream_tbEUlT_E_NS1_11comp_targetILNS1_3genE0ELNS1_11target_archE4294967295ELNS1_3gpuE0ELNS1_3repE0EEENS1_30default_config_static_selectorELNS0_4arch9wavefront6targetE1EEEvT1_,comdat
	.protected	_ZN7rocprim17ROCPRIM_400000_NS6detail17trampoline_kernelINS0_14default_configENS1_35adjacent_difference_config_selectorILb1EiEEZNS1_24adjacent_difference_implIS3_Lb1ELb0EPiS7_N6thrust23THRUST_200600_302600_NS5minusIiEEEE10hipError_tPvRmT2_T3_mT4_P12ihipStream_tbEUlT_E_NS1_11comp_targetILNS1_3genE0ELNS1_11target_archE4294967295ELNS1_3gpuE0ELNS1_3repE0EEENS1_30default_config_static_selectorELNS0_4arch9wavefront6targetE1EEEvT1_ ; -- Begin function _ZN7rocprim17ROCPRIM_400000_NS6detail17trampoline_kernelINS0_14default_configENS1_35adjacent_difference_config_selectorILb1EiEEZNS1_24adjacent_difference_implIS3_Lb1ELb0EPiS7_N6thrust23THRUST_200600_302600_NS5minusIiEEEE10hipError_tPvRmT2_T3_mT4_P12ihipStream_tbEUlT_E_NS1_11comp_targetILNS1_3genE0ELNS1_11target_archE4294967295ELNS1_3gpuE0ELNS1_3repE0EEENS1_30default_config_static_selectorELNS0_4arch9wavefront6targetE1EEEvT1_
	.globl	_ZN7rocprim17ROCPRIM_400000_NS6detail17trampoline_kernelINS0_14default_configENS1_35adjacent_difference_config_selectorILb1EiEEZNS1_24adjacent_difference_implIS3_Lb1ELb0EPiS7_N6thrust23THRUST_200600_302600_NS5minusIiEEEE10hipError_tPvRmT2_T3_mT4_P12ihipStream_tbEUlT_E_NS1_11comp_targetILNS1_3genE0ELNS1_11target_archE4294967295ELNS1_3gpuE0ELNS1_3repE0EEENS1_30default_config_static_selectorELNS0_4arch9wavefront6targetE1EEEvT1_
	.p2align	8
	.type	_ZN7rocprim17ROCPRIM_400000_NS6detail17trampoline_kernelINS0_14default_configENS1_35adjacent_difference_config_selectorILb1EiEEZNS1_24adjacent_difference_implIS3_Lb1ELb0EPiS7_N6thrust23THRUST_200600_302600_NS5minusIiEEEE10hipError_tPvRmT2_T3_mT4_P12ihipStream_tbEUlT_E_NS1_11comp_targetILNS1_3genE0ELNS1_11target_archE4294967295ELNS1_3gpuE0ELNS1_3repE0EEENS1_30default_config_static_selectorELNS0_4arch9wavefront6targetE1EEEvT1_,@function
_ZN7rocprim17ROCPRIM_400000_NS6detail17trampoline_kernelINS0_14default_configENS1_35adjacent_difference_config_selectorILb1EiEEZNS1_24adjacent_difference_implIS3_Lb1ELb0EPiS7_N6thrust23THRUST_200600_302600_NS5minusIiEEEE10hipError_tPvRmT2_T3_mT4_P12ihipStream_tbEUlT_E_NS1_11comp_targetILNS1_3genE0ELNS1_11target_archE4294967295ELNS1_3gpuE0ELNS1_3repE0EEENS1_30default_config_static_selectorELNS0_4arch9wavefront6targetE1EEEvT1_: ; @_ZN7rocprim17ROCPRIM_400000_NS6detail17trampoline_kernelINS0_14default_configENS1_35adjacent_difference_config_selectorILb1EiEEZNS1_24adjacent_difference_implIS3_Lb1ELb0EPiS7_N6thrust23THRUST_200600_302600_NS5minusIiEEEE10hipError_tPvRmT2_T3_mT4_P12ihipStream_tbEUlT_E_NS1_11comp_targetILNS1_3genE0ELNS1_11target_archE4294967295ELNS1_3gpuE0ELNS1_3repE0EEENS1_30default_config_static_selectorELNS0_4arch9wavefront6targetE1EEEvT1_
; %bb.0:
	.section	.rodata,"a",@progbits
	.p2align	6, 0x0
	.amdhsa_kernel _ZN7rocprim17ROCPRIM_400000_NS6detail17trampoline_kernelINS0_14default_configENS1_35adjacent_difference_config_selectorILb1EiEEZNS1_24adjacent_difference_implIS3_Lb1ELb0EPiS7_N6thrust23THRUST_200600_302600_NS5minusIiEEEE10hipError_tPvRmT2_T3_mT4_P12ihipStream_tbEUlT_E_NS1_11comp_targetILNS1_3genE0ELNS1_11target_archE4294967295ELNS1_3gpuE0ELNS1_3repE0EEENS1_30default_config_static_selectorELNS0_4arch9wavefront6targetE1EEEvT1_
		.amdhsa_group_segment_fixed_size 0
		.amdhsa_private_segment_fixed_size 0
		.amdhsa_kernarg_size 56
		.amdhsa_user_sgpr_count 6
		.amdhsa_user_sgpr_private_segment_buffer 1
		.amdhsa_user_sgpr_dispatch_ptr 0
		.amdhsa_user_sgpr_queue_ptr 0
		.amdhsa_user_sgpr_kernarg_segment_ptr 1
		.amdhsa_user_sgpr_dispatch_id 0
		.amdhsa_user_sgpr_flat_scratch_init 0
		.amdhsa_user_sgpr_private_segment_size 0
		.amdhsa_uses_dynamic_stack 0
		.amdhsa_system_sgpr_private_segment_wavefront_offset 0
		.amdhsa_system_sgpr_workgroup_id_x 1
		.amdhsa_system_sgpr_workgroup_id_y 0
		.amdhsa_system_sgpr_workgroup_id_z 0
		.amdhsa_system_sgpr_workgroup_info 0
		.amdhsa_system_vgpr_workitem_id 0
		.amdhsa_next_free_vgpr 1
		.amdhsa_next_free_sgpr 0
		.amdhsa_reserve_vcc 0
		.amdhsa_reserve_flat_scratch 0
		.amdhsa_float_round_mode_32 0
		.amdhsa_float_round_mode_16_64 0
		.amdhsa_float_denorm_mode_32 3
		.amdhsa_float_denorm_mode_16_64 3
		.amdhsa_dx10_clamp 1
		.amdhsa_ieee_mode 1
		.amdhsa_fp16_overflow 0
		.amdhsa_exception_fp_ieee_invalid_op 0
		.amdhsa_exception_fp_denorm_src 0
		.amdhsa_exception_fp_ieee_div_zero 0
		.amdhsa_exception_fp_ieee_overflow 0
		.amdhsa_exception_fp_ieee_underflow 0
		.amdhsa_exception_fp_ieee_inexact 0
		.amdhsa_exception_int_div_zero 0
	.end_amdhsa_kernel
	.section	.text._ZN7rocprim17ROCPRIM_400000_NS6detail17trampoline_kernelINS0_14default_configENS1_35adjacent_difference_config_selectorILb1EiEEZNS1_24adjacent_difference_implIS3_Lb1ELb0EPiS7_N6thrust23THRUST_200600_302600_NS5minusIiEEEE10hipError_tPvRmT2_T3_mT4_P12ihipStream_tbEUlT_E_NS1_11comp_targetILNS1_3genE0ELNS1_11target_archE4294967295ELNS1_3gpuE0ELNS1_3repE0EEENS1_30default_config_static_selectorELNS0_4arch9wavefront6targetE1EEEvT1_,"axG",@progbits,_ZN7rocprim17ROCPRIM_400000_NS6detail17trampoline_kernelINS0_14default_configENS1_35adjacent_difference_config_selectorILb1EiEEZNS1_24adjacent_difference_implIS3_Lb1ELb0EPiS7_N6thrust23THRUST_200600_302600_NS5minusIiEEEE10hipError_tPvRmT2_T3_mT4_P12ihipStream_tbEUlT_E_NS1_11comp_targetILNS1_3genE0ELNS1_11target_archE4294967295ELNS1_3gpuE0ELNS1_3repE0EEENS1_30default_config_static_selectorELNS0_4arch9wavefront6targetE1EEEvT1_,comdat
.Lfunc_end324:
	.size	_ZN7rocprim17ROCPRIM_400000_NS6detail17trampoline_kernelINS0_14default_configENS1_35adjacent_difference_config_selectorILb1EiEEZNS1_24adjacent_difference_implIS3_Lb1ELb0EPiS7_N6thrust23THRUST_200600_302600_NS5minusIiEEEE10hipError_tPvRmT2_T3_mT4_P12ihipStream_tbEUlT_E_NS1_11comp_targetILNS1_3genE0ELNS1_11target_archE4294967295ELNS1_3gpuE0ELNS1_3repE0EEENS1_30default_config_static_selectorELNS0_4arch9wavefront6targetE1EEEvT1_, .Lfunc_end324-_ZN7rocprim17ROCPRIM_400000_NS6detail17trampoline_kernelINS0_14default_configENS1_35adjacent_difference_config_selectorILb1EiEEZNS1_24adjacent_difference_implIS3_Lb1ELb0EPiS7_N6thrust23THRUST_200600_302600_NS5minusIiEEEE10hipError_tPvRmT2_T3_mT4_P12ihipStream_tbEUlT_E_NS1_11comp_targetILNS1_3genE0ELNS1_11target_archE4294967295ELNS1_3gpuE0ELNS1_3repE0EEENS1_30default_config_static_selectorELNS0_4arch9wavefront6targetE1EEEvT1_
                                        ; -- End function
	.set _ZN7rocprim17ROCPRIM_400000_NS6detail17trampoline_kernelINS0_14default_configENS1_35adjacent_difference_config_selectorILb1EiEEZNS1_24adjacent_difference_implIS3_Lb1ELb0EPiS7_N6thrust23THRUST_200600_302600_NS5minusIiEEEE10hipError_tPvRmT2_T3_mT4_P12ihipStream_tbEUlT_E_NS1_11comp_targetILNS1_3genE0ELNS1_11target_archE4294967295ELNS1_3gpuE0ELNS1_3repE0EEENS1_30default_config_static_selectorELNS0_4arch9wavefront6targetE1EEEvT1_.num_vgpr, 0
	.set _ZN7rocprim17ROCPRIM_400000_NS6detail17trampoline_kernelINS0_14default_configENS1_35adjacent_difference_config_selectorILb1EiEEZNS1_24adjacent_difference_implIS3_Lb1ELb0EPiS7_N6thrust23THRUST_200600_302600_NS5minusIiEEEE10hipError_tPvRmT2_T3_mT4_P12ihipStream_tbEUlT_E_NS1_11comp_targetILNS1_3genE0ELNS1_11target_archE4294967295ELNS1_3gpuE0ELNS1_3repE0EEENS1_30default_config_static_selectorELNS0_4arch9wavefront6targetE1EEEvT1_.num_agpr, 0
	.set _ZN7rocprim17ROCPRIM_400000_NS6detail17trampoline_kernelINS0_14default_configENS1_35adjacent_difference_config_selectorILb1EiEEZNS1_24adjacent_difference_implIS3_Lb1ELb0EPiS7_N6thrust23THRUST_200600_302600_NS5minusIiEEEE10hipError_tPvRmT2_T3_mT4_P12ihipStream_tbEUlT_E_NS1_11comp_targetILNS1_3genE0ELNS1_11target_archE4294967295ELNS1_3gpuE0ELNS1_3repE0EEENS1_30default_config_static_selectorELNS0_4arch9wavefront6targetE1EEEvT1_.numbered_sgpr, 0
	.set _ZN7rocprim17ROCPRIM_400000_NS6detail17trampoline_kernelINS0_14default_configENS1_35adjacent_difference_config_selectorILb1EiEEZNS1_24adjacent_difference_implIS3_Lb1ELb0EPiS7_N6thrust23THRUST_200600_302600_NS5minusIiEEEE10hipError_tPvRmT2_T3_mT4_P12ihipStream_tbEUlT_E_NS1_11comp_targetILNS1_3genE0ELNS1_11target_archE4294967295ELNS1_3gpuE0ELNS1_3repE0EEENS1_30default_config_static_selectorELNS0_4arch9wavefront6targetE1EEEvT1_.num_named_barrier, 0
	.set _ZN7rocprim17ROCPRIM_400000_NS6detail17trampoline_kernelINS0_14default_configENS1_35adjacent_difference_config_selectorILb1EiEEZNS1_24adjacent_difference_implIS3_Lb1ELb0EPiS7_N6thrust23THRUST_200600_302600_NS5minusIiEEEE10hipError_tPvRmT2_T3_mT4_P12ihipStream_tbEUlT_E_NS1_11comp_targetILNS1_3genE0ELNS1_11target_archE4294967295ELNS1_3gpuE0ELNS1_3repE0EEENS1_30default_config_static_selectorELNS0_4arch9wavefront6targetE1EEEvT1_.private_seg_size, 0
	.set _ZN7rocprim17ROCPRIM_400000_NS6detail17trampoline_kernelINS0_14default_configENS1_35adjacent_difference_config_selectorILb1EiEEZNS1_24adjacent_difference_implIS3_Lb1ELb0EPiS7_N6thrust23THRUST_200600_302600_NS5minusIiEEEE10hipError_tPvRmT2_T3_mT4_P12ihipStream_tbEUlT_E_NS1_11comp_targetILNS1_3genE0ELNS1_11target_archE4294967295ELNS1_3gpuE0ELNS1_3repE0EEENS1_30default_config_static_selectorELNS0_4arch9wavefront6targetE1EEEvT1_.uses_vcc, 0
	.set _ZN7rocprim17ROCPRIM_400000_NS6detail17trampoline_kernelINS0_14default_configENS1_35adjacent_difference_config_selectorILb1EiEEZNS1_24adjacent_difference_implIS3_Lb1ELb0EPiS7_N6thrust23THRUST_200600_302600_NS5minusIiEEEE10hipError_tPvRmT2_T3_mT4_P12ihipStream_tbEUlT_E_NS1_11comp_targetILNS1_3genE0ELNS1_11target_archE4294967295ELNS1_3gpuE0ELNS1_3repE0EEENS1_30default_config_static_selectorELNS0_4arch9wavefront6targetE1EEEvT1_.uses_flat_scratch, 0
	.set _ZN7rocprim17ROCPRIM_400000_NS6detail17trampoline_kernelINS0_14default_configENS1_35adjacent_difference_config_selectorILb1EiEEZNS1_24adjacent_difference_implIS3_Lb1ELb0EPiS7_N6thrust23THRUST_200600_302600_NS5minusIiEEEE10hipError_tPvRmT2_T3_mT4_P12ihipStream_tbEUlT_E_NS1_11comp_targetILNS1_3genE0ELNS1_11target_archE4294967295ELNS1_3gpuE0ELNS1_3repE0EEENS1_30default_config_static_selectorELNS0_4arch9wavefront6targetE1EEEvT1_.has_dyn_sized_stack, 0
	.set _ZN7rocprim17ROCPRIM_400000_NS6detail17trampoline_kernelINS0_14default_configENS1_35adjacent_difference_config_selectorILb1EiEEZNS1_24adjacent_difference_implIS3_Lb1ELb0EPiS7_N6thrust23THRUST_200600_302600_NS5minusIiEEEE10hipError_tPvRmT2_T3_mT4_P12ihipStream_tbEUlT_E_NS1_11comp_targetILNS1_3genE0ELNS1_11target_archE4294967295ELNS1_3gpuE0ELNS1_3repE0EEENS1_30default_config_static_selectorELNS0_4arch9wavefront6targetE1EEEvT1_.has_recursion, 0
	.set _ZN7rocprim17ROCPRIM_400000_NS6detail17trampoline_kernelINS0_14default_configENS1_35adjacent_difference_config_selectorILb1EiEEZNS1_24adjacent_difference_implIS3_Lb1ELb0EPiS7_N6thrust23THRUST_200600_302600_NS5minusIiEEEE10hipError_tPvRmT2_T3_mT4_P12ihipStream_tbEUlT_E_NS1_11comp_targetILNS1_3genE0ELNS1_11target_archE4294967295ELNS1_3gpuE0ELNS1_3repE0EEENS1_30default_config_static_selectorELNS0_4arch9wavefront6targetE1EEEvT1_.has_indirect_call, 0
	.section	.AMDGPU.csdata,"",@progbits
; Kernel info:
; codeLenInByte = 0
; TotalNumSgprs: 4
; NumVgprs: 0
; ScratchSize: 0
; MemoryBound: 0
; FloatMode: 240
; IeeeMode: 1
; LDSByteSize: 0 bytes/workgroup (compile time only)
; SGPRBlocks: 0
; VGPRBlocks: 0
; NumSGPRsForWavesPerEU: 4
; NumVGPRsForWavesPerEU: 1
; Occupancy: 10
; WaveLimiterHint : 0
; COMPUTE_PGM_RSRC2:SCRATCH_EN: 0
; COMPUTE_PGM_RSRC2:USER_SGPR: 6
; COMPUTE_PGM_RSRC2:TRAP_HANDLER: 0
; COMPUTE_PGM_RSRC2:TGID_X_EN: 1
; COMPUTE_PGM_RSRC2:TGID_Y_EN: 0
; COMPUTE_PGM_RSRC2:TGID_Z_EN: 0
; COMPUTE_PGM_RSRC2:TIDIG_COMP_CNT: 0
	.section	.text._ZN7rocprim17ROCPRIM_400000_NS6detail17trampoline_kernelINS0_14default_configENS1_35adjacent_difference_config_selectorILb1EiEEZNS1_24adjacent_difference_implIS3_Lb1ELb0EPiS7_N6thrust23THRUST_200600_302600_NS5minusIiEEEE10hipError_tPvRmT2_T3_mT4_P12ihipStream_tbEUlT_E_NS1_11comp_targetILNS1_3genE10ELNS1_11target_archE1201ELNS1_3gpuE5ELNS1_3repE0EEENS1_30default_config_static_selectorELNS0_4arch9wavefront6targetE1EEEvT1_,"axG",@progbits,_ZN7rocprim17ROCPRIM_400000_NS6detail17trampoline_kernelINS0_14default_configENS1_35adjacent_difference_config_selectorILb1EiEEZNS1_24adjacent_difference_implIS3_Lb1ELb0EPiS7_N6thrust23THRUST_200600_302600_NS5minusIiEEEE10hipError_tPvRmT2_T3_mT4_P12ihipStream_tbEUlT_E_NS1_11comp_targetILNS1_3genE10ELNS1_11target_archE1201ELNS1_3gpuE5ELNS1_3repE0EEENS1_30default_config_static_selectorELNS0_4arch9wavefront6targetE1EEEvT1_,comdat
	.protected	_ZN7rocprim17ROCPRIM_400000_NS6detail17trampoline_kernelINS0_14default_configENS1_35adjacent_difference_config_selectorILb1EiEEZNS1_24adjacent_difference_implIS3_Lb1ELb0EPiS7_N6thrust23THRUST_200600_302600_NS5minusIiEEEE10hipError_tPvRmT2_T3_mT4_P12ihipStream_tbEUlT_E_NS1_11comp_targetILNS1_3genE10ELNS1_11target_archE1201ELNS1_3gpuE5ELNS1_3repE0EEENS1_30default_config_static_selectorELNS0_4arch9wavefront6targetE1EEEvT1_ ; -- Begin function _ZN7rocprim17ROCPRIM_400000_NS6detail17trampoline_kernelINS0_14default_configENS1_35adjacent_difference_config_selectorILb1EiEEZNS1_24adjacent_difference_implIS3_Lb1ELb0EPiS7_N6thrust23THRUST_200600_302600_NS5minusIiEEEE10hipError_tPvRmT2_T3_mT4_P12ihipStream_tbEUlT_E_NS1_11comp_targetILNS1_3genE10ELNS1_11target_archE1201ELNS1_3gpuE5ELNS1_3repE0EEENS1_30default_config_static_selectorELNS0_4arch9wavefront6targetE1EEEvT1_
	.globl	_ZN7rocprim17ROCPRIM_400000_NS6detail17trampoline_kernelINS0_14default_configENS1_35adjacent_difference_config_selectorILb1EiEEZNS1_24adjacent_difference_implIS3_Lb1ELb0EPiS7_N6thrust23THRUST_200600_302600_NS5minusIiEEEE10hipError_tPvRmT2_T3_mT4_P12ihipStream_tbEUlT_E_NS1_11comp_targetILNS1_3genE10ELNS1_11target_archE1201ELNS1_3gpuE5ELNS1_3repE0EEENS1_30default_config_static_selectorELNS0_4arch9wavefront6targetE1EEEvT1_
	.p2align	8
	.type	_ZN7rocprim17ROCPRIM_400000_NS6detail17trampoline_kernelINS0_14default_configENS1_35adjacent_difference_config_selectorILb1EiEEZNS1_24adjacent_difference_implIS3_Lb1ELb0EPiS7_N6thrust23THRUST_200600_302600_NS5minusIiEEEE10hipError_tPvRmT2_T3_mT4_P12ihipStream_tbEUlT_E_NS1_11comp_targetILNS1_3genE10ELNS1_11target_archE1201ELNS1_3gpuE5ELNS1_3repE0EEENS1_30default_config_static_selectorELNS0_4arch9wavefront6targetE1EEEvT1_,@function
_ZN7rocprim17ROCPRIM_400000_NS6detail17trampoline_kernelINS0_14default_configENS1_35adjacent_difference_config_selectorILb1EiEEZNS1_24adjacent_difference_implIS3_Lb1ELb0EPiS7_N6thrust23THRUST_200600_302600_NS5minusIiEEEE10hipError_tPvRmT2_T3_mT4_P12ihipStream_tbEUlT_E_NS1_11comp_targetILNS1_3genE10ELNS1_11target_archE1201ELNS1_3gpuE5ELNS1_3repE0EEENS1_30default_config_static_selectorELNS0_4arch9wavefront6targetE1EEEvT1_: ; @_ZN7rocprim17ROCPRIM_400000_NS6detail17trampoline_kernelINS0_14default_configENS1_35adjacent_difference_config_selectorILb1EiEEZNS1_24adjacent_difference_implIS3_Lb1ELb0EPiS7_N6thrust23THRUST_200600_302600_NS5minusIiEEEE10hipError_tPvRmT2_T3_mT4_P12ihipStream_tbEUlT_E_NS1_11comp_targetILNS1_3genE10ELNS1_11target_archE1201ELNS1_3gpuE5ELNS1_3repE0EEENS1_30default_config_static_selectorELNS0_4arch9wavefront6targetE1EEEvT1_
; %bb.0:
	.section	.rodata,"a",@progbits
	.p2align	6, 0x0
	.amdhsa_kernel _ZN7rocprim17ROCPRIM_400000_NS6detail17trampoline_kernelINS0_14default_configENS1_35adjacent_difference_config_selectorILb1EiEEZNS1_24adjacent_difference_implIS3_Lb1ELb0EPiS7_N6thrust23THRUST_200600_302600_NS5minusIiEEEE10hipError_tPvRmT2_T3_mT4_P12ihipStream_tbEUlT_E_NS1_11comp_targetILNS1_3genE10ELNS1_11target_archE1201ELNS1_3gpuE5ELNS1_3repE0EEENS1_30default_config_static_selectorELNS0_4arch9wavefront6targetE1EEEvT1_
		.amdhsa_group_segment_fixed_size 0
		.amdhsa_private_segment_fixed_size 0
		.amdhsa_kernarg_size 56
		.amdhsa_user_sgpr_count 6
		.amdhsa_user_sgpr_private_segment_buffer 1
		.amdhsa_user_sgpr_dispatch_ptr 0
		.amdhsa_user_sgpr_queue_ptr 0
		.amdhsa_user_sgpr_kernarg_segment_ptr 1
		.amdhsa_user_sgpr_dispatch_id 0
		.amdhsa_user_sgpr_flat_scratch_init 0
		.amdhsa_user_sgpr_private_segment_size 0
		.amdhsa_uses_dynamic_stack 0
		.amdhsa_system_sgpr_private_segment_wavefront_offset 0
		.amdhsa_system_sgpr_workgroup_id_x 1
		.amdhsa_system_sgpr_workgroup_id_y 0
		.amdhsa_system_sgpr_workgroup_id_z 0
		.amdhsa_system_sgpr_workgroup_info 0
		.amdhsa_system_vgpr_workitem_id 0
		.amdhsa_next_free_vgpr 1
		.amdhsa_next_free_sgpr 0
		.amdhsa_reserve_vcc 0
		.amdhsa_reserve_flat_scratch 0
		.amdhsa_float_round_mode_32 0
		.amdhsa_float_round_mode_16_64 0
		.amdhsa_float_denorm_mode_32 3
		.amdhsa_float_denorm_mode_16_64 3
		.amdhsa_dx10_clamp 1
		.amdhsa_ieee_mode 1
		.amdhsa_fp16_overflow 0
		.amdhsa_exception_fp_ieee_invalid_op 0
		.amdhsa_exception_fp_denorm_src 0
		.amdhsa_exception_fp_ieee_div_zero 0
		.amdhsa_exception_fp_ieee_overflow 0
		.amdhsa_exception_fp_ieee_underflow 0
		.amdhsa_exception_fp_ieee_inexact 0
		.amdhsa_exception_int_div_zero 0
	.end_amdhsa_kernel
	.section	.text._ZN7rocprim17ROCPRIM_400000_NS6detail17trampoline_kernelINS0_14default_configENS1_35adjacent_difference_config_selectorILb1EiEEZNS1_24adjacent_difference_implIS3_Lb1ELb0EPiS7_N6thrust23THRUST_200600_302600_NS5minusIiEEEE10hipError_tPvRmT2_T3_mT4_P12ihipStream_tbEUlT_E_NS1_11comp_targetILNS1_3genE10ELNS1_11target_archE1201ELNS1_3gpuE5ELNS1_3repE0EEENS1_30default_config_static_selectorELNS0_4arch9wavefront6targetE1EEEvT1_,"axG",@progbits,_ZN7rocprim17ROCPRIM_400000_NS6detail17trampoline_kernelINS0_14default_configENS1_35adjacent_difference_config_selectorILb1EiEEZNS1_24adjacent_difference_implIS3_Lb1ELb0EPiS7_N6thrust23THRUST_200600_302600_NS5minusIiEEEE10hipError_tPvRmT2_T3_mT4_P12ihipStream_tbEUlT_E_NS1_11comp_targetILNS1_3genE10ELNS1_11target_archE1201ELNS1_3gpuE5ELNS1_3repE0EEENS1_30default_config_static_selectorELNS0_4arch9wavefront6targetE1EEEvT1_,comdat
.Lfunc_end325:
	.size	_ZN7rocprim17ROCPRIM_400000_NS6detail17trampoline_kernelINS0_14default_configENS1_35adjacent_difference_config_selectorILb1EiEEZNS1_24adjacent_difference_implIS3_Lb1ELb0EPiS7_N6thrust23THRUST_200600_302600_NS5minusIiEEEE10hipError_tPvRmT2_T3_mT4_P12ihipStream_tbEUlT_E_NS1_11comp_targetILNS1_3genE10ELNS1_11target_archE1201ELNS1_3gpuE5ELNS1_3repE0EEENS1_30default_config_static_selectorELNS0_4arch9wavefront6targetE1EEEvT1_, .Lfunc_end325-_ZN7rocprim17ROCPRIM_400000_NS6detail17trampoline_kernelINS0_14default_configENS1_35adjacent_difference_config_selectorILb1EiEEZNS1_24adjacent_difference_implIS3_Lb1ELb0EPiS7_N6thrust23THRUST_200600_302600_NS5minusIiEEEE10hipError_tPvRmT2_T3_mT4_P12ihipStream_tbEUlT_E_NS1_11comp_targetILNS1_3genE10ELNS1_11target_archE1201ELNS1_3gpuE5ELNS1_3repE0EEENS1_30default_config_static_selectorELNS0_4arch9wavefront6targetE1EEEvT1_
                                        ; -- End function
	.set _ZN7rocprim17ROCPRIM_400000_NS6detail17trampoline_kernelINS0_14default_configENS1_35adjacent_difference_config_selectorILb1EiEEZNS1_24adjacent_difference_implIS3_Lb1ELb0EPiS7_N6thrust23THRUST_200600_302600_NS5minusIiEEEE10hipError_tPvRmT2_T3_mT4_P12ihipStream_tbEUlT_E_NS1_11comp_targetILNS1_3genE10ELNS1_11target_archE1201ELNS1_3gpuE5ELNS1_3repE0EEENS1_30default_config_static_selectorELNS0_4arch9wavefront6targetE1EEEvT1_.num_vgpr, 0
	.set _ZN7rocprim17ROCPRIM_400000_NS6detail17trampoline_kernelINS0_14default_configENS1_35adjacent_difference_config_selectorILb1EiEEZNS1_24adjacent_difference_implIS3_Lb1ELb0EPiS7_N6thrust23THRUST_200600_302600_NS5minusIiEEEE10hipError_tPvRmT2_T3_mT4_P12ihipStream_tbEUlT_E_NS1_11comp_targetILNS1_3genE10ELNS1_11target_archE1201ELNS1_3gpuE5ELNS1_3repE0EEENS1_30default_config_static_selectorELNS0_4arch9wavefront6targetE1EEEvT1_.num_agpr, 0
	.set _ZN7rocprim17ROCPRIM_400000_NS6detail17trampoline_kernelINS0_14default_configENS1_35adjacent_difference_config_selectorILb1EiEEZNS1_24adjacent_difference_implIS3_Lb1ELb0EPiS7_N6thrust23THRUST_200600_302600_NS5minusIiEEEE10hipError_tPvRmT2_T3_mT4_P12ihipStream_tbEUlT_E_NS1_11comp_targetILNS1_3genE10ELNS1_11target_archE1201ELNS1_3gpuE5ELNS1_3repE0EEENS1_30default_config_static_selectorELNS0_4arch9wavefront6targetE1EEEvT1_.numbered_sgpr, 0
	.set _ZN7rocprim17ROCPRIM_400000_NS6detail17trampoline_kernelINS0_14default_configENS1_35adjacent_difference_config_selectorILb1EiEEZNS1_24adjacent_difference_implIS3_Lb1ELb0EPiS7_N6thrust23THRUST_200600_302600_NS5minusIiEEEE10hipError_tPvRmT2_T3_mT4_P12ihipStream_tbEUlT_E_NS1_11comp_targetILNS1_3genE10ELNS1_11target_archE1201ELNS1_3gpuE5ELNS1_3repE0EEENS1_30default_config_static_selectorELNS0_4arch9wavefront6targetE1EEEvT1_.num_named_barrier, 0
	.set _ZN7rocprim17ROCPRIM_400000_NS6detail17trampoline_kernelINS0_14default_configENS1_35adjacent_difference_config_selectorILb1EiEEZNS1_24adjacent_difference_implIS3_Lb1ELb0EPiS7_N6thrust23THRUST_200600_302600_NS5minusIiEEEE10hipError_tPvRmT2_T3_mT4_P12ihipStream_tbEUlT_E_NS1_11comp_targetILNS1_3genE10ELNS1_11target_archE1201ELNS1_3gpuE5ELNS1_3repE0EEENS1_30default_config_static_selectorELNS0_4arch9wavefront6targetE1EEEvT1_.private_seg_size, 0
	.set _ZN7rocprim17ROCPRIM_400000_NS6detail17trampoline_kernelINS0_14default_configENS1_35adjacent_difference_config_selectorILb1EiEEZNS1_24adjacent_difference_implIS3_Lb1ELb0EPiS7_N6thrust23THRUST_200600_302600_NS5minusIiEEEE10hipError_tPvRmT2_T3_mT4_P12ihipStream_tbEUlT_E_NS1_11comp_targetILNS1_3genE10ELNS1_11target_archE1201ELNS1_3gpuE5ELNS1_3repE0EEENS1_30default_config_static_selectorELNS0_4arch9wavefront6targetE1EEEvT1_.uses_vcc, 0
	.set _ZN7rocprim17ROCPRIM_400000_NS6detail17trampoline_kernelINS0_14default_configENS1_35adjacent_difference_config_selectorILb1EiEEZNS1_24adjacent_difference_implIS3_Lb1ELb0EPiS7_N6thrust23THRUST_200600_302600_NS5minusIiEEEE10hipError_tPvRmT2_T3_mT4_P12ihipStream_tbEUlT_E_NS1_11comp_targetILNS1_3genE10ELNS1_11target_archE1201ELNS1_3gpuE5ELNS1_3repE0EEENS1_30default_config_static_selectorELNS0_4arch9wavefront6targetE1EEEvT1_.uses_flat_scratch, 0
	.set _ZN7rocprim17ROCPRIM_400000_NS6detail17trampoline_kernelINS0_14default_configENS1_35adjacent_difference_config_selectorILb1EiEEZNS1_24adjacent_difference_implIS3_Lb1ELb0EPiS7_N6thrust23THRUST_200600_302600_NS5minusIiEEEE10hipError_tPvRmT2_T3_mT4_P12ihipStream_tbEUlT_E_NS1_11comp_targetILNS1_3genE10ELNS1_11target_archE1201ELNS1_3gpuE5ELNS1_3repE0EEENS1_30default_config_static_selectorELNS0_4arch9wavefront6targetE1EEEvT1_.has_dyn_sized_stack, 0
	.set _ZN7rocprim17ROCPRIM_400000_NS6detail17trampoline_kernelINS0_14default_configENS1_35adjacent_difference_config_selectorILb1EiEEZNS1_24adjacent_difference_implIS3_Lb1ELb0EPiS7_N6thrust23THRUST_200600_302600_NS5minusIiEEEE10hipError_tPvRmT2_T3_mT4_P12ihipStream_tbEUlT_E_NS1_11comp_targetILNS1_3genE10ELNS1_11target_archE1201ELNS1_3gpuE5ELNS1_3repE0EEENS1_30default_config_static_selectorELNS0_4arch9wavefront6targetE1EEEvT1_.has_recursion, 0
	.set _ZN7rocprim17ROCPRIM_400000_NS6detail17trampoline_kernelINS0_14default_configENS1_35adjacent_difference_config_selectorILb1EiEEZNS1_24adjacent_difference_implIS3_Lb1ELb0EPiS7_N6thrust23THRUST_200600_302600_NS5minusIiEEEE10hipError_tPvRmT2_T3_mT4_P12ihipStream_tbEUlT_E_NS1_11comp_targetILNS1_3genE10ELNS1_11target_archE1201ELNS1_3gpuE5ELNS1_3repE0EEENS1_30default_config_static_selectorELNS0_4arch9wavefront6targetE1EEEvT1_.has_indirect_call, 0
	.section	.AMDGPU.csdata,"",@progbits
; Kernel info:
; codeLenInByte = 0
; TotalNumSgprs: 4
; NumVgprs: 0
; ScratchSize: 0
; MemoryBound: 0
; FloatMode: 240
; IeeeMode: 1
; LDSByteSize: 0 bytes/workgroup (compile time only)
; SGPRBlocks: 0
; VGPRBlocks: 0
; NumSGPRsForWavesPerEU: 4
; NumVGPRsForWavesPerEU: 1
; Occupancy: 10
; WaveLimiterHint : 0
; COMPUTE_PGM_RSRC2:SCRATCH_EN: 0
; COMPUTE_PGM_RSRC2:USER_SGPR: 6
; COMPUTE_PGM_RSRC2:TRAP_HANDLER: 0
; COMPUTE_PGM_RSRC2:TGID_X_EN: 1
; COMPUTE_PGM_RSRC2:TGID_Y_EN: 0
; COMPUTE_PGM_RSRC2:TGID_Z_EN: 0
; COMPUTE_PGM_RSRC2:TIDIG_COMP_CNT: 0
	.section	.text._ZN7rocprim17ROCPRIM_400000_NS6detail17trampoline_kernelINS0_14default_configENS1_35adjacent_difference_config_selectorILb1EiEEZNS1_24adjacent_difference_implIS3_Lb1ELb0EPiS7_N6thrust23THRUST_200600_302600_NS5minusIiEEEE10hipError_tPvRmT2_T3_mT4_P12ihipStream_tbEUlT_E_NS1_11comp_targetILNS1_3genE5ELNS1_11target_archE942ELNS1_3gpuE9ELNS1_3repE0EEENS1_30default_config_static_selectorELNS0_4arch9wavefront6targetE1EEEvT1_,"axG",@progbits,_ZN7rocprim17ROCPRIM_400000_NS6detail17trampoline_kernelINS0_14default_configENS1_35adjacent_difference_config_selectorILb1EiEEZNS1_24adjacent_difference_implIS3_Lb1ELb0EPiS7_N6thrust23THRUST_200600_302600_NS5minusIiEEEE10hipError_tPvRmT2_T3_mT4_P12ihipStream_tbEUlT_E_NS1_11comp_targetILNS1_3genE5ELNS1_11target_archE942ELNS1_3gpuE9ELNS1_3repE0EEENS1_30default_config_static_selectorELNS0_4arch9wavefront6targetE1EEEvT1_,comdat
	.protected	_ZN7rocprim17ROCPRIM_400000_NS6detail17trampoline_kernelINS0_14default_configENS1_35adjacent_difference_config_selectorILb1EiEEZNS1_24adjacent_difference_implIS3_Lb1ELb0EPiS7_N6thrust23THRUST_200600_302600_NS5minusIiEEEE10hipError_tPvRmT2_T3_mT4_P12ihipStream_tbEUlT_E_NS1_11comp_targetILNS1_3genE5ELNS1_11target_archE942ELNS1_3gpuE9ELNS1_3repE0EEENS1_30default_config_static_selectorELNS0_4arch9wavefront6targetE1EEEvT1_ ; -- Begin function _ZN7rocprim17ROCPRIM_400000_NS6detail17trampoline_kernelINS0_14default_configENS1_35adjacent_difference_config_selectorILb1EiEEZNS1_24adjacent_difference_implIS3_Lb1ELb0EPiS7_N6thrust23THRUST_200600_302600_NS5minusIiEEEE10hipError_tPvRmT2_T3_mT4_P12ihipStream_tbEUlT_E_NS1_11comp_targetILNS1_3genE5ELNS1_11target_archE942ELNS1_3gpuE9ELNS1_3repE0EEENS1_30default_config_static_selectorELNS0_4arch9wavefront6targetE1EEEvT1_
	.globl	_ZN7rocprim17ROCPRIM_400000_NS6detail17trampoline_kernelINS0_14default_configENS1_35adjacent_difference_config_selectorILb1EiEEZNS1_24adjacent_difference_implIS3_Lb1ELb0EPiS7_N6thrust23THRUST_200600_302600_NS5minusIiEEEE10hipError_tPvRmT2_T3_mT4_P12ihipStream_tbEUlT_E_NS1_11comp_targetILNS1_3genE5ELNS1_11target_archE942ELNS1_3gpuE9ELNS1_3repE0EEENS1_30default_config_static_selectorELNS0_4arch9wavefront6targetE1EEEvT1_
	.p2align	8
	.type	_ZN7rocprim17ROCPRIM_400000_NS6detail17trampoline_kernelINS0_14default_configENS1_35adjacent_difference_config_selectorILb1EiEEZNS1_24adjacent_difference_implIS3_Lb1ELb0EPiS7_N6thrust23THRUST_200600_302600_NS5minusIiEEEE10hipError_tPvRmT2_T3_mT4_P12ihipStream_tbEUlT_E_NS1_11comp_targetILNS1_3genE5ELNS1_11target_archE942ELNS1_3gpuE9ELNS1_3repE0EEENS1_30default_config_static_selectorELNS0_4arch9wavefront6targetE1EEEvT1_,@function
_ZN7rocprim17ROCPRIM_400000_NS6detail17trampoline_kernelINS0_14default_configENS1_35adjacent_difference_config_selectorILb1EiEEZNS1_24adjacent_difference_implIS3_Lb1ELb0EPiS7_N6thrust23THRUST_200600_302600_NS5minusIiEEEE10hipError_tPvRmT2_T3_mT4_P12ihipStream_tbEUlT_E_NS1_11comp_targetILNS1_3genE5ELNS1_11target_archE942ELNS1_3gpuE9ELNS1_3repE0EEENS1_30default_config_static_selectorELNS0_4arch9wavefront6targetE1EEEvT1_: ; @_ZN7rocprim17ROCPRIM_400000_NS6detail17trampoline_kernelINS0_14default_configENS1_35adjacent_difference_config_selectorILb1EiEEZNS1_24adjacent_difference_implIS3_Lb1ELb0EPiS7_N6thrust23THRUST_200600_302600_NS5minusIiEEEE10hipError_tPvRmT2_T3_mT4_P12ihipStream_tbEUlT_E_NS1_11comp_targetILNS1_3genE5ELNS1_11target_archE942ELNS1_3gpuE9ELNS1_3repE0EEENS1_30default_config_static_selectorELNS0_4arch9wavefront6targetE1EEEvT1_
; %bb.0:
	.section	.rodata,"a",@progbits
	.p2align	6, 0x0
	.amdhsa_kernel _ZN7rocprim17ROCPRIM_400000_NS6detail17trampoline_kernelINS0_14default_configENS1_35adjacent_difference_config_selectorILb1EiEEZNS1_24adjacent_difference_implIS3_Lb1ELb0EPiS7_N6thrust23THRUST_200600_302600_NS5minusIiEEEE10hipError_tPvRmT2_T3_mT4_P12ihipStream_tbEUlT_E_NS1_11comp_targetILNS1_3genE5ELNS1_11target_archE942ELNS1_3gpuE9ELNS1_3repE0EEENS1_30default_config_static_selectorELNS0_4arch9wavefront6targetE1EEEvT1_
		.amdhsa_group_segment_fixed_size 0
		.amdhsa_private_segment_fixed_size 0
		.amdhsa_kernarg_size 56
		.amdhsa_user_sgpr_count 6
		.amdhsa_user_sgpr_private_segment_buffer 1
		.amdhsa_user_sgpr_dispatch_ptr 0
		.amdhsa_user_sgpr_queue_ptr 0
		.amdhsa_user_sgpr_kernarg_segment_ptr 1
		.amdhsa_user_sgpr_dispatch_id 0
		.amdhsa_user_sgpr_flat_scratch_init 0
		.amdhsa_user_sgpr_private_segment_size 0
		.amdhsa_uses_dynamic_stack 0
		.amdhsa_system_sgpr_private_segment_wavefront_offset 0
		.amdhsa_system_sgpr_workgroup_id_x 1
		.amdhsa_system_sgpr_workgroup_id_y 0
		.amdhsa_system_sgpr_workgroup_id_z 0
		.amdhsa_system_sgpr_workgroup_info 0
		.amdhsa_system_vgpr_workitem_id 0
		.amdhsa_next_free_vgpr 1
		.amdhsa_next_free_sgpr 0
		.amdhsa_reserve_vcc 0
		.amdhsa_reserve_flat_scratch 0
		.amdhsa_float_round_mode_32 0
		.amdhsa_float_round_mode_16_64 0
		.amdhsa_float_denorm_mode_32 3
		.amdhsa_float_denorm_mode_16_64 3
		.amdhsa_dx10_clamp 1
		.amdhsa_ieee_mode 1
		.amdhsa_fp16_overflow 0
		.amdhsa_exception_fp_ieee_invalid_op 0
		.amdhsa_exception_fp_denorm_src 0
		.amdhsa_exception_fp_ieee_div_zero 0
		.amdhsa_exception_fp_ieee_overflow 0
		.amdhsa_exception_fp_ieee_underflow 0
		.amdhsa_exception_fp_ieee_inexact 0
		.amdhsa_exception_int_div_zero 0
	.end_amdhsa_kernel
	.section	.text._ZN7rocprim17ROCPRIM_400000_NS6detail17trampoline_kernelINS0_14default_configENS1_35adjacent_difference_config_selectorILb1EiEEZNS1_24adjacent_difference_implIS3_Lb1ELb0EPiS7_N6thrust23THRUST_200600_302600_NS5minusIiEEEE10hipError_tPvRmT2_T3_mT4_P12ihipStream_tbEUlT_E_NS1_11comp_targetILNS1_3genE5ELNS1_11target_archE942ELNS1_3gpuE9ELNS1_3repE0EEENS1_30default_config_static_selectorELNS0_4arch9wavefront6targetE1EEEvT1_,"axG",@progbits,_ZN7rocprim17ROCPRIM_400000_NS6detail17trampoline_kernelINS0_14default_configENS1_35adjacent_difference_config_selectorILb1EiEEZNS1_24adjacent_difference_implIS3_Lb1ELb0EPiS7_N6thrust23THRUST_200600_302600_NS5minusIiEEEE10hipError_tPvRmT2_T3_mT4_P12ihipStream_tbEUlT_E_NS1_11comp_targetILNS1_3genE5ELNS1_11target_archE942ELNS1_3gpuE9ELNS1_3repE0EEENS1_30default_config_static_selectorELNS0_4arch9wavefront6targetE1EEEvT1_,comdat
.Lfunc_end326:
	.size	_ZN7rocprim17ROCPRIM_400000_NS6detail17trampoline_kernelINS0_14default_configENS1_35adjacent_difference_config_selectorILb1EiEEZNS1_24adjacent_difference_implIS3_Lb1ELb0EPiS7_N6thrust23THRUST_200600_302600_NS5minusIiEEEE10hipError_tPvRmT2_T3_mT4_P12ihipStream_tbEUlT_E_NS1_11comp_targetILNS1_3genE5ELNS1_11target_archE942ELNS1_3gpuE9ELNS1_3repE0EEENS1_30default_config_static_selectorELNS0_4arch9wavefront6targetE1EEEvT1_, .Lfunc_end326-_ZN7rocprim17ROCPRIM_400000_NS6detail17trampoline_kernelINS0_14default_configENS1_35adjacent_difference_config_selectorILb1EiEEZNS1_24adjacent_difference_implIS3_Lb1ELb0EPiS7_N6thrust23THRUST_200600_302600_NS5minusIiEEEE10hipError_tPvRmT2_T3_mT4_P12ihipStream_tbEUlT_E_NS1_11comp_targetILNS1_3genE5ELNS1_11target_archE942ELNS1_3gpuE9ELNS1_3repE0EEENS1_30default_config_static_selectorELNS0_4arch9wavefront6targetE1EEEvT1_
                                        ; -- End function
	.set _ZN7rocprim17ROCPRIM_400000_NS6detail17trampoline_kernelINS0_14default_configENS1_35adjacent_difference_config_selectorILb1EiEEZNS1_24adjacent_difference_implIS3_Lb1ELb0EPiS7_N6thrust23THRUST_200600_302600_NS5minusIiEEEE10hipError_tPvRmT2_T3_mT4_P12ihipStream_tbEUlT_E_NS1_11comp_targetILNS1_3genE5ELNS1_11target_archE942ELNS1_3gpuE9ELNS1_3repE0EEENS1_30default_config_static_selectorELNS0_4arch9wavefront6targetE1EEEvT1_.num_vgpr, 0
	.set _ZN7rocprim17ROCPRIM_400000_NS6detail17trampoline_kernelINS0_14default_configENS1_35adjacent_difference_config_selectorILb1EiEEZNS1_24adjacent_difference_implIS3_Lb1ELb0EPiS7_N6thrust23THRUST_200600_302600_NS5minusIiEEEE10hipError_tPvRmT2_T3_mT4_P12ihipStream_tbEUlT_E_NS1_11comp_targetILNS1_3genE5ELNS1_11target_archE942ELNS1_3gpuE9ELNS1_3repE0EEENS1_30default_config_static_selectorELNS0_4arch9wavefront6targetE1EEEvT1_.num_agpr, 0
	.set _ZN7rocprim17ROCPRIM_400000_NS6detail17trampoline_kernelINS0_14default_configENS1_35adjacent_difference_config_selectorILb1EiEEZNS1_24adjacent_difference_implIS3_Lb1ELb0EPiS7_N6thrust23THRUST_200600_302600_NS5minusIiEEEE10hipError_tPvRmT2_T3_mT4_P12ihipStream_tbEUlT_E_NS1_11comp_targetILNS1_3genE5ELNS1_11target_archE942ELNS1_3gpuE9ELNS1_3repE0EEENS1_30default_config_static_selectorELNS0_4arch9wavefront6targetE1EEEvT1_.numbered_sgpr, 0
	.set _ZN7rocprim17ROCPRIM_400000_NS6detail17trampoline_kernelINS0_14default_configENS1_35adjacent_difference_config_selectorILb1EiEEZNS1_24adjacent_difference_implIS3_Lb1ELb0EPiS7_N6thrust23THRUST_200600_302600_NS5minusIiEEEE10hipError_tPvRmT2_T3_mT4_P12ihipStream_tbEUlT_E_NS1_11comp_targetILNS1_3genE5ELNS1_11target_archE942ELNS1_3gpuE9ELNS1_3repE0EEENS1_30default_config_static_selectorELNS0_4arch9wavefront6targetE1EEEvT1_.num_named_barrier, 0
	.set _ZN7rocprim17ROCPRIM_400000_NS6detail17trampoline_kernelINS0_14default_configENS1_35adjacent_difference_config_selectorILb1EiEEZNS1_24adjacent_difference_implIS3_Lb1ELb0EPiS7_N6thrust23THRUST_200600_302600_NS5minusIiEEEE10hipError_tPvRmT2_T3_mT4_P12ihipStream_tbEUlT_E_NS1_11comp_targetILNS1_3genE5ELNS1_11target_archE942ELNS1_3gpuE9ELNS1_3repE0EEENS1_30default_config_static_selectorELNS0_4arch9wavefront6targetE1EEEvT1_.private_seg_size, 0
	.set _ZN7rocprim17ROCPRIM_400000_NS6detail17trampoline_kernelINS0_14default_configENS1_35adjacent_difference_config_selectorILb1EiEEZNS1_24adjacent_difference_implIS3_Lb1ELb0EPiS7_N6thrust23THRUST_200600_302600_NS5minusIiEEEE10hipError_tPvRmT2_T3_mT4_P12ihipStream_tbEUlT_E_NS1_11comp_targetILNS1_3genE5ELNS1_11target_archE942ELNS1_3gpuE9ELNS1_3repE0EEENS1_30default_config_static_selectorELNS0_4arch9wavefront6targetE1EEEvT1_.uses_vcc, 0
	.set _ZN7rocprim17ROCPRIM_400000_NS6detail17trampoline_kernelINS0_14default_configENS1_35adjacent_difference_config_selectorILb1EiEEZNS1_24adjacent_difference_implIS3_Lb1ELb0EPiS7_N6thrust23THRUST_200600_302600_NS5minusIiEEEE10hipError_tPvRmT2_T3_mT4_P12ihipStream_tbEUlT_E_NS1_11comp_targetILNS1_3genE5ELNS1_11target_archE942ELNS1_3gpuE9ELNS1_3repE0EEENS1_30default_config_static_selectorELNS0_4arch9wavefront6targetE1EEEvT1_.uses_flat_scratch, 0
	.set _ZN7rocprim17ROCPRIM_400000_NS6detail17trampoline_kernelINS0_14default_configENS1_35adjacent_difference_config_selectorILb1EiEEZNS1_24adjacent_difference_implIS3_Lb1ELb0EPiS7_N6thrust23THRUST_200600_302600_NS5minusIiEEEE10hipError_tPvRmT2_T3_mT4_P12ihipStream_tbEUlT_E_NS1_11comp_targetILNS1_3genE5ELNS1_11target_archE942ELNS1_3gpuE9ELNS1_3repE0EEENS1_30default_config_static_selectorELNS0_4arch9wavefront6targetE1EEEvT1_.has_dyn_sized_stack, 0
	.set _ZN7rocprim17ROCPRIM_400000_NS6detail17trampoline_kernelINS0_14default_configENS1_35adjacent_difference_config_selectorILb1EiEEZNS1_24adjacent_difference_implIS3_Lb1ELb0EPiS7_N6thrust23THRUST_200600_302600_NS5minusIiEEEE10hipError_tPvRmT2_T3_mT4_P12ihipStream_tbEUlT_E_NS1_11comp_targetILNS1_3genE5ELNS1_11target_archE942ELNS1_3gpuE9ELNS1_3repE0EEENS1_30default_config_static_selectorELNS0_4arch9wavefront6targetE1EEEvT1_.has_recursion, 0
	.set _ZN7rocprim17ROCPRIM_400000_NS6detail17trampoline_kernelINS0_14default_configENS1_35adjacent_difference_config_selectorILb1EiEEZNS1_24adjacent_difference_implIS3_Lb1ELb0EPiS7_N6thrust23THRUST_200600_302600_NS5minusIiEEEE10hipError_tPvRmT2_T3_mT4_P12ihipStream_tbEUlT_E_NS1_11comp_targetILNS1_3genE5ELNS1_11target_archE942ELNS1_3gpuE9ELNS1_3repE0EEENS1_30default_config_static_selectorELNS0_4arch9wavefront6targetE1EEEvT1_.has_indirect_call, 0
	.section	.AMDGPU.csdata,"",@progbits
; Kernel info:
; codeLenInByte = 0
; TotalNumSgprs: 4
; NumVgprs: 0
; ScratchSize: 0
; MemoryBound: 0
; FloatMode: 240
; IeeeMode: 1
; LDSByteSize: 0 bytes/workgroup (compile time only)
; SGPRBlocks: 0
; VGPRBlocks: 0
; NumSGPRsForWavesPerEU: 4
; NumVGPRsForWavesPerEU: 1
; Occupancy: 10
; WaveLimiterHint : 0
; COMPUTE_PGM_RSRC2:SCRATCH_EN: 0
; COMPUTE_PGM_RSRC2:USER_SGPR: 6
; COMPUTE_PGM_RSRC2:TRAP_HANDLER: 0
; COMPUTE_PGM_RSRC2:TGID_X_EN: 1
; COMPUTE_PGM_RSRC2:TGID_Y_EN: 0
; COMPUTE_PGM_RSRC2:TGID_Z_EN: 0
; COMPUTE_PGM_RSRC2:TIDIG_COMP_CNT: 0
	.section	.text._ZN7rocprim17ROCPRIM_400000_NS6detail17trampoline_kernelINS0_14default_configENS1_35adjacent_difference_config_selectorILb1EiEEZNS1_24adjacent_difference_implIS3_Lb1ELb0EPiS7_N6thrust23THRUST_200600_302600_NS5minusIiEEEE10hipError_tPvRmT2_T3_mT4_P12ihipStream_tbEUlT_E_NS1_11comp_targetILNS1_3genE4ELNS1_11target_archE910ELNS1_3gpuE8ELNS1_3repE0EEENS1_30default_config_static_selectorELNS0_4arch9wavefront6targetE1EEEvT1_,"axG",@progbits,_ZN7rocprim17ROCPRIM_400000_NS6detail17trampoline_kernelINS0_14default_configENS1_35adjacent_difference_config_selectorILb1EiEEZNS1_24adjacent_difference_implIS3_Lb1ELb0EPiS7_N6thrust23THRUST_200600_302600_NS5minusIiEEEE10hipError_tPvRmT2_T3_mT4_P12ihipStream_tbEUlT_E_NS1_11comp_targetILNS1_3genE4ELNS1_11target_archE910ELNS1_3gpuE8ELNS1_3repE0EEENS1_30default_config_static_selectorELNS0_4arch9wavefront6targetE1EEEvT1_,comdat
	.protected	_ZN7rocprim17ROCPRIM_400000_NS6detail17trampoline_kernelINS0_14default_configENS1_35adjacent_difference_config_selectorILb1EiEEZNS1_24adjacent_difference_implIS3_Lb1ELb0EPiS7_N6thrust23THRUST_200600_302600_NS5minusIiEEEE10hipError_tPvRmT2_T3_mT4_P12ihipStream_tbEUlT_E_NS1_11comp_targetILNS1_3genE4ELNS1_11target_archE910ELNS1_3gpuE8ELNS1_3repE0EEENS1_30default_config_static_selectorELNS0_4arch9wavefront6targetE1EEEvT1_ ; -- Begin function _ZN7rocprim17ROCPRIM_400000_NS6detail17trampoline_kernelINS0_14default_configENS1_35adjacent_difference_config_selectorILb1EiEEZNS1_24adjacent_difference_implIS3_Lb1ELb0EPiS7_N6thrust23THRUST_200600_302600_NS5minusIiEEEE10hipError_tPvRmT2_T3_mT4_P12ihipStream_tbEUlT_E_NS1_11comp_targetILNS1_3genE4ELNS1_11target_archE910ELNS1_3gpuE8ELNS1_3repE0EEENS1_30default_config_static_selectorELNS0_4arch9wavefront6targetE1EEEvT1_
	.globl	_ZN7rocprim17ROCPRIM_400000_NS6detail17trampoline_kernelINS0_14default_configENS1_35adjacent_difference_config_selectorILb1EiEEZNS1_24adjacent_difference_implIS3_Lb1ELb0EPiS7_N6thrust23THRUST_200600_302600_NS5minusIiEEEE10hipError_tPvRmT2_T3_mT4_P12ihipStream_tbEUlT_E_NS1_11comp_targetILNS1_3genE4ELNS1_11target_archE910ELNS1_3gpuE8ELNS1_3repE0EEENS1_30default_config_static_selectorELNS0_4arch9wavefront6targetE1EEEvT1_
	.p2align	8
	.type	_ZN7rocprim17ROCPRIM_400000_NS6detail17trampoline_kernelINS0_14default_configENS1_35adjacent_difference_config_selectorILb1EiEEZNS1_24adjacent_difference_implIS3_Lb1ELb0EPiS7_N6thrust23THRUST_200600_302600_NS5minusIiEEEE10hipError_tPvRmT2_T3_mT4_P12ihipStream_tbEUlT_E_NS1_11comp_targetILNS1_3genE4ELNS1_11target_archE910ELNS1_3gpuE8ELNS1_3repE0EEENS1_30default_config_static_selectorELNS0_4arch9wavefront6targetE1EEEvT1_,@function
_ZN7rocprim17ROCPRIM_400000_NS6detail17trampoline_kernelINS0_14default_configENS1_35adjacent_difference_config_selectorILb1EiEEZNS1_24adjacent_difference_implIS3_Lb1ELb0EPiS7_N6thrust23THRUST_200600_302600_NS5minusIiEEEE10hipError_tPvRmT2_T3_mT4_P12ihipStream_tbEUlT_E_NS1_11comp_targetILNS1_3genE4ELNS1_11target_archE910ELNS1_3gpuE8ELNS1_3repE0EEENS1_30default_config_static_selectorELNS0_4arch9wavefront6targetE1EEEvT1_: ; @_ZN7rocprim17ROCPRIM_400000_NS6detail17trampoline_kernelINS0_14default_configENS1_35adjacent_difference_config_selectorILb1EiEEZNS1_24adjacent_difference_implIS3_Lb1ELb0EPiS7_N6thrust23THRUST_200600_302600_NS5minusIiEEEE10hipError_tPvRmT2_T3_mT4_P12ihipStream_tbEUlT_E_NS1_11comp_targetILNS1_3genE4ELNS1_11target_archE910ELNS1_3gpuE8ELNS1_3repE0EEENS1_30default_config_static_selectorELNS0_4arch9wavefront6targetE1EEEvT1_
; %bb.0:
	.section	.rodata,"a",@progbits
	.p2align	6, 0x0
	.amdhsa_kernel _ZN7rocprim17ROCPRIM_400000_NS6detail17trampoline_kernelINS0_14default_configENS1_35adjacent_difference_config_selectorILb1EiEEZNS1_24adjacent_difference_implIS3_Lb1ELb0EPiS7_N6thrust23THRUST_200600_302600_NS5minusIiEEEE10hipError_tPvRmT2_T3_mT4_P12ihipStream_tbEUlT_E_NS1_11comp_targetILNS1_3genE4ELNS1_11target_archE910ELNS1_3gpuE8ELNS1_3repE0EEENS1_30default_config_static_selectorELNS0_4arch9wavefront6targetE1EEEvT1_
		.amdhsa_group_segment_fixed_size 0
		.amdhsa_private_segment_fixed_size 0
		.amdhsa_kernarg_size 56
		.amdhsa_user_sgpr_count 6
		.amdhsa_user_sgpr_private_segment_buffer 1
		.amdhsa_user_sgpr_dispatch_ptr 0
		.amdhsa_user_sgpr_queue_ptr 0
		.amdhsa_user_sgpr_kernarg_segment_ptr 1
		.amdhsa_user_sgpr_dispatch_id 0
		.amdhsa_user_sgpr_flat_scratch_init 0
		.amdhsa_user_sgpr_private_segment_size 0
		.amdhsa_uses_dynamic_stack 0
		.amdhsa_system_sgpr_private_segment_wavefront_offset 0
		.amdhsa_system_sgpr_workgroup_id_x 1
		.amdhsa_system_sgpr_workgroup_id_y 0
		.amdhsa_system_sgpr_workgroup_id_z 0
		.amdhsa_system_sgpr_workgroup_info 0
		.amdhsa_system_vgpr_workitem_id 0
		.amdhsa_next_free_vgpr 1
		.amdhsa_next_free_sgpr 0
		.amdhsa_reserve_vcc 0
		.amdhsa_reserve_flat_scratch 0
		.amdhsa_float_round_mode_32 0
		.amdhsa_float_round_mode_16_64 0
		.amdhsa_float_denorm_mode_32 3
		.amdhsa_float_denorm_mode_16_64 3
		.amdhsa_dx10_clamp 1
		.amdhsa_ieee_mode 1
		.amdhsa_fp16_overflow 0
		.amdhsa_exception_fp_ieee_invalid_op 0
		.amdhsa_exception_fp_denorm_src 0
		.amdhsa_exception_fp_ieee_div_zero 0
		.amdhsa_exception_fp_ieee_overflow 0
		.amdhsa_exception_fp_ieee_underflow 0
		.amdhsa_exception_fp_ieee_inexact 0
		.amdhsa_exception_int_div_zero 0
	.end_amdhsa_kernel
	.section	.text._ZN7rocprim17ROCPRIM_400000_NS6detail17trampoline_kernelINS0_14default_configENS1_35adjacent_difference_config_selectorILb1EiEEZNS1_24adjacent_difference_implIS3_Lb1ELb0EPiS7_N6thrust23THRUST_200600_302600_NS5minusIiEEEE10hipError_tPvRmT2_T3_mT4_P12ihipStream_tbEUlT_E_NS1_11comp_targetILNS1_3genE4ELNS1_11target_archE910ELNS1_3gpuE8ELNS1_3repE0EEENS1_30default_config_static_selectorELNS0_4arch9wavefront6targetE1EEEvT1_,"axG",@progbits,_ZN7rocprim17ROCPRIM_400000_NS6detail17trampoline_kernelINS0_14default_configENS1_35adjacent_difference_config_selectorILb1EiEEZNS1_24adjacent_difference_implIS3_Lb1ELb0EPiS7_N6thrust23THRUST_200600_302600_NS5minusIiEEEE10hipError_tPvRmT2_T3_mT4_P12ihipStream_tbEUlT_E_NS1_11comp_targetILNS1_3genE4ELNS1_11target_archE910ELNS1_3gpuE8ELNS1_3repE0EEENS1_30default_config_static_selectorELNS0_4arch9wavefront6targetE1EEEvT1_,comdat
.Lfunc_end327:
	.size	_ZN7rocprim17ROCPRIM_400000_NS6detail17trampoline_kernelINS0_14default_configENS1_35adjacent_difference_config_selectorILb1EiEEZNS1_24adjacent_difference_implIS3_Lb1ELb0EPiS7_N6thrust23THRUST_200600_302600_NS5minusIiEEEE10hipError_tPvRmT2_T3_mT4_P12ihipStream_tbEUlT_E_NS1_11comp_targetILNS1_3genE4ELNS1_11target_archE910ELNS1_3gpuE8ELNS1_3repE0EEENS1_30default_config_static_selectorELNS0_4arch9wavefront6targetE1EEEvT1_, .Lfunc_end327-_ZN7rocprim17ROCPRIM_400000_NS6detail17trampoline_kernelINS0_14default_configENS1_35adjacent_difference_config_selectorILb1EiEEZNS1_24adjacent_difference_implIS3_Lb1ELb0EPiS7_N6thrust23THRUST_200600_302600_NS5minusIiEEEE10hipError_tPvRmT2_T3_mT4_P12ihipStream_tbEUlT_E_NS1_11comp_targetILNS1_3genE4ELNS1_11target_archE910ELNS1_3gpuE8ELNS1_3repE0EEENS1_30default_config_static_selectorELNS0_4arch9wavefront6targetE1EEEvT1_
                                        ; -- End function
	.set _ZN7rocprim17ROCPRIM_400000_NS6detail17trampoline_kernelINS0_14default_configENS1_35adjacent_difference_config_selectorILb1EiEEZNS1_24adjacent_difference_implIS3_Lb1ELb0EPiS7_N6thrust23THRUST_200600_302600_NS5minusIiEEEE10hipError_tPvRmT2_T3_mT4_P12ihipStream_tbEUlT_E_NS1_11comp_targetILNS1_3genE4ELNS1_11target_archE910ELNS1_3gpuE8ELNS1_3repE0EEENS1_30default_config_static_selectorELNS0_4arch9wavefront6targetE1EEEvT1_.num_vgpr, 0
	.set _ZN7rocprim17ROCPRIM_400000_NS6detail17trampoline_kernelINS0_14default_configENS1_35adjacent_difference_config_selectorILb1EiEEZNS1_24adjacent_difference_implIS3_Lb1ELb0EPiS7_N6thrust23THRUST_200600_302600_NS5minusIiEEEE10hipError_tPvRmT2_T3_mT4_P12ihipStream_tbEUlT_E_NS1_11comp_targetILNS1_3genE4ELNS1_11target_archE910ELNS1_3gpuE8ELNS1_3repE0EEENS1_30default_config_static_selectorELNS0_4arch9wavefront6targetE1EEEvT1_.num_agpr, 0
	.set _ZN7rocprim17ROCPRIM_400000_NS6detail17trampoline_kernelINS0_14default_configENS1_35adjacent_difference_config_selectorILb1EiEEZNS1_24adjacent_difference_implIS3_Lb1ELb0EPiS7_N6thrust23THRUST_200600_302600_NS5minusIiEEEE10hipError_tPvRmT2_T3_mT4_P12ihipStream_tbEUlT_E_NS1_11comp_targetILNS1_3genE4ELNS1_11target_archE910ELNS1_3gpuE8ELNS1_3repE0EEENS1_30default_config_static_selectorELNS0_4arch9wavefront6targetE1EEEvT1_.numbered_sgpr, 0
	.set _ZN7rocprim17ROCPRIM_400000_NS6detail17trampoline_kernelINS0_14default_configENS1_35adjacent_difference_config_selectorILb1EiEEZNS1_24adjacent_difference_implIS3_Lb1ELb0EPiS7_N6thrust23THRUST_200600_302600_NS5minusIiEEEE10hipError_tPvRmT2_T3_mT4_P12ihipStream_tbEUlT_E_NS1_11comp_targetILNS1_3genE4ELNS1_11target_archE910ELNS1_3gpuE8ELNS1_3repE0EEENS1_30default_config_static_selectorELNS0_4arch9wavefront6targetE1EEEvT1_.num_named_barrier, 0
	.set _ZN7rocprim17ROCPRIM_400000_NS6detail17trampoline_kernelINS0_14default_configENS1_35adjacent_difference_config_selectorILb1EiEEZNS1_24adjacent_difference_implIS3_Lb1ELb0EPiS7_N6thrust23THRUST_200600_302600_NS5minusIiEEEE10hipError_tPvRmT2_T3_mT4_P12ihipStream_tbEUlT_E_NS1_11comp_targetILNS1_3genE4ELNS1_11target_archE910ELNS1_3gpuE8ELNS1_3repE0EEENS1_30default_config_static_selectorELNS0_4arch9wavefront6targetE1EEEvT1_.private_seg_size, 0
	.set _ZN7rocprim17ROCPRIM_400000_NS6detail17trampoline_kernelINS0_14default_configENS1_35adjacent_difference_config_selectorILb1EiEEZNS1_24adjacent_difference_implIS3_Lb1ELb0EPiS7_N6thrust23THRUST_200600_302600_NS5minusIiEEEE10hipError_tPvRmT2_T3_mT4_P12ihipStream_tbEUlT_E_NS1_11comp_targetILNS1_3genE4ELNS1_11target_archE910ELNS1_3gpuE8ELNS1_3repE0EEENS1_30default_config_static_selectorELNS0_4arch9wavefront6targetE1EEEvT1_.uses_vcc, 0
	.set _ZN7rocprim17ROCPRIM_400000_NS6detail17trampoline_kernelINS0_14default_configENS1_35adjacent_difference_config_selectorILb1EiEEZNS1_24adjacent_difference_implIS3_Lb1ELb0EPiS7_N6thrust23THRUST_200600_302600_NS5minusIiEEEE10hipError_tPvRmT2_T3_mT4_P12ihipStream_tbEUlT_E_NS1_11comp_targetILNS1_3genE4ELNS1_11target_archE910ELNS1_3gpuE8ELNS1_3repE0EEENS1_30default_config_static_selectorELNS0_4arch9wavefront6targetE1EEEvT1_.uses_flat_scratch, 0
	.set _ZN7rocprim17ROCPRIM_400000_NS6detail17trampoline_kernelINS0_14default_configENS1_35adjacent_difference_config_selectorILb1EiEEZNS1_24adjacent_difference_implIS3_Lb1ELb0EPiS7_N6thrust23THRUST_200600_302600_NS5minusIiEEEE10hipError_tPvRmT2_T3_mT4_P12ihipStream_tbEUlT_E_NS1_11comp_targetILNS1_3genE4ELNS1_11target_archE910ELNS1_3gpuE8ELNS1_3repE0EEENS1_30default_config_static_selectorELNS0_4arch9wavefront6targetE1EEEvT1_.has_dyn_sized_stack, 0
	.set _ZN7rocprim17ROCPRIM_400000_NS6detail17trampoline_kernelINS0_14default_configENS1_35adjacent_difference_config_selectorILb1EiEEZNS1_24adjacent_difference_implIS3_Lb1ELb0EPiS7_N6thrust23THRUST_200600_302600_NS5minusIiEEEE10hipError_tPvRmT2_T3_mT4_P12ihipStream_tbEUlT_E_NS1_11comp_targetILNS1_3genE4ELNS1_11target_archE910ELNS1_3gpuE8ELNS1_3repE0EEENS1_30default_config_static_selectorELNS0_4arch9wavefront6targetE1EEEvT1_.has_recursion, 0
	.set _ZN7rocprim17ROCPRIM_400000_NS6detail17trampoline_kernelINS0_14default_configENS1_35adjacent_difference_config_selectorILb1EiEEZNS1_24adjacent_difference_implIS3_Lb1ELb0EPiS7_N6thrust23THRUST_200600_302600_NS5minusIiEEEE10hipError_tPvRmT2_T3_mT4_P12ihipStream_tbEUlT_E_NS1_11comp_targetILNS1_3genE4ELNS1_11target_archE910ELNS1_3gpuE8ELNS1_3repE0EEENS1_30default_config_static_selectorELNS0_4arch9wavefront6targetE1EEEvT1_.has_indirect_call, 0
	.section	.AMDGPU.csdata,"",@progbits
; Kernel info:
; codeLenInByte = 0
; TotalNumSgprs: 4
; NumVgprs: 0
; ScratchSize: 0
; MemoryBound: 0
; FloatMode: 240
; IeeeMode: 1
; LDSByteSize: 0 bytes/workgroup (compile time only)
; SGPRBlocks: 0
; VGPRBlocks: 0
; NumSGPRsForWavesPerEU: 4
; NumVGPRsForWavesPerEU: 1
; Occupancy: 10
; WaveLimiterHint : 0
; COMPUTE_PGM_RSRC2:SCRATCH_EN: 0
; COMPUTE_PGM_RSRC2:USER_SGPR: 6
; COMPUTE_PGM_RSRC2:TRAP_HANDLER: 0
; COMPUTE_PGM_RSRC2:TGID_X_EN: 1
; COMPUTE_PGM_RSRC2:TGID_Y_EN: 0
; COMPUTE_PGM_RSRC2:TGID_Z_EN: 0
; COMPUTE_PGM_RSRC2:TIDIG_COMP_CNT: 0
	.section	.text._ZN7rocprim17ROCPRIM_400000_NS6detail17trampoline_kernelINS0_14default_configENS1_35adjacent_difference_config_selectorILb1EiEEZNS1_24adjacent_difference_implIS3_Lb1ELb0EPiS7_N6thrust23THRUST_200600_302600_NS5minusIiEEEE10hipError_tPvRmT2_T3_mT4_P12ihipStream_tbEUlT_E_NS1_11comp_targetILNS1_3genE3ELNS1_11target_archE908ELNS1_3gpuE7ELNS1_3repE0EEENS1_30default_config_static_selectorELNS0_4arch9wavefront6targetE1EEEvT1_,"axG",@progbits,_ZN7rocprim17ROCPRIM_400000_NS6detail17trampoline_kernelINS0_14default_configENS1_35adjacent_difference_config_selectorILb1EiEEZNS1_24adjacent_difference_implIS3_Lb1ELb0EPiS7_N6thrust23THRUST_200600_302600_NS5minusIiEEEE10hipError_tPvRmT2_T3_mT4_P12ihipStream_tbEUlT_E_NS1_11comp_targetILNS1_3genE3ELNS1_11target_archE908ELNS1_3gpuE7ELNS1_3repE0EEENS1_30default_config_static_selectorELNS0_4arch9wavefront6targetE1EEEvT1_,comdat
	.protected	_ZN7rocprim17ROCPRIM_400000_NS6detail17trampoline_kernelINS0_14default_configENS1_35adjacent_difference_config_selectorILb1EiEEZNS1_24adjacent_difference_implIS3_Lb1ELb0EPiS7_N6thrust23THRUST_200600_302600_NS5minusIiEEEE10hipError_tPvRmT2_T3_mT4_P12ihipStream_tbEUlT_E_NS1_11comp_targetILNS1_3genE3ELNS1_11target_archE908ELNS1_3gpuE7ELNS1_3repE0EEENS1_30default_config_static_selectorELNS0_4arch9wavefront6targetE1EEEvT1_ ; -- Begin function _ZN7rocprim17ROCPRIM_400000_NS6detail17trampoline_kernelINS0_14default_configENS1_35adjacent_difference_config_selectorILb1EiEEZNS1_24adjacent_difference_implIS3_Lb1ELb0EPiS7_N6thrust23THRUST_200600_302600_NS5minusIiEEEE10hipError_tPvRmT2_T3_mT4_P12ihipStream_tbEUlT_E_NS1_11comp_targetILNS1_3genE3ELNS1_11target_archE908ELNS1_3gpuE7ELNS1_3repE0EEENS1_30default_config_static_selectorELNS0_4arch9wavefront6targetE1EEEvT1_
	.globl	_ZN7rocprim17ROCPRIM_400000_NS6detail17trampoline_kernelINS0_14default_configENS1_35adjacent_difference_config_selectorILb1EiEEZNS1_24adjacent_difference_implIS3_Lb1ELb0EPiS7_N6thrust23THRUST_200600_302600_NS5minusIiEEEE10hipError_tPvRmT2_T3_mT4_P12ihipStream_tbEUlT_E_NS1_11comp_targetILNS1_3genE3ELNS1_11target_archE908ELNS1_3gpuE7ELNS1_3repE0EEENS1_30default_config_static_selectorELNS0_4arch9wavefront6targetE1EEEvT1_
	.p2align	8
	.type	_ZN7rocprim17ROCPRIM_400000_NS6detail17trampoline_kernelINS0_14default_configENS1_35adjacent_difference_config_selectorILb1EiEEZNS1_24adjacent_difference_implIS3_Lb1ELb0EPiS7_N6thrust23THRUST_200600_302600_NS5minusIiEEEE10hipError_tPvRmT2_T3_mT4_P12ihipStream_tbEUlT_E_NS1_11comp_targetILNS1_3genE3ELNS1_11target_archE908ELNS1_3gpuE7ELNS1_3repE0EEENS1_30default_config_static_selectorELNS0_4arch9wavefront6targetE1EEEvT1_,@function
_ZN7rocprim17ROCPRIM_400000_NS6detail17trampoline_kernelINS0_14default_configENS1_35adjacent_difference_config_selectorILb1EiEEZNS1_24adjacent_difference_implIS3_Lb1ELb0EPiS7_N6thrust23THRUST_200600_302600_NS5minusIiEEEE10hipError_tPvRmT2_T3_mT4_P12ihipStream_tbEUlT_E_NS1_11comp_targetILNS1_3genE3ELNS1_11target_archE908ELNS1_3gpuE7ELNS1_3repE0EEENS1_30default_config_static_selectorELNS0_4arch9wavefront6targetE1EEEvT1_: ; @_ZN7rocprim17ROCPRIM_400000_NS6detail17trampoline_kernelINS0_14default_configENS1_35adjacent_difference_config_selectorILb1EiEEZNS1_24adjacent_difference_implIS3_Lb1ELb0EPiS7_N6thrust23THRUST_200600_302600_NS5minusIiEEEE10hipError_tPvRmT2_T3_mT4_P12ihipStream_tbEUlT_E_NS1_11comp_targetILNS1_3genE3ELNS1_11target_archE908ELNS1_3gpuE7ELNS1_3repE0EEENS1_30default_config_static_selectorELNS0_4arch9wavefront6targetE1EEEvT1_
; %bb.0:
	.section	.rodata,"a",@progbits
	.p2align	6, 0x0
	.amdhsa_kernel _ZN7rocprim17ROCPRIM_400000_NS6detail17trampoline_kernelINS0_14default_configENS1_35adjacent_difference_config_selectorILb1EiEEZNS1_24adjacent_difference_implIS3_Lb1ELb0EPiS7_N6thrust23THRUST_200600_302600_NS5minusIiEEEE10hipError_tPvRmT2_T3_mT4_P12ihipStream_tbEUlT_E_NS1_11comp_targetILNS1_3genE3ELNS1_11target_archE908ELNS1_3gpuE7ELNS1_3repE0EEENS1_30default_config_static_selectorELNS0_4arch9wavefront6targetE1EEEvT1_
		.amdhsa_group_segment_fixed_size 0
		.amdhsa_private_segment_fixed_size 0
		.amdhsa_kernarg_size 56
		.amdhsa_user_sgpr_count 6
		.amdhsa_user_sgpr_private_segment_buffer 1
		.amdhsa_user_sgpr_dispatch_ptr 0
		.amdhsa_user_sgpr_queue_ptr 0
		.amdhsa_user_sgpr_kernarg_segment_ptr 1
		.amdhsa_user_sgpr_dispatch_id 0
		.amdhsa_user_sgpr_flat_scratch_init 0
		.amdhsa_user_sgpr_private_segment_size 0
		.amdhsa_uses_dynamic_stack 0
		.amdhsa_system_sgpr_private_segment_wavefront_offset 0
		.amdhsa_system_sgpr_workgroup_id_x 1
		.amdhsa_system_sgpr_workgroup_id_y 0
		.amdhsa_system_sgpr_workgroup_id_z 0
		.amdhsa_system_sgpr_workgroup_info 0
		.amdhsa_system_vgpr_workitem_id 0
		.amdhsa_next_free_vgpr 1
		.amdhsa_next_free_sgpr 0
		.amdhsa_reserve_vcc 0
		.amdhsa_reserve_flat_scratch 0
		.amdhsa_float_round_mode_32 0
		.amdhsa_float_round_mode_16_64 0
		.amdhsa_float_denorm_mode_32 3
		.amdhsa_float_denorm_mode_16_64 3
		.amdhsa_dx10_clamp 1
		.amdhsa_ieee_mode 1
		.amdhsa_fp16_overflow 0
		.amdhsa_exception_fp_ieee_invalid_op 0
		.amdhsa_exception_fp_denorm_src 0
		.amdhsa_exception_fp_ieee_div_zero 0
		.amdhsa_exception_fp_ieee_overflow 0
		.amdhsa_exception_fp_ieee_underflow 0
		.amdhsa_exception_fp_ieee_inexact 0
		.amdhsa_exception_int_div_zero 0
	.end_amdhsa_kernel
	.section	.text._ZN7rocprim17ROCPRIM_400000_NS6detail17trampoline_kernelINS0_14default_configENS1_35adjacent_difference_config_selectorILb1EiEEZNS1_24adjacent_difference_implIS3_Lb1ELb0EPiS7_N6thrust23THRUST_200600_302600_NS5minusIiEEEE10hipError_tPvRmT2_T3_mT4_P12ihipStream_tbEUlT_E_NS1_11comp_targetILNS1_3genE3ELNS1_11target_archE908ELNS1_3gpuE7ELNS1_3repE0EEENS1_30default_config_static_selectorELNS0_4arch9wavefront6targetE1EEEvT1_,"axG",@progbits,_ZN7rocprim17ROCPRIM_400000_NS6detail17trampoline_kernelINS0_14default_configENS1_35adjacent_difference_config_selectorILb1EiEEZNS1_24adjacent_difference_implIS3_Lb1ELb0EPiS7_N6thrust23THRUST_200600_302600_NS5minusIiEEEE10hipError_tPvRmT2_T3_mT4_P12ihipStream_tbEUlT_E_NS1_11comp_targetILNS1_3genE3ELNS1_11target_archE908ELNS1_3gpuE7ELNS1_3repE0EEENS1_30default_config_static_selectorELNS0_4arch9wavefront6targetE1EEEvT1_,comdat
.Lfunc_end328:
	.size	_ZN7rocprim17ROCPRIM_400000_NS6detail17trampoline_kernelINS0_14default_configENS1_35adjacent_difference_config_selectorILb1EiEEZNS1_24adjacent_difference_implIS3_Lb1ELb0EPiS7_N6thrust23THRUST_200600_302600_NS5minusIiEEEE10hipError_tPvRmT2_T3_mT4_P12ihipStream_tbEUlT_E_NS1_11comp_targetILNS1_3genE3ELNS1_11target_archE908ELNS1_3gpuE7ELNS1_3repE0EEENS1_30default_config_static_selectorELNS0_4arch9wavefront6targetE1EEEvT1_, .Lfunc_end328-_ZN7rocprim17ROCPRIM_400000_NS6detail17trampoline_kernelINS0_14default_configENS1_35adjacent_difference_config_selectorILb1EiEEZNS1_24adjacent_difference_implIS3_Lb1ELb0EPiS7_N6thrust23THRUST_200600_302600_NS5minusIiEEEE10hipError_tPvRmT2_T3_mT4_P12ihipStream_tbEUlT_E_NS1_11comp_targetILNS1_3genE3ELNS1_11target_archE908ELNS1_3gpuE7ELNS1_3repE0EEENS1_30default_config_static_selectorELNS0_4arch9wavefront6targetE1EEEvT1_
                                        ; -- End function
	.set _ZN7rocprim17ROCPRIM_400000_NS6detail17trampoline_kernelINS0_14default_configENS1_35adjacent_difference_config_selectorILb1EiEEZNS1_24adjacent_difference_implIS3_Lb1ELb0EPiS7_N6thrust23THRUST_200600_302600_NS5minusIiEEEE10hipError_tPvRmT2_T3_mT4_P12ihipStream_tbEUlT_E_NS1_11comp_targetILNS1_3genE3ELNS1_11target_archE908ELNS1_3gpuE7ELNS1_3repE0EEENS1_30default_config_static_selectorELNS0_4arch9wavefront6targetE1EEEvT1_.num_vgpr, 0
	.set _ZN7rocprim17ROCPRIM_400000_NS6detail17trampoline_kernelINS0_14default_configENS1_35adjacent_difference_config_selectorILb1EiEEZNS1_24adjacent_difference_implIS3_Lb1ELb0EPiS7_N6thrust23THRUST_200600_302600_NS5minusIiEEEE10hipError_tPvRmT2_T3_mT4_P12ihipStream_tbEUlT_E_NS1_11comp_targetILNS1_3genE3ELNS1_11target_archE908ELNS1_3gpuE7ELNS1_3repE0EEENS1_30default_config_static_selectorELNS0_4arch9wavefront6targetE1EEEvT1_.num_agpr, 0
	.set _ZN7rocprim17ROCPRIM_400000_NS6detail17trampoline_kernelINS0_14default_configENS1_35adjacent_difference_config_selectorILb1EiEEZNS1_24adjacent_difference_implIS3_Lb1ELb0EPiS7_N6thrust23THRUST_200600_302600_NS5minusIiEEEE10hipError_tPvRmT2_T3_mT4_P12ihipStream_tbEUlT_E_NS1_11comp_targetILNS1_3genE3ELNS1_11target_archE908ELNS1_3gpuE7ELNS1_3repE0EEENS1_30default_config_static_selectorELNS0_4arch9wavefront6targetE1EEEvT1_.numbered_sgpr, 0
	.set _ZN7rocprim17ROCPRIM_400000_NS6detail17trampoline_kernelINS0_14default_configENS1_35adjacent_difference_config_selectorILb1EiEEZNS1_24adjacent_difference_implIS3_Lb1ELb0EPiS7_N6thrust23THRUST_200600_302600_NS5minusIiEEEE10hipError_tPvRmT2_T3_mT4_P12ihipStream_tbEUlT_E_NS1_11comp_targetILNS1_3genE3ELNS1_11target_archE908ELNS1_3gpuE7ELNS1_3repE0EEENS1_30default_config_static_selectorELNS0_4arch9wavefront6targetE1EEEvT1_.num_named_barrier, 0
	.set _ZN7rocprim17ROCPRIM_400000_NS6detail17trampoline_kernelINS0_14default_configENS1_35adjacent_difference_config_selectorILb1EiEEZNS1_24adjacent_difference_implIS3_Lb1ELb0EPiS7_N6thrust23THRUST_200600_302600_NS5minusIiEEEE10hipError_tPvRmT2_T3_mT4_P12ihipStream_tbEUlT_E_NS1_11comp_targetILNS1_3genE3ELNS1_11target_archE908ELNS1_3gpuE7ELNS1_3repE0EEENS1_30default_config_static_selectorELNS0_4arch9wavefront6targetE1EEEvT1_.private_seg_size, 0
	.set _ZN7rocprim17ROCPRIM_400000_NS6detail17trampoline_kernelINS0_14default_configENS1_35adjacent_difference_config_selectorILb1EiEEZNS1_24adjacent_difference_implIS3_Lb1ELb0EPiS7_N6thrust23THRUST_200600_302600_NS5minusIiEEEE10hipError_tPvRmT2_T3_mT4_P12ihipStream_tbEUlT_E_NS1_11comp_targetILNS1_3genE3ELNS1_11target_archE908ELNS1_3gpuE7ELNS1_3repE0EEENS1_30default_config_static_selectorELNS0_4arch9wavefront6targetE1EEEvT1_.uses_vcc, 0
	.set _ZN7rocprim17ROCPRIM_400000_NS6detail17trampoline_kernelINS0_14default_configENS1_35adjacent_difference_config_selectorILb1EiEEZNS1_24adjacent_difference_implIS3_Lb1ELb0EPiS7_N6thrust23THRUST_200600_302600_NS5minusIiEEEE10hipError_tPvRmT2_T3_mT4_P12ihipStream_tbEUlT_E_NS1_11comp_targetILNS1_3genE3ELNS1_11target_archE908ELNS1_3gpuE7ELNS1_3repE0EEENS1_30default_config_static_selectorELNS0_4arch9wavefront6targetE1EEEvT1_.uses_flat_scratch, 0
	.set _ZN7rocprim17ROCPRIM_400000_NS6detail17trampoline_kernelINS0_14default_configENS1_35adjacent_difference_config_selectorILb1EiEEZNS1_24adjacent_difference_implIS3_Lb1ELb0EPiS7_N6thrust23THRUST_200600_302600_NS5minusIiEEEE10hipError_tPvRmT2_T3_mT4_P12ihipStream_tbEUlT_E_NS1_11comp_targetILNS1_3genE3ELNS1_11target_archE908ELNS1_3gpuE7ELNS1_3repE0EEENS1_30default_config_static_selectorELNS0_4arch9wavefront6targetE1EEEvT1_.has_dyn_sized_stack, 0
	.set _ZN7rocprim17ROCPRIM_400000_NS6detail17trampoline_kernelINS0_14default_configENS1_35adjacent_difference_config_selectorILb1EiEEZNS1_24adjacent_difference_implIS3_Lb1ELb0EPiS7_N6thrust23THRUST_200600_302600_NS5minusIiEEEE10hipError_tPvRmT2_T3_mT4_P12ihipStream_tbEUlT_E_NS1_11comp_targetILNS1_3genE3ELNS1_11target_archE908ELNS1_3gpuE7ELNS1_3repE0EEENS1_30default_config_static_selectorELNS0_4arch9wavefront6targetE1EEEvT1_.has_recursion, 0
	.set _ZN7rocprim17ROCPRIM_400000_NS6detail17trampoline_kernelINS0_14default_configENS1_35adjacent_difference_config_selectorILb1EiEEZNS1_24adjacent_difference_implIS3_Lb1ELb0EPiS7_N6thrust23THRUST_200600_302600_NS5minusIiEEEE10hipError_tPvRmT2_T3_mT4_P12ihipStream_tbEUlT_E_NS1_11comp_targetILNS1_3genE3ELNS1_11target_archE908ELNS1_3gpuE7ELNS1_3repE0EEENS1_30default_config_static_selectorELNS0_4arch9wavefront6targetE1EEEvT1_.has_indirect_call, 0
	.section	.AMDGPU.csdata,"",@progbits
; Kernel info:
; codeLenInByte = 0
; TotalNumSgprs: 4
; NumVgprs: 0
; ScratchSize: 0
; MemoryBound: 0
; FloatMode: 240
; IeeeMode: 1
; LDSByteSize: 0 bytes/workgroup (compile time only)
; SGPRBlocks: 0
; VGPRBlocks: 0
; NumSGPRsForWavesPerEU: 4
; NumVGPRsForWavesPerEU: 1
; Occupancy: 10
; WaveLimiterHint : 0
; COMPUTE_PGM_RSRC2:SCRATCH_EN: 0
; COMPUTE_PGM_RSRC2:USER_SGPR: 6
; COMPUTE_PGM_RSRC2:TRAP_HANDLER: 0
; COMPUTE_PGM_RSRC2:TGID_X_EN: 1
; COMPUTE_PGM_RSRC2:TGID_Y_EN: 0
; COMPUTE_PGM_RSRC2:TGID_Z_EN: 0
; COMPUTE_PGM_RSRC2:TIDIG_COMP_CNT: 0
	.section	.text._ZN7rocprim17ROCPRIM_400000_NS6detail17trampoline_kernelINS0_14default_configENS1_35adjacent_difference_config_selectorILb1EiEEZNS1_24adjacent_difference_implIS3_Lb1ELb0EPiS7_N6thrust23THRUST_200600_302600_NS5minusIiEEEE10hipError_tPvRmT2_T3_mT4_P12ihipStream_tbEUlT_E_NS1_11comp_targetILNS1_3genE2ELNS1_11target_archE906ELNS1_3gpuE6ELNS1_3repE0EEENS1_30default_config_static_selectorELNS0_4arch9wavefront6targetE1EEEvT1_,"axG",@progbits,_ZN7rocprim17ROCPRIM_400000_NS6detail17trampoline_kernelINS0_14default_configENS1_35adjacent_difference_config_selectorILb1EiEEZNS1_24adjacent_difference_implIS3_Lb1ELb0EPiS7_N6thrust23THRUST_200600_302600_NS5minusIiEEEE10hipError_tPvRmT2_T3_mT4_P12ihipStream_tbEUlT_E_NS1_11comp_targetILNS1_3genE2ELNS1_11target_archE906ELNS1_3gpuE6ELNS1_3repE0EEENS1_30default_config_static_selectorELNS0_4arch9wavefront6targetE1EEEvT1_,comdat
	.protected	_ZN7rocprim17ROCPRIM_400000_NS6detail17trampoline_kernelINS0_14default_configENS1_35adjacent_difference_config_selectorILb1EiEEZNS1_24adjacent_difference_implIS3_Lb1ELb0EPiS7_N6thrust23THRUST_200600_302600_NS5minusIiEEEE10hipError_tPvRmT2_T3_mT4_P12ihipStream_tbEUlT_E_NS1_11comp_targetILNS1_3genE2ELNS1_11target_archE906ELNS1_3gpuE6ELNS1_3repE0EEENS1_30default_config_static_selectorELNS0_4arch9wavefront6targetE1EEEvT1_ ; -- Begin function _ZN7rocprim17ROCPRIM_400000_NS6detail17trampoline_kernelINS0_14default_configENS1_35adjacent_difference_config_selectorILb1EiEEZNS1_24adjacent_difference_implIS3_Lb1ELb0EPiS7_N6thrust23THRUST_200600_302600_NS5minusIiEEEE10hipError_tPvRmT2_T3_mT4_P12ihipStream_tbEUlT_E_NS1_11comp_targetILNS1_3genE2ELNS1_11target_archE906ELNS1_3gpuE6ELNS1_3repE0EEENS1_30default_config_static_selectorELNS0_4arch9wavefront6targetE1EEEvT1_
	.globl	_ZN7rocprim17ROCPRIM_400000_NS6detail17trampoline_kernelINS0_14default_configENS1_35adjacent_difference_config_selectorILb1EiEEZNS1_24adjacent_difference_implIS3_Lb1ELb0EPiS7_N6thrust23THRUST_200600_302600_NS5minusIiEEEE10hipError_tPvRmT2_T3_mT4_P12ihipStream_tbEUlT_E_NS1_11comp_targetILNS1_3genE2ELNS1_11target_archE906ELNS1_3gpuE6ELNS1_3repE0EEENS1_30default_config_static_selectorELNS0_4arch9wavefront6targetE1EEEvT1_
	.p2align	8
	.type	_ZN7rocprim17ROCPRIM_400000_NS6detail17trampoline_kernelINS0_14default_configENS1_35adjacent_difference_config_selectorILb1EiEEZNS1_24adjacent_difference_implIS3_Lb1ELb0EPiS7_N6thrust23THRUST_200600_302600_NS5minusIiEEEE10hipError_tPvRmT2_T3_mT4_P12ihipStream_tbEUlT_E_NS1_11comp_targetILNS1_3genE2ELNS1_11target_archE906ELNS1_3gpuE6ELNS1_3repE0EEENS1_30default_config_static_selectorELNS0_4arch9wavefront6targetE1EEEvT1_,@function
_ZN7rocprim17ROCPRIM_400000_NS6detail17trampoline_kernelINS0_14default_configENS1_35adjacent_difference_config_selectorILb1EiEEZNS1_24adjacent_difference_implIS3_Lb1ELb0EPiS7_N6thrust23THRUST_200600_302600_NS5minusIiEEEE10hipError_tPvRmT2_T3_mT4_P12ihipStream_tbEUlT_E_NS1_11comp_targetILNS1_3genE2ELNS1_11target_archE906ELNS1_3gpuE6ELNS1_3repE0EEENS1_30default_config_static_selectorELNS0_4arch9wavefront6targetE1EEEvT1_: ; @_ZN7rocprim17ROCPRIM_400000_NS6detail17trampoline_kernelINS0_14default_configENS1_35adjacent_difference_config_selectorILb1EiEEZNS1_24adjacent_difference_implIS3_Lb1ELb0EPiS7_N6thrust23THRUST_200600_302600_NS5minusIiEEEE10hipError_tPvRmT2_T3_mT4_P12ihipStream_tbEUlT_E_NS1_11comp_targetILNS1_3genE2ELNS1_11target_archE906ELNS1_3gpuE6ELNS1_3repE0EEENS1_30default_config_static_selectorELNS0_4arch9wavefront6targetE1EEEvT1_
; %bb.0:
	s_load_dwordx8 s[20:27], s[4:5], 0x0
	s_load_dwordx4 s[8:11], s[4:5], 0x28
	s_mul_i32 s28, s6, 0xb00
	s_mov_b32 s7, 0
	s_mov_b64 s[14:15], -1
	s_waitcnt lgkmcnt(0)
	s_lshl_b64 s[30:31], s[22:23], 2
	s_add_u32 s18, s20, s30
	s_addc_u32 s19, s21, s31
	s_mul_i32 s3, s27, 0xba2e8ba3
	s_mul_hi_u32 s4, s26, 0xba2e8ba3
	s_mul_hi_u32 s2, s27, 0xba2e8ba3
	s_add_u32 s3, s3, s4
	s_mul_i32 s1, s26, 0x2e8ba2e8
	s_addc_u32 s2, s2, 0
	s_mul_hi_u32 s0, s26, 0x2e8ba2e8
	s_add_u32 s1, s1, s3
	s_addc_u32 s0, s0, 0
	s_add_u32 s0, s2, s0
	s_addc_u32 s1, 0, 0
	s_mul_i32 s3, s27, 0x2e8ba2e8
	s_mul_hi_u32 s2, s27, 0x2e8ba2e8
	s_add_u32 s0, s3, s0
	s_addc_u32 s1, s2, s1
	s_lshr_b64 s[2:3], s[0:1], 9
	s_lshr_b32 s0, s1, 9
	s_mulk_i32 s0, 0xb00
	s_mul_hi_u32 s1, s2, 0xb00
	s_add_i32 s1, s1, s0
	s_mul_i32 s0, s2, 0xb00
	s_sub_u32 s0, s26, s0
	s_subb_u32 s1, s27, s1
	s_cmp_lg_u64 s[0:1], 0
	s_cselect_b64 s[0:1], -1, 0
	v_cndmask_b32_e64 v1, 0, 1, s[0:1]
	v_readfirstlane_b32 s0, v1
	s_add_u32 s2, s2, s0
	s_addc_u32 s3, s3, 0
	s_add_u32 s4, s10, s6
	s_addc_u32 s5, s11, 0
	s_add_u32 s12, s2, -1
	s_addc_u32 s13, s3, -1
	v_mov_b32_e32 v1, s12
	v_mov_b32_e32 v2, s13
	v_cmp_ge_u64_e64 s[0:1], s[4:5], v[1:2]
	s_mul_i32 s27, s12, 0xfffff500
	s_and_b64 vcc, exec, s[0:1]
	s_cbranch_vccz .LBB329_24
; %bb.1:
	s_mov_b32 s29, s7
	s_add_i32 s20, s27, s26
	s_lshl_b64 s[14:15], s[28:29], 2
	s_add_u32 s14, s18, s14
	v_mov_b32_e32 v1, 0
	s_addc_u32 s15, s19, s15
	v_cmp_gt_u32_e32 vcc, s20, v0
	v_mov_b32_e32 v2, v1
	v_mov_b32_e32 v3, v1
	;; [unrolled: 1-line block ×10, first 2 shown]
	s_and_saveexec_b64 s[16:17], vcc
	s_cbranch_execz .LBB329_3
; %bb.2:
	v_lshlrev_b32_e32 v2, 2, v0
	global_load_dword v2, v2, s[14:15]
	v_mov_b32_e32 v3, v1
	v_mov_b32_e32 v4, v1
	;; [unrolled: 1-line block ×10, first 2 shown]
	s_waitcnt vmcnt(0)
	v_mov_b32_e32 v1, v2
	v_mov_b32_e32 v2, v3
	;; [unrolled: 1-line block ×11, first 2 shown]
.LBB329_3:
	s_or_b64 exec, exec, s[16:17]
	v_or_b32_e32 v12, 0x100, v0
	v_cmp_gt_u32_e32 vcc, s20, v12
	s_and_saveexec_b64 s[16:17], vcc
	s_cbranch_execz .LBB329_5
; %bb.4:
	v_lshlrev_b32_e32 v2, 2, v0
	global_load_dword v2, v2, s[14:15] offset:1024
.LBB329_5:
	s_or_b64 exec, exec, s[16:17]
	v_or_b32_e32 v12, 0x200, v0
	v_cmp_gt_u32_e32 vcc, s20, v12
	s_and_saveexec_b64 s[16:17], vcc
	s_cbranch_execz .LBB329_7
; %bb.6:
	v_lshlrev_b32_e32 v3, 2, v0
	global_load_dword v3, v3, s[14:15] offset:2048
.LBB329_7:
	;; [unrolled: 9-line block ×3, first 2 shown]
	s_or_b64 exec, exec, s[16:17]
	v_or_b32_e32 v12, 0x400, v0
	v_cmp_gt_u32_e32 vcc, s20, v12
	s_and_saveexec_b64 s[16:17], vcc
	s_cbranch_execz .LBB329_11
; %bb.10:
	v_lshlrev_b32_e32 v5, 2, v12
	global_load_dword v5, v5, s[14:15]
.LBB329_11:
	s_or_b64 exec, exec, s[16:17]
	v_or_b32_e32 v12, 0x500, v0
	v_cmp_gt_u32_e32 vcc, s20, v12
	s_and_saveexec_b64 s[16:17], vcc
	s_cbranch_execz .LBB329_13
; %bb.12:
	v_lshlrev_b32_e32 v6, 2, v12
	global_load_dword v6, v6, s[14:15]
.LBB329_13:
	;; [unrolled: 9-line block ×7, first 2 shown]
	s_or_b64 exec, exec, s[16:17]
	v_lshlrev_b32_e32 v12, 2, v0
	s_mov_b64 s[14:15], 0
	s_waitcnt vmcnt(0)
	ds_write2st64_b32 v12, v1, v2 offset1:4
	ds_write2st64_b32 v12, v3, v4 offset0:8 offset1:12
	ds_write2st64_b32 v12, v5, v6 offset0:16 offset1:20
	ds_write2st64_b32 v12, v7, v8 offset0:24 offset1:28
	ds_write2st64_b32 v12, v9, v10 offset0:32 offset1:36
	ds_write_b32 v12, v11 offset:10240
	s_waitcnt lgkmcnt(0)
	s_barrier
.LBB329_24:
	s_and_b64 vcc, exec, s[14:15]
	v_lshlrev_b32_e32 v13, 2, v0
	s_cbranch_vccz .LBB329_26
; %bb.25:
	s_mov_b32 s29, 0
	s_lshl_b64 s[14:15], s[28:29], 2
	s_add_u32 s14, s18, s14
	s_addc_u32 s15, s19, s15
	v_mov_b32_e32 v1, s15
	v_add_co_u32_e32 v3, vcc, s14, v13
	v_addc_co_u32_e32 v4, vcc, 0, v1, vcc
	v_add_co_u32_e32 v1, vcc, 0x1000, v3
	v_addc_co_u32_e32 v2, vcc, 0, v4, vcc
	v_add_co_u32_e32 v3, vcc, 0x2000, v3
	global_load_dword v5, v13, s[14:15] offset:1024
	global_load_dword v6, v13, s[14:15] offset:2048
	;; [unrolled: 1-line block ×3, first 2 shown]
	v_addc_co_u32_e32 v4, vcc, 0, v4, vcc
	global_load_dword v8, v13, s[14:15]
	global_load_dword v9, v[1:2], off
	global_load_dword v10, v[1:2], off offset:1024
	global_load_dword v11, v[1:2], off offset:2048
	;; [unrolled: 1-line block ×3, first 2 shown]
	global_load_dword v14, v[3:4], off
	global_load_dword v15, v[3:4], off offset:1024
	global_load_dword v16, v[3:4], off offset:2048
	s_waitcnt vmcnt(7)
	ds_write2st64_b32 v13, v8, v5 offset1:4
	ds_write2st64_b32 v13, v6, v7 offset0:8 offset1:12
	s_waitcnt vmcnt(5)
	ds_write2st64_b32 v13, v9, v10 offset0:16 offset1:20
	s_waitcnt vmcnt(3)
	;; [unrolled: 2-line block ×4, first 2 shown]
	ds_write_b32 v13, v16 offset:10240
	s_waitcnt lgkmcnt(0)
	s_barrier
.LBB329_26:
	v_mul_u32_u24_e32 v14, 44, v0
	ds_read2_b32 v[1:2], v14 offset1:1
	ds_read2_b32 v[3:4], v14 offset0:2 offset1:3
	ds_read2_b32 v[5:6], v14 offset0:4 offset1:5
	ds_read2_b32 v[7:8], v14 offset0:6 offset1:7
	ds_read2_b32 v[9:10], v14 offset0:8 offset1:9
	ds_read_b32 v11, v14 offset:40
	s_cmp_eq_u64 s[4:5], 0
	s_waitcnt lgkmcnt(0)
	s_barrier
	s_cbranch_scc1 .LBB329_31
; %bb.27:
	s_lshl_b64 s[10:11], s[10:11], 2
	s_add_u32 s8, s8, s10
	s_addc_u32 s9, s9, s11
	s_lshl_b64 s[6:7], s[6:7], 2
	s_add_u32 s6, s8, s6
	s_addc_u32 s7, s9, s7
	s_add_u32 s6, s6, -4
	s_addc_u32 s7, s7, -1
	s_load_dword s8, s[6:7], 0x0
	s_cmp_eq_u64 s[4:5], s[12:13]
	s_cbranch_scc1 .LBB329_32
; %bb.28:
	v_cmp_ne_u32_e32 vcc, 0, v0
	s_waitcnt lgkmcnt(0)
	v_mov_b32_e32 v12, s8
	ds_write_b32 v13, v11
	s_waitcnt lgkmcnt(0)
	s_barrier
	s_and_saveexec_b64 s[6:7], vcc
; %bb.29:
	v_add_u32_e32 v12, -4, v13
	ds_read_b32 v12, v12
; %bb.30:
	s_or_b64 exec, exec, s[6:7]
	s_waitcnt lgkmcnt(0)
	v_sub_u32_e32 v15, v1, v12
	s_mov_b64 s[6:7], 0
	s_branch .LBB329_33
.LBB329_31:
                                        ; implicit-def: $vgpr12
                                        ; implicit-def: $vgpr17
                                        ; implicit-def: $vgpr18
                                        ; implicit-def: $vgpr15
                                        ; implicit-def: $vgpr19
                                        ; implicit-def: $vgpr20
                                        ; implicit-def: $vgpr21
                                        ; implicit-def: $vgpr22
                                        ; implicit-def: $vgpr23
                                        ; implicit-def: $vgpr24
                                        ; implicit-def: $vgpr25
	s_branch .LBB329_38
.LBB329_32:
	s_mov_b64 s[6:7], -1
                                        ; implicit-def: $vgpr15
.LBB329_33:
	s_and_b64 vcc, exec, s[6:7]
	v_mov_b32_e32 v12, v10
	v_mov_b32_e32 v17, v9
	;; [unrolled: 1-line block ×10, first 2 shown]
	s_cbranch_vccz .LBB329_37
; %bb.34:
	v_mul_u32_u24_e32 v15, 11, v0
	v_cmp_ne_u32_e32 vcc, 0, v0
	s_waitcnt lgkmcnt(0)
	v_mov_b32_e32 v16, s8
	ds_write_b32 v13, v11
	s_waitcnt lgkmcnt(0)
	s_barrier
	s_and_saveexec_b64 s[6:7], vcc
; %bb.35:
	v_add_u32_e32 v12, -4, v13
	ds_read_b32 v16, v12
; %bb.36:
	s_or_b64 exec, exec, s[6:7]
	s_mulk_i32 s4, 0xf500
	s_add_i32 s4, s4, s26
	v_add_u32_e32 v12, 10, v15
	v_cmp_gt_u32_e32 vcc, s4, v12
	v_add_u32_e32 v17, 9, v15
	v_cndmask_b32_e32 v12, 0, v10, vcc
	v_cmp_gt_u32_e32 vcc, s4, v17
	v_add_u32_e32 v18, 8, v15
	v_cndmask_b32_e32 v17, 0, v9, vcc
	;; [unrolled: 3-line block ×9, first 2 shown]
	v_cmp_gt_u32_e32 vcc, s4, v19
	v_cndmask_b32_e32 v19, 0, v1, vcc
	v_cmp_gt_u32_e32 vcc, s4, v15
	s_waitcnt lgkmcnt(0)
	v_cndmask_b32_e32 v15, 0, v16, vcc
	v_sub_u32_e32 v15, v1, v15
.LBB329_37:
	s_cbranch_execnz .LBB329_48
.LBB329_38:
	s_cmp_eq_u64 s[2:3], 1
	v_cmp_ne_u32_e32 vcc, 0, v0
	s_cbranch_scc1 .LBB329_43
; %bb.39:
	v_mov_b32_e32 v15, v1
	ds_write_b32 v13, v11
	s_waitcnt lgkmcnt(0)
	s_barrier
	s_and_saveexec_b64 s[2:3], vcc
	s_cbranch_execz .LBB329_41
; %bb.40:
	v_add_u32_e32 v12, -4, v13
	ds_read_b32 v12, v12
	s_waitcnt lgkmcnt(0)
	v_sub_u32_e32 v15, v1, v12
.LBB329_41:
	s_or_b64 exec, exec, s[2:3]
	s_cbranch_execz .LBB329_44
; %bb.42:
	v_mov_b32_e32 v12, v10
	v_mov_b32_e32 v17, v9
	;; [unrolled: 1-line block ×9, first 2 shown]
	s_branch .LBB329_47
.LBB329_43:
                                        ; implicit-def: $vgpr15
.LBB329_44:
	v_mad_u32_u24 v15, v0, 11, 10
	v_cmp_gt_u32_e32 vcc, s26, v15
	v_mad_u32_u24 v15, v0, 11, 9
	v_cmp_gt_u32_e64 s[2:3], s26, v15
	v_mad_u32_u24 v15, v0, 11, 8
	v_cmp_gt_u32_e64 s[4:5], s26, v15
	;; [unrolled: 2-line block ×3, first 2 shown]
	v_mad_u32_u24 v15, v0, 11, 6
	s_waitcnt lgkmcnt(0)
	v_cmp_gt_u32_e64 s[8:9], s26, v15
	v_mad_u32_u24 v15, v0, 11, 5
	v_cmp_gt_u32_e64 s[10:11], s26, v15
	v_mad_u32_u24 v15, v0, 11, 4
	;; [unrolled: 2-line block ×3, first 2 shown]
	v_mul_u32_u24_e32 v12, 11, v0
	v_cmp_gt_u32_e64 s[14:15], s26, v15
	v_mad_u32_u24 v15, v0, 11, 2
	v_cmp_gt_u32_e64 s[16:17], s26, v15
	v_mad_u32_u24 v15, v0, 11, 1
	v_cmp_ne_u32_e64 s[20:21], 0, v0
	v_cmp_gt_u32_e64 s[22:23], s26, v12
	v_cmp_gt_u32_e64 s[18:19], s26, v15
	s_and_b64 s[22:23], s[20:21], s[22:23]
	v_mov_b32_e32 v15, v1
	ds_write_b32 v13, v11
	s_waitcnt lgkmcnt(0)
	s_barrier
	s_and_saveexec_b64 s[20:21], s[22:23]
	s_cbranch_execz .LBB329_46
; %bb.45:
	v_add_u32_e32 v12, -4, v13
	ds_read_b32 v12, v12
	s_waitcnt lgkmcnt(0)
	v_sub_u32_e32 v15, v1, v12
.LBB329_46:
	s_or_b64 exec, exec, s[20:21]
	v_cndmask_b32_e32 v12, 0, v10, vcc
	v_cndmask_b32_e64 v17, 0, v9, s[2:3]
	v_cndmask_b32_e64 v18, 0, v8, s[4:5]
	;; [unrolled: 1-line block ×9, first 2 shown]
.LBB329_47:
	v_mov_b32_e32 v19, v1
.LBB329_48:
	s_add_u32 s4, s24, s30
	s_addc_u32 s5, s25, s31
	v_sub_u32_e32 v16, v11, v12
	v_sub_u32_e32 v17, v10, v17
	;; [unrolled: 1-line block ×10, first 2 shown]
	s_and_b64 vcc, exec, s[0:1]
	s_waitcnt lgkmcnt(0)
	s_barrier
	s_cbranch_vccz .LBB329_70
; %bb.49:
	v_mul_i32_i24_e32 v26, 0xffffffd8, v0
	v_mad_u32_u24 v1, v0, 44, v26
	ds_write2_b32 v14, v15, v19 offset1:1
	ds_write2_b32 v14, v20, v21 offset0:2 offset1:3
	ds_write2_b32 v14, v22, v23 offset0:4 offset1:5
	;; [unrolled: 1-line block ×4, first 2 shown]
	ds_write_b32 v14, v16 offset:40
	s_waitcnt lgkmcnt(0)
	s_barrier
	ds_read2st64_b32 v[11:12], v1 offset0:4 offset1:8
	ds_read2st64_b32 v[9:10], v1 offset0:12 offset1:16
	;; [unrolled: 1-line block ×5, first 2 shown]
	s_mov_b32 s29, 0
	s_add_i32 s27, s27, s26
	s_lshl_b64 s[0:1], s[28:29], 2
	s_add_u32 s0, s4, s0
	s_addc_u32 s1, s5, s1
	v_mov_b32_e32 v4, s1
	v_add_co_u32_e32 v3, vcc, s0, v13
	v_addc_co_u32_e32 v4, vcc, 0, v4, vcc
	v_cmp_gt_u32_e32 vcc, s27, v0
	s_and_saveexec_b64 s[0:1], vcc
	s_cbranch_execz .LBB329_51
; %bb.50:
	v_add_u32_e32 v26, v14, v26
	ds_read_b32 v26, v26
	s_waitcnt lgkmcnt(0)
	global_store_dword v[3:4], v26, off
.LBB329_51:
	s_or_b64 exec, exec, s[0:1]
	v_or_b32_e32 v26, 0x100, v0
	v_cmp_gt_u32_e32 vcc, s27, v26
	s_and_saveexec_b64 s[0:1], vcc
	s_cbranch_execz .LBB329_53
; %bb.52:
	s_waitcnt lgkmcnt(4)
	global_store_dword v[3:4], v11, off offset:1024
.LBB329_53:
	s_or_b64 exec, exec, s[0:1]
	s_waitcnt lgkmcnt(4)
	v_or_b32_e32 v11, 0x200, v0
	v_cmp_gt_u32_e32 vcc, s27, v11
	s_and_saveexec_b64 s[0:1], vcc
	s_cbranch_execz .LBB329_55
; %bb.54:
	global_store_dword v[3:4], v12, off offset:2048
.LBB329_55:
	s_or_b64 exec, exec, s[0:1]
	v_or_b32_e32 v11, 0x300, v0
	v_cmp_gt_u32_e32 vcc, s27, v11
	s_and_saveexec_b64 s[0:1], vcc
	s_cbranch_execz .LBB329_57
; %bb.56:
	s_waitcnt lgkmcnt(3)
	global_store_dword v[3:4], v9, off offset:3072
.LBB329_57:
	s_or_b64 exec, exec, s[0:1]
	s_waitcnt lgkmcnt(3)
	v_or_b32_e32 v9, 0x400, v0
	v_cmp_gt_u32_e32 vcc, s27, v9
	s_and_saveexec_b64 s[0:1], vcc
	s_cbranch_execz .LBB329_59
; %bb.58:
	v_add_co_u32_e32 v11, vcc, 0x1000, v3
	v_addc_co_u32_e32 v12, vcc, 0, v4, vcc
	global_store_dword v[11:12], v10, off
.LBB329_59:
	s_or_b64 exec, exec, s[0:1]
	v_or_b32_e32 v9, 0x500, v0
	v_cmp_gt_u32_e32 vcc, s27, v9
	s_and_saveexec_b64 s[0:1], vcc
	s_cbranch_execz .LBB329_61
; %bb.60:
	v_add_co_u32_e32 v9, vcc, 0x1000, v3
	v_addc_co_u32_e32 v10, vcc, 0, v4, vcc
	s_waitcnt lgkmcnt(2)
	global_store_dword v[9:10], v7, off offset:1024
.LBB329_61:
	s_or_b64 exec, exec, s[0:1]
	s_waitcnt lgkmcnt(2)
	v_or_b32_e32 v7, 0x600, v0
	v_cmp_gt_u32_e32 vcc, s27, v7
	s_and_saveexec_b64 s[0:1], vcc
	s_cbranch_execz .LBB329_63
; %bb.62:
	v_add_co_u32_e32 v9, vcc, 0x1000, v3
	v_addc_co_u32_e32 v10, vcc, 0, v4, vcc
	global_store_dword v[9:10], v8, off offset:2048
.LBB329_63:
	s_or_b64 exec, exec, s[0:1]
	v_or_b32_e32 v7, 0x700, v0
	v_cmp_gt_u32_e32 vcc, s27, v7
	s_and_saveexec_b64 s[0:1], vcc
	s_cbranch_execz .LBB329_65
; %bb.64:
	v_add_co_u32_e32 v7, vcc, 0x1000, v3
	v_addc_co_u32_e32 v8, vcc, 0, v4, vcc
	s_waitcnt lgkmcnt(1)
	global_store_dword v[7:8], v5, off offset:3072
.LBB329_65:
	s_or_b64 exec, exec, s[0:1]
	s_waitcnt lgkmcnt(1)
	v_or_b32_e32 v5, 0x800, v0
	v_cmp_gt_u32_e32 vcc, s27, v5
	s_and_saveexec_b64 s[0:1], vcc
	s_cbranch_execz .LBB329_67
; %bb.66:
	v_add_co_u32_e32 v7, vcc, 0x2000, v3
	v_addc_co_u32_e32 v8, vcc, 0, v4, vcc
	global_store_dword v[7:8], v6, off
.LBB329_67:
	s_or_b64 exec, exec, s[0:1]
	v_or_b32_e32 v5, 0x900, v0
	v_cmp_gt_u32_e32 vcc, s27, v5
	s_and_saveexec_b64 s[0:1], vcc
	s_cbranch_execz .LBB329_69
; %bb.68:
	v_add_co_u32_e32 v5, vcc, 0x2000, v3
	v_addc_co_u32_e32 v6, vcc, 0, v4, vcc
	s_waitcnt lgkmcnt(0)
	global_store_dword v[5:6], v1, off offset:1024
.LBB329_69:
	s_or_b64 exec, exec, s[0:1]
	s_waitcnt lgkmcnt(0)
	v_or_b32_e32 v1, 0xa00, v0
	v_cmp_gt_u32_e64 s[0:1], s27, v1
	s_branch .LBB329_72
.LBB329_70:
	s_mov_b64 s[0:1], 0
                                        ; implicit-def: $vgpr2
                                        ; implicit-def: $vgpr3_vgpr4
	s_cbranch_execz .LBB329_72
; %bb.71:
	s_mov_b32 s29, 0
	s_lshl_b64 s[2:3], s[28:29], 2
	s_add_u32 s2, s4, s2
	v_mul_i32_i24_e32 v1, 0xffffffd8, v0
	s_addc_u32 s3, s5, s3
	v_mad_u32_u24 v2, v0, 44, v1
	ds_write2_b32 v14, v15, v19 offset1:1
	ds_write2_b32 v14, v20, v21 offset0:2 offset1:3
	ds_write2_b32 v14, v22, v23 offset0:4 offset1:5
	;; [unrolled: 1-line block ×4, first 2 shown]
	ds_write_b32 v14, v16 offset:40
	s_waitcnt vmcnt(0) lgkmcnt(0)
	s_barrier
	ds_read2st64_b32 v[0:1], v2 offset1:4
	ds_read2st64_b32 v[5:6], v2 offset0:8 offset1:12
	ds_read2st64_b32 v[7:8], v2 offset0:16 offset1:20
	;; [unrolled: 1-line block ×4, first 2 shown]
	ds_read_b32 v2, v2 offset:10240
	v_mov_b32_e32 v4, s3
	v_add_co_u32_e32 v3, vcc, s2, v13
	v_addc_co_u32_e32 v4, vcc, 0, v4, vcc
	s_waitcnt lgkmcnt(5)
	global_store_dword v13, v0, s[2:3]
	global_store_dword v13, v1, s[2:3] offset:1024
	s_waitcnt lgkmcnt(4)
	global_store_dword v13, v5, s[2:3] offset:2048
	global_store_dword v13, v6, s[2:3] offset:3072
	s_movk_i32 s2, 0x1000
	v_add_co_u32_e32 v0, vcc, s2, v3
	v_addc_co_u32_e32 v1, vcc, 0, v4, vcc
	s_waitcnt lgkmcnt(3)
	global_store_dword v[0:1], v7, off
	global_store_dword v[0:1], v8, off offset:1024
	s_waitcnt lgkmcnt(2)
	global_store_dword v[0:1], v9, off offset:2048
	global_store_dword v[0:1], v10, off offset:3072
	v_add_co_u32_e32 v0, vcc, 0x2000, v3
	v_addc_co_u32_e32 v1, vcc, 0, v4, vcc
	s_or_b64 s[0:1], s[0:1], exec
	s_waitcnt lgkmcnt(1)
	global_store_dword v[0:1], v11, off
	global_store_dword v[0:1], v12, off offset:1024
.LBB329_72:
	s_and_saveexec_b64 s[2:3], s[0:1]
	s_cbranch_execnz .LBB329_74
; %bb.73:
	s_endpgm
.LBB329_74:
	v_add_co_u32_e32 v0, vcc, 0x2000, v3
	v_addc_co_u32_e32 v1, vcc, 0, v4, vcc
	s_waitcnt lgkmcnt(0)
	global_store_dword v[0:1], v2, off offset:2048
	s_endpgm
	.section	.rodata,"a",@progbits
	.p2align	6, 0x0
	.amdhsa_kernel _ZN7rocprim17ROCPRIM_400000_NS6detail17trampoline_kernelINS0_14default_configENS1_35adjacent_difference_config_selectorILb1EiEEZNS1_24adjacent_difference_implIS3_Lb1ELb0EPiS7_N6thrust23THRUST_200600_302600_NS5minusIiEEEE10hipError_tPvRmT2_T3_mT4_P12ihipStream_tbEUlT_E_NS1_11comp_targetILNS1_3genE2ELNS1_11target_archE906ELNS1_3gpuE6ELNS1_3repE0EEENS1_30default_config_static_selectorELNS0_4arch9wavefront6targetE1EEEvT1_
		.amdhsa_group_segment_fixed_size 11264
		.amdhsa_private_segment_fixed_size 0
		.amdhsa_kernarg_size 56
		.amdhsa_user_sgpr_count 6
		.amdhsa_user_sgpr_private_segment_buffer 1
		.amdhsa_user_sgpr_dispatch_ptr 0
		.amdhsa_user_sgpr_queue_ptr 0
		.amdhsa_user_sgpr_kernarg_segment_ptr 1
		.amdhsa_user_sgpr_dispatch_id 0
		.amdhsa_user_sgpr_flat_scratch_init 0
		.amdhsa_user_sgpr_private_segment_size 0
		.amdhsa_uses_dynamic_stack 0
		.amdhsa_system_sgpr_private_segment_wavefront_offset 0
		.amdhsa_system_sgpr_workgroup_id_x 1
		.amdhsa_system_sgpr_workgroup_id_y 0
		.amdhsa_system_sgpr_workgroup_id_z 0
		.amdhsa_system_sgpr_workgroup_info 0
		.amdhsa_system_vgpr_workitem_id 0
		.amdhsa_next_free_vgpr 41
		.amdhsa_next_free_sgpr 98
		.amdhsa_reserve_vcc 1
		.amdhsa_reserve_flat_scratch 0
		.amdhsa_float_round_mode_32 0
		.amdhsa_float_round_mode_16_64 0
		.amdhsa_float_denorm_mode_32 3
		.amdhsa_float_denorm_mode_16_64 3
		.amdhsa_dx10_clamp 1
		.amdhsa_ieee_mode 1
		.amdhsa_fp16_overflow 0
		.amdhsa_exception_fp_ieee_invalid_op 0
		.amdhsa_exception_fp_denorm_src 0
		.amdhsa_exception_fp_ieee_div_zero 0
		.amdhsa_exception_fp_ieee_overflow 0
		.amdhsa_exception_fp_ieee_underflow 0
		.amdhsa_exception_fp_ieee_inexact 0
		.amdhsa_exception_int_div_zero 0
	.end_amdhsa_kernel
	.section	.text._ZN7rocprim17ROCPRIM_400000_NS6detail17trampoline_kernelINS0_14default_configENS1_35adjacent_difference_config_selectorILb1EiEEZNS1_24adjacent_difference_implIS3_Lb1ELb0EPiS7_N6thrust23THRUST_200600_302600_NS5minusIiEEEE10hipError_tPvRmT2_T3_mT4_P12ihipStream_tbEUlT_E_NS1_11comp_targetILNS1_3genE2ELNS1_11target_archE906ELNS1_3gpuE6ELNS1_3repE0EEENS1_30default_config_static_selectorELNS0_4arch9wavefront6targetE1EEEvT1_,"axG",@progbits,_ZN7rocprim17ROCPRIM_400000_NS6detail17trampoline_kernelINS0_14default_configENS1_35adjacent_difference_config_selectorILb1EiEEZNS1_24adjacent_difference_implIS3_Lb1ELb0EPiS7_N6thrust23THRUST_200600_302600_NS5minusIiEEEE10hipError_tPvRmT2_T3_mT4_P12ihipStream_tbEUlT_E_NS1_11comp_targetILNS1_3genE2ELNS1_11target_archE906ELNS1_3gpuE6ELNS1_3repE0EEENS1_30default_config_static_selectorELNS0_4arch9wavefront6targetE1EEEvT1_,comdat
.Lfunc_end329:
	.size	_ZN7rocprim17ROCPRIM_400000_NS6detail17trampoline_kernelINS0_14default_configENS1_35adjacent_difference_config_selectorILb1EiEEZNS1_24adjacent_difference_implIS3_Lb1ELb0EPiS7_N6thrust23THRUST_200600_302600_NS5minusIiEEEE10hipError_tPvRmT2_T3_mT4_P12ihipStream_tbEUlT_E_NS1_11comp_targetILNS1_3genE2ELNS1_11target_archE906ELNS1_3gpuE6ELNS1_3repE0EEENS1_30default_config_static_selectorELNS0_4arch9wavefront6targetE1EEEvT1_, .Lfunc_end329-_ZN7rocprim17ROCPRIM_400000_NS6detail17trampoline_kernelINS0_14default_configENS1_35adjacent_difference_config_selectorILb1EiEEZNS1_24adjacent_difference_implIS3_Lb1ELb0EPiS7_N6thrust23THRUST_200600_302600_NS5minusIiEEEE10hipError_tPvRmT2_T3_mT4_P12ihipStream_tbEUlT_E_NS1_11comp_targetILNS1_3genE2ELNS1_11target_archE906ELNS1_3gpuE6ELNS1_3repE0EEENS1_30default_config_static_selectorELNS0_4arch9wavefront6targetE1EEEvT1_
                                        ; -- End function
	.set _ZN7rocprim17ROCPRIM_400000_NS6detail17trampoline_kernelINS0_14default_configENS1_35adjacent_difference_config_selectorILb1EiEEZNS1_24adjacent_difference_implIS3_Lb1ELb0EPiS7_N6thrust23THRUST_200600_302600_NS5minusIiEEEE10hipError_tPvRmT2_T3_mT4_P12ihipStream_tbEUlT_E_NS1_11comp_targetILNS1_3genE2ELNS1_11target_archE906ELNS1_3gpuE6ELNS1_3repE0EEENS1_30default_config_static_selectorELNS0_4arch9wavefront6targetE1EEEvT1_.num_vgpr, 27
	.set _ZN7rocprim17ROCPRIM_400000_NS6detail17trampoline_kernelINS0_14default_configENS1_35adjacent_difference_config_selectorILb1EiEEZNS1_24adjacent_difference_implIS3_Lb1ELb0EPiS7_N6thrust23THRUST_200600_302600_NS5minusIiEEEE10hipError_tPvRmT2_T3_mT4_P12ihipStream_tbEUlT_E_NS1_11comp_targetILNS1_3genE2ELNS1_11target_archE906ELNS1_3gpuE6ELNS1_3repE0EEENS1_30default_config_static_selectorELNS0_4arch9wavefront6targetE1EEEvT1_.num_agpr, 0
	.set _ZN7rocprim17ROCPRIM_400000_NS6detail17trampoline_kernelINS0_14default_configENS1_35adjacent_difference_config_selectorILb1EiEEZNS1_24adjacent_difference_implIS3_Lb1ELb0EPiS7_N6thrust23THRUST_200600_302600_NS5minusIiEEEE10hipError_tPvRmT2_T3_mT4_P12ihipStream_tbEUlT_E_NS1_11comp_targetILNS1_3genE2ELNS1_11target_archE906ELNS1_3gpuE6ELNS1_3repE0EEENS1_30default_config_static_selectorELNS0_4arch9wavefront6targetE1EEEvT1_.numbered_sgpr, 32
	.set _ZN7rocprim17ROCPRIM_400000_NS6detail17trampoline_kernelINS0_14default_configENS1_35adjacent_difference_config_selectorILb1EiEEZNS1_24adjacent_difference_implIS3_Lb1ELb0EPiS7_N6thrust23THRUST_200600_302600_NS5minusIiEEEE10hipError_tPvRmT2_T3_mT4_P12ihipStream_tbEUlT_E_NS1_11comp_targetILNS1_3genE2ELNS1_11target_archE906ELNS1_3gpuE6ELNS1_3repE0EEENS1_30default_config_static_selectorELNS0_4arch9wavefront6targetE1EEEvT1_.num_named_barrier, 0
	.set _ZN7rocprim17ROCPRIM_400000_NS6detail17trampoline_kernelINS0_14default_configENS1_35adjacent_difference_config_selectorILb1EiEEZNS1_24adjacent_difference_implIS3_Lb1ELb0EPiS7_N6thrust23THRUST_200600_302600_NS5minusIiEEEE10hipError_tPvRmT2_T3_mT4_P12ihipStream_tbEUlT_E_NS1_11comp_targetILNS1_3genE2ELNS1_11target_archE906ELNS1_3gpuE6ELNS1_3repE0EEENS1_30default_config_static_selectorELNS0_4arch9wavefront6targetE1EEEvT1_.private_seg_size, 0
	.set _ZN7rocprim17ROCPRIM_400000_NS6detail17trampoline_kernelINS0_14default_configENS1_35adjacent_difference_config_selectorILb1EiEEZNS1_24adjacent_difference_implIS3_Lb1ELb0EPiS7_N6thrust23THRUST_200600_302600_NS5minusIiEEEE10hipError_tPvRmT2_T3_mT4_P12ihipStream_tbEUlT_E_NS1_11comp_targetILNS1_3genE2ELNS1_11target_archE906ELNS1_3gpuE6ELNS1_3repE0EEENS1_30default_config_static_selectorELNS0_4arch9wavefront6targetE1EEEvT1_.uses_vcc, 1
	.set _ZN7rocprim17ROCPRIM_400000_NS6detail17trampoline_kernelINS0_14default_configENS1_35adjacent_difference_config_selectorILb1EiEEZNS1_24adjacent_difference_implIS3_Lb1ELb0EPiS7_N6thrust23THRUST_200600_302600_NS5minusIiEEEE10hipError_tPvRmT2_T3_mT4_P12ihipStream_tbEUlT_E_NS1_11comp_targetILNS1_3genE2ELNS1_11target_archE906ELNS1_3gpuE6ELNS1_3repE0EEENS1_30default_config_static_selectorELNS0_4arch9wavefront6targetE1EEEvT1_.uses_flat_scratch, 0
	.set _ZN7rocprim17ROCPRIM_400000_NS6detail17trampoline_kernelINS0_14default_configENS1_35adjacent_difference_config_selectorILb1EiEEZNS1_24adjacent_difference_implIS3_Lb1ELb0EPiS7_N6thrust23THRUST_200600_302600_NS5minusIiEEEE10hipError_tPvRmT2_T3_mT4_P12ihipStream_tbEUlT_E_NS1_11comp_targetILNS1_3genE2ELNS1_11target_archE906ELNS1_3gpuE6ELNS1_3repE0EEENS1_30default_config_static_selectorELNS0_4arch9wavefront6targetE1EEEvT1_.has_dyn_sized_stack, 0
	.set _ZN7rocprim17ROCPRIM_400000_NS6detail17trampoline_kernelINS0_14default_configENS1_35adjacent_difference_config_selectorILb1EiEEZNS1_24adjacent_difference_implIS3_Lb1ELb0EPiS7_N6thrust23THRUST_200600_302600_NS5minusIiEEEE10hipError_tPvRmT2_T3_mT4_P12ihipStream_tbEUlT_E_NS1_11comp_targetILNS1_3genE2ELNS1_11target_archE906ELNS1_3gpuE6ELNS1_3repE0EEENS1_30default_config_static_selectorELNS0_4arch9wavefront6targetE1EEEvT1_.has_recursion, 0
	.set _ZN7rocprim17ROCPRIM_400000_NS6detail17trampoline_kernelINS0_14default_configENS1_35adjacent_difference_config_selectorILb1EiEEZNS1_24adjacent_difference_implIS3_Lb1ELb0EPiS7_N6thrust23THRUST_200600_302600_NS5minusIiEEEE10hipError_tPvRmT2_T3_mT4_P12ihipStream_tbEUlT_E_NS1_11comp_targetILNS1_3genE2ELNS1_11target_archE906ELNS1_3gpuE6ELNS1_3repE0EEENS1_30default_config_static_selectorELNS0_4arch9wavefront6targetE1EEEvT1_.has_indirect_call, 0
	.section	.AMDGPU.csdata,"",@progbits
; Kernel info:
; codeLenInByte = 2940
; TotalNumSgprs: 36
; NumVgprs: 27
; ScratchSize: 0
; MemoryBound: 0
; FloatMode: 240
; IeeeMode: 1
; LDSByteSize: 11264 bytes/workgroup (compile time only)
; SGPRBlocks: 12
; VGPRBlocks: 10
; NumSGPRsForWavesPerEU: 102
; NumVGPRsForWavesPerEU: 41
; Occupancy: 5
; WaveLimiterHint : 1
; COMPUTE_PGM_RSRC2:SCRATCH_EN: 0
; COMPUTE_PGM_RSRC2:USER_SGPR: 6
; COMPUTE_PGM_RSRC2:TRAP_HANDLER: 0
; COMPUTE_PGM_RSRC2:TGID_X_EN: 1
; COMPUTE_PGM_RSRC2:TGID_Y_EN: 0
; COMPUTE_PGM_RSRC2:TGID_Z_EN: 0
; COMPUTE_PGM_RSRC2:TIDIG_COMP_CNT: 0
	.section	.text._ZN7rocprim17ROCPRIM_400000_NS6detail17trampoline_kernelINS0_14default_configENS1_35adjacent_difference_config_selectorILb1EiEEZNS1_24adjacent_difference_implIS3_Lb1ELb0EPiS7_N6thrust23THRUST_200600_302600_NS5minusIiEEEE10hipError_tPvRmT2_T3_mT4_P12ihipStream_tbEUlT_E_NS1_11comp_targetILNS1_3genE9ELNS1_11target_archE1100ELNS1_3gpuE3ELNS1_3repE0EEENS1_30default_config_static_selectorELNS0_4arch9wavefront6targetE1EEEvT1_,"axG",@progbits,_ZN7rocprim17ROCPRIM_400000_NS6detail17trampoline_kernelINS0_14default_configENS1_35adjacent_difference_config_selectorILb1EiEEZNS1_24adjacent_difference_implIS3_Lb1ELb0EPiS7_N6thrust23THRUST_200600_302600_NS5minusIiEEEE10hipError_tPvRmT2_T3_mT4_P12ihipStream_tbEUlT_E_NS1_11comp_targetILNS1_3genE9ELNS1_11target_archE1100ELNS1_3gpuE3ELNS1_3repE0EEENS1_30default_config_static_selectorELNS0_4arch9wavefront6targetE1EEEvT1_,comdat
	.protected	_ZN7rocprim17ROCPRIM_400000_NS6detail17trampoline_kernelINS0_14default_configENS1_35adjacent_difference_config_selectorILb1EiEEZNS1_24adjacent_difference_implIS3_Lb1ELb0EPiS7_N6thrust23THRUST_200600_302600_NS5minusIiEEEE10hipError_tPvRmT2_T3_mT4_P12ihipStream_tbEUlT_E_NS1_11comp_targetILNS1_3genE9ELNS1_11target_archE1100ELNS1_3gpuE3ELNS1_3repE0EEENS1_30default_config_static_selectorELNS0_4arch9wavefront6targetE1EEEvT1_ ; -- Begin function _ZN7rocprim17ROCPRIM_400000_NS6detail17trampoline_kernelINS0_14default_configENS1_35adjacent_difference_config_selectorILb1EiEEZNS1_24adjacent_difference_implIS3_Lb1ELb0EPiS7_N6thrust23THRUST_200600_302600_NS5minusIiEEEE10hipError_tPvRmT2_T3_mT4_P12ihipStream_tbEUlT_E_NS1_11comp_targetILNS1_3genE9ELNS1_11target_archE1100ELNS1_3gpuE3ELNS1_3repE0EEENS1_30default_config_static_selectorELNS0_4arch9wavefront6targetE1EEEvT1_
	.globl	_ZN7rocprim17ROCPRIM_400000_NS6detail17trampoline_kernelINS0_14default_configENS1_35adjacent_difference_config_selectorILb1EiEEZNS1_24adjacent_difference_implIS3_Lb1ELb0EPiS7_N6thrust23THRUST_200600_302600_NS5minusIiEEEE10hipError_tPvRmT2_T3_mT4_P12ihipStream_tbEUlT_E_NS1_11comp_targetILNS1_3genE9ELNS1_11target_archE1100ELNS1_3gpuE3ELNS1_3repE0EEENS1_30default_config_static_selectorELNS0_4arch9wavefront6targetE1EEEvT1_
	.p2align	8
	.type	_ZN7rocprim17ROCPRIM_400000_NS6detail17trampoline_kernelINS0_14default_configENS1_35adjacent_difference_config_selectorILb1EiEEZNS1_24adjacent_difference_implIS3_Lb1ELb0EPiS7_N6thrust23THRUST_200600_302600_NS5minusIiEEEE10hipError_tPvRmT2_T3_mT4_P12ihipStream_tbEUlT_E_NS1_11comp_targetILNS1_3genE9ELNS1_11target_archE1100ELNS1_3gpuE3ELNS1_3repE0EEENS1_30default_config_static_selectorELNS0_4arch9wavefront6targetE1EEEvT1_,@function
_ZN7rocprim17ROCPRIM_400000_NS6detail17trampoline_kernelINS0_14default_configENS1_35adjacent_difference_config_selectorILb1EiEEZNS1_24adjacent_difference_implIS3_Lb1ELb0EPiS7_N6thrust23THRUST_200600_302600_NS5minusIiEEEE10hipError_tPvRmT2_T3_mT4_P12ihipStream_tbEUlT_E_NS1_11comp_targetILNS1_3genE9ELNS1_11target_archE1100ELNS1_3gpuE3ELNS1_3repE0EEENS1_30default_config_static_selectorELNS0_4arch9wavefront6targetE1EEEvT1_: ; @_ZN7rocprim17ROCPRIM_400000_NS6detail17trampoline_kernelINS0_14default_configENS1_35adjacent_difference_config_selectorILb1EiEEZNS1_24adjacent_difference_implIS3_Lb1ELb0EPiS7_N6thrust23THRUST_200600_302600_NS5minusIiEEEE10hipError_tPvRmT2_T3_mT4_P12ihipStream_tbEUlT_E_NS1_11comp_targetILNS1_3genE9ELNS1_11target_archE1100ELNS1_3gpuE3ELNS1_3repE0EEENS1_30default_config_static_selectorELNS0_4arch9wavefront6targetE1EEEvT1_
; %bb.0:
	.section	.rodata,"a",@progbits
	.p2align	6, 0x0
	.amdhsa_kernel _ZN7rocprim17ROCPRIM_400000_NS6detail17trampoline_kernelINS0_14default_configENS1_35adjacent_difference_config_selectorILb1EiEEZNS1_24adjacent_difference_implIS3_Lb1ELb0EPiS7_N6thrust23THRUST_200600_302600_NS5minusIiEEEE10hipError_tPvRmT2_T3_mT4_P12ihipStream_tbEUlT_E_NS1_11comp_targetILNS1_3genE9ELNS1_11target_archE1100ELNS1_3gpuE3ELNS1_3repE0EEENS1_30default_config_static_selectorELNS0_4arch9wavefront6targetE1EEEvT1_
		.amdhsa_group_segment_fixed_size 0
		.amdhsa_private_segment_fixed_size 0
		.amdhsa_kernarg_size 56
		.amdhsa_user_sgpr_count 6
		.amdhsa_user_sgpr_private_segment_buffer 1
		.amdhsa_user_sgpr_dispatch_ptr 0
		.amdhsa_user_sgpr_queue_ptr 0
		.amdhsa_user_sgpr_kernarg_segment_ptr 1
		.amdhsa_user_sgpr_dispatch_id 0
		.amdhsa_user_sgpr_flat_scratch_init 0
		.amdhsa_user_sgpr_private_segment_size 0
		.amdhsa_uses_dynamic_stack 0
		.amdhsa_system_sgpr_private_segment_wavefront_offset 0
		.amdhsa_system_sgpr_workgroup_id_x 1
		.amdhsa_system_sgpr_workgroup_id_y 0
		.amdhsa_system_sgpr_workgroup_id_z 0
		.amdhsa_system_sgpr_workgroup_info 0
		.amdhsa_system_vgpr_workitem_id 0
		.amdhsa_next_free_vgpr 1
		.amdhsa_next_free_sgpr 0
		.amdhsa_reserve_vcc 0
		.amdhsa_reserve_flat_scratch 0
		.amdhsa_float_round_mode_32 0
		.amdhsa_float_round_mode_16_64 0
		.amdhsa_float_denorm_mode_32 3
		.amdhsa_float_denorm_mode_16_64 3
		.amdhsa_dx10_clamp 1
		.amdhsa_ieee_mode 1
		.amdhsa_fp16_overflow 0
		.amdhsa_exception_fp_ieee_invalid_op 0
		.amdhsa_exception_fp_denorm_src 0
		.amdhsa_exception_fp_ieee_div_zero 0
		.amdhsa_exception_fp_ieee_overflow 0
		.amdhsa_exception_fp_ieee_underflow 0
		.amdhsa_exception_fp_ieee_inexact 0
		.amdhsa_exception_int_div_zero 0
	.end_amdhsa_kernel
	.section	.text._ZN7rocprim17ROCPRIM_400000_NS6detail17trampoline_kernelINS0_14default_configENS1_35adjacent_difference_config_selectorILb1EiEEZNS1_24adjacent_difference_implIS3_Lb1ELb0EPiS7_N6thrust23THRUST_200600_302600_NS5minusIiEEEE10hipError_tPvRmT2_T3_mT4_P12ihipStream_tbEUlT_E_NS1_11comp_targetILNS1_3genE9ELNS1_11target_archE1100ELNS1_3gpuE3ELNS1_3repE0EEENS1_30default_config_static_selectorELNS0_4arch9wavefront6targetE1EEEvT1_,"axG",@progbits,_ZN7rocprim17ROCPRIM_400000_NS6detail17trampoline_kernelINS0_14default_configENS1_35adjacent_difference_config_selectorILb1EiEEZNS1_24adjacent_difference_implIS3_Lb1ELb0EPiS7_N6thrust23THRUST_200600_302600_NS5minusIiEEEE10hipError_tPvRmT2_T3_mT4_P12ihipStream_tbEUlT_E_NS1_11comp_targetILNS1_3genE9ELNS1_11target_archE1100ELNS1_3gpuE3ELNS1_3repE0EEENS1_30default_config_static_selectorELNS0_4arch9wavefront6targetE1EEEvT1_,comdat
.Lfunc_end330:
	.size	_ZN7rocprim17ROCPRIM_400000_NS6detail17trampoline_kernelINS0_14default_configENS1_35adjacent_difference_config_selectorILb1EiEEZNS1_24adjacent_difference_implIS3_Lb1ELb0EPiS7_N6thrust23THRUST_200600_302600_NS5minusIiEEEE10hipError_tPvRmT2_T3_mT4_P12ihipStream_tbEUlT_E_NS1_11comp_targetILNS1_3genE9ELNS1_11target_archE1100ELNS1_3gpuE3ELNS1_3repE0EEENS1_30default_config_static_selectorELNS0_4arch9wavefront6targetE1EEEvT1_, .Lfunc_end330-_ZN7rocprim17ROCPRIM_400000_NS6detail17trampoline_kernelINS0_14default_configENS1_35adjacent_difference_config_selectorILb1EiEEZNS1_24adjacent_difference_implIS3_Lb1ELb0EPiS7_N6thrust23THRUST_200600_302600_NS5minusIiEEEE10hipError_tPvRmT2_T3_mT4_P12ihipStream_tbEUlT_E_NS1_11comp_targetILNS1_3genE9ELNS1_11target_archE1100ELNS1_3gpuE3ELNS1_3repE0EEENS1_30default_config_static_selectorELNS0_4arch9wavefront6targetE1EEEvT1_
                                        ; -- End function
	.set _ZN7rocprim17ROCPRIM_400000_NS6detail17trampoline_kernelINS0_14default_configENS1_35adjacent_difference_config_selectorILb1EiEEZNS1_24adjacent_difference_implIS3_Lb1ELb0EPiS7_N6thrust23THRUST_200600_302600_NS5minusIiEEEE10hipError_tPvRmT2_T3_mT4_P12ihipStream_tbEUlT_E_NS1_11comp_targetILNS1_3genE9ELNS1_11target_archE1100ELNS1_3gpuE3ELNS1_3repE0EEENS1_30default_config_static_selectorELNS0_4arch9wavefront6targetE1EEEvT1_.num_vgpr, 0
	.set _ZN7rocprim17ROCPRIM_400000_NS6detail17trampoline_kernelINS0_14default_configENS1_35adjacent_difference_config_selectorILb1EiEEZNS1_24adjacent_difference_implIS3_Lb1ELb0EPiS7_N6thrust23THRUST_200600_302600_NS5minusIiEEEE10hipError_tPvRmT2_T3_mT4_P12ihipStream_tbEUlT_E_NS1_11comp_targetILNS1_3genE9ELNS1_11target_archE1100ELNS1_3gpuE3ELNS1_3repE0EEENS1_30default_config_static_selectorELNS0_4arch9wavefront6targetE1EEEvT1_.num_agpr, 0
	.set _ZN7rocprim17ROCPRIM_400000_NS6detail17trampoline_kernelINS0_14default_configENS1_35adjacent_difference_config_selectorILb1EiEEZNS1_24adjacent_difference_implIS3_Lb1ELb0EPiS7_N6thrust23THRUST_200600_302600_NS5minusIiEEEE10hipError_tPvRmT2_T3_mT4_P12ihipStream_tbEUlT_E_NS1_11comp_targetILNS1_3genE9ELNS1_11target_archE1100ELNS1_3gpuE3ELNS1_3repE0EEENS1_30default_config_static_selectorELNS0_4arch9wavefront6targetE1EEEvT1_.numbered_sgpr, 0
	.set _ZN7rocprim17ROCPRIM_400000_NS6detail17trampoline_kernelINS0_14default_configENS1_35adjacent_difference_config_selectorILb1EiEEZNS1_24adjacent_difference_implIS3_Lb1ELb0EPiS7_N6thrust23THRUST_200600_302600_NS5minusIiEEEE10hipError_tPvRmT2_T3_mT4_P12ihipStream_tbEUlT_E_NS1_11comp_targetILNS1_3genE9ELNS1_11target_archE1100ELNS1_3gpuE3ELNS1_3repE0EEENS1_30default_config_static_selectorELNS0_4arch9wavefront6targetE1EEEvT1_.num_named_barrier, 0
	.set _ZN7rocprim17ROCPRIM_400000_NS6detail17trampoline_kernelINS0_14default_configENS1_35adjacent_difference_config_selectorILb1EiEEZNS1_24adjacent_difference_implIS3_Lb1ELb0EPiS7_N6thrust23THRUST_200600_302600_NS5minusIiEEEE10hipError_tPvRmT2_T3_mT4_P12ihipStream_tbEUlT_E_NS1_11comp_targetILNS1_3genE9ELNS1_11target_archE1100ELNS1_3gpuE3ELNS1_3repE0EEENS1_30default_config_static_selectorELNS0_4arch9wavefront6targetE1EEEvT1_.private_seg_size, 0
	.set _ZN7rocprim17ROCPRIM_400000_NS6detail17trampoline_kernelINS0_14default_configENS1_35adjacent_difference_config_selectorILb1EiEEZNS1_24adjacent_difference_implIS3_Lb1ELb0EPiS7_N6thrust23THRUST_200600_302600_NS5minusIiEEEE10hipError_tPvRmT2_T3_mT4_P12ihipStream_tbEUlT_E_NS1_11comp_targetILNS1_3genE9ELNS1_11target_archE1100ELNS1_3gpuE3ELNS1_3repE0EEENS1_30default_config_static_selectorELNS0_4arch9wavefront6targetE1EEEvT1_.uses_vcc, 0
	.set _ZN7rocprim17ROCPRIM_400000_NS6detail17trampoline_kernelINS0_14default_configENS1_35adjacent_difference_config_selectorILb1EiEEZNS1_24adjacent_difference_implIS3_Lb1ELb0EPiS7_N6thrust23THRUST_200600_302600_NS5minusIiEEEE10hipError_tPvRmT2_T3_mT4_P12ihipStream_tbEUlT_E_NS1_11comp_targetILNS1_3genE9ELNS1_11target_archE1100ELNS1_3gpuE3ELNS1_3repE0EEENS1_30default_config_static_selectorELNS0_4arch9wavefront6targetE1EEEvT1_.uses_flat_scratch, 0
	.set _ZN7rocprim17ROCPRIM_400000_NS6detail17trampoline_kernelINS0_14default_configENS1_35adjacent_difference_config_selectorILb1EiEEZNS1_24adjacent_difference_implIS3_Lb1ELb0EPiS7_N6thrust23THRUST_200600_302600_NS5minusIiEEEE10hipError_tPvRmT2_T3_mT4_P12ihipStream_tbEUlT_E_NS1_11comp_targetILNS1_3genE9ELNS1_11target_archE1100ELNS1_3gpuE3ELNS1_3repE0EEENS1_30default_config_static_selectorELNS0_4arch9wavefront6targetE1EEEvT1_.has_dyn_sized_stack, 0
	.set _ZN7rocprim17ROCPRIM_400000_NS6detail17trampoline_kernelINS0_14default_configENS1_35adjacent_difference_config_selectorILb1EiEEZNS1_24adjacent_difference_implIS3_Lb1ELb0EPiS7_N6thrust23THRUST_200600_302600_NS5minusIiEEEE10hipError_tPvRmT2_T3_mT4_P12ihipStream_tbEUlT_E_NS1_11comp_targetILNS1_3genE9ELNS1_11target_archE1100ELNS1_3gpuE3ELNS1_3repE0EEENS1_30default_config_static_selectorELNS0_4arch9wavefront6targetE1EEEvT1_.has_recursion, 0
	.set _ZN7rocprim17ROCPRIM_400000_NS6detail17trampoline_kernelINS0_14default_configENS1_35adjacent_difference_config_selectorILb1EiEEZNS1_24adjacent_difference_implIS3_Lb1ELb0EPiS7_N6thrust23THRUST_200600_302600_NS5minusIiEEEE10hipError_tPvRmT2_T3_mT4_P12ihipStream_tbEUlT_E_NS1_11comp_targetILNS1_3genE9ELNS1_11target_archE1100ELNS1_3gpuE3ELNS1_3repE0EEENS1_30default_config_static_selectorELNS0_4arch9wavefront6targetE1EEEvT1_.has_indirect_call, 0
	.section	.AMDGPU.csdata,"",@progbits
; Kernel info:
; codeLenInByte = 0
; TotalNumSgprs: 4
; NumVgprs: 0
; ScratchSize: 0
; MemoryBound: 0
; FloatMode: 240
; IeeeMode: 1
; LDSByteSize: 0 bytes/workgroup (compile time only)
; SGPRBlocks: 0
; VGPRBlocks: 0
; NumSGPRsForWavesPerEU: 4
; NumVGPRsForWavesPerEU: 1
; Occupancy: 10
; WaveLimiterHint : 0
; COMPUTE_PGM_RSRC2:SCRATCH_EN: 0
; COMPUTE_PGM_RSRC2:USER_SGPR: 6
; COMPUTE_PGM_RSRC2:TRAP_HANDLER: 0
; COMPUTE_PGM_RSRC2:TGID_X_EN: 1
; COMPUTE_PGM_RSRC2:TGID_Y_EN: 0
; COMPUTE_PGM_RSRC2:TGID_Z_EN: 0
; COMPUTE_PGM_RSRC2:TIDIG_COMP_CNT: 0
	.section	.text._ZN7rocprim17ROCPRIM_400000_NS6detail17trampoline_kernelINS0_14default_configENS1_35adjacent_difference_config_selectorILb1EiEEZNS1_24adjacent_difference_implIS3_Lb1ELb0EPiS7_N6thrust23THRUST_200600_302600_NS5minusIiEEEE10hipError_tPvRmT2_T3_mT4_P12ihipStream_tbEUlT_E_NS1_11comp_targetILNS1_3genE8ELNS1_11target_archE1030ELNS1_3gpuE2ELNS1_3repE0EEENS1_30default_config_static_selectorELNS0_4arch9wavefront6targetE1EEEvT1_,"axG",@progbits,_ZN7rocprim17ROCPRIM_400000_NS6detail17trampoline_kernelINS0_14default_configENS1_35adjacent_difference_config_selectorILb1EiEEZNS1_24adjacent_difference_implIS3_Lb1ELb0EPiS7_N6thrust23THRUST_200600_302600_NS5minusIiEEEE10hipError_tPvRmT2_T3_mT4_P12ihipStream_tbEUlT_E_NS1_11comp_targetILNS1_3genE8ELNS1_11target_archE1030ELNS1_3gpuE2ELNS1_3repE0EEENS1_30default_config_static_selectorELNS0_4arch9wavefront6targetE1EEEvT1_,comdat
	.protected	_ZN7rocprim17ROCPRIM_400000_NS6detail17trampoline_kernelINS0_14default_configENS1_35adjacent_difference_config_selectorILb1EiEEZNS1_24adjacent_difference_implIS3_Lb1ELb0EPiS7_N6thrust23THRUST_200600_302600_NS5minusIiEEEE10hipError_tPvRmT2_T3_mT4_P12ihipStream_tbEUlT_E_NS1_11comp_targetILNS1_3genE8ELNS1_11target_archE1030ELNS1_3gpuE2ELNS1_3repE0EEENS1_30default_config_static_selectorELNS0_4arch9wavefront6targetE1EEEvT1_ ; -- Begin function _ZN7rocprim17ROCPRIM_400000_NS6detail17trampoline_kernelINS0_14default_configENS1_35adjacent_difference_config_selectorILb1EiEEZNS1_24adjacent_difference_implIS3_Lb1ELb0EPiS7_N6thrust23THRUST_200600_302600_NS5minusIiEEEE10hipError_tPvRmT2_T3_mT4_P12ihipStream_tbEUlT_E_NS1_11comp_targetILNS1_3genE8ELNS1_11target_archE1030ELNS1_3gpuE2ELNS1_3repE0EEENS1_30default_config_static_selectorELNS0_4arch9wavefront6targetE1EEEvT1_
	.globl	_ZN7rocprim17ROCPRIM_400000_NS6detail17trampoline_kernelINS0_14default_configENS1_35adjacent_difference_config_selectorILb1EiEEZNS1_24adjacent_difference_implIS3_Lb1ELb0EPiS7_N6thrust23THRUST_200600_302600_NS5minusIiEEEE10hipError_tPvRmT2_T3_mT4_P12ihipStream_tbEUlT_E_NS1_11comp_targetILNS1_3genE8ELNS1_11target_archE1030ELNS1_3gpuE2ELNS1_3repE0EEENS1_30default_config_static_selectorELNS0_4arch9wavefront6targetE1EEEvT1_
	.p2align	8
	.type	_ZN7rocprim17ROCPRIM_400000_NS6detail17trampoline_kernelINS0_14default_configENS1_35adjacent_difference_config_selectorILb1EiEEZNS1_24adjacent_difference_implIS3_Lb1ELb0EPiS7_N6thrust23THRUST_200600_302600_NS5minusIiEEEE10hipError_tPvRmT2_T3_mT4_P12ihipStream_tbEUlT_E_NS1_11comp_targetILNS1_3genE8ELNS1_11target_archE1030ELNS1_3gpuE2ELNS1_3repE0EEENS1_30default_config_static_selectorELNS0_4arch9wavefront6targetE1EEEvT1_,@function
_ZN7rocprim17ROCPRIM_400000_NS6detail17trampoline_kernelINS0_14default_configENS1_35adjacent_difference_config_selectorILb1EiEEZNS1_24adjacent_difference_implIS3_Lb1ELb0EPiS7_N6thrust23THRUST_200600_302600_NS5minusIiEEEE10hipError_tPvRmT2_T3_mT4_P12ihipStream_tbEUlT_E_NS1_11comp_targetILNS1_3genE8ELNS1_11target_archE1030ELNS1_3gpuE2ELNS1_3repE0EEENS1_30default_config_static_selectorELNS0_4arch9wavefront6targetE1EEEvT1_: ; @_ZN7rocprim17ROCPRIM_400000_NS6detail17trampoline_kernelINS0_14default_configENS1_35adjacent_difference_config_selectorILb1EiEEZNS1_24adjacent_difference_implIS3_Lb1ELb0EPiS7_N6thrust23THRUST_200600_302600_NS5minusIiEEEE10hipError_tPvRmT2_T3_mT4_P12ihipStream_tbEUlT_E_NS1_11comp_targetILNS1_3genE8ELNS1_11target_archE1030ELNS1_3gpuE2ELNS1_3repE0EEENS1_30default_config_static_selectorELNS0_4arch9wavefront6targetE1EEEvT1_
; %bb.0:
	.section	.rodata,"a",@progbits
	.p2align	6, 0x0
	.amdhsa_kernel _ZN7rocprim17ROCPRIM_400000_NS6detail17trampoline_kernelINS0_14default_configENS1_35adjacent_difference_config_selectorILb1EiEEZNS1_24adjacent_difference_implIS3_Lb1ELb0EPiS7_N6thrust23THRUST_200600_302600_NS5minusIiEEEE10hipError_tPvRmT2_T3_mT4_P12ihipStream_tbEUlT_E_NS1_11comp_targetILNS1_3genE8ELNS1_11target_archE1030ELNS1_3gpuE2ELNS1_3repE0EEENS1_30default_config_static_selectorELNS0_4arch9wavefront6targetE1EEEvT1_
		.amdhsa_group_segment_fixed_size 0
		.amdhsa_private_segment_fixed_size 0
		.amdhsa_kernarg_size 56
		.amdhsa_user_sgpr_count 6
		.amdhsa_user_sgpr_private_segment_buffer 1
		.amdhsa_user_sgpr_dispatch_ptr 0
		.amdhsa_user_sgpr_queue_ptr 0
		.amdhsa_user_sgpr_kernarg_segment_ptr 1
		.amdhsa_user_sgpr_dispatch_id 0
		.amdhsa_user_sgpr_flat_scratch_init 0
		.amdhsa_user_sgpr_private_segment_size 0
		.amdhsa_uses_dynamic_stack 0
		.amdhsa_system_sgpr_private_segment_wavefront_offset 0
		.amdhsa_system_sgpr_workgroup_id_x 1
		.amdhsa_system_sgpr_workgroup_id_y 0
		.amdhsa_system_sgpr_workgroup_id_z 0
		.amdhsa_system_sgpr_workgroup_info 0
		.amdhsa_system_vgpr_workitem_id 0
		.amdhsa_next_free_vgpr 1
		.amdhsa_next_free_sgpr 0
		.amdhsa_reserve_vcc 0
		.amdhsa_reserve_flat_scratch 0
		.amdhsa_float_round_mode_32 0
		.amdhsa_float_round_mode_16_64 0
		.amdhsa_float_denorm_mode_32 3
		.amdhsa_float_denorm_mode_16_64 3
		.amdhsa_dx10_clamp 1
		.amdhsa_ieee_mode 1
		.amdhsa_fp16_overflow 0
		.amdhsa_exception_fp_ieee_invalid_op 0
		.amdhsa_exception_fp_denorm_src 0
		.amdhsa_exception_fp_ieee_div_zero 0
		.amdhsa_exception_fp_ieee_overflow 0
		.amdhsa_exception_fp_ieee_underflow 0
		.amdhsa_exception_fp_ieee_inexact 0
		.amdhsa_exception_int_div_zero 0
	.end_amdhsa_kernel
	.section	.text._ZN7rocprim17ROCPRIM_400000_NS6detail17trampoline_kernelINS0_14default_configENS1_35adjacent_difference_config_selectorILb1EiEEZNS1_24adjacent_difference_implIS3_Lb1ELb0EPiS7_N6thrust23THRUST_200600_302600_NS5minusIiEEEE10hipError_tPvRmT2_T3_mT4_P12ihipStream_tbEUlT_E_NS1_11comp_targetILNS1_3genE8ELNS1_11target_archE1030ELNS1_3gpuE2ELNS1_3repE0EEENS1_30default_config_static_selectorELNS0_4arch9wavefront6targetE1EEEvT1_,"axG",@progbits,_ZN7rocprim17ROCPRIM_400000_NS6detail17trampoline_kernelINS0_14default_configENS1_35adjacent_difference_config_selectorILb1EiEEZNS1_24adjacent_difference_implIS3_Lb1ELb0EPiS7_N6thrust23THRUST_200600_302600_NS5minusIiEEEE10hipError_tPvRmT2_T3_mT4_P12ihipStream_tbEUlT_E_NS1_11comp_targetILNS1_3genE8ELNS1_11target_archE1030ELNS1_3gpuE2ELNS1_3repE0EEENS1_30default_config_static_selectorELNS0_4arch9wavefront6targetE1EEEvT1_,comdat
.Lfunc_end331:
	.size	_ZN7rocprim17ROCPRIM_400000_NS6detail17trampoline_kernelINS0_14default_configENS1_35adjacent_difference_config_selectorILb1EiEEZNS1_24adjacent_difference_implIS3_Lb1ELb0EPiS7_N6thrust23THRUST_200600_302600_NS5minusIiEEEE10hipError_tPvRmT2_T3_mT4_P12ihipStream_tbEUlT_E_NS1_11comp_targetILNS1_3genE8ELNS1_11target_archE1030ELNS1_3gpuE2ELNS1_3repE0EEENS1_30default_config_static_selectorELNS0_4arch9wavefront6targetE1EEEvT1_, .Lfunc_end331-_ZN7rocprim17ROCPRIM_400000_NS6detail17trampoline_kernelINS0_14default_configENS1_35adjacent_difference_config_selectorILb1EiEEZNS1_24adjacent_difference_implIS3_Lb1ELb0EPiS7_N6thrust23THRUST_200600_302600_NS5minusIiEEEE10hipError_tPvRmT2_T3_mT4_P12ihipStream_tbEUlT_E_NS1_11comp_targetILNS1_3genE8ELNS1_11target_archE1030ELNS1_3gpuE2ELNS1_3repE0EEENS1_30default_config_static_selectorELNS0_4arch9wavefront6targetE1EEEvT1_
                                        ; -- End function
	.set _ZN7rocprim17ROCPRIM_400000_NS6detail17trampoline_kernelINS0_14default_configENS1_35adjacent_difference_config_selectorILb1EiEEZNS1_24adjacent_difference_implIS3_Lb1ELb0EPiS7_N6thrust23THRUST_200600_302600_NS5minusIiEEEE10hipError_tPvRmT2_T3_mT4_P12ihipStream_tbEUlT_E_NS1_11comp_targetILNS1_3genE8ELNS1_11target_archE1030ELNS1_3gpuE2ELNS1_3repE0EEENS1_30default_config_static_selectorELNS0_4arch9wavefront6targetE1EEEvT1_.num_vgpr, 0
	.set _ZN7rocprim17ROCPRIM_400000_NS6detail17trampoline_kernelINS0_14default_configENS1_35adjacent_difference_config_selectorILb1EiEEZNS1_24adjacent_difference_implIS3_Lb1ELb0EPiS7_N6thrust23THRUST_200600_302600_NS5minusIiEEEE10hipError_tPvRmT2_T3_mT4_P12ihipStream_tbEUlT_E_NS1_11comp_targetILNS1_3genE8ELNS1_11target_archE1030ELNS1_3gpuE2ELNS1_3repE0EEENS1_30default_config_static_selectorELNS0_4arch9wavefront6targetE1EEEvT1_.num_agpr, 0
	.set _ZN7rocprim17ROCPRIM_400000_NS6detail17trampoline_kernelINS0_14default_configENS1_35adjacent_difference_config_selectorILb1EiEEZNS1_24adjacent_difference_implIS3_Lb1ELb0EPiS7_N6thrust23THRUST_200600_302600_NS5minusIiEEEE10hipError_tPvRmT2_T3_mT4_P12ihipStream_tbEUlT_E_NS1_11comp_targetILNS1_3genE8ELNS1_11target_archE1030ELNS1_3gpuE2ELNS1_3repE0EEENS1_30default_config_static_selectorELNS0_4arch9wavefront6targetE1EEEvT1_.numbered_sgpr, 0
	.set _ZN7rocprim17ROCPRIM_400000_NS6detail17trampoline_kernelINS0_14default_configENS1_35adjacent_difference_config_selectorILb1EiEEZNS1_24adjacent_difference_implIS3_Lb1ELb0EPiS7_N6thrust23THRUST_200600_302600_NS5minusIiEEEE10hipError_tPvRmT2_T3_mT4_P12ihipStream_tbEUlT_E_NS1_11comp_targetILNS1_3genE8ELNS1_11target_archE1030ELNS1_3gpuE2ELNS1_3repE0EEENS1_30default_config_static_selectorELNS0_4arch9wavefront6targetE1EEEvT1_.num_named_barrier, 0
	.set _ZN7rocprim17ROCPRIM_400000_NS6detail17trampoline_kernelINS0_14default_configENS1_35adjacent_difference_config_selectorILb1EiEEZNS1_24adjacent_difference_implIS3_Lb1ELb0EPiS7_N6thrust23THRUST_200600_302600_NS5minusIiEEEE10hipError_tPvRmT2_T3_mT4_P12ihipStream_tbEUlT_E_NS1_11comp_targetILNS1_3genE8ELNS1_11target_archE1030ELNS1_3gpuE2ELNS1_3repE0EEENS1_30default_config_static_selectorELNS0_4arch9wavefront6targetE1EEEvT1_.private_seg_size, 0
	.set _ZN7rocprim17ROCPRIM_400000_NS6detail17trampoline_kernelINS0_14default_configENS1_35adjacent_difference_config_selectorILb1EiEEZNS1_24adjacent_difference_implIS3_Lb1ELb0EPiS7_N6thrust23THRUST_200600_302600_NS5minusIiEEEE10hipError_tPvRmT2_T3_mT4_P12ihipStream_tbEUlT_E_NS1_11comp_targetILNS1_3genE8ELNS1_11target_archE1030ELNS1_3gpuE2ELNS1_3repE0EEENS1_30default_config_static_selectorELNS0_4arch9wavefront6targetE1EEEvT1_.uses_vcc, 0
	.set _ZN7rocprim17ROCPRIM_400000_NS6detail17trampoline_kernelINS0_14default_configENS1_35adjacent_difference_config_selectorILb1EiEEZNS1_24adjacent_difference_implIS3_Lb1ELb0EPiS7_N6thrust23THRUST_200600_302600_NS5minusIiEEEE10hipError_tPvRmT2_T3_mT4_P12ihipStream_tbEUlT_E_NS1_11comp_targetILNS1_3genE8ELNS1_11target_archE1030ELNS1_3gpuE2ELNS1_3repE0EEENS1_30default_config_static_selectorELNS0_4arch9wavefront6targetE1EEEvT1_.uses_flat_scratch, 0
	.set _ZN7rocprim17ROCPRIM_400000_NS6detail17trampoline_kernelINS0_14default_configENS1_35adjacent_difference_config_selectorILb1EiEEZNS1_24adjacent_difference_implIS3_Lb1ELb0EPiS7_N6thrust23THRUST_200600_302600_NS5minusIiEEEE10hipError_tPvRmT2_T3_mT4_P12ihipStream_tbEUlT_E_NS1_11comp_targetILNS1_3genE8ELNS1_11target_archE1030ELNS1_3gpuE2ELNS1_3repE0EEENS1_30default_config_static_selectorELNS0_4arch9wavefront6targetE1EEEvT1_.has_dyn_sized_stack, 0
	.set _ZN7rocprim17ROCPRIM_400000_NS6detail17trampoline_kernelINS0_14default_configENS1_35adjacent_difference_config_selectorILb1EiEEZNS1_24adjacent_difference_implIS3_Lb1ELb0EPiS7_N6thrust23THRUST_200600_302600_NS5minusIiEEEE10hipError_tPvRmT2_T3_mT4_P12ihipStream_tbEUlT_E_NS1_11comp_targetILNS1_3genE8ELNS1_11target_archE1030ELNS1_3gpuE2ELNS1_3repE0EEENS1_30default_config_static_selectorELNS0_4arch9wavefront6targetE1EEEvT1_.has_recursion, 0
	.set _ZN7rocprim17ROCPRIM_400000_NS6detail17trampoline_kernelINS0_14default_configENS1_35adjacent_difference_config_selectorILb1EiEEZNS1_24adjacent_difference_implIS3_Lb1ELb0EPiS7_N6thrust23THRUST_200600_302600_NS5minusIiEEEE10hipError_tPvRmT2_T3_mT4_P12ihipStream_tbEUlT_E_NS1_11comp_targetILNS1_3genE8ELNS1_11target_archE1030ELNS1_3gpuE2ELNS1_3repE0EEENS1_30default_config_static_selectorELNS0_4arch9wavefront6targetE1EEEvT1_.has_indirect_call, 0
	.section	.AMDGPU.csdata,"",@progbits
; Kernel info:
; codeLenInByte = 0
; TotalNumSgprs: 4
; NumVgprs: 0
; ScratchSize: 0
; MemoryBound: 0
; FloatMode: 240
; IeeeMode: 1
; LDSByteSize: 0 bytes/workgroup (compile time only)
; SGPRBlocks: 0
; VGPRBlocks: 0
; NumSGPRsForWavesPerEU: 4
; NumVGPRsForWavesPerEU: 1
; Occupancy: 10
; WaveLimiterHint : 0
; COMPUTE_PGM_RSRC2:SCRATCH_EN: 0
; COMPUTE_PGM_RSRC2:USER_SGPR: 6
; COMPUTE_PGM_RSRC2:TRAP_HANDLER: 0
; COMPUTE_PGM_RSRC2:TGID_X_EN: 1
; COMPUTE_PGM_RSRC2:TGID_Y_EN: 0
; COMPUTE_PGM_RSRC2:TGID_Z_EN: 0
; COMPUTE_PGM_RSRC2:TIDIG_COMP_CNT: 0
	.section	.text._ZN7rocprim17ROCPRIM_400000_NS6detail17trampoline_kernelINS0_14default_configENS1_35adjacent_difference_config_selectorILb0EiEEZNS1_24adjacent_difference_implIS3_Lb0ELb0EPiS7_N6thrust23THRUST_200600_302600_NS4plusIiEEEE10hipError_tPvRmT2_T3_mT4_P12ihipStream_tbEUlT_E_NS1_11comp_targetILNS1_3genE0ELNS1_11target_archE4294967295ELNS1_3gpuE0ELNS1_3repE0EEENS1_30default_config_static_selectorELNS0_4arch9wavefront6targetE1EEEvT1_,"axG",@progbits,_ZN7rocprim17ROCPRIM_400000_NS6detail17trampoline_kernelINS0_14default_configENS1_35adjacent_difference_config_selectorILb0EiEEZNS1_24adjacent_difference_implIS3_Lb0ELb0EPiS7_N6thrust23THRUST_200600_302600_NS4plusIiEEEE10hipError_tPvRmT2_T3_mT4_P12ihipStream_tbEUlT_E_NS1_11comp_targetILNS1_3genE0ELNS1_11target_archE4294967295ELNS1_3gpuE0ELNS1_3repE0EEENS1_30default_config_static_selectorELNS0_4arch9wavefront6targetE1EEEvT1_,comdat
	.protected	_ZN7rocprim17ROCPRIM_400000_NS6detail17trampoline_kernelINS0_14default_configENS1_35adjacent_difference_config_selectorILb0EiEEZNS1_24adjacent_difference_implIS3_Lb0ELb0EPiS7_N6thrust23THRUST_200600_302600_NS4plusIiEEEE10hipError_tPvRmT2_T3_mT4_P12ihipStream_tbEUlT_E_NS1_11comp_targetILNS1_3genE0ELNS1_11target_archE4294967295ELNS1_3gpuE0ELNS1_3repE0EEENS1_30default_config_static_selectorELNS0_4arch9wavefront6targetE1EEEvT1_ ; -- Begin function _ZN7rocprim17ROCPRIM_400000_NS6detail17trampoline_kernelINS0_14default_configENS1_35adjacent_difference_config_selectorILb0EiEEZNS1_24adjacent_difference_implIS3_Lb0ELb0EPiS7_N6thrust23THRUST_200600_302600_NS4plusIiEEEE10hipError_tPvRmT2_T3_mT4_P12ihipStream_tbEUlT_E_NS1_11comp_targetILNS1_3genE0ELNS1_11target_archE4294967295ELNS1_3gpuE0ELNS1_3repE0EEENS1_30default_config_static_selectorELNS0_4arch9wavefront6targetE1EEEvT1_
	.globl	_ZN7rocprim17ROCPRIM_400000_NS6detail17trampoline_kernelINS0_14default_configENS1_35adjacent_difference_config_selectorILb0EiEEZNS1_24adjacent_difference_implIS3_Lb0ELb0EPiS7_N6thrust23THRUST_200600_302600_NS4plusIiEEEE10hipError_tPvRmT2_T3_mT4_P12ihipStream_tbEUlT_E_NS1_11comp_targetILNS1_3genE0ELNS1_11target_archE4294967295ELNS1_3gpuE0ELNS1_3repE0EEENS1_30default_config_static_selectorELNS0_4arch9wavefront6targetE1EEEvT1_
	.p2align	8
	.type	_ZN7rocprim17ROCPRIM_400000_NS6detail17trampoline_kernelINS0_14default_configENS1_35adjacent_difference_config_selectorILb0EiEEZNS1_24adjacent_difference_implIS3_Lb0ELb0EPiS7_N6thrust23THRUST_200600_302600_NS4plusIiEEEE10hipError_tPvRmT2_T3_mT4_P12ihipStream_tbEUlT_E_NS1_11comp_targetILNS1_3genE0ELNS1_11target_archE4294967295ELNS1_3gpuE0ELNS1_3repE0EEENS1_30default_config_static_selectorELNS0_4arch9wavefront6targetE1EEEvT1_,@function
_ZN7rocprim17ROCPRIM_400000_NS6detail17trampoline_kernelINS0_14default_configENS1_35adjacent_difference_config_selectorILb0EiEEZNS1_24adjacent_difference_implIS3_Lb0ELb0EPiS7_N6thrust23THRUST_200600_302600_NS4plusIiEEEE10hipError_tPvRmT2_T3_mT4_P12ihipStream_tbEUlT_E_NS1_11comp_targetILNS1_3genE0ELNS1_11target_archE4294967295ELNS1_3gpuE0ELNS1_3repE0EEENS1_30default_config_static_selectorELNS0_4arch9wavefront6targetE1EEEvT1_: ; @_ZN7rocprim17ROCPRIM_400000_NS6detail17trampoline_kernelINS0_14default_configENS1_35adjacent_difference_config_selectorILb0EiEEZNS1_24adjacent_difference_implIS3_Lb0ELb0EPiS7_N6thrust23THRUST_200600_302600_NS4plusIiEEEE10hipError_tPvRmT2_T3_mT4_P12ihipStream_tbEUlT_E_NS1_11comp_targetILNS1_3genE0ELNS1_11target_archE4294967295ELNS1_3gpuE0ELNS1_3repE0EEENS1_30default_config_static_selectorELNS0_4arch9wavefront6targetE1EEEvT1_
; %bb.0:
	.section	.rodata,"a",@progbits
	.p2align	6, 0x0
	.amdhsa_kernel _ZN7rocprim17ROCPRIM_400000_NS6detail17trampoline_kernelINS0_14default_configENS1_35adjacent_difference_config_selectorILb0EiEEZNS1_24adjacent_difference_implIS3_Lb0ELb0EPiS7_N6thrust23THRUST_200600_302600_NS4plusIiEEEE10hipError_tPvRmT2_T3_mT4_P12ihipStream_tbEUlT_E_NS1_11comp_targetILNS1_3genE0ELNS1_11target_archE4294967295ELNS1_3gpuE0ELNS1_3repE0EEENS1_30default_config_static_selectorELNS0_4arch9wavefront6targetE1EEEvT1_
		.amdhsa_group_segment_fixed_size 0
		.amdhsa_private_segment_fixed_size 0
		.amdhsa_kernarg_size 56
		.amdhsa_user_sgpr_count 6
		.amdhsa_user_sgpr_private_segment_buffer 1
		.amdhsa_user_sgpr_dispatch_ptr 0
		.amdhsa_user_sgpr_queue_ptr 0
		.amdhsa_user_sgpr_kernarg_segment_ptr 1
		.amdhsa_user_sgpr_dispatch_id 0
		.amdhsa_user_sgpr_flat_scratch_init 0
		.amdhsa_user_sgpr_private_segment_size 0
		.amdhsa_uses_dynamic_stack 0
		.amdhsa_system_sgpr_private_segment_wavefront_offset 0
		.amdhsa_system_sgpr_workgroup_id_x 1
		.amdhsa_system_sgpr_workgroup_id_y 0
		.amdhsa_system_sgpr_workgroup_id_z 0
		.amdhsa_system_sgpr_workgroup_info 0
		.amdhsa_system_vgpr_workitem_id 0
		.amdhsa_next_free_vgpr 1
		.amdhsa_next_free_sgpr 0
		.amdhsa_reserve_vcc 0
		.amdhsa_reserve_flat_scratch 0
		.amdhsa_float_round_mode_32 0
		.amdhsa_float_round_mode_16_64 0
		.amdhsa_float_denorm_mode_32 3
		.amdhsa_float_denorm_mode_16_64 3
		.amdhsa_dx10_clamp 1
		.amdhsa_ieee_mode 1
		.amdhsa_fp16_overflow 0
		.amdhsa_exception_fp_ieee_invalid_op 0
		.amdhsa_exception_fp_denorm_src 0
		.amdhsa_exception_fp_ieee_div_zero 0
		.amdhsa_exception_fp_ieee_overflow 0
		.amdhsa_exception_fp_ieee_underflow 0
		.amdhsa_exception_fp_ieee_inexact 0
		.amdhsa_exception_int_div_zero 0
	.end_amdhsa_kernel
	.section	.text._ZN7rocprim17ROCPRIM_400000_NS6detail17trampoline_kernelINS0_14default_configENS1_35adjacent_difference_config_selectorILb0EiEEZNS1_24adjacent_difference_implIS3_Lb0ELb0EPiS7_N6thrust23THRUST_200600_302600_NS4plusIiEEEE10hipError_tPvRmT2_T3_mT4_P12ihipStream_tbEUlT_E_NS1_11comp_targetILNS1_3genE0ELNS1_11target_archE4294967295ELNS1_3gpuE0ELNS1_3repE0EEENS1_30default_config_static_selectorELNS0_4arch9wavefront6targetE1EEEvT1_,"axG",@progbits,_ZN7rocprim17ROCPRIM_400000_NS6detail17trampoline_kernelINS0_14default_configENS1_35adjacent_difference_config_selectorILb0EiEEZNS1_24adjacent_difference_implIS3_Lb0ELb0EPiS7_N6thrust23THRUST_200600_302600_NS4plusIiEEEE10hipError_tPvRmT2_T3_mT4_P12ihipStream_tbEUlT_E_NS1_11comp_targetILNS1_3genE0ELNS1_11target_archE4294967295ELNS1_3gpuE0ELNS1_3repE0EEENS1_30default_config_static_selectorELNS0_4arch9wavefront6targetE1EEEvT1_,comdat
.Lfunc_end332:
	.size	_ZN7rocprim17ROCPRIM_400000_NS6detail17trampoline_kernelINS0_14default_configENS1_35adjacent_difference_config_selectorILb0EiEEZNS1_24adjacent_difference_implIS3_Lb0ELb0EPiS7_N6thrust23THRUST_200600_302600_NS4plusIiEEEE10hipError_tPvRmT2_T3_mT4_P12ihipStream_tbEUlT_E_NS1_11comp_targetILNS1_3genE0ELNS1_11target_archE4294967295ELNS1_3gpuE0ELNS1_3repE0EEENS1_30default_config_static_selectorELNS0_4arch9wavefront6targetE1EEEvT1_, .Lfunc_end332-_ZN7rocprim17ROCPRIM_400000_NS6detail17trampoline_kernelINS0_14default_configENS1_35adjacent_difference_config_selectorILb0EiEEZNS1_24adjacent_difference_implIS3_Lb0ELb0EPiS7_N6thrust23THRUST_200600_302600_NS4plusIiEEEE10hipError_tPvRmT2_T3_mT4_P12ihipStream_tbEUlT_E_NS1_11comp_targetILNS1_3genE0ELNS1_11target_archE4294967295ELNS1_3gpuE0ELNS1_3repE0EEENS1_30default_config_static_selectorELNS0_4arch9wavefront6targetE1EEEvT1_
                                        ; -- End function
	.set _ZN7rocprim17ROCPRIM_400000_NS6detail17trampoline_kernelINS0_14default_configENS1_35adjacent_difference_config_selectorILb0EiEEZNS1_24adjacent_difference_implIS3_Lb0ELb0EPiS7_N6thrust23THRUST_200600_302600_NS4plusIiEEEE10hipError_tPvRmT2_T3_mT4_P12ihipStream_tbEUlT_E_NS1_11comp_targetILNS1_3genE0ELNS1_11target_archE4294967295ELNS1_3gpuE0ELNS1_3repE0EEENS1_30default_config_static_selectorELNS0_4arch9wavefront6targetE1EEEvT1_.num_vgpr, 0
	.set _ZN7rocprim17ROCPRIM_400000_NS6detail17trampoline_kernelINS0_14default_configENS1_35adjacent_difference_config_selectorILb0EiEEZNS1_24adjacent_difference_implIS3_Lb0ELb0EPiS7_N6thrust23THRUST_200600_302600_NS4plusIiEEEE10hipError_tPvRmT2_T3_mT4_P12ihipStream_tbEUlT_E_NS1_11comp_targetILNS1_3genE0ELNS1_11target_archE4294967295ELNS1_3gpuE0ELNS1_3repE0EEENS1_30default_config_static_selectorELNS0_4arch9wavefront6targetE1EEEvT1_.num_agpr, 0
	.set _ZN7rocprim17ROCPRIM_400000_NS6detail17trampoline_kernelINS0_14default_configENS1_35adjacent_difference_config_selectorILb0EiEEZNS1_24adjacent_difference_implIS3_Lb0ELb0EPiS7_N6thrust23THRUST_200600_302600_NS4plusIiEEEE10hipError_tPvRmT2_T3_mT4_P12ihipStream_tbEUlT_E_NS1_11comp_targetILNS1_3genE0ELNS1_11target_archE4294967295ELNS1_3gpuE0ELNS1_3repE0EEENS1_30default_config_static_selectorELNS0_4arch9wavefront6targetE1EEEvT1_.numbered_sgpr, 0
	.set _ZN7rocprim17ROCPRIM_400000_NS6detail17trampoline_kernelINS0_14default_configENS1_35adjacent_difference_config_selectorILb0EiEEZNS1_24adjacent_difference_implIS3_Lb0ELb0EPiS7_N6thrust23THRUST_200600_302600_NS4plusIiEEEE10hipError_tPvRmT2_T3_mT4_P12ihipStream_tbEUlT_E_NS1_11comp_targetILNS1_3genE0ELNS1_11target_archE4294967295ELNS1_3gpuE0ELNS1_3repE0EEENS1_30default_config_static_selectorELNS0_4arch9wavefront6targetE1EEEvT1_.num_named_barrier, 0
	.set _ZN7rocprim17ROCPRIM_400000_NS6detail17trampoline_kernelINS0_14default_configENS1_35adjacent_difference_config_selectorILb0EiEEZNS1_24adjacent_difference_implIS3_Lb0ELb0EPiS7_N6thrust23THRUST_200600_302600_NS4plusIiEEEE10hipError_tPvRmT2_T3_mT4_P12ihipStream_tbEUlT_E_NS1_11comp_targetILNS1_3genE0ELNS1_11target_archE4294967295ELNS1_3gpuE0ELNS1_3repE0EEENS1_30default_config_static_selectorELNS0_4arch9wavefront6targetE1EEEvT1_.private_seg_size, 0
	.set _ZN7rocprim17ROCPRIM_400000_NS6detail17trampoline_kernelINS0_14default_configENS1_35adjacent_difference_config_selectorILb0EiEEZNS1_24adjacent_difference_implIS3_Lb0ELb0EPiS7_N6thrust23THRUST_200600_302600_NS4plusIiEEEE10hipError_tPvRmT2_T3_mT4_P12ihipStream_tbEUlT_E_NS1_11comp_targetILNS1_3genE0ELNS1_11target_archE4294967295ELNS1_3gpuE0ELNS1_3repE0EEENS1_30default_config_static_selectorELNS0_4arch9wavefront6targetE1EEEvT1_.uses_vcc, 0
	.set _ZN7rocprim17ROCPRIM_400000_NS6detail17trampoline_kernelINS0_14default_configENS1_35adjacent_difference_config_selectorILb0EiEEZNS1_24adjacent_difference_implIS3_Lb0ELb0EPiS7_N6thrust23THRUST_200600_302600_NS4plusIiEEEE10hipError_tPvRmT2_T3_mT4_P12ihipStream_tbEUlT_E_NS1_11comp_targetILNS1_3genE0ELNS1_11target_archE4294967295ELNS1_3gpuE0ELNS1_3repE0EEENS1_30default_config_static_selectorELNS0_4arch9wavefront6targetE1EEEvT1_.uses_flat_scratch, 0
	.set _ZN7rocprim17ROCPRIM_400000_NS6detail17trampoline_kernelINS0_14default_configENS1_35adjacent_difference_config_selectorILb0EiEEZNS1_24adjacent_difference_implIS3_Lb0ELb0EPiS7_N6thrust23THRUST_200600_302600_NS4plusIiEEEE10hipError_tPvRmT2_T3_mT4_P12ihipStream_tbEUlT_E_NS1_11comp_targetILNS1_3genE0ELNS1_11target_archE4294967295ELNS1_3gpuE0ELNS1_3repE0EEENS1_30default_config_static_selectorELNS0_4arch9wavefront6targetE1EEEvT1_.has_dyn_sized_stack, 0
	.set _ZN7rocprim17ROCPRIM_400000_NS6detail17trampoline_kernelINS0_14default_configENS1_35adjacent_difference_config_selectorILb0EiEEZNS1_24adjacent_difference_implIS3_Lb0ELb0EPiS7_N6thrust23THRUST_200600_302600_NS4plusIiEEEE10hipError_tPvRmT2_T3_mT4_P12ihipStream_tbEUlT_E_NS1_11comp_targetILNS1_3genE0ELNS1_11target_archE4294967295ELNS1_3gpuE0ELNS1_3repE0EEENS1_30default_config_static_selectorELNS0_4arch9wavefront6targetE1EEEvT1_.has_recursion, 0
	.set _ZN7rocprim17ROCPRIM_400000_NS6detail17trampoline_kernelINS0_14default_configENS1_35adjacent_difference_config_selectorILb0EiEEZNS1_24adjacent_difference_implIS3_Lb0ELb0EPiS7_N6thrust23THRUST_200600_302600_NS4plusIiEEEE10hipError_tPvRmT2_T3_mT4_P12ihipStream_tbEUlT_E_NS1_11comp_targetILNS1_3genE0ELNS1_11target_archE4294967295ELNS1_3gpuE0ELNS1_3repE0EEENS1_30default_config_static_selectorELNS0_4arch9wavefront6targetE1EEEvT1_.has_indirect_call, 0
	.section	.AMDGPU.csdata,"",@progbits
; Kernel info:
; codeLenInByte = 0
; TotalNumSgprs: 4
; NumVgprs: 0
; ScratchSize: 0
; MemoryBound: 0
; FloatMode: 240
; IeeeMode: 1
; LDSByteSize: 0 bytes/workgroup (compile time only)
; SGPRBlocks: 0
; VGPRBlocks: 0
; NumSGPRsForWavesPerEU: 4
; NumVGPRsForWavesPerEU: 1
; Occupancy: 10
; WaveLimiterHint : 0
; COMPUTE_PGM_RSRC2:SCRATCH_EN: 0
; COMPUTE_PGM_RSRC2:USER_SGPR: 6
; COMPUTE_PGM_RSRC2:TRAP_HANDLER: 0
; COMPUTE_PGM_RSRC2:TGID_X_EN: 1
; COMPUTE_PGM_RSRC2:TGID_Y_EN: 0
; COMPUTE_PGM_RSRC2:TGID_Z_EN: 0
; COMPUTE_PGM_RSRC2:TIDIG_COMP_CNT: 0
	.section	.text._ZN7rocprim17ROCPRIM_400000_NS6detail17trampoline_kernelINS0_14default_configENS1_35adjacent_difference_config_selectorILb0EiEEZNS1_24adjacent_difference_implIS3_Lb0ELb0EPiS7_N6thrust23THRUST_200600_302600_NS4plusIiEEEE10hipError_tPvRmT2_T3_mT4_P12ihipStream_tbEUlT_E_NS1_11comp_targetILNS1_3genE10ELNS1_11target_archE1201ELNS1_3gpuE5ELNS1_3repE0EEENS1_30default_config_static_selectorELNS0_4arch9wavefront6targetE1EEEvT1_,"axG",@progbits,_ZN7rocprim17ROCPRIM_400000_NS6detail17trampoline_kernelINS0_14default_configENS1_35adjacent_difference_config_selectorILb0EiEEZNS1_24adjacent_difference_implIS3_Lb0ELb0EPiS7_N6thrust23THRUST_200600_302600_NS4plusIiEEEE10hipError_tPvRmT2_T3_mT4_P12ihipStream_tbEUlT_E_NS1_11comp_targetILNS1_3genE10ELNS1_11target_archE1201ELNS1_3gpuE5ELNS1_3repE0EEENS1_30default_config_static_selectorELNS0_4arch9wavefront6targetE1EEEvT1_,comdat
	.protected	_ZN7rocprim17ROCPRIM_400000_NS6detail17trampoline_kernelINS0_14default_configENS1_35adjacent_difference_config_selectorILb0EiEEZNS1_24adjacent_difference_implIS3_Lb0ELb0EPiS7_N6thrust23THRUST_200600_302600_NS4plusIiEEEE10hipError_tPvRmT2_T3_mT4_P12ihipStream_tbEUlT_E_NS1_11comp_targetILNS1_3genE10ELNS1_11target_archE1201ELNS1_3gpuE5ELNS1_3repE0EEENS1_30default_config_static_selectorELNS0_4arch9wavefront6targetE1EEEvT1_ ; -- Begin function _ZN7rocprim17ROCPRIM_400000_NS6detail17trampoline_kernelINS0_14default_configENS1_35adjacent_difference_config_selectorILb0EiEEZNS1_24adjacent_difference_implIS3_Lb0ELb0EPiS7_N6thrust23THRUST_200600_302600_NS4plusIiEEEE10hipError_tPvRmT2_T3_mT4_P12ihipStream_tbEUlT_E_NS1_11comp_targetILNS1_3genE10ELNS1_11target_archE1201ELNS1_3gpuE5ELNS1_3repE0EEENS1_30default_config_static_selectorELNS0_4arch9wavefront6targetE1EEEvT1_
	.globl	_ZN7rocprim17ROCPRIM_400000_NS6detail17trampoline_kernelINS0_14default_configENS1_35adjacent_difference_config_selectorILb0EiEEZNS1_24adjacent_difference_implIS3_Lb0ELb0EPiS7_N6thrust23THRUST_200600_302600_NS4plusIiEEEE10hipError_tPvRmT2_T3_mT4_P12ihipStream_tbEUlT_E_NS1_11comp_targetILNS1_3genE10ELNS1_11target_archE1201ELNS1_3gpuE5ELNS1_3repE0EEENS1_30default_config_static_selectorELNS0_4arch9wavefront6targetE1EEEvT1_
	.p2align	8
	.type	_ZN7rocprim17ROCPRIM_400000_NS6detail17trampoline_kernelINS0_14default_configENS1_35adjacent_difference_config_selectorILb0EiEEZNS1_24adjacent_difference_implIS3_Lb0ELb0EPiS7_N6thrust23THRUST_200600_302600_NS4plusIiEEEE10hipError_tPvRmT2_T3_mT4_P12ihipStream_tbEUlT_E_NS1_11comp_targetILNS1_3genE10ELNS1_11target_archE1201ELNS1_3gpuE5ELNS1_3repE0EEENS1_30default_config_static_selectorELNS0_4arch9wavefront6targetE1EEEvT1_,@function
_ZN7rocprim17ROCPRIM_400000_NS6detail17trampoline_kernelINS0_14default_configENS1_35adjacent_difference_config_selectorILb0EiEEZNS1_24adjacent_difference_implIS3_Lb0ELb0EPiS7_N6thrust23THRUST_200600_302600_NS4plusIiEEEE10hipError_tPvRmT2_T3_mT4_P12ihipStream_tbEUlT_E_NS1_11comp_targetILNS1_3genE10ELNS1_11target_archE1201ELNS1_3gpuE5ELNS1_3repE0EEENS1_30default_config_static_selectorELNS0_4arch9wavefront6targetE1EEEvT1_: ; @_ZN7rocprim17ROCPRIM_400000_NS6detail17trampoline_kernelINS0_14default_configENS1_35adjacent_difference_config_selectorILb0EiEEZNS1_24adjacent_difference_implIS3_Lb0ELb0EPiS7_N6thrust23THRUST_200600_302600_NS4plusIiEEEE10hipError_tPvRmT2_T3_mT4_P12ihipStream_tbEUlT_E_NS1_11comp_targetILNS1_3genE10ELNS1_11target_archE1201ELNS1_3gpuE5ELNS1_3repE0EEENS1_30default_config_static_selectorELNS0_4arch9wavefront6targetE1EEEvT1_
; %bb.0:
	.section	.rodata,"a",@progbits
	.p2align	6, 0x0
	.amdhsa_kernel _ZN7rocprim17ROCPRIM_400000_NS6detail17trampoline_kernelINS0_14default_configENS1_35adjacent_difference_config_selectorILb0EiEEZNS1_24adjacent_difference_implIS3_Lb0ELb0EPiS7_N6thrust23THRUST_200600_302600_NS4plusIiEEEE10hipError_tPvRmT2_T3_mT4_P12ihipStream_tbEUlT_E_NS1_11comp_targetILNS1_3genE10ELNS1_11target_archE1201ELNS1_3gpuE5ELNS1_3repE0EEENS1_30default_config_static_selectorELNS0_4arch9wavefront6targetE1EEEvT1_
		.amdhsa_group_segment_fixed_size 0
		.amdhsa_private_segment_fixed_size 0
		.amdhsa_kernarg_size 56
		.amdhsa_user_sgpr_count 6
		.amdhsa_user_sgpr_private_segment_buffer 1
		.amdhsa_user_sgpr_dispatch_ptr 0
		.amdhsa_user_sgpr_queue_ptr 0
		.amdhsa_user_sgpr_kernarg_segment_ptr 1
		.amdhsa_user_sgpr_dispatch_id 0
		.amdhsa_user_sgpr_flat_scratch_init 0
		.amdhsa_user_sgpr_private_segment_size 0
		.amdhsa_uses_dynamic_stack 0
		.amdhsa_system_sgpr_private_segment_wavefront_offset 0
		.amdhsa_system_sgpr_workgroup_id_x 1
		.amdhsa_system_sgpr_workgroup_id_y 0
		.amdhsa_system_sgpr_workgroup_id_z 0
		.amdhsa_system_sgpr_workgroup_info 0
		.amdhsa_system_vgpr_workitem_id 0
		.amdhsa_next_free_vgpr 1
		.amdhsa_next_free_sgpr 0
		.amdhsa_reserve_vcc 0
		.amdhsa_reserve_flat_scratch 0
		.amdhsa_float_round_mode_32 0
		.amdhsa_float_round_mode_16_64 0
		.amdhsa_float_denorm_mode_32 3
		.amdhsa_float_denorm_mode_16_64 3
		.amdhsa_dx10_clamp 1
		.amdhsa_ieee_mode 1
		.amdhsa_fp16_overflow 0
		.amdhsa_exception_fp_ieee_invalid_op 0
		.amdhsa_exception_fp_denorm_src 0
		.amdhsa_exception_fp_ieee_div_zero 0
		.amdhsa_exception_fp_ieee_overflow 0
		.amdhsa_exception_fp_ieee_underflow 0
		.amdhsa_exception_fp_ieee_inexact 0
		.amdhsa_exception_int_div_zero 0
	.end_amdhsa_kernel
	.section	.text._ZN7rocprim17ROCPRIM_400000_NS6detail17trampoline_kernelINS0_14default_configENS1_35adjacent_difference_config_selectorILb0EiEEZNS1_24adjacent_difference_implIS3_Lb0ELb0EPiS7_N6thrust23THRUST_200600_302600_NS4plusIiEEEE10hipError_tPvRmT2_T3_mT4_P12ihipStream_tbEUlT_E_NS1_11comp_targetILNS1_3genE10ELNS1_11target_archE1201ELNS1_3gpuE5ELNS1_3repE0EEENS1_30default_config_static_selectorELNS0_4arch9wavefront6targetE1EEEvT1_,"axG",@progbits,_ZN7rocprim17ROCPRIM_400000_NS6detail17trampoline_kernelINS0_14default_configENS1_35adjacent_difference_config_selectorILb0EiEEZNS1_24adjacent_difference_implIS3_Lb0ELb0EPiS7_N6thrust23THRUST_200600_302600_NS4plusIiEEEE10hipError_tPvRmT2_T3_mT4_P12ihipStream_tbEUlT_E_NS1_11comp_targetILNS1_3genE10ELNS1_11target_archE1201ELNS1_3gpuE5ELNS1_3repE0EEENS1_30default_config_static_selectorELNS0_4arch9wavefront6targetE1EEEvT1_,comdat
.Lfunc_end333:
	.size	_ZN7rocprim17ROCPRIM_400000_NS6detail17trampoline_kernelINS0_14default_configENS1_35adjacent_difference_config_selectorILb0EiEEZNS1_24adjacent_difference_implIS3_Lb0ELb0EPiS7_N6thrust23THRUST_200600_302600_NS4plusIiEEEE10hipError_tPvRmT2_T3_mT4_P12ihipStream_tbEUlT_E_NS1_11comp_targetILNS1_3genE10ELNS1_11target_archE1201ELNS1_3gpuE5ELNS1_3repE0EEENS1_30default_config_static_selectorELNS0_4arch9wavefront6targetE1EEEvT1_, .Lfunc_end333-_ZN7rocprim17ROCPRIM_400000_NS6detail17trampoline_kernelINS0_14default_configENS1_35adjacent_difference_config_selectorILb0EiEEZNS1_24adjacent_difference_implIS3_Lb0ELb0EPiS7_N6thrust23THRUST_200600_302600_NS4plusIiEEEE10hipError_tPvRmT2_T3_mT4_P12ihipStream_tbEUlT_E_NS1_11comp_targetILNS1_3genE10ELNS1_11target_archE1201ELNS1_3gpuE5ELNS1_3repE0EEENS1_30default_config_static_selectorELNS0_4arch9wavefront6targetE1EEEvT1_
                                        ; -- End function
	.set _ZN7rocprim17ROCPRIM_400000_NS6detail17trampoline_kernelINS0_14default_configENS1_35adjacent_difference_config_selectorILb0EiEEZNS1_24adjacent_difference_implIS3_Lb0ELb0EPiS7_N6thrust23THRUST_200600_302600_NS4plusIiEEEE10hipError_tPvRmT2_T3_mT4_P12ihipStream_tbEUlT_E_NS1_11comp_targetILNS1_3genE10ELNS1_11target_archE1201ELNS1_3gpuE5ELNS1_3repE0EEENS1_30default_config_static_selectorELNS0_4arch9wavefront6targetE1EEEvT1_.num_vgpr, 0
	.set _ZN7rocprim17ROCPRIM_400000_NS6detail17trampoline_kernelINS0_14default_configENS1_35adjacent_difference_config_selectorILb0EiEEZNS1_24adjacent_difference_implIS3_Lb0ELb0EPiS7_N6thrust23THRUST_200600_302600_NS4plusIiEEEE10hipError_tPvRmT2_T3_mT4_P12ihipStream_tbEUlT_E_NS1_11comp_targetILNS1_3genE10ELNS1_11target_archE1201ELNS1_3gpuE5ELNS1_3repE0EEENS1_30default_config_static_selectorELNS0_4arch9wavefront6targetE1EEEvT1_.num_agpr, 0
	.set _ZN7rocprim17ROCPRIM_400000_NS6detail17trampoline_kernelINS0_14default_configENS1_35adjacent_difference_config_selectorILb0EiEEZNS1_24adjacent_difference_implIS3_Lb0ELb0EPiS7_N6thrust23THRUST_200600_302600_NS4plusIiEEEE10hipError_tPvRmT2_T3_mT4_P12ihipStream_tbEUlT_E_NS1_11comp_targetILNS1_3genE10ELNS1_11target_archE1201ELNS1_3gpuE5ELNS1_3repE0EEENS1_30default_config_static_selectorELNS0_4arch9wavefront6targetE1EEEvT1_.numbered_sgpr, 0
	.set _ZN7rocprim17ROCPRIM_400000_NS6detail17trampoline_kernelINS0_14default_configENS1_35adjacent_difference_config_selectorILb0EiEEZNS1_24adjacent_difference_implIS3_Lb0ELb0EPiS7_N6thrust23THRUST_200600_302600_NS4plusIiEEEE10hipError_tPvRmT2_T3_mT4_P12ihipStream_tbEUlT_E_NS1_11comp_targetILNS1_3genE10ELNS1_11target_archE1201ELNS1_3gpuE5ELNS1_3repE0EEENS1_30default_config_static_selectorELNS0_4arch9wavefront6targetE1EEEvT1_.num_named_barrier, 0
	.set _ZN7rocprim17ROCPRIM_400000_NS6detail17trampoline_kernelINS0_14default_configENS1_35adjacent_difference_config_selectorILb0EiEEZNS1_24adjacent_difference_implIS3_Lb0ELb0EPiS7_N6thrust23THRUST_200600_302600_NS4plusIiEEEE10hipError_tPvRmT2_T3_mT4_P12ihipStream_tbEUlT_E_NS1_11comp_targetILNS1_3genE10ELNS1_11target_archE1201ELNS1_3gpuE5ELNS1_3repE0EEENS1_30default_config_static_selectorELNS0_4arch9wavefront6targetE1EEEvT1_.private_seg_size, 0
	.set _ZN7rocprim17ROCPRIM_400000_NS6detail17trampoline_kernelINS0_14default_configENS1_35adjacent_difference_config_selectorILb0EiEEZNS1_24adjacent_difference_implIS3_Lb0ELb0EPiS7_N6thrust23THRUST_200600_302600_NS4plusIiEEEE10hipError_tPvRmT2_T3_mT4_P12ihipStream_tbEUlT_E_NS1_11comp_targetILNS1_3genE10ELNS1_11target_archE1201ELNS1_3gpuE5ELNS1_3repE0EEENS1_30default_config_static_selectorELNS0_4arch9wavefront6targetE1EEEvT1_.uses_vcc, 0
	.set _ZN7rocprim17ROCPRIM_400000_NS6detail17trampoline_kernelINS0_14default_configENS1_35adjacent_difference_config_selectorILb0EiEEZNS1_24adjacent_difference_implIS3_Lb0ELb0EPiS7_N6thrust23THRUST_200600_302600_NS4plusIiEEEE10hipError_tPvRmT2_T3_mT4_P12ihipStream_tbEUlT_E_NS1_11comp_targetILNS1_3genE10ELNS1_11target_archE1201ELNS1_3gpuE5ELNS1_3repE0EEENS1_30default_config_static_selectorELNS0_4arch9wavefront6targetE1EEEvT1_.uses_flat_scratch, 0
	.set _ZN7rocprim17ROCPRIM_400000_NS6detail17trampoline_kernelINS0_14default_configENS1_35adjacent_difference_config_selectorILb0EiEEZNS1_24adjacent_difference_implIS3_Lb0ELb0EPiS7_N6thrust23THRUST_200600_302600_NS4plusIiEEEE10hipError_tPvRmT2_T3_mT4_P12ihipStream_tbEUlT_E_NS1_11comp_targetILNS1_3genE10ELNS1_11target_archE1201ELNS1_3gpuE5ELNS1_3repE0EEENS1_30default_config_static_selectorELNS0_4arch9wavefront6targetE1EEEvT1_.has_dyn_sized_stack, 0
	.set _ZN7rocprim17ROCPRIM_400000_NS6detail17trampoline_kernelINS0_14default_configENS1_35adjacent_difference_config_selectorILb0EiEEZNS1_24adjacent_difference_implIS3_Lb0ELb0EPiS7_N6thrust23THRUST_200600_302600_NS4plusIiEEEE10hipError_tPvRmT2_T3_mT4_P12ihipStream_tbEUlT_E_NS1_11comp_targetILNS1_3genE10ELNS1_11target_archE1201ELNS1_3gpuE5ELNS1_3repE0EEENS1_30default_config_static_selectorELNS0_4arch9wavefront6targetE1EEEvT1_.has_recursion, 0
	.set _ZN7rocprim17ROCPRIM_400000_NS6detail17trampoline_kernelINS0_14default_configENS1_35adjacent_difference_config_selectorILb0EiEEZNS1_24adjacent_difference_implIS3_Lb0ELb0EPiS7_N6thrust23THRUST_200600_302600_NS4plusIiEEEE10hipError_tPvRmT2_T3_mT4_P12ihipStream_tbEUlT_E_NS1_11comp_targetILNS1_3genE10ELNS1_11target_archE1201ELNS1_3gpuE5ELNS1_3repE0EEENS1_30default_config_static_selectorELNS0_4arch9wavefront6targetE1EEEvT1_.has_indirect_call, 0
	.section	.AMDGPU.csdata,"",@progbits
; Kernel info:
; codeLenInByte = 0
; TotalNumSgprs: 4
; NumVgprs: 0
; ScratchSize: 0
; MemoryBound: 0
; FloatMode: 240
; IeeeMode: 1
; LDSByteSize: 0 bytes/workgroup (compile time only)
; SGPRBlocks: 0
; VGPRBlocks: 0
; NumSGPRsForWavesPerEU: 4
; NumVGPRsForWavesPerEU: 1
; Occupancy: 10
; WaveLimiterHint : 0
; COMPUTE_PGM_RSRC2:SCRATCH_EN: 0
; COMPUTE_PGM_RSRC2:USER_SGPR: 6
; COMPUTE_PGM_RSRC2:TRAP_HANDLER: 0
; COMPUTE_PGM_RSRC2:TGID_X_EN: 1
; COMPUTE_PGM_RSRC2:TGID_Y_EN: 0
; COMPUTE_PGM_RSRC2:TGID_Z_EN: 0
; COMPUTE_PGM_RSRC2:TIDIG_COMP_CNT: 0
	.section	.text._ZN7rocprim17ROCPRIM_400000_NS6detail17trampoline_kernelINS0_14default_configENS1_35adjacent_difference_config_selectorILb0EiEEZNS1_24adjacent_difference_implIS3_Lb0ELb0EPiS7_N6thrust23THRUST_200600_302600_NS4plusIiEEEE10hipError_tPvRmT2_T3_mT4_P12ihipStream_tbEUlT_E_NS1_11comp_targetILNS1_3genE5ELNS1_11target_archE942ELNS1_3gpuE9ELNS1_3repE0EEENS1_30default_config_static_selectorELNS0_4arch9wavefront6targetE1EEEvT1_,"axG",@progbits,_ZN7rocprim17ROCPRIM_400000_NS6detail17trampoline_kernelINS0_14default_configENS1_35adjacent_difference_config_selectorILb0EiEEZNS1_24adjacent_difference_implIS3_Lb0ELb0EPiS7_N6thrust23THRUST_200600_302600_NS4plusIiEEEE10hipError_tPvRmT2_T3_mT4_P12ihipStream_tbEUlT_E_NS1_11comp_targetILNS1_3genE5ELNS1_11target_archE942ELNS1_3gpuE9ELNS1_3repE0EEENS1_30default_config_static_selectorELNS0_4arch9wavefront6targetE1EEEvT1_,comdat
	.protected	_ZN7rocprim17ROCPRIM_400000_NS6detail17trampoline_kernelINS0_14default_configENS1_35adjacent_difference_config_selectorILb0EiEEZNS1_24adjacent_difference_implIS3_Lb0ELb0EPiS7_N6thrust23THRUST_200600_302600_NS4plusIiEEEE10hipError_tPvRmT2_T3_mT4_P12ihipStream_tbEUlT_E_NS1_11comp_targetILNS1_3genE5ELNS1_11target_archE942ELNS1_3gpuE9ELNS1_3repE0EEENS1_30default_config_static_selectorELNS0_4arch9wavefront6targetE1EEEvT1_ ; -- Begin function _ZN7rocprim17ROCPRIM_400000_NS6detail17trampoline_kernelINS0_14default_configENS1_35adjacent_difference_config_selectorILb0EiEEZNS1_24adjacent_difference_implIS3_Lb0ELb0EPiS7_N6thrust23THRUST_200600_302600_NS4plusIiEEEE10hipError_tPvRmT2_T3_mT4_P12ihipStream_tbEUlT_E_NS1_11comp_targetILNS1_3genE5ELNS1_11target_archE942ELNS1_3gpuE9ELNS1_3repE0EEENS1_30default_config_static_selectorELNS0_4arch9wavefront6targetE1EEEvT1_
	.globl	_ZN7rocprim17ROCPRIM_400000_NS6detail17trampoline_kernelINS0_14default_configENS1_35adjacent_difference_config_selectorILb0EiEEZNS1_24adjacent_difference_implIS3_Lb0ELb0EPiS7_N6thrust23THRUST_200600_302600_NS4plusIiEEEE10hipError_tPvRmT2_T3_mT4_P12ihipStream_tbEUlT_E_NS1_11comp_targetILNS1_3genE5ELNS1_11target_archE942ELNS1_3gpuE9ELNS1_3repE0EEENS1_30default_config_static_selectorELNS0_4arch9wavefront6targetE1EEEvT1_
	.p2align	8
	.type	_ZN7rocprim17ROCPRIM_400000_NS6detail17trampoline_kernelINS0_14default_configENS1_35adjacent_difference_config_selectorILb0EiEEZNS1_24adjacent_difference_implIS3_Lb0ELb0EPiS7_N6thrust23THRUST_200600_302600_NS4plusIiEEEE10hipError_tPvRmT2_T3_mT4_P12ihipStream_tbEUlT_E_NS1_11comp_targetILNS1_3genE5ELNS1_11target_archE942ELNS1_3gpuE9ELNS1_3repE0EEENS1_30default_config_static_selectorELNS0_4arch9wavefront6targetE1EEEvT1_,@function
_ZN7rocprim17ROCPRIM_400000_NS6detail17trampoline_kernelINS0_14default_configENS1_35adjacent_difference_config_selectorILb0EiEEZNS1_24adjacent_difference_implIS3_Lb0ELb0EPiS7_N6thrust23THRUST_200600_302600_NS4plusIiEEEE10hipError_tPvRmT2_T3_mT4_P12ihipStream_tbEUlT_E_NS1_11comp_targetILNS1_3genE5ELNS1_11target_archE942ELNS1_3gpuE9ELNS1_3repE0EEENS1_30default_config_static_selectorELNS0_4arch9wavefront6targetE1EEEvT1_: ; @_ZN7rocprim17ROCPRIM_400000_NS6detail17trampoline_kernelINS0_14default_configENS1_35adjacent_difference_config_selectorILb0EiEEZNS1_24adjacent_difference_implIS3_Lb0ELb0EPiS7_N6thrust23THRUST_200600_302600_NS4plusIiEEEE10hipError_tPvRmT2_T3_mT4_P12ihipStream_tbEUlT_E_NS1_11comp_targetILNS1_3genE5ELNS1_11target_archE942ELNS1_3gpuE9ELNS1_3repE0EEENS1_30default_config_static_selectorELNS0_4arch9wavefront6targetE1EEEvT1_
; %bb.0:
	.section	.rodata,"a",@progbits
	.p2align	6, 0x0
	.amdhsa_kernel _ZN7rocprim17ROCPRIM_400000_NS6detail17trampoline_kernelINS0_14default_configENS1_35adjacent_difference_config_selectorILb0EiEEZNS1_24adjacent_difference_implIS3_Lb0ELb0EPiS7_N6thrust23THRUST_200600_302600_NS4plusIiEEEE10hipError_tPvRmT2_T3_mT4_P12ihipStream_tbEUlT_E_NS1_11comp_targetILNS1_3genE5ELNS1_11target_archE942ELNS1_3gpuE9ELNS1_3repE0EEENS1_30default_config_static_selectorELNS0_4arch9wavefront6targetE1EEEvT1_
		.amdhsa_group_segment_fixed_size 0
		.amdhsa_private_segment_fixed_size 0
		.amdhsa_kernarg_size 56
		.amdhsa_user_sgpr_count 6
		.amdhsa_user_sgpr_private_segment_buffer 1
		.amdhsa_user_sgpr_dispatch_ptr 0
		.amdhsa_user_sgpr_queue_ptr 0
		.amdhsa_user_sgpr_kernarg_segment_ptr 1
		.amdhsa_user_sgpr_dispatch_id 0
		.amdhsa_user_sgpr_flat_scratch_init 0
		.amdhsa_user_sgpr_private_segment_size 0
		.amdhsa_uses_dynamic_stack 0
		.amdhsa_system_sgpr_private_segment_wavefront_offset 0
		.amdhsa_system_sgpr_workgroup_id_x 1
		.amdhsa_system_sgpr_workgroup_id_y 0
		.amdhsa_system_sgpr_workgroup_id_z 0
		.amdhsa_system_sgpr_workgroup_info 0
		.amdhsa_system_vgpr_workitem_id 0
		.amdhsa_next_free_vgpr 1
		.amdhsa_next_free_sgpr 0
		.amdhsa_reserve_vcc 0
		.amdhsa_reserve_flat_scratch 0
		.amdhsa_float_round_mode_32 0
		.amdhsa_float_round_mode_16_64 0
		.amdhsa_float_denorm_mode_32 3
		.amdhsa_float_denorm_mode_16_64 3
		.amdhsa_dx10_clamp 1
		.amdhsa_ieee_mode 1
		.amdhsa_fp16_overflow 0
		.amdhsa_exception_fp_ieee_invalid_op 0
		.amdhsa_exception_fp_denorm_src 0
		.amdhsa_exception_fp_ieee_div_zero 0
		.amdhsa_exception_fp_ieee_overflow 0
		.amdhsa_exception_fp_ieee_underflow 0
		.amdhsa_exception_fp_ieee_inexact 0
		.amdhsa_exception_int_div_zero 0
	.end_amdhsa_kernel
	.section	.text._ZN7rocprim17ROCPRIM_400000_NS6detail17trampoline_kernelINS0_14default_configENS1_35adjacent_difference_config_selectorILb0EiEEZNS1_24adjacent_difference_implIS3_Lb0ELb0EPiS7_N6thrust23THRUST_200600_302600_NS4plusIiEEEE10hipError_tPvRmT2_T3_mT4_P12ihipStream_tbEUlT_E_NS1_11comp_targetILNS1_3genE5ELNS1_11target_archE942ELNS1_3gpuE9ELNS1_3repE0EEENS1_30default_config_static_selectorELNS0_4arch9wavefront6targetE1EEEvT1_,"axG",@progbits,_ZN7rocprim17ROCPRIM_400000_NS6detail17trampoline_kernelINS0_14default_configENS1_35adjacent_difference_config_selectorILb0EiEEZNS1_24adjacent_difference_implIS3_Lb0ELb0EPiS7_N6thrust23THRUST_200600_302600_NS4plusIiEEEE10hipError_tPvRmT2_T3_mT4_P12ihipStream_tbEUlT_E_NS1_11comp_targetILNS1_3genE5ELNS1_11target_archE942ELNS1_3gpuE9ELNS1_3repE0EEENS1_30default_config_static_selectorELNS0_4arch9wavefront6targetE1EEEvT1_,comdat
.Lfunc_end334:
	.size	_ZN7rocprim17ROCPRIM_400000_NS6detail17trampoline_kernelINS0_14default_configENS1_35adjacent_difference_config_selectorILb0EiEEZNS1_24adjacent_difference_implIS3_Lb0ELb0EPiS7_N6thrust23THRUST_200600_302600_NS4plusIiEEEE10hipError_tPvRmT2_T3_mT4_P12ihipStream_tbEUlT_E_NS1_11comp_targetILNS1_3genE5ELNS1_11target_archE942ELNS1_3gpuE9ELNS1_3repE0EEENS1_30default_config_static_selectorELNS0_4arch9wavefront6targetE1EEEvT1_, .Lfunc_end334-_ZN7rocprim17ROCPRIM_400000_NS6detail17trampoline_kernelINS0_14default_configENS1_35adjacent_difference_config_selectorILb0EiEEZNS1_24adjacent_difference_implIS3_Lb0ELb0EPiS7_N6thrust23THRUST_200600_302600_NS4plusIiEEEE10hipError_tPvRmT2_T3_mT4_P12ihipStream_tbEUlT_E_NS1_11comp_targetILNS1_3genE5ELNS1_11target_archE942ELNS1_3gpuE9ELNS1_3repE0EEENS1_30default_config_static_selectorELNS0_4arch9wavefront6targetE1EEEvT1_
                                        ; -- End function
	.set _ZN7rocprim17ROCPRIM_400000_NS6detail17trampoline_kernelINS0_14default_configENS1_35adjacent_difference_config_selectorILb0EiEEZNS1_24adjacent_difference_implIS3_Lb0ELb0EPiS7_N6thrust23THRUST_200600_302600_NS4plusIiEEEE10hipError_tPvRmT2_T3_mT4_P12ihipStream_tbEUlT_E_NS1_11comp_targetILNS1_3genE5ELNS1_11target_archE942ELNS1_3gpuE9ELNS1_3repE0EEENS1_30default_config_static_selectorELNS0_4arch9wavefront6targetE1EEEvT1_.num_vgpr, 0
	.set _ZN7rocprim17ROCPRIM_400000_NS6detail17trampoline_kernelINS0_14default_configENS1_35adjacent_difference_config_selectorILb0EiEEZNS1_24adjacent_difference_implIS3_Lb0ELb0EPiS7_N6thrust23THRUST_200600_302600_NS4plusIiEEEE10hipError_tPvRmT2_T3_mT4_P12ihipStream_tbEUlT_E_NS1_11comp_targetILNS1_3genE5ELNS1_11target_archE942ELNS1_3gpuE9ELNS1_3repE0EEENS1_30default_config_static_selectorELNS0_4arch9wavefront6targetE1EEEvT1_.num_agpr, 0
	.set _ZN7rocprim17ROCPRIM_400000_NS6detail17trampoline_kernelINS0_14default_configENS1_35adjacent_difference_config_selectorILb0EiEEZNS1_24adjacent_difference_implIS3_Lb0ELb0EPiS7_N6thrust23THRUST_200600_302600_NS4plusIiEEEE10hipError_tPvRmT2_T3_mT4_P12ihipStream_tbEUlT_E_NS1_11comp_targetILNS1_3genE5ELNS1_11target_archE942ELNS1_3gpuE9ELNS1_3repE0EEENS1_30default_config_static_selectorELNS0_4arch9wavefront6targetE1EEEvT1_.numbered_sgpr, 0
	.set _ZN7rocprim17ROCPRIM_400000_NS6detail17trampoline_kernelINS0_14default_configENS1_35adjacent_difference_config_selectorILb0EiEEZNS1_24adjacent_difference_implIS3_Lb0ELb0EPiS7_N6thrust23THRUST_200600_302600_NS4plusIiEEEE10hipError_tPvRmT2_T3_mT4_P12ihipStream_tbEUlT_E_NS1_11comp_targetILNS1_3genE5ELNS1_11target_archE942ELNS1_3gpuE9ELNS1_3repE0EEENS1_30default_config_static_selectorELNS0_4arch9wavefront6targetE1EEEvT1_.num_named_barrier, 0
	.set _ZN7rocprim17ROCPRIM_400000_NS6detail17trampoline_kernelINS0_14default_configENS1_35adjacent_difference_config_selectorILb0EiEEZNS1_24adjacent_difference_implIS3_Lb0ELb0EPiS7_N6thrust23THRUST_200600_302600_NS4plusIiEEEE10hipError_tPvRmT2_T3_mT4_P12ihipStream_tbEUlT_E_NS1_11comp_targetILNS1_3genE5ELNS1_11target_archE942ELNS1_3gpuE9ELNS1_3repE0EEENS1_30default_config_static_selectorELNS0_4arch9wavefront6targetE1EEEvT1_.private_seg_size, 0
	.set _ZN7rocprim17ROCPRIM_400000_NS6detail17trampoline_kernelINS0_14default_configENS1_35adjacent_difference_config_selectorILb0EiEEZNS1_24adjacent_difference_implIS3_Lb0ELb0EPiS7_N6thrust23THRUST_200600_302600_NS4plusIiEEEE10hipError_tPvRmT2_T3_mT4_P12ihipStream_tbEUlT_E_NS1_11comp_targetILNS1_3genE5ELNS1_11target_archE942ELNS1_3gpuE9ELNS1_3repE0EEENS1_30default_config_static_selectorELNS0_4arch9wavefront6targetE1EEEvT1_.uses_vcc, 0
	.set _ZN7rocprim17ROCPRIM_400000_NS6detail17trampoline_kernelINS0_14default_configENS1_35adjacent_difference_config_selectorILb0EiEEZNS1_24adjacent_difference_implIS3_Lb0ELb0EPiS7_N6thrust23THRUST_200600_302600_NS4plusIiEEEE10hipError_tPvRmT2_T3_mT4_P12ihipStream_tbEUlT_E_NS1_11comp_targetILNS1_3genE5ELNS1_11target_archE942ELNS1_3gpuE9ELNS1_3repE0EEENS1_30default_config_static_selectorELNS0_4arch9wavefront6targetE1EEEvT1_.uses_flat_scratch, 0
	.set _ZN7rocprim17ROCPRIM_400000_NS6detail17trampoline_kernelINS0_14default_configENS1_35adjacent_difference_config_selectorILb0EiEEZNS1_24adjacent_difference_implIS3_Lb0ELb0EPiS7_N6thrust23THRUST_200600_302600_NS4plusIiEEEE10hipError_tPvRmT2_T3_mT4_P12ihipStream_tbEUlT_E_NS1_11comp_targetILNS1_3genE5ELNS1_11target_archE942ELNS1_3gpuE9ELNS1_3repE0EEENS1_30default_config_static_selectorELNS0_4arch9wavefront6targetE1EEEvT1_.has_dyn_sized_stack, 0
	.set _ZN7rocprim17ROCPRIM_400000_NS6detail17trampoline_kernelINS0_14default_configENS1_35adjacent_difference_config_selectorILb0EiEEZNS1_24adjacent_difference_implIS3_Lb0ELb0EPiS7_N6thrust23THRUST_200600_302600_NS4plusIiEEEE10hipError_tPvRmT2_T3_mT4_P12ihipStream_tbEUlT_E_NS1_11comp_targetILNS1_3genE5ELNS1_11target_archE942ELNS1_3gpuE9ELNS1_3repE0EEENS1_30default_config_static_selectorELNS0_4arch9wavefront6targetE1EEEvT1_.has_recursion, 0
	.set _ZN7rocprim17ROCPRIM_400000_NS6detail17trampoline_kernelINS0_14default_configENS1_35adjacent_difference_config_selectorILb0EiEEZNS1_24adjacent_difference_implIS3_Lb0ELb0EPiS7_N6thrust23THRUST_200600_302600_NS4plusIiEEEE10hipError_tPvRmT2_T3_mT4_P12ihipStream_tbEUlT_E_NS1_11comp_targetILNS1_3genE5ELNS1_11target_archE942ELNS1_3gpuE9ELNS1_3repE0EEENS1_30default_config_static_selectorELNS0_4arch9wavefront6targetE1EEEvT1_.has_indirect_call, 0
	.section	.AMDGPU.csdata,"",@progbits
; Kernel info:
; codeLenInByte = 0
; TotalNumSgprs: 4
; NumVgprs: 0
; ScratchSize: 0
; MemoryBound: 0
; FloatMode: 240
; IeeeMode: 1
; LDSByteSize: 0 bytes/workgroup (compile time only)
; SGPRBlocks: 0
; VGPRBlocks: 0
; NumSGPRsForWavesPerEU: 4
; NumVGPRsForWavesPerEU: 1
; Occupancy: 10
; WaveLimiterHint : 0
; COMPUTE_PGM_RSRC2:SCRATCH_EN: 0
; COMPUTE_PGM_RSRC2:USER_SGPR: 6
; COMPUTE_PGM_RSRC2:TRAP_HANDLER: 0
; COMPUTE_PGM_RSRC2:TGID_X_EN: 1
; COMPUTE_PGM_RSRC2:TGID_Y_EN: 0
; COMPUTE_PGM_RSRC2:TGID_Z_EN: 0
; COMPUTE_PGM_RSRC2:TIDIG_COMP_CNT: 0
	.section	.text._ZN7rocprim17ROCPRIM_400000_NS6detail17trampoline_kernelINS0_14default_configENS1_35adjacent_difference_config_selectorILb0EiEEZNS1_24adjacent_difference_implIS3_Lb0ELb0EPiS7_N6thrust23THRUST_200600_302600_NS4plusIiEEEE10hipError_tPvRmT2_T3_mT4_P12ihipStream_tbEUlT_E_NS1_11comp_targetILNS1_3genE4ELNS1_11target_archE910ELNS1_3gpuE8ELNS1_3repE0EEENS1_30default_config_static_selectorELNS0_4arch9wavefront6targetE1EEEvT1_,"axG",@progbits,_ZN7rocprim17ROCPRIM_400000_NS6detail17trampoline_kernelINS0_14default_configENS1_35adjacent_difference_config_selectorILb0EiEEZNS1_24adjacent_difference_implIS3_Lb0ELb0EPiS7_N6thrust23THRUST_200600_302600_NS4plusIiEEEE10hipError_tPvRmT2_T3_mT4_P12ihipStream_tbEUlT_E_NS1_11comp_targetILNS1_3genE4ELNS1_11target_archE910ELNS1_3gpuE8ELNS1_3repE0EEENS1_30default_config_static_selectorELNS0_4arch9wavefront6targetE1EEEvT1_,comdat
	.protected	_ZN7rocprim17ROCPRIM_400000_NS6detail17trampoline_kernelINS0_14default_configENS1_35adjacent_difference_config_selectorILb0EiEEZNS1_24adjacent_difference_implIS3_Lb0ELb0EPiS7_N6thrust23THRUST_200600_302600_NS4plusIiEEEE10hipError_tPvRmT2_T3_mT4_P12ihipStream_tbEUlT_E_NS1_11comp_targetILNS1_3genE4ELNS1_11target_archE910ELNS1_3gpuE8ELNS1_3repE0EEENS1_30default_config_static_selectorELNS0_4arch9wavefront6targetE1EEEvT1_ ; -- Begin function _ZN7rocprim17ROCPRIM_400000_NS6detail17trampoline_kernelINS0_14default_configENS1_35adjacent_difference_config_selectorILb0EiEEZNS1_24adjacent_difference_implIS3_Lb0ELb0EPiS7_N6thrust23THRUST_200600_302600_NS4plusIiEEEE10hipError_tPvRmT2_T3_mT4_P12ihipStream_tbEUlT_E_NS1_11comp_targetILNS1_3genE4ELNS1_11target_archE910ELNS1_3gpuE8ELNS1_3repE0EEENS1_30default_config_static_selectorELNS0_4arch9wavefront6targetE1EEEvT1_
	.globl	_ZN7rocprim17ROCPRIM_400000_NS6detail17trampoline_kernelINS0_14default_configENS1_35adjacent_difference_config_selectorILb0EiEEZNS1_24adjacent_difference_implIS3_Lb0ELb0EPiS7_N6thrust23THRUST_200600_302600_NS4plusIiEEEE10hipError_tPvRmT2_T3_mT4_P12ihipStream_tbEUlT_E_NS1_11comp_targetILNS1_3genE4ELNS1_11target_archE910ELNS1_3gpuE8ELNS1_3repE0EEENS1_30default_config_static_selectorELNS0_4arch9wavefront6targetE1EEEvT1_
	.p2align	8
	.type	_ZN7rocprim17ROCPRIM_400000_NS6detail17trampoline_kernelINS0_14default_configENS1_35adjacent_difference_config_selectorILb0EiEEZNS1_24adjacent_difference_implIS3_Lb0ELb0EPiS7_N6thrust23THRUST_200600_302600_NS4plusIiEEEE10hipError_tPvRmT2_T3_mT4_P12ihipStream_tbEUlT_E_NS1_11comp_targetILNS1_3genE4ELNS1_11target_archE910ELNS1_3gpuE8ELNS1_3repE0EEENS1_30default_config_static_selectorELNS0_4arch9wavefront6targetE1EEEvT1_,@function
_ZN7rocprim17ROCPRIM_400000_NS6detail17trampoline_kernelINS0_14default_configENS1_35adjacent_difference_config_selectorILb0EiEEZNS1_24adjacent_difference_implIS3_Lb0ELb0EPiS7_N6thrust23THRUST_200600_302600_NS4plusIiEEEE10hipError_tPvRmT2_T3_mT4_P12ihipStream_tbEUlT_E_NS1_11comp_targetILNS1_3genE4ELNS1_11target_archE910ELNS1_3gpuE8ELNS1_3repE0EEENS1_30default_config_static_selectorELNS0_4arch9wavefront6targetE1EEEvT1_: ; @_ZN7rocprim17ROCPRIM_400000_NS6detail17trampoline_kernelINS0_14default_configENS1_35adjacent_difference_config_selectorILb0EiEEZNS1_24adjacent_difference_implIS3_Lb0ELb0EPiS7_N6thrust23THRUST_200600_302600_NS4plusIiEEEE10hipError_tPvRmT2_T3_mT4_P12ihipStream_tbEUlT_E_NS1_11comp_targetILNS1_3genE4ELNS1_11target_archE910ELNS1_3gpuE8ELNS1_3repE0EEENS1_30default_config_static_selectorELNS0_4arch9wavefront6targetE1EEEvT1_
; %bb.0:
	.section	.rodata,"a",@progbits
	.p2align	6, 0x0
	.amdhsa_kernel _ZN7rocprim17ROCPRIM_400000_NS6detail17trampoline_kernelINS0_14default_configENS1_35adjacent_difference_config_selectorILb0EiEEZNS1_24adjacent_difference_implIS3_Lb0ELb0EPiS7_N6thrust23THRUST_200600_302600_NS4plusIiEEEE10hipError_tPvRmT2_T3_mT4_P12ihipStream_tbEUlT_E_NS1_11comp_targetILNS1_3genE4ELNS1_11target_archE910ELNS1_3gpuE8ELNS1_3repE0EEENS1_30default_config_static_selectorELNS0_4arch9wavefront6targetE1EEEvT1_
		.amdhsa_group_segment_fixed_size 0
		.amdhsa_private_segment_fixed_size 0
		.amdhsa_kernarg_size 56
		.amdhsa_user_sgpr_count 6
		.amdhsa_user_sgpr_private_segment_buffer 1
		.amdhsa_user_sgpr_dispatch_ptr 0
		.amdhsa_user_sgpr_queue_ptr 0
		.amdhsa_user_sgpr_kernarg_segment_ptr 1
		.amdhsa_user_sgpr_dispatch_id 0
		.amdhsa_user_sgpr_flat_scratch_init 0
		.amdhsa_user_sgpr_private_segment_size 0
		.amdhsa_uses_dynamic_stack 0
		.amdhsa_system_sgpr_private_segment_wavefront_offset 0
		.amdhsa_system_sgpr_workgroup_id_x 1
		.amdhsa_system_sgpr_workgroup_id_y 0
		.amdhsa_system_sgpr_workgroup_id_z 0
		.amdhsa_system_sgpr_workgroup_info 0
		.amdhsa_system_vgpr_workitem_id 0
		.amdhsa_next_free_vgpr 1
		.amdhsa_next_free_sgpr 0
		.amdhsa_reserve_vcc 0
		.amdhsa_reserve_flat_scratch 0
		.amdhsa_float_round_mode_32 0
		.amdhsa_float_round_mode_16_64 0
		.amdhsa_float_denorm_mode_32 3
		.amdhsa_float_denorm_mode_16_64 3
		.amdhsa_dx10_clamp 1
		.amdhsa_ieee_mode 1
		.amdhsa_fp16_overflow 0
		.amdhsa_exception_fp_ieee_invalid_op 0
		.amdhsa_exception_fp_denorm_src 0
		.amdhsa_exception_fp_ieee_div_zero 0
		.amdhsa_exception_fp_ieee_overflow 0
		.amdhsa_exception_fp_ieee_underflow 0
		.amdhsa_exception_fp_ieee_inexact 0
		.amdhsa_exception_int_div_zero 0
	.end_amdhsa_kernel
	.section	.text._ZN7rocprim17ROCPRIM_400000_NS6detail17trampoline_kernelINS0_14default_configENS1_35adjacent_difference_config_selectorILb0EiEEZNS1_24adjacent_difference_implIS3_Lb0ELb0EPiS7_N6thrust23THRUST_200600_302600_NS4plusIiEEEE10hipError_tPvRmT2_T3_mT4_P12ihipStream_tbEUlT_E_NS1_11comp_targetILNS1_3genE4ELNS1_11target_archE910ELNS1_3gpuE8ELNS1_3repE0EEENS1_30default_config_static_selectorELNS0_4arch9wavefront6targetE1EEEvT1_,"axG",@progbits,_ZN7rocprim17ROCPRIM_400000_NS6detail17trampoline_kernelINS0_14default_configENS1_35adjacent_difference_config_selectorILb0EiEEZNS1_24adjacent_difference_implIS3_Lb0ELb0EPiS7_N6thrust23THRUST_200600_302600_NS4plusIiEEEE10hipError_tPvRmT2_T3_mT4_P12ihipStream_tbEUlT_E_NS1_11comp_targetILNS1_3genE4ELNS1_11target_archE910ELNS1_3gpuE8ELNS1_3repE0EEENS1_30default_config_static_selectorELNS0_4arch9wavefront6targetE1EEEvT1_,comdat
.Lfunc_end335:
	.size	_ZN7rocprim17ROCPRIM_400000_NS6detail17trampoline_kernelINS0_14default_configENS1_35adjacent_difference_config_selectorILb0EiEEZNS1_24adjacent_difference_implIS3_Lb0ELb0EPiS7_N6thrust23THRUST_200600_302600_NS4plusIiEEEE10hipError_tPvRmT2_T3_mT4_P12ihipStream_tbEUlT_E_NS1_11comp_targetILNS1_3genE4ELNS1_11target_archE910ELNS1_3gpuE8ELNS1_3repE0EEENS1_30default_config_static_selectorELNS0_4arch9wavefront6targetE1EEEvT1_, .Lfunc_end335-_ZN7rocprim17ROCPRIM_400000_NS6detail17trampoline_kernelINS0_14default_configENS1_35adjacent_difference_config_selectorILb0EiEEZNS1_24adjacent_difference_implIS3_Lb0ELb0EPiS7_N6thrust23THRUST_200600_302600_NS4plusIiEEEE10hipError_tPvRmT2_T3_mT4_P12ihipStream_tbEUlT_E_NS1_11comp_targetILNS1_3genE4ELNS1_11target_archE910ELNS1_3gpuE8ELNS1_3repE0EEENS1_30default_config_static_selectorELNS0_4arch9wavefront6targetE1EEEvT1_
                                        ; -- End function
	.set _ZN7rocprim17ROCPRIM_400000_NS6detail17trampoline_kernelINS0_14default_configENS1_35adjacent_difference_config_selectorILb0EiEEZNS1_24adjacent_difference_implIS3_Lb0ELb0EPiS7_N6thrust23THRUST_200600_302600_NS4plusIiEEEE10hipError_tPvRmT2_T3_mT4_P12ihipStream_tbEUlT_E_NS1_11comp_targetILNS1_3genE4ELNS1_11target_archE910ELNS1_3gpuE8ELNS1_3repE0EEENS1_30default_config_static_selectorELNS0_4arch9wavefront6targetE1EEEvT1_.num_vgpr, 0
	.set _ZN7rocprim17ROCPRIM_400000_NS6detail17trampoline_kernelINS0_14default_configENS1_35adjacent_difference_config_selectorILb0EiEEZNS1_24adjacent_difference_implIS3_Lb0ELb0EPiS7_N6thrust23THRUST_200600_302600_NS4plusIiEEEE10hipError_tPvRmT2_T3_mT4_P12ihipStream_tbEUlT_E_NS1_11comp_targetILNS1_3genE4ELNS1_11target_archE910ELNS1_3gpuE8ELNS1_3repE0EEENS1_30default_config_static_selectorELNS0_4arch9wavefront6targetE1EEEvT1_.num_agpr, 0
	.set _ZN7rocprim17ROCPRIM_400000_NS6detail17trampoline_kernelINS0_14default_configENS1_35adjacent_difference_config_selectorILb0EiEEZNS1_24adjacent_difference_implIS3_Lb0ELb0EPiS7_N6thrust23THRUST_200600_302600_NS4plusIiEEEE10hipError_tPvRmT2_T3_mT4_P12ihipStream_tbEUlT_E_NS1_11comp_targetILNS1_3genE4ELNS1_11target_archE910ELNS1_3gpuE8ELNS1_3repE0EEENS1_30default_config_static_selectorELNS0_4arch9wavefront6targetE1EEEvT1_.numbered_sgpr, 0
	.set _ZN7rocprim17ROCPRIM_400000_NS6detail17trampoline_kernelINS0_14default_configENS1_35adjacent_difference_config_selectorILb0EiEEZNS1_24adjacent_difference_implIS3_Lb0ELb0EPiS7_N6thrust23THRUST_200600_302600_NS4plusIiEEEE10hipError_tPvRmT2_T3_mT4_P12ihipStream_tbEUlT_E_NS1_11comp_targetILNS1_3genE4ELNS1_11target_archE910ELNS1_3gpuE8ELNS1_3repE0EEENS1_30default_config_static_selectorELNS0_4arch9wavefront6targetE1EEEvT1_.num_named_barrier, 0
	.set _ZN7rocprim17ROCPRIM_400000_NS6detail17trampoline_kernelINS0_14default_configENS1_35adjacent_difference_config_selectorILb0EiEEZNS1_24adjacent_difference_implIS3_Lb0ELb0EPiS7_N6thrust23THRUST_200600_302600_NS4plusIiEEEE10hipError_tPvRmT2_T3_mT4_P12ihipStream_tbEUlT_E_NS1_11comp_targetILNS1_3genE4ELNS1_11target_archE910ELNS1_3gpuE8ELNS1_3repE0EEENS1_30default_config_static_selectorELNS0_4arch9wavefront6targetE1EEEvT1_.private_seg_size, 0
	.set _ZN7rocprim17ROCPRIM_400000_NS6detail17trampoline_kernelINS0_14default_configENS1_35adjacent_difference_config_selectorILb0EiEEZNS1_24adjacent_difference_implIS3_Lb0ELb0EPiS7_N6thrust23THRUST_200600_302600_NS4plusIiEEEE10hipError_tPvRmT2_T3_mT4_P12ihipStream_tbEUlT_E_NS1_11comp_targetILNS1_3genE4ELNS1_11target_archE910ELNS1_3gpuE8ELNS1_3repE0EEENS1_30default_config_static_selectorELNS0_4arch9wavefront6targetE1EEEvT1_.uses_vcc, 0
	.set _ZN7rocprim17ROCPRIM_400000_NS6detail17trampoline_kernelINS0_14default_configENS1_35adjacent_difference_config_selectorILb0EiEEZNS1_24adjacent_difference_implIS3_Lb0ELb0EPiS7_N6thrust23THRUST_200600_302600_NS4plusIiEEEE10hipError_tPvRmT2_T3_mT4_P12ihipStream_tbEUlT_E_NS1_11comp_targetILNS1_3genE4ELNS1_11target_archE910ELNS1_3gpuE8ELNS1_3repE0EEENS1_30default_config_static_selectorELNS0_4arch9wavefront6targetE1EEEvT1_.uses_flat_scratch, 0
	.set _ZN7rocprim17ROCPRIM_400000_NS6detail17trampoline_kernelINS0_14default_configENS1_35adjacent_difference_config_selectorILb0EiEEZNS1_24adjacent_difference_implIS3_Lb0ELb0EPiS7_N6thrust23THRUST_200600_302600_NS4plusIiEEEE10hipError_tPvRmT2_T3_mT4_P12ihipStream_tbEUlT_E_NS1_11comp_targetILNS1_3genE4ELNS1_11target_archE910ELNS1_3gpuE8ELNS1_3repE0EEENS1_30default_config_static_selectorELNS0_4arch9wavefront6targetE1EEEvT1_.has_dyn_sized_stack, 0
	.set _ZN7rocprim17ROCPRIM_400000_NS6detail17trampoline_kernelINS0_14default_configENS1_35adjacent_difference_config_selectorILb0EiEEZNS1_24adjacent_difference_implIS3_Lb0ELb0EPiS7_N6thrust23THRUST_200600_302600_NS4plusIiEEEE10hipError_tPvRmT2_T3_mT4_P12ihipStream_tbEUlT_E_NS1_11comp_targetILNS1_3genE4ELNS1_11target_archE910ELNS1_3gpuE8ELNS1_3repE0EEENS1_30default_config_static_selectorELNS0_4arch9wavefront6targetE1EEEvT1_.has_recursion, 0
	.set _ZN7rocprim17ROCPRIM_400000_NS6detail17trampoline_kernelINS0_14default_configENS1_35adjacent_difference_config_selectorILb0EiEEZNS1_24adjacent_difference_implIS3_Lb0ELb0EPiS7_N6thrust23THRUST_200600_302600_NS4plusIiEEEE10hipError_tPvRmT2_T3_mT4_P12ihipStream_tbEUlT_E_NS1_11comp_targetILNS1_3genE4ELNS1_11target_archE910ELNS1_3gpuE8ELNS1_3repE0EEENS1_30default_config_static_selectorELNS0_4arch9wavefront6targetE1EEEvT1_.has_indirect_call, 0
	.section	.AMDGPU.csdata,"",@progbits
; Kernel info:
; codeLenInByte = 0
; TotalNumSgprs: 4
; NumVgprs: 0
; ScratchSize: 0
; MemoryBound: 0
; FloatMode: 240
; IeeeMode: 1
; LDSByteSize: 0 bytes/workgroup (compile time only)
; SGPRBlocks: 0
; VGPRBlocks: 0
; NumSGPRsForWavesPerEU: 4
; NumVGPRsForWavesPerEU: 1
; Occupancy: 10
; WaveLimiterHint : 0
; COMPUTE_PGM_RSRC2:SCRATCH_EN: 0
; COMPUTE_PGM_RSRC2:USER_SGPR: 6
; COMPUTE_PGM_RSRC2:TRAP_HANDLER: 0
; COMPUTE_PGM_RSRC2:TGID_X_EN: 1
; COMPUTE_PGM_RSRC2:TGID_Y_EN: 0
; COMPUTE_PGM_RSRC2:TGID_Z_EN: 0
; COMPUTE_PGM_RSRC2:TIDIG_COMP_CNT: 0
	.section	.text._ZN7rocprim17ROCPRIM_400000_NS6detail17trampoline_kernelINS0_14default_configENS1_35adjacent_difference_config_selectorILb0EiEEZNS1_24adjacent_difference_implIS3_Lb0ELb0EPiS7_N6thrust23THRUST_200600_302600_NS4plusIiEEEE10hipError_tPvRmT2_T3_mT4_P12ihipStream_tbEUlT_E_NS1_11comp_targetILNS1_3genE3ELNS1_11target_archE908ELNS1_3gpuE7ELNS1_3repE0EEENS1_30default_config_static_selectorELNS0_4arch9wavefront6targetE1EEEvT1_,"axG",@progbits,_ZN7rocprim17ROCPRIM_400000_NS6detail17trampoline_kernelINS0_14default_configENS1_35adjacent_difference_config_selectorILb0EiEEZNS1_24adjacent_difference_implIS3_Lb0ELb0EPiS7_N6thrust23THRUST_200600_302600_NS4plusIiEEEE10hipError_tPvRmT2_T3_mT4_P12ihipStream_tbEUlT_E_NS1_11comp_targetILNS1_3genE3ELNS1_11target_archE908ELNS1_3gpuE7ELNS1_3repE0EEENS1_30default_config_static_selectorELNS0_4arch9wavefront6targetE1EEEvT1_,comdat
	.protected	_ZN7rocprim17ROCPRIM_400000_NS6detail17trampoline_kernelINS0_14default_configENS1_35adjacent_difference_config_selectorILb0EiEEZNS1_24adjacent_difference_implIS3_Lb0ELb0EPiS7_N6thrust23THRUST_200600_302600_NS4plusIiEEEE10hipError_tPvRmT2_T3_mT4_P12ihipStream_tbEUlT_E_NS1_11comp_targetILNS1_3genE3ELNS1_11target_archE908ELNS1_3gpuE7ELNS1_3repE0EEENS1_30default_config_static_selectorELNS0_4arch9wavefront6targetE1EEEvT1_ ; -- Begin function _ZN7rocprim17ROCPRIM_400000_NS6detail17trampoline_kernelINS0_14default_configENS1_35adjacent_difference_config_selectorILb0EiEEZNS1_24adjacent_difference_implIS3_Lb0ELb0EPiS7_N6thrust23THRUST_200600_302600_NS4plusIiEEEE10hipError_tPvRmT2_T3_mT4_P12ihipStream_tbEUlT_E_NS1_11comp_targetILNS1_3genE3ELNS1_11target_archE908ELNS1_3gpuE7ELNS1_3repE0EEENS1_30default_config_static_selectorELNS0_4arch9wavefront6targetE1EEEvT1_
	.globl	_ZN7rocprim17ROCPRIM_400000_NS6detail17trampoline_kernelINS0_14default_configENS1_35adjacent_difference_config_selectorILb0EiEEZNS1_24adjacent_difference_implIS3_Lb0ELb0EPiS7_N6thrust23THRUST_200600_302600_NS4plusIiEEEE10hipError_tPvRmT2_T3_mT4_P12ihipStream_tbEUlT_E_NS1_11comp_targetILNS1_3genE3ELNS1_11target_archE908ELNS1_3gpuE7ELNS1_3repE0EEENS1_30default_config_static_selectorELNS0_4arch9wavefront6targetE1EEEvT1_
	.p2align	8
	.type	_ZN7rocprim17ROCPRIM_400000_NS6detail17trampoline_kernelINS0_14default_configENS1_35adjacent_difference_config_selectorILb0EiEEZNS1_24adjacent_difference_implIS3_Lb0ELb0EPiS7_N6thrust23THRUST_200600_302600_NS4plusIiEEEE10hipError_tPvRmT2_T3_mT4_P12ihipStream_tbEUlT_E_NS1_11comp_targetILNS1_3genE3ELNS1_11target_archE908ELNS1_3gpuE7ELNS1_3repE0EEENS1_30default_config_static_selectorELNS0_4arch9wavefront6targetE1EEEvT1_,@function
_ZN7rocprim17ROCPRIM_400000_NS6detail17trampoline_kernelINS0_14default_configENS1_35adjacent_difference_config_selectorILb0EiEEZNS1_24adjacent_difference_implIS3_Lb0ELb0EPiS7_N6thrust23THRUST_200600_302600_NS4plusIiEEEE10hipError_tPvRmT2_T3_mT4_P12ihipStream_tbEUlT_E_NS1_11comp_targetILNS1_3genE3ELNS1_11target_archE908ELNS1_3gpuE7ELNS1_3repE0EEENS1_30default_config_static_selectorELNS0_4arch9wavefront6targetE1EEEvT1_: ; @_ZN7rocprim17ROCPRIM_400000_NS6detail17trampoline_kernelINS0_14default_configENS1_35adjacent_difference_config_selectorILb0EiEEZNS1_24adjacent_difference_implIS3_Lb0ELb0EPiS7_N6thrust23THRUST_200600_302600_NS4plusIiEEEE10hipError_tPvRmT2_T3_mT4_P12ihipStream_tbEUlT_E_NS1_11comp_targetILNS1_3genE3ELNS1_11target_archE908ELNS1_3gpuE7ELNS1_3repE0EEENS1_30default_config_static_selectorELNS0_4arch9wavefront6targetE1EEEvT1_
; %bb.0:
	.section	.rodata,"a",@progbits
	.p2align	6, 0x0
	.amdhsa_kernel _ZN7rocprim17ROCPRIM_400000_NS6detail17trampoline_kernelINS0_14default_configENS1_35adjacent_difference_config_selectorILb0EiEEZNS1_24adjacent_difference_implIS3_Lb0ELb0EPiS7_N6thrust23THRUST_200600_302600_NS4plusIiEEEE10hipError_tPvRmT2_T3_mT4_P12ihipStream_tbEUlT_E_NS1_11comp_targetILNS1_3genE3ELNS1_11target_archE908ELNS1_3gpuE7ELNS1_3repE0EEENS1_30default_config_static_selectorELNS0_4arch9wavefront6targetE1EEEvT1_
		.amdhsa_group_segment_fixed_size 0
		.amdhsa_private_segment_fixed_size 0
		.amdhsa_kernarg_size 56
		.amdhsa_user_sgpr_count 6
		.amdhsa_user_sgpr_private_segment_buffer 1
		.amdhsa_user_sgpr_dispatch_ptr 0
		.amdhsa_user_sgpr_queue_ptr 0
		.amdhsa_user_sgpr_kernarg_segment_ptr 1
		.amdhsa_user_sgpr_dispatch_id 0
		.amdhsa_user_sgpr_flat_scratch_init 0
		.amdhsa_user_sgpr_private_segment_size 0
		.amdhsa_uses_dynamic_stack 0
		.amdhsa_system_sgpr_private_segment_wavefront_offset 0
		.amdhsa_system_sgpr_workgroup_id_x 1
		.amdhsa_system_sgpr_workgroup_id_y 0
		.amdhsa_system_sgpr_workgroup_id_z 0
		.amdhsa_system_sgpr_workgroup_info 0
		.amdhsa_system_vgpr_workitem_id 0
		.amdhsa_next_free_vgpr 1
		.amdhsa_next_free_sgpr 0
		.amdhsa_reserve_vcc 0
		.amdhsa_reserve_flat_scratch 0
		.amdhsa_float_round_mode_32 0
		.amdhsa_float_round_mode_16_64 0
		.amdhsa_float_denorm_mode_32 3
		.amdhsa_float_denorm_mode_16_64 3
		.amdhsa_dx10_clamp 1
		.amdhsa_ieee_mode 1
		.amdhsa_fp16_overflow 0
		.amdhsa_exception_fp_ieee_invalid_op 0
		.amdhsa_exception_fp_denorm_src 0
		.amdhsa_exception_fp_ieee_div_zero 0
		.amdhsa_exception_fp_ieee_overflow 0
		.amdhsa_exception_fp_ieee_underflow 0
		.amdhsa_exception_fp_ieee_inexact 0
		.amdhsa_exception_int_div_zero 0
	.end_amdhsa_kernel
	.section	.text._ZN7rocprim17ROCPRIM_400000_NS6detail17trampoline_kernelINS0_14default_configENS1_35adjacent_difference_config_selectorILb0EiEEZNS1_24adjacent_difference_implIS3_Lb0ELb0EPiS7_N6thrust23THRUST_200600_302600_NS4plusIiEEEE10hipError_tPvRmT2_T3_mT4_P12ihipStream_tbEUlT_E_NS1_11comp_targetILNS1_3genE3ELNS1_11target_archE908ELNS1_3gpuE7ELNS1_3repE0EEENS1_30default_config_static_selectorELNS0_4arch9wavefront6targetE1EEEvT1_,"axG",@progbits,_ZN7rocprim17ROCPRIM_400000_NS6detail17trampoline_kernelINS0_14default_configENS1_35adjacent_difference_config_selectorILb0EiEEZNS1_24adjacent_difference_implIS3_Lb0ELb0EPiS7_N6thrust23THRUST_200600_302600_NS4plusIiEEEE10hipError_tPvRmT2_T3_mT4_P12ihipStream_tbEUlT_E_NS1_11comp_targetILNS1_3genE3ELNS1_11target_archE908ELNS1_3gpuE7ELNS1_3repE0EEENS1_30default_config_static_selectorELNS0_4arch9wavefront6targetE1EEEvT1_,comdat
.Lfunc_end336:
	.size	_ZN7rocprim17ROCPRIM_400000_NS6detail17trampoline_kernelINS0_14default_configENS1_35adjacent_difference_config_selectorILb0EiEEZNS1_24adjacent_difference_implIS3_Lb0ELb0EPiS7_N6thrust23THRUST_200600_302600_NS4plusIiEEEE10hipError_tPvRmT2_T3_mT4_P12ihipStream_tbEUlT_E_NS1_11comp_targetILNS1_3genE3ELNS1_11target_archE908ELNS1_3gpuE7ELNS1_3repE0EEENS1_30default_config_static_selectorELNS0_4arch9wavefront6targetE1EEEvT1_, .Lfunc_end336-_ZN7rocprim17ROCPRIM_400000_NS6detail17trampoline_kernelINS0_14default_configENS1_35adjacent_difference_config_selectorILb0EiEEZNS1_24adjacent_difference_implIS3_Lb0ELb0EPiS7_N6thrust23THRUST_200600_302600_NS4plusIiEEEE10hipError_tPvRmT2_T3_mT4_P12ihipStream_tbEUlT_E_NS1_11comp_targetILNS1_3genE3ELNS1_11target_archE908ELNS1_3gpuE7ELNS1_3repE0EEENS1_30default_config_static_selectorELNS0_4arch9wavefront6targetE1EEEvT1_
                                        ; -- End function
	.set _ZN7rocprim17ROCPRIM_400000_NS6detail17trampoline_kernelINS0_14default_configENS1_35adjacent_difference_config_selectorILb0EiEEZNS1_24adjacent_difference_implIS3_Lb0ELb0EPiS7_N6thrust23THRUST_200600_302600_NS4plusIiEEEE10hipError_tPvRmT2_T3_mT4_P12ihipStream_tbEUlT_E_NS1_11comp_targetILNS1_3genE3ELNS1_11target_archE908ELNS1_3gpuE7ELNS1_3repE0EEENS1_30default_config_static_selectorELNS0_4arch9wavefront6targetE1EEEvT1_.num_vgpr, 0
	.set _ZN7rocprim17ROCPRIM_400000_NS6detail17trampoline_kernelINS0_14default_configENS1_35adjacent_difference_config_selectorILb0EiEEZNS1_24adjacent_difference_implIS3_Lb0ELb0EPiS7_N6thrust23THRUST_200600_302600_NS4plusIiEEEE10hipError_tPvRmT2_T3_mT4_P12ihipStream_tbEUlT_E_NS1_11comp_targetILNS1_3genE3ELNS1_11target_archE908ELNS1_3gpuE7ELNS1_3repE0EEENS1_30default_config_static_selectorELNS0_4arch9wavefront6targetE1EEEvT1_.num_agpr, 0
	.set _ZN7rocprim17ROCPRIM_400000_NS6detail17trampoline_kernelINS0_14default_configENS1_35adjacent_difference_config_selectorILb0EiEEZNS1_24adjacent_difference_implIS3_Lb0ELb0EPiS7_N6thrust23THRUST_200600_302600_NS4plusIiEEEE10hipError_tPvRmT2_T3_mT4_P12ihipStream_tbEUlT_E_NS1_11comp_targetILNS1_3genE3ELNS1_11target_archE908ELNS1_3gpuE7ELNS1_3repE0EEENS1_30default_config_static_selectorELNS0_4arch9wavefront6targetE1EEEvT1_.numbered_sgpr, 0
	.set _ZN7rocprim17ROCPRIM_400000_NS6detail17trampoline_kernelINS0_14default_configENS1_35adjacent_difference_config_selectorILb0EiEEZNS1_24adjacent_difference_implIS3_Lb0ELb0EPiS7_N6thrust23THRUST_200600_302600_NS4plusIiEEEE10hipError_tPvRmT2_T3_mT4_P12ihipStream_tbEUlT_E_NS1_11comp_targetILNS1_3genE3ELNS1_11target_archE908ELNS1_3gpuE7ELNS1_3repE0EEENS1_30default_config_static_selectorELNS0_4arch9wavefront6targetE1EEEvT1_.num_named_barrier, 0
	.set _ZN7rocprim17ROCPRIM_400000_NS6detail17trampoline_kernelINS0_14default_configENS1_35adjacent_difference_config_selectorILb0EiEEZNS1_24adjacent_difference_implIS3_Lb0ELb0EPiS7_N6thrust23THRUST_200600_302600_NS4plusIiEEEE10hipError_tPvRmT2_T3_mT4_P12ihipStream_tbEUlT_E_NS1_11comp_targetILNS1_3genE3ELNS1_11target_archE908ELNS1_3gpuE7ELNS1_3repE0EEENS1_30default_config_static_selectorELNS0_4arch9wavefront6targetE1EEEvT1_.private_seg_size, 0
	.set _ZN7rocprim17ROCPRIM_400000_NS6detail17trampoline_kernelINS0_14default_configENS1_35adjacent_difference_config_selectorILb0EiEEZNS1_24adjacent_difference_implIS3_Lb0ELb0EPiS7_N6thrust23THRUST_200600_302600_NS4plusIiEEEE10hipError_tPvRmT2_T3_mT4_P12ihipStream_tbEUlT_E_NS1_11comp_targetILNS1_3genE3ELNS1_11target_archE908ELNS1_3gpuE7ELNS1_3repE0EEENS1_30default_config_static_selectorELNS0_4arch9wavefront6targetE1EEEvT1_.uses_vcc, 0
	.set _ZN7rocprim17ROCPRIM_400000_NS6detail17trampoline_kernelINS0_14default_configENS1_35adjacent_difference_config_selectorILb0EiEEZNS1_24adjacent_difference_implIS3_Lb0ELb0EPiS7_N6thrust23THRUST_200600_302600_NS4plusIiEEEE10hipError_tPvRmT2_T3_mT4_P12ihipStream_tbEUlT_E_NS1_11comp_targetILNS1_3genE3ELNS1_11target_archE908ELNS1_3gpuE7ELNS1_3repE0EEENS1_30default_config_static_selectorELNS0_4arch9wavefront6targetE1EEEvT1_.uses_flat_scratch, 0
	.set _ZN7rocprim17ROCPRIM_400000_NS6detail17trampoline_kernelINS0_14default_configENS1_35adjacent_difference_config_selectorILb0EiEEZNS1_24adjacent_difference_implIS3_Lb0ELb0EPiS7_N6thrust23THRUST_200600_302600_NS4plusIiEEEE10hipError_tPvRmT2_T3_mT4_P12ihipStream_tbEUlT_E_NS1_11comp_targetILNS1_3genE3ELNS1_11target_archE908ELNS1_3gpuE7ELNS1_3repE0EEENS1_30default_config_static_selectorELNS0_4arch9wavefront6targetE1EEEvT1_.has_dyn_sized_stack, 0
	.set _ZN7rocprim17ROCPRIM_400000_NS6detail17trampoline_kernelINS0_14default_configENS1_35adjacent_difference_config_selectorILb0EiEEZNS1_24adjacent_difference_implIS3_Lb0ELb0EPiS7_N6thrust23THRUST_200600_302600_NS4plusIiEEEE10hipError_tPvRmT2_T3_mT4_P12ihipStream_tbEUlT_E_NS1_11comp_targetILNS1_3genE3ELNS1_11target_archE908ELNS1_3gpuE7ELNS1_3repE0EEENS1_30default_config_static_selectorELNS0_4arch9wavefront6targetE1EEEvT1_.has_recursion, 0
	.set _ZN7rocprim17ROCPRIM_400000_NS6detail17trampoline_kernelINS0_14default_configENS1_35adjacent_difference_config_selectorILb0EiEEZNS1_24adjacent_difference_implIS3_Lb0ELb0EPiS7_N6thrust23THRUST_200600_302600_NS4plusIiEEEE10hipError_tPvRmT2_T3_mT4_P12ihipStream_tbEUlT_E_NS1_11comp_targetILNS1_3genE3ELNS1_11target_archE908ELNS1_3gpuE7ELNS1_3repE0EEENS1_30default_config_static_selectorELNS0_4arch9wavefront6targetE1EEEvT1_.has_indirect_call, 0
	.section	.AMDGPU.csdata,"",@progbits
; Kernel info:
; codeLenInByte = 0
; TotalNumSgprs: 4
; NumVgprs: 0
; ScratchSize: 0
; MemoryBound: 0
; FloatMode: 240
; IeeeMode: 1
; LDSByteSize: 0 bytes/workgroup (compile time only)
; SGPRBlocks: 0
; VGPRBlocks: 0
; NumSGPRsForWavesPerEU: 4
; NumVGPRsForWavesPerEU: 1
; Occupancy: 10
; WaveLimiterHint : 0
; COMPUTE_PGM_RSRC2:SCRATCH_EN: 0
; COMPUTE_PGM_RSRC2:USER_SGPR: 6
; COMPUTE_PGM_RSRC2:TRAP_HANDLER: 0
; COMPUTE_PGM_RSRC2:TGID_X_EN: 1
; COMPUTE_PGM_RSRC2:TGID_Y_EN: 0
; COMPUTE_PGM_RSRC2:TGID_Z_EN: 0
; COMPUTE_PGM_RSRC2:TIDIG_COMP_CNT: 0
	.section	.text._ZN7rocprim17ROCPRIM_400000_NS6detail17trampoline_kernelINS0_14default_configENS1_35adjacent_difference_config_selectorILb0EiEEZNS1_24adjacent_difference_implIS3_Lb0ELb0EPiS7_N6thrust23THRUST_200600_302600_NS4plusIiEEEE10hipError_tPvRmT2_T3_mT4_P12ihipStream_tbEUlT_E_NS1_11comp_targetILNS1_3genE2ELNS1_11target_archE906ELNS1_3gpuE6ELNS1_3repE0EEENS1_30default_config_static_selectorELNS0_4arch9wavefront6targetE1EEEvT1_,"axG",@progbits,_ZN7rocprim17ROCPRIM_400000_NS6detail17trampoline_kernelINS0_14default_configENS1_35adjacent_difference_config_selectorILb0EiEEZNS1_24adjacent_difference_implIS3_Lb0ELb0EPiS7_N6thrust23THRUST_200600_302600_NS4plusIiEEEE10hipError_tPvRmT2_T3_mT4_P12ihipStream_tbEUlT_E_NS1_11comp_targetILNS1_3genE2ELNS1_11target_archE906ELNS1_3gpuE6ELNS1_3repE0EEENS1_30default_config_static_selectorELNS0_4arch9wavefront6targetE1EEEvT1_,comdat
	.protected	_ZN7rocprim17ROCPRIM_400000_NS6detail17trampoline_kernelINS0_14default_configENS1_35adjacent_difference_config_selectorILb0EiEEZNS1_24adjacent_difference_implIS3_Lb0ELb0EPiS7_N6thrust23THRUST_200600_302600_NS4plusIiEEEE10hipError_tPvRmT2_T3_mT4_P12ihipStream_tbEUlT_E_NS1_11comp_targetILNS1_3genE2ELNS1_11target_archE906ELNS1_3gpuE6ELNS1_3repE0EEENS1_30default_config_static_selectorELNS0_4arch9wavefront6targetE1EEEvT1_ ; -- Begin function _ZN7rocprim17ROCPRIM_400000_NS6detail17trampoline_kernelINS0_14default_configENS1_35adjacent_difference_config_selectorILb0EiEEZNS1_24adjacent_difference_implIS3_Lb0ELb0EPiS7_N6thrust23THRUST_200600_302600_NS4plusIiEEEE10hipError_tPvRmT2_T3_mT4_P12ihipStream_tbEUlT_E_NS1_11comp_targetILNS1_3genE2ELNS1_11target_archE906ELNS1_3gpuE6ELNS1_3repE0EEENS1_30default_config_static_selectorELNS0_4arch9wavefront6targetE1EEEvT1_
	.globl	_ZN7rocprim17ROCPRIM_400000_NS6detail17trampoline_kernelINS0_14default_configENS1_35adjacent_difference_config_selectorILb0EiEEZNS1_24adjacent_difference_implIS3_Lb0ELb0EPiS7_N6thrust23THRUST_200600_302600_NS4plusIiEEEE10hipError_tPvRmT2_T3_mT4_P12ihipStream_tbEUlT_E_NS1_11comp_targetILNS1_3genE2ELNS1_11target_archE906ELNS1_3gpuE6ELNS1_3repE0EEENS1_30default_config_static_selectorELNS0_4arch9wavefront6targetE1EEEvT1_
	.p2align	8
	.type	_ZN7rocprim17ROCPRIM_400000_NS6detail17trampoline_kernelINS0_14default_configENS1_35adjacent_difference_config_selectorILb0EiEEZNS1_24adjacent_difference_implIS3_Lb0ELb0EPiS7_N6thrust23THRUST_200600_302600_NS4plusIiEEEE10hipError_tPvRmT2_T3_mT4_P12ihipStream_tbEUlT_E_NS1_11comp_targetILNS1_3genE2ELNS1_11target_archE906ELNS1_3gpuE6ELNS1_3repE0EEENS1_30default_config_static_selectorELNS0_4arch9wavefront6targetE1EEEvT1_,@function
_ZN7rocprim17ROCPRIM_400000_NS6detail17trampoline_kernelINS0_14default_configENS1_35adjacent_difference_config_selectorILb0EiEEZNS1_24adjacent_difference_implIS3_Lb0ELb0EPiS7_N6thrust23THRUST_200600_302600_NS4plusIiEEEE10hipError_tPvRmT2_T3_mT4_P12ihipStream_tbEUlT_E_NS1_11comp_targetILNS1_3genE2ELNS1_11target_archE906ELNS1_3gpuE6ELNS1_3repE0EEENS1_30default_config_static_selectorELNS0_4arch9wavefront6targetE1EEEvT1_: ; @_ZN7rocprim17ROCPRIM_400000_NS6detail17trampoline_kernelINS0_14default_configENS1_35adjacent_difference_config_selectorILb0EiEEZNS1_24adjacent_difference_implIS3_Lb0ELb0EPiS7_N6thrust23THRUST_200600_302600_NS4plusIiEEEE10hipError_tPvRmT2_T3_mT4_P12ihipStream_tbEUlT_E_NS1_11comp_targetILNS1_3genE2ELNS1_11target_archE906ELNS1_3gpuE6ELNS1_3repE0EEENS1_30default_config_static_selectorELNS0_4arch9wavefront6targetE1EEEvT1_
; %bb.0:
	s_load_dwordx8 s[8:15], s[4:5], 0x0
	s_load_dwordx2 s[0:1], s[4:5], 0x30
	s_mul_i32 s16, s6, 0x1400
	s_mov_b32 s17, 0
	s_waitcnt lgkmcnt(0)
	s_lshl_b64 s[18:19], s[10:11], 2
	s_add_u32 s20, s8, s18
	s_addc_u32 s21, s9, s19
	s_mul_i32 s5, s15, 0xcccccccd
	s_mul_hi_u32 s7, s14, 0xcccccccd
	s_mul_hi_u32 s4, s15, 0xcccccccd
	s_add_u32 s5, s5, s7
	s_mul_i32 s3, s14, 0xcccccccc
	s_addc_u32 s4, s4, 0
	s_mul_hi_u32 s2, s14, 0xcccccccc
	s_add_u32 s3, s3, s5
	s_addc_u32 s2, s2, 0
	s_add_u32 s2, s4, s2
	s_addc_u32 s3, 0, 0
	s_mul_i32 s5, s15, 0xcccccccc
	s_mul_hi_u32 s4, s15, 0xcccccccc
	s_add_u32 s2, s5, s2
	s_addc_u32 s3, s4, s3
	s_lshr_b64 s[4:5], s[2:3], 12
	s_lshr_b32 s2, s3, 12
	s_mulk_i32 s2, 0x1400
	s_mul_hi_u32 s3, s4, 0x1400
	s_add_i32 s3, s3, s2
	s_mul_i32 s2, s4, 0x1400
	s_sub_u32 s2, s14, s2
	s_subb_u32 s3, s15, s3
	s_cmp_lg_u64 s[2:3], 0
	s_cselect_b64 s[2:3], -1, 0
	v_cndmask_b32_e64 v1, 0, 1, s[2:3]
	v_readfirstlane_b32 s2, v1
	s_add_u32 s2, s4, s2
	s_addc_u32 s3, s5, 0
	s_add_u32 s4, s0, s6
	s_addc_u32 s5, s1, 0
	s_add_u32 s6, s2, -1
	s_addc_u32 s7, s3, -1
	v_mov_b32_e32 v1, s6
	v_mov_b32_e32 v2, s7
	v_cmp_ge_u64_e64 s[0:1], s[4:5], v[1:2]
	s_mov_b64 s[8:9], -1
	s_and_b64 vcc, exec, s[0:1]
	s_mul_i32 s15, s6, 0xffffec00
	s_cbranch_vccz .LBB337_12
; %bb.1:
	s_add_i32 s22, s15, s14
	s_lshl_b64 s[8:9], s[16:17], 2
	s_add_u32 s8, s20, s8
	v_mov_b32_e32 v1, 0
	s_addc_u32 s9, s21, s9
	v_cmp_gt_u32_e32 vcc, s22, v0
	v_mov_b32_e32 v2, v1
	v_mov_b32_e32 v3, v1
	;; [unrolled: 1-line block ×4, first 2 shown]
	s_and_saveexec_b64 s[10:11], vcc
	s_cbranch_execz .LBB337_3
; %bb.2:
	v_lshlrev_b32_e32 v2, 2, v0
	global_load_dword v2, v2, s[8:9]
	v_mov_b32_e32 v3, v1
	v_mov_b32_e32 v4, v1
	;; [unrolled: 1-line block ×4, first 2 shown]
	s_waitcnt vmcnt(0)
	v_mov_b32_e32 v1, v2
	v_mov_b32_e32 v2, v3
	;; [unrolled: 1-line block ×5, first 2 shown]
.LBB337_3:
	s_or_b64 exec, exec, s[10:11]
	v_or_b32_e32 v6, 0x400, v0
	v_cmp_gt_u32_e32 vcc, s22, v6
	s_and_saveexec_b64 s[10:11], vcc
	s_cbranch_execz .LBB337_5
; %bb.4:
	v_lshlrev_b32_e32 v2, 2, v6
	global_load_dword v2, v2, s[8:9]
.LBB337_5:
	s_or_b64 exec, exec, s[10:11]
	v_or_b32_e32 v6, 0x800, v0
	v_cmp_gt_u32_e32 vcc, s22, v6
	s_and_saveexec_b64 s[10:11], vcc
	s_cbranch_execz .LBB337_7
; %bb.6:
	v_lshlrev_b32_e32 v3, 2, v6
	global_load_dword v3, v3, s[8:9]
.LBB337_7:
	s_or_b64 exec, exec, s[10:11]
	v_or_b32_e32 v6, 0xc00, v0
	v_cmp_gt_u32_e32 vcc, s22, v6
	s_and_saveexec_b64 s[10:11], vcc
	s_cbranch_execz .LBB337_9
; %bb.8:
	v_lshlrev_b32_e32 v4, 2, v6
	global_load_dword v4, v4, s[8:9]
.LBB337_9:
	s_or_b64 exec, exec, s[10:11]
	v_or_b32_e32 v6, 0x1000, v0
	v_cmp_gt_u32_e32 vcc, s22, v6
	s_and_saveexec_b64 s[10:11], vcc
	s_cbranch_execz .LBB337_11
; %bb.10:
	v_lshlrev_b32_e32 v5, 2, v6
	global_load_dword v5, v5, s[8:9]
.LBB337_11:
	s_or_b64 exec, exec, s[10:11]
	v_lshlrev_b32_e32 v6, 2, v0
	s_mov_b64 s[8:9], 0
	s_waitcnt vmcnt(0)
	ds_write2st64_b32 v6, v1, v2 offset1:16
	ds_write2st64_b32 v6, v3, v4 offset0:32 offset1:48
	ds_write_b32 v6, v5 offset:16384
	s_waitcnt lgkmcnt(0)
	s_barrier
.LBB337_12:
	s_and_b64 vcc, exec, s[8:9]
	v_lshlrev_b32_e32 v8, 2, v0
	s_cbranch_vccz .LBB337_14
; %bb.13:
	s_lshl_b64 s[8:9], s[16:17], 2
	s_add_u32 s8, s20, s8
	s_addc_u32 s9, s21, s9
	v_mov_b32_e32 v1, s9
	v_add_co_u32_e32 v7, vcc, s8, v8
	v_addc_co_u32_e32 v10, vcc, 0, v1, vcc
	v_add_co_u32_e32 v1, vcc, 0x1000, v7
	v_addc_co_u32_e32 v2, vcc, 0, v10, vcc
	;; [unrolled: 2-line block ×5, first 2 shown]
	global_load_dword v7, v8, s[8:9]
	global_load_dword v11, v[1:2], off
	global_load_dword v12, v[3:4], off
	;; [unrolled: 1-line block ×4, first 2 shown]
	s_waitcnt vmcnt(3)
	ds_write2st64_b32 v8, v7, v11 offset1:16
	s_waitcnt vmcnt(1)
	ds_write2st64_b32 v8, v12, v13 offset0:32 offset1:48
	s_waitcnt vmcnt(0)
	ds_write_b32 v8, v14 offset:16384
	s_waitcnt lgkmcnt(0)
	s_barrier
.LBB337_14:
	v_mul_u32_u24_e32 v9, 20, v0
	ds_read2_b32 v[1:2], v9 offset1:1
	ds_read2_b32 v[3:4], v9 offset0:2 offset1:3
	ds_read_b32 v5, v9 offset:16
	s_cmp_eq_u64 s[4:5], 0
	s_waitcnt lgkmcnt(0)
	s_barrier
	s_cbranch_scc1 .LBB337_19
; %bb.15:
	s_lshl_b64 s[8:9], s[16:17], 2
	s_add_u32 s8, s20, s8
	s_addc_u32 s9, s21, s9
	s_add_u32 s8, s8, -4
	s_addc_u32 s9, s9, -1
	s_load_dword s8, s[8:9], 0x0
	s_cmp_eq_u64 s[4:5], s[6:7]
	s_cbranch_scc1 .LBB337_20
; %bb.16:
	v_cmp_ne_u32_e32 vcc, 0, v0
	s_waitcnt lgkmcnt(0)
	v_mov_b32_e32 v6, s8
	ds_write_b32 v8, v5
	s_waitcnt lgkmcnt(0)
	s_barrier
	s_and_saveexec_b64 s[6:7], vcc
; %bb.17:
	v_add_u32_e32 v6, -4, v8
	ds_read_b32 v6, v6
; %bb.18:
	s_or_b64 exec, exec, s[6:7]
	v_add_u32_e32 v10, v5, v4
	v_add_u32_e32 v11, v4, v3
	;; [unrolled: 1-line block ×4, first 2 shown]
	s_cbranch_execz .LBB337_21
	s_branch .LBB337_24
.LBB337_19:
	s_mov_b64 s[20:21], 0
                                        ; implicit-def: $vgpr6
                                        ; implicit-def: $vgpr10
                                        ; implicit-def: $vgpr11
                                        ; implicit-def: $vgpr12
                                        ; implicit-def: $vgpr13
	s_branch .LBB337_25
.LBB337_20:
                                        ; implicit-def: $vgpr10
                                        ; implicit-def: $vgpr11
                                        ; implicit-def: $vgpr12
                                        ; implicit-def: $vgpr13
                                        ; implicit-def: $vgpr6
.LBB337_21:
	s_waitcnt lgkmcnt(0)
	v_mul_u32_u24_e32 v6, 5, v0
	v_cmp_ne_u32_e32 vcc, 0, v0
	v_mov_b32_e32 v7, s8
	ds_write_b32 v8, v5
	s_waitcnt lgkmcnt(0)
	s_barrier
	s_and_saveexec_b64 s[6:7], vcc
; %bb.22:
	v_add_u32_e32 v7, -4, v8
	ds_read_b32 v7, v7
; %bb.23:
	s_or_b64 exec, exec, s[6:7]
	s_mulk_i32 s4, 0xec00
	s_add_i32 s4, s4, s14
	v_add_u32_e32 v10, 4, v6
	v_add_u32_e32 v11, v5, v4
	v_cmp_gt_u32_e32 vcc, s4, v10
	v_cndmask_b32_e32 v10, v5, v11, vcc
	v_add_u32_e32 v11, 3, v6
	v_add_u32_e32 v12, v4, v3
	v_cmp_gt_u32_e32 vcc, s4, v11
	v_cndmask_b32_e32 v11, v4, v12, vcc
	;; [unrolled: 4-line block ×4, first 2 shown]
	v_cmp_gt_u32_e32 vcc, s4, v6
	s_waitcnt lgkmcnt(0)
	v_cndmask_b32_e32 v6, 0, v7, vcc
.LBB337_24:
	s_mov_b64 s[20:21], -1
	s_cbranch_execnz .LBB337_33
.LBB337_25:
	s_cmp_lg_u64 s[2:3], 1
	v_add_u32_e32 v10, v5, v4
	v_add_u32_e32 v11, v4, v3
	;; [unrolled: 1-line block ×4, first 2 shown]
	v_cmp_ne_u32_e32 vcc, 0, v0
	s_cbranch_scc0 .LBB337_29
; %bb.26:
	ds_write_b32 v8, v5
	s_waitcnt lgkmcnt(0)
	s_barrier
                                        ; implicit-def: $vgpr6
	s_and_saveexec_b64 s[2:3], vcc
; %bb.27:
	v_add_u32_e32 v6, -4, v8
	ds_read_b32 v6, v6
	s_or_b64 s[20:21], s[20:21], exec
; %bb.28:
	s_or_b64 exec, exec, s[2:3]
	s_branch .LBB337_33
.LBB337_29:
                                        ; implicit-def: $vgpr6
	s_cbranch_execz .LBB337_33
; %bb.30:
	v_mad_u32_u24 v7, v0, 5, 4
	v_cmp_gt_u32_e32 vcc, s14, v7
	v_mad_u32_u24 v7, v0, 5, 3
	s_waitcnt lgkmcnt(0)
	v_mul_u32_u24_e32 v6, 5, v0
	v_cmp_gt_u32_e64 s[2:3], s14, v7
	v_mad_u32_u24 v7, v0, 5, 2
	v_cmp_gt_u32_e64 s[4:5], s14, v7
	v_mad_u32_u24 v7, v0, 5, 1
	v_cmp_ne_u32_e64 s[8:9], 0, v0
	v_cmp_gt_u32_e64 s[10:11], s14, v6
	v_cmp_gt_u32_e64 s[6:7], s14, v7
	s_and_b64 s[10:11], s[8:9], s[10:11]
	ds_write_b32 v8, v5
	s_waitcnt lgkmcnt(0)
	s_barrier
                                        ; implicit-def: $vgpr6
	s_and_saveexec_b64 s[8:9], s[10:11]
; %bb.31:
	v_add_u32_e32 v6, -4, v8
	ds_read_b32 v6, v6
	s_or_b64 s[20:21], s[20:21], exec
; %bb.32:
	s_or_b64 exec, exec, s[8:9]
	v_cndmask_b32_e32 v10, v5, v10, vcc
	v_cndmask_b32_e64 v11, v4, v11, s[2:3]
	v_cndmask_b32_e64 v12, v3, v12, s[4:5]
	;; [unrolled: 1-line block ×3, first 2 shown]
.LBB337_33:
	s_and_saveexec_b64 s[2:3], s[20:21]
	s_cbranch_execz .LBB337_35
; %bb.34:
	s_waitcnt lgkmcnt(0)
	v_add_u32_e32 v1, v6, v1
.LBB337_35:
	s_or_b64 exec, exec, s[2:3]
	s_add_u32 s4, s12, s18
	s_addc_u32 s5, s13, s19
	s_and_b64 vcc, exec, s[0:1]
	v_lshlrev_b32_e32 v14, 4, v0
	s_waitcnt lgkmcnt(0)
	s_barrier
	s_cbranch_vccz .LBB337_45
; %bb.36:
	s_add_i32 s15, s15, s14
	s_lshl_b64 s[0:1], s[16:17], 2
	v_sub_u32_e32 v2, v9, v14
	s_add_u32 s0, s4, s0
	ds_write2_b32 v9, v1, v13 offset1:1
	ds_write2_b32 v9, v12, v11 offset0:2 offset1:3
	ds_write_b32 v9, v10 offset:16
	s_waitcnt lgkmcnt(0)
	s_barrier
	ds_read2st64_b32 v[6:7], v2 offset0:16 offset1:32
	ds_read2st64_b32 v[2:3], v2 offset0:48 offset1:64
	s_addc_u32 s1, s5, s1
	v_mov_b32_e32 v5, s1
	v_add_co_u32_e32 v4, vcc, s0, v8
	v_addc_co_u32_e32 v5, vcc, 0, v5, vcc
	v_cmp_gt_u32_e32 vcc, s15, v0
	s_and_saveexec_b64 s[0:1], vcc
	s_cbranch_execz .LBB337_38
; %bb.37:
	v_sub_u32_e32 v15, 0, v14
	v_add_u32_e32 v15, v9, v15
	ds_read_b32 v15, v15
	s_waitcnt lgkmcnt(0)
	global_store_dword v[4:5], v15, off
.LBB337_38:
	s_or_b64 exec, exec, s[0:1]
	v_or_b32_e32 v15, 0x400, v0
	v_cmp_gt_u32_e32 vcc, s15, v15
	s_and_saveexec_b64 s[0:1], vcc
	s_cbranch_execz .LBB337_40
; %bb.39:
	v_add_co_u32_e32 v15, vcc, 0x1000, v4
	v_addc_co_u32_e32 v16, vcc, 0, v5, vcc
	s_waitcnt lgkmcnt(1)
	global_store_dword v[15:16], v6, off
.LBB337_40:
	s_or_b64 exec, exec, s[0:1]
	s_waitcnt lgkmcnt(1)
	v_or_b32_e32 v6, 0x800, v0
	v_cmp_gt_u32_e32 vcc, s15, v6
	s_and_saveexec_b64 s[0:1], vcc
	s_cbranch_execz .LBB337_42
; %bb.41:
	v_add_co_u32_e32 v15, vcc, 0x2000, v4
	v_addc_co_u32_e32 v16, vcc, 0, v5, vcc
	global_store_dword v[15:16], v7, off
.LBB337_42:
	s_or_b64 exec, exec, s[0:1]
	v_or_b32_e32 v6, 0xc00, v0
	v_cmp_gt_u32_e32 vcc, s15, v6
	s_and_saveexec_b64 s[0:1], vcc
	s_cbranch_execz .LBB337_44
; %bb.43:
	v_add_co_u32_e32 v6, vcc, 0x3000, v4
	v_addc_co_u32_e32 v7, vcc, 0, v5, vcc
	s_waitcnt lgkmcnt(0)
	global_store_dword v[6:7], v2, off
.LBB337_44:
	s_or_b64 exec, exec, s[0:1]
	v_or_b32_e32 v0, 0x1000, v0
	v_cmp_gt_u32_e64 s[0:1], s15, v0
	s_branch .LBB337_47
.LBB337_45:
	s_mov_b64 s[0:1], 0
                                        ; implicit-def: $vgpr3
                                        ; implicit-def: $vgpr4_vgpr5
	s_cbranch_execz .LBB337_47
; %bb.46:
	s_lshl_b64 s[2:3], s[16:17], 2
	s_waitcnt lgkmcnt(0)
	v_sub_u32_e32 v2, v9, v14
	s_add_u32 s2, s4, s2
	ds_write2_b32 v9, v1, v13 offset1:1
	ds_write2_b32 v9, v12, v11 offset0:2 offset1:3
	ds_write_b32 v9, v10 offset:16
	s_waitcnt vmcnt(0) lgkmcnt(0)
	s_barrier
	ds_read2st64_b32 v[0:1], v2 offset1:16
	ds_read2st64_b32 v[6:7], v2 offset0:32 offset1:48
	ds_read_b32 v3, v2 offset:16384
	s_addc_u32 s3, s5, s3
	v_mov_b32_e32 v2, s3
	v_add_co_u32_e32 v4, vcc, s2, v8
	v_addc_co_u32_e32 v5, vcc, 0, v2, vcc
	s_waitcnt lgkmcnt(2)
	global_store_dword v8, v0, s[2:3]
	s_movk_i32 s2, 0x1000
	v_add_co_u32_e32 v8, vcc, s2, v4
	v_addc_co_u32_e32 v9, vcc, 0, v5, vcc
	v_add_co_u32_e32 v0, vcc, 0x2000, v4
	global_store_dword v[8:9], v1, off
	v_addc_co_u32_e32 v1, vcc, 0, v5, vcc
	s_waitcnt lgkmcnt(1)
	global_store_dword v[0:1], v6, off
	v_add_co_u32_e32 v0, vcc, 0x3000, v4
	v_addc_co_u32_e32 v1, vcc, 0, v5, vcc
	s_or_b64 s[0:1], s[0:1], exec
	global_store_dword v[0:1], v7, off
.LBB337_47:
	s_and_saveexec_b64 s[2:3], s[0:1]
	s_cbranch_execnz .LBB337_49
; %bb.48:
	s_endpgm
.LBB337_49:
	v_add_co_u32_e32 v0, vcc, 0x4000, v4
	v_addc_co_u32_e32 v1, vcc, 0, v5, vcc
	s_waitcnt lgkmcnt(0)
	global_store_dword v[0:1], v3, off
	s_endpgm
	.section	.rodata,"a",@progbits
	.p2align	6, 0x0
	.amdhsa_kernel _ZN7rocprim17ROCPRIM_400000_NS6detail17trampoline_kernelINS0_14default_configENS1_35adjacent_difference_config_selectorILb0EiEEZNS1_24adjacent_difference_implIS3_Lb0ELb0EPiS7_N6thrust23THRUST_200600_302600_NS4plusIiEEEE10hipError_tPvRmT2_T3_mT4_P12ihipStream_tbEUlT_E_NS1_11comp_targetILNS1_3genE2ELNS1_11target_archE906ELNS1_3gpuE6ELNS1_3repE0EEENS1_30default_config_static_selectorELNS0_4arch9wavefront6targetE1EEEvT1_
		.amdhsa_group_segment_fixed_size 20480
		.amdhsa_private_segment_fixed_size 0
		.amdhsa_kernarg_size 56
		.amdhsa_user_sgpr_count 6
		.amdhsa_user_sgpr_private_segment_buffer 1
		.amdhsa_user_sgpr_dispatch_ptr 0
		.amdhsa_user_sgpr_queue_ptr 0
		.amdhsa_user_sgpr_kernarg_segment_ptr 1
		.amdhsa_user_sgpr_dispatch_id 0
		.amdhsa_user_sgpr_flat_scratch_init 0
		.amdhsa_user_sgpr_private_segment_size 0
		.amdhsa_uses_dynamic_stack 0
		.amdhsa_system_sgpr_private_segment_wavefront_offset 0
		.amdhsa_system_sgpr_workgroup_id_x 1
		.amdhsa_system_sgpr_workgroup_id_y 0
		.amdhsa_system_sgpr_workgroup_id_z 0
		.amdhsa_system_sgpr_workgroup_info 0
		.amdhsa_system_vgpr_workitem_id 0
		.amdhsa_next_free_vgpr 29
		.amdhsa_next_free_sgpr 61
		.amdhsa_reserve_vcc 1
		.amdhsa_reserve_flat_scratch 0
		.amdhsa_float_round_mode_32 0
		.amdhsa_float_round_mode_16_64 0
		.amdhsa_float_denorm_mode_32 3
		.amdhsa_float_denorm_mode_16_64 3
		.amdhsa_dx10_clamp 1
		.amdhsa_ieee_mode 1
		.amdhsa_fp16_overflow 0
		.amdhsa_exception_fp_ieee_invalid_op 0
		.amdhsa_exception_fp_denorm_src 0
		.amdhsa_exception_fp_ieee_div_zero 0
		.amdhsa_exception_fp_ieee_overflow 0
		.amdhsa_exception_fp_ieee_underflow 0
		.amdhsa_exception_fp_ieee_inexact 0
		.amdhsa_exception_int_div_zero 0
	.end_amdhsa_kernel
	.section	.text._ZN7rocprim17ROCPRIM_400000_NS6detail17trampoline_kernelINS0_14default_configENS1_35adjacent_difference_config_selectorILb0EiEEZNS1_24adjacent_difference_implIS3_Lb0ELb0EPiS7_N6thrust23THRUST_200600_302600_NS4plusIiEEEE10hipError_tPvRmT2_T3_mT4_P12ihipStream_tbEUlT_E_NS1_11comp_targetILNS1_3genE2ELNS1_11target_archE906ELNS1_3gpuE6ELNS1_3repE0EEENS1_30default_config_static_selectorELNS0_4arch9wavefront6targetE1EEEvT1_,"axG",@progbits,_ZN7rocprim17ROCPRIM_400000_NS6detail17trampoline_kernelINS0_14default_configENS1_35adjacent_difference_config_selectorILb0EiEEZNS1_24adjacent_difference_implIS3_Lb0ELb0EPiS7_N6thrust23THRUST_200600_302600_NS4plusIiEEEE10hipError_tPvRmT2_T3_mT4_P12ihipStream_tbEUlT_E_NS1_11comp_targetILNS1_3genE2ELNS1_11target_archE906ELNS1_3gpuE6ELNS1_3repE0EEENS1_30default_config_static_selectorELNS0_4arch9wavefront6targetE1EEEvT1_,comdat
.Lfunc_end337:
	.size	_ZN7rocprim17ROCPRIM_400000_NS6detail17trampoline_kernelINS0_14default_configENS1_35adjacent_difference_config_selectorILb0EiEEZNS1_24adjacent_difference_implIS3_Lb0ELb0EPiS7_N6thrust23THRUST_200600_302600_NS4plusIiEEEE10hipError_tPvRmT2_T3_mT4_P12ihipStream_tbEUlT_E_NS1_11comp_targetILNS1_3genE2ELNS1_11target_archE906ELNS1_3gpuE6ELNS1_3repE0EEENS1_30default_config_static_selectorELNS0_4arch9wavefront6targetE1EEEvT1_, .Lfunc_end337-_ZN7rocprim17ROCPRIM_400000_NS6detail17trampoline_kernelINS0_14default_configENS1_35adjacent_difference_config_selectorILb0EiEEZNS1_24adjacent_difference_implIS3_Lb0ELb0EPiS7_N6thrust23THRUST_200600_302600_NS4plusIiEEEE10hipError_tPvRmT2_T3_mT4_P12ihipStream_tbEUlT_E_NS1_11comp_targetILNS1_3genE2ELNS1_11target_archE906ELNS1_3gpuE6ELNS1_3repE0EEENS1_30default_config_static_selectorELNS0_4arch9wavefront6targetE1EEEvT1_
                                        ; -- End function
	.set _ZN7rocprim17ROCPRIM_400000_NS6detail17trampoline_kernelINS0_14default_configENS1_35adjacent_difference_config_selectorILb0EiEEZNS1_24adjacent_difference_implIS3_Lb0ELb0EPiS7_N6thrust23THRUST_200600_302600_NS4plusIiEEEE10hipError_tPvRmT2_T3_mT4_P12ihipStream_tbEUlT_E_NS1_11comp_targetILNS1_3genE2ELNS1_11target_archE906ELNS1_3gpuE6ELNS1_3repE0EEENS1_30default_config_static_selectorELNS0_4arch9wavefront6targetE1EEEvT1_.num_vgpr, 17
	.set _ZN7rocprim17ROCPRIM_400000_NS6detail17trampoline_kernelINS0_14default_configENS1_35adjacent_difference_config_selectorILb0EiEEZNS1_24adjacent_difference_implIS3_Lb0ELb0EPiS7_N6thrust23THRUST_200600_302600_NS4plusIiEEEE10hipError_tPvRmT2_T3_mT4_P12ihipStream_tbEUlT_E_NS1_11comp_targetILNS1_3genE2ELNS1_11target_archE906ELNS1_3gpuE6ELNS1_3repE0EEENS1_30default_config_static_selectorELNS0_4arch9wavefront6targetE1EEEvT1_.num_agpr, 0
	.set _ZN7rocprim17ROCPRIM_400000_NS6detail17trampoline_kernelINS0_14default_configENS1_35adjacent_difference_config_selectorILb0EiEEZNS1_24adjacent_difference_implIS3_Lb0ELb0EPiS7_N6thrust23THRUST_200600_302600_NS4plusIiEEEE10hipError_tPvRmT2_T3_mT4_P12ihipStream_tbEUlT_E_NS1_11comp_targetILNS1_3genE2ELNS1_11target_archE906ELNS1_3gpuE6ELNS1_3repE0EEENS1_30default_config_static_selectorELNS0_4arch9wavefront6targetE1EEEvT1_.numbered_sgpr, 23
	.set _ZN7rocprim17ROCPRIM_400000_NS6detail17trampoline_kernelINS0_14default_configENS1_35adjacent_difference_config_selectorILb0EiEEZNS1_24adjacent_difference_implIS3_Lb0ELb0EPiS7_N6thrust23THRUST_200600_302600_NS4plusIiEEEE10hipError_tPvRmT2_T3_mT4_P12ihipStream_tbEUlT_E_NS1_11comp_targetILNS1_3genE2ELNS1_11target_archE906ELNS1_3gpuE6ELNS1_3repE0EEENS1_30default_config_static_selectorELNS0_4arch9wavefront6targetE1EEEvT1_.num_named_barrier, 0
	.set _ZN7rocprim17ROCPRIM_400000_NS6detail17trampoline_kernelINS0_14default_configENS1_35adjacent_difference_config_selectorILb0EiEEZNS1_24adjacent_difference_implIS3_Lb0ELb0EPiS7_N6thrust23THRUST_200600_302600_NS4plusIiEEEE10hipError_tPvRmT2_T3_mT4_P12ihipStream_tbEUlT_E_NS1_11comp_targetILNS1_3genE2ELNS1_11target_archE906ELNS1_3gpuE6ELNS1_3repE0EEENS1_30default_config_static_selectorELNS0_4arch9wavefront6targetE1EEEvT1_.private_seg_size, 0
	.set _ZN7rocprim17ROCPRIM_400000_NS6detail17trampoline_kernelINS0_14default_configENS1_35adjacent_difference_config_selectorILb0EiEEZNS1_24adjacent_difference_implIS3_Lb0ELb0EPiS7_N6thrust23THRUST_200600_302600_NS4plusIiEEEE10hipError_tPvRmT2_T3_mT4_P12ihipStream_tbEUlT_E_NS1_11comp_targetILNS1_3genE2ELNS1_11target_archE906ELNS1_3gpuE6ELNS1_3repE0EEENS1_30default_config_static_selectorELNS0_4arch9wavefront6targetE1EEEvT1_.uses_vcc, 1
	.set _ZN7rocprim17ROCPRIM_400000_NS6detail17trampoline_kernelINS0_14default_configENS1_35adjacent_difference_config_selectorILb0EiEEZNS1_24adjacent_difference_implIS3_Lb0ELb0EPiS7_N6thrust23THRUST_200600_302600_NS4plusIiEEEE10hipError_tPvRmT2_T3_mT4_P12ihipStream_tbEUlT_E_NS1_11comp_targetILNS1_3genE2ELNS1_11target_archE906ELNS1_3gpuE6ELNS1_3repE0EEENS1_30default_config_static_selectorELNS0_4arch9wavefront6targetE1EEEvT1_.uses_flat_scratch, 0
	.set _ZN7rocprim17ROCPRIM_400000_NS6detail17trampoline_kernelINS0_14default_configENS1_35adjacent_difference_config_selectorILb0EiEEZNS1_24adjacent_difference_implIS3_Lb0ELb0EPiS7_N6thrust23THRUST_200600_302600_NS4plusIiEEEE10hipError_tPvRmT2_T3_mT4_P12ihipStream_tbEUlT_E_NS1_11comp_targetILNS1_3genE2ELNS1_11target_archE906ELNS1_3gpuE6ELNS1_3repE0EEENS1_30default_config_static_selectorELNS0_4arch9wavefront6targetE1EEEvT1_.has_dyn_sized_stack, 0
	.set _ZN7rocprim17ROCPRIM_400000_NS6detail17trampoline_kernelINS0_14default_configENS1_35adjacent_difference_config_selectorILb0EiEEZNS1_24adjacent_difference_implIS3_Lb0ELb0EPiS7_N6thrust23THRUST_200600_302600_NS4plusIiEEEE10hipError_tPvRmT2_T3_mT4_P12ihipStream_tbEUlT_E_NS1_11comp_targetILNS1_3genE2ELNS1_11target_archE906ELNS1_3gpuE6ELNS1_3repE0EEENS1_30default_config_static_selectorELNS0_4arch9wavefront6targetE1EEEvT1_.has_recursion, 0
	.set _ZN7rocprim17ROCPRIM_400000_NS6detail17trampoline_kernelINS0_14default_configENS1_35adjacent_difference_config_selectorILb0EiEEZNS1_24adjacent_difference_implIS3_Lb0ELb0EPiS7_N6thrust23THRUST_200600_302600_NS4plusIiEEEE10hipError_tPvRmT2_T3_mT4_P12ihipStream_tbEUlT_E_NS1_11comp_targetILNS1_3genE2ELNS1_11target_archE906ELNS1_3gpuE6ELNS1_3repE0EEENS1_30default_config_static_selectorELNS0_4arch9wavefront6targetE1EEEvT1_.has_indirect_call, 0
	.section	.AMDGPU.csdata,"",@progbits
; Kernel info:
; codeLenInByte = 1800
; TotalNumSgprs: 27
; NumVgprs: 17
; ScratchSize: 0
; MemoryBound: 0
; FloatMode: 240
; IeeeMode: 1
; LDSByteSize: 20480 bytes/workgroup (compile time only)
; SGPRBlocks: 8
; VGPRBlocks: 7
; NumSGPRsForWavesPerEU: 65
; NumVGPRsForWavesPerEU: 29
; Occupancy: 8
; WaveLimiterHint : 1
; COMPUTE_PGM_RSRC2:SCRATCH_EN: 0
; COMPUTE_PGM_RSRC2:USER_SGPR: 6
; COMPUTE_PGM_RSRC2:TRAP_HANDLER: 0
; COMPUTE_PGM_RSRC2:TGID_X_EN: 1
; COMPUTE_PGM_RSRC2:TGID_Y_EN: 0
; COMPUTE_PGM_RSRC2:TGID_Z_EN: 0
; COMPUTE_PGM_RSRC2:TIDIG_COMP_CNT: 0
	.section	.text._ZN7rocprim17ROCPRIM_400000_NS6detail17trampoline_kernelINS0_14default_configENS1_35adjacent_difference_config_selectorILb0EiEEZNS1_24adjacent_difference_implIS3_Lb0ELb0EPiS7_N6thrust23THRUST_200600_302600_NS4plusIiEEEE10hipError_tPvRmT2_T3_mT4_P12ihipStream_tbEUlT_E_NS1_11comp_targetILNS1_3genE9ELNS1_11target_archE1100ELNS1_3gpuE3ELNS1_3repE0EEENS1_30default_config_static_selectorELNS0_4arch9wavefront6targetE1EEEvT1_,"axG",@progbits,_ZN7rocprim17ROCPRIM_400000_NS6detail17trampoline_kernelINS0_14default_configENS1_35adjacent_difference_config_selectorILb0EiEEZNS1_24adjacent_difference_implIS3_Lb0ELb0EPiS7_N6thrust23THRUST_200600_302600_NS4plusIiEEEE10hipError_tPvRmT2_T3_mT4_P12ihipStream_tbEUlT_E_NS1_11comp_targetILNS1_3genE9ELNS1_11target_archE1100ELNS1_3gpuE3ELNS1_3repE0EEENS1_30default_config_static_selectorELNS0_4arch9wavefront6targetE1EEEvT1_,comdat
	.protected	_ZN7rocprim17ROCPRIM_400000_NS6detail17trampoline_kernelINS0_14default_configENS1_35adjacent_difference_config_selectorILb0EiEEZNS1_24adjacent_difference_implIS3_Lb0ELb0EPiS7_N6thrust23THRUST_200600_302600_NS4plusIiEEEE10hipError_tPvRmT2_T3_mT4_P12ihipStream_tbEUlT_E_NS1_11comp_targetILNS1_3genE9ELNS1_11target_archE1100ELNS1_3gpuE3ELNS1_3repE0EEENS1_30default_config_static_selectorELNS0_4arch9wavefront6targetE1EEEvT1_ ; -- Begin function _ZN7rocprim17ROCPRIM_400000_NS6detail17trampoline_kernelINS0_14default_configENS1_35adjacent_difference_config_selectorILb0EiEEZNS1_24adjacent_difference_implIS3_Lb0ELb0EPiS7_N6thrust23THRUST_200600_302600_NS4plusIiEEEE10hipError_tPvRmT2_T3_mT4_P12ihipStream_tbEUlT_E_NS1_11comp_targetILNS1_3genE9ELNS1_11target_archE1100ELNS1_3gpuE3ELNS1_3repE0EEENS1_30default_config_static_selectorELNS0_4arch9wavefront6targetE1EEEvT1_
	.globl	_ZN7rocprim17ROCPRIM_400000_NS6detail17trampoline_kernelINS0_14default_configENS1_35adjacent_difference_config_selectorILb0EiEEZNS1_24adjacent_difference_implIS3_Lb0ELb0EPiS7_N6thrust23THRUST_200600_302600_NS4plusIiEEEE10hipError_tPvRmT2_T3_mT4_P12ihipStream_tbEUlT_E_NS1_11comp_targetILNS1_3genE9ELNS1_11target_archE1100ELNS1_3gpuE3ELNS1_3repE0EEENS1_30default_config_static_selectorELNS0_4arch9wavefront6targetE1EEEvT1_
	.p2align	8
	.type	_ZN7rocprim17ROCPRIM_400000_NS6detail17trampoline_kernelINS0_14default_configENS1_35adjacent_difference_config_selectorILb0EiEEZNS1_24adjacent_difference_implIS3_Lb0ELb0EPiS7_N6thrust23THRUST_200600_302600_NS4plusIiEEEE10hipError_tPvRmT2_T3_mT4_P12ihipStream_tbEUlT_E_NS1_11comp_targetILNS1_3genE9ELNS1_11target_archE1100ELNS1_3gpuE3ELNS1_3repE0EEENS1_30default_config_static_selectorELNS0_4arch9wavefront6targetE1EEEvT1_,@function
_ZN7rocprim17ROCPRIM_400000_NS6detail17trampoline_kernelINS0_14default_configENS1_35adjacent_difference_config_selectorILb0EiEEZNS1_24adjacent_difference_implIS3_Lb0ELb0EPiS7_N6thrust23THRUST_200600_302600_NS4plusIiEEEE10hipError_tPvRmT2_T3_mT4_P12ihipStream_tbEUlT_E_NS1_11comp_targetILNS1_3genE9ELNS1_11target_archE1100ELNS1_3gpuE3ELNS1_3repE0EEENS1_30default_config_static_selectorELNS0_4arch9wavefront6targetE1EEEvT1_: ; @_ZN7rocprim17ROCPRIM_400000_NS6detail17trampoline_kernelINS0_14default_configENS1_35adjacent_difference_config_selectorILb0EiEEZNS1_24adjacent_difference_implIS3_Lb0ELb0EPiS7_N6thrust23THRUST_200600_302600_NS4plusIiEEEE10hipError_tPvRmT2_T3_mT4_P12ihipStream_tbEUlT_E_NS1_11comp_targetILNS1_3genE9ELNS1_11target_archE1100ELNS1_3gpuE3ELNS1_3repE0EEENS1_30default_config_static_selectorELNS0_4arch9wavefront6targetE1EEEvT1_
; %bb.0:
	.section	.rodata,"a",@progbits
	.p2align	6, 0x0
	.amdhsa_kernel _ZN7rocprim17ROCPRIM_400000_NS6detail17trampoline_kernelINS0_14default_configENS1_35adjacent_difference_config_selectorILb0EiEEZNS1_24adjacent_difference_implIS3_Lb0ELb0EPiS7_N6thrust23THRUST_200600_302600_NS4plusIiEEEE10hipError_tPvRmT2_T3_mT4_P12ihipStream_tbEUlT_E_NS1_11comp_targetILNS1_3genE9ELNS1_11target_archE1100ELNS1_3gpuE3ELNS1_3repE0EEENS1_30default_config_static_selectorELNS0_4arch9wavefront6targetE1EEEvT1_
		.amdhsa_group_segment_fixed_size 0
		.amdhsa_private_segment_fixed_size 0
		.amdhsa_kernarg_size 56
		.amdhsa_user_sgpr_count 6
		.amdhsa_user_sgpr_private_segment_buffer 1
		.amdhsa_user_sgpr_dispatch_ptr 0
		.amdhsa_user_sgpr_queue_ptr 0
		.amdhsa_user_sgpr_kernarg_segment_ptr 1
		.amdhsa_user_sgpr_dispatch_id 0
		.amdhsa_user_sgpr_flat_scratch_init 0
		.amdhsa_user_sgpr_private_segment_size 0
		.amdhsa_uses_dynamic_stack 0
		.amdhsa_system_sgpr_private_segment_wavefront_offset 0
		.amdhsa_system_sgpr_workgroup_id_x 1
		.amdhsa_system_sgpr_workgroup_id_y 0
		.amdhsa_system_sgpr_workgroup_id_z 0
		.amdhsa_system_sgpr_workgroup_info 0
		.amdhsa_system_vgpr_workitem_id 0
		.amdhsa_next_free_vgpr 1
		.amdhsa_next_free_sgpr 0
		.amdhsa_reserve_vcc 0
		.amdhsa_reserve_flat_scratch 0
		.amdhsa_float_round_mode_32 0
		.amdhsa_float_round_mode_16_64 0
		.amdhsa_float_denorm_mode_32 3
		.amdhsa_float_denorm_mode_16_64 3
		.amdhsa_dx10_clamp 1
		.amdhsa_ieee_mode 1
		.amdhsa_fp16_overflow 0
		.amdhsa_exception_fp_ieee_invalid_op 0
		.amdhsa_exception_fp_denorm_src 0
		.amdhsa_exception_fp_ieee_div_zero 0
		.amdhsa_exception_fp_ieee_overflow 0
		.amdhsa_exception_fp_ieee_underflow 0
		.amdhsa_exception_fp_ieee_inexact 0
		.amdhsa_exception_int_div_zero 0
	.end_amdhsa_kernel
	.section	.text._ZN7rocprim17ROCPRIM_400000_NS6detail17trampoline_kernelINS0_14default_configENS1_35adjacent_difference_config_selectorILb0EiEEZNS1_24adjacent_difference_implIS3_Lb0ELb0EPiS7_N6thrust23THRUST_200600_302600_NS4plusIiEEEE10hipError_tPvRmT2_T3_mT4_P12ihipStream_tbEUlT_E_NS1_11comp_targetILNS1_3genE9ELNS1_11target_archE1100ELNS1_3gpuE3ELNS1_3repE0EEENS1_30default_config_static_selectorELNS0_4arch9wavefront6targetE1EEEvT1_,"axG",@progbits,_ZN7rocprim17ROCPRIM_400000_NS6detail17trampoline_kernelINS0_14default_configENS1_35adjacent_difference_config_selectorILb0EiEEZNS1_24adjacent_difference_implIS3_Lb0ELb0EPiS7_N6thrust23THRUST_200600_302600_NS4plusIiEEEE10hipError_tPvRmT2_T3_mT4_P12ihipStream_tbEUlT_E_NS1_11comp_targetILNS1_3genE9ELNS1_11target_archE1100ELNS1_3gpuE3ELNS1_3repE0EEENS1_30default_config_static_selectorELNS0_4arch9wavefront6targetE1EEEvT1_,comdat
.Lfunc_end338:
	.size	_ZN7rocprim17ROCPRIM_400000_NS6detail17trampoline_kernelINS0_14default_configENS1_35adjacent_difference_config_selectorILb0EiEEZNS1_24adjacent_difference_implIS3_Lb0ELb0EPiS7_N6thrust23THRUST_200600_302600_NS4plusIiEEEE10hipError_tPvRmT2_T3_mT4_P12ihipStream_tbEUlT_E_NS1_11comp_targetILNS1_3genE9ELNS1_11target_archE1100ELNS1_3gpuE3ELNS1_3repE0EEENS1_30default_config_static_selectorELNS0_4arch9wavefront6targetE1EEEvT1_, .Lfunc_end338-_ZN7rocprim17ROCPRIM_400000_NS6detail17trampoline_kernelINS0_14default_configENS1_35adjacent_difference_config_selectorILb0EiEEZNS1_24adjacent_difference_implIS3_Lb0ELb0EPiS7_N6thrust23THRUST_200600_302600_NS4plusIiEEEE10hipError_tPvRmT2_T3_mT4_P12ihipStream_tbEUlT_E_NS1_11comp_targetILNS1_3genE9ELNS1_11target_archE1100ELNS1_3gpuE3ELNS1_3repE0EEENS1_30default_config_static_selectorELNS0_4arch9wavefront6targetE1EEEvT1_
                                        ; -- End function
	.set _ZN7rocprim17ROCPRIM_400000_NS6detail17trampoline_kernelINS0_14default_configENS1_35adjacent_difference_config_selectorILb0EiEEZNS1_24adjacent_difference_implIS3_Lb0ELb0EPiS7_N6thrust23THRUST_200600_302600_NS4plusIiEEEE10hipError_tPvRmT2_T3_mT4_P12ihipStream_tbEUlT_E_NS1_11comp_targetILNS1_3genE9ELNS1_11target_archE1100ELNS1_3gpuE3ELNS1_3repE0EEENS1_30default_config_static_selectorELNS0_4arch9wavefront6targetE1EEEvT1_.num_vgpr, 0
	.set _ZN7rocprim17ROCPRIM_400000_NS6detail17trampoline_kernelINS0_14default_configENS1_35adjacent_difference_config_selectorILb0EiEEZNS1_24adjacent_difference_implIS3_Lb0ELb0EPiS7_N6thrust23THRUST_200600_302600_NS4plusIiEEEE10hipError_tPvRmT2_T3_mT4_P12ihipStream_tbEUlT_E_NS1_11comp_targetILNS1_3genE9ELNS1_11target_archE1100ELNS1_3gpuE3ELNS1_3repE0EEENS1_30default_config_static_selectorELNS0_4arch9wavefront6targetE1EEEvT1_.num_agpr, 0
	.set _ZN7rocprim17ROCPRIM_400000_NS6detail17trampoline_kernelINS0_14default_configENS1_35adjacent_difference_config_selectorILb0EiEEZNS1_24adjacent_difference_implIS3_Lb0ELb0EPiS7_N6thrust23THRUST_200600_302600_NS4plusIiEEEE10hipError_tPvRmT2_T3_mT4_P12ihipStream_tbEUlT_E_NS1_11comp_targetILNS1_3genE9ELNS1_11target_archE1100ELNS1_3gpuE3ELNS1_3repE0EEENS1_30default_config_static_selectorELNS0_4arch9wavefront6targetE1EEEvT1_.numbered_sgpr, 0
	.set _ZN7rocprim17ROCPRIM_400000_NS6detail17trampoline_kernelINS0_14default_configENS1_35adjacent_difference_config_selectorILb0EiEEZNS1_24adjacent_difference_implIS3_Lb0ELb0EPiS7_N6thrust23THRUST_200600_302600_NS4plusIiEEEE10hipError_tPvRmT2_T3_mT4_P12ihipStream_tbEUlT_E_NS1_11comp_targetILNS1_3genE9ELNS1_11target_archE1100ELNS1_3gpuE3ELNS1_3repE0EEENS1_30default_config_static_selectorELNS0_4arch9wavefront6targetE1EEEvT1_.num_named_barrier, 0
	.set _ZN7rocprim17ROCPRIM_400000_NS6detail17trampoline_kernelINS0_14default_configENS1_35adjacent_difference_config_selectorILb0EiEEZNS1_24adjacent_difference_implIS3_Lb0ELb0EPiS7_N6thrust23THRUST_200600_302600_NS4plusIiEEEE10hipError_tPvRmT2_T3_mT4_P12ihipStream_tbEUlT_E_NS1_11comp_targetILNS1_3genE9ELNS1_11target_archE1100ELNS1_3gpuE3ELNS1_3repE0EEENS1_30default_config_static_selectorELNS0_4arch9wavefront6targetE1EEEvT1_.private_seg_size, 0
	.set _ZN7rocprim17ROCPRIM_400000_NS6detail17trampoline_kernelINS0_14default_configENS1_35adjacent_difference_config_selectorILb0EiEEZNS1_24adjacent_difference_implIS3_Lb0ELb0EPiS7_N6thrust23THRUST_200600_302600_NS4plusIiEEEE10hipError_tPvRmT2_T3_mT4_P12ihipStream_tbEUlT_E_NS1_11comp_targetILNS1_3genE9ELNS1_11target_archE1100ELNS1_3gpuE3ELNS1_3repE0EEENS1_30default_config_static_selectorELNS0_4arch9wavefront6targetE1EEEvT1_.uses_vcc, 0
	.set _ZN7rocprim17ROCPRIM_400000_NS6detail17trampoline_kernelINS0_14default_configENS1_35adjacent_difference_config_selectorILb0EiEEZNS1_24adjacent_difference_implIS3_Lb0ELb0EPiS7_N6thrust23THRUST_200600_302600_NS4plusIiEEEE10hipError_tPvRmT2_T3_mT4_P12ihipStream_tbEUlT_E_NS1_11comp_targetILNS1_3genE9ELNS1_11target_archE1100ELNS1_3gpuE3ELNS1_3repE0EEENS1_30default_config_static_selectorELNS0_4arch9wavefront6targetE1EEEvT1_.uses_flat_scratch, 0
	.set _ZN7rocprim17ROCPRIM_400000_NS6detail17trampoline_kernelINS0_14default_configENS1_35adjacent_difference_config_selectorILb0EiEEZNS1_24adjacent_difference_implIS3_Lb0ELb0EPiS7_N6thrust23THRUST_200600_302600_NS4plusIiEEEE10hipError_tPvRmT2_T3_mT4_P12ihipStream_tbEUlT_E_NS1_11comp_targetILNS1_3genE9ELNS1_11target_archE1100ELNS1_3gpuE3ELNS1_3repE0EEENS1_30default_config_static_selectorELNS0_4arch9wavefront6targetE1EEEvT1_.has_dyn_sized_stack, 0
	.set _ZN7rocprim17ROCPRIM_400000_NS6detail17trampoline_kernelINS0_14default_configENS1_35adjacent_difference_config_selectorILb0EiEEZNS1_24adjacent_difference_implIS3_Lb0ELb0EPiS7_N6thrust23THRUST_200600_302600_NS4plusIiEEEE10hipError_tPvRmT2_T3_mT4_P12ihipStream_tbEUlT_E_NS1_11comp_targetILNS1_3genE9ELNS1_11target_archE1100ELNS1_3gpuE3ELNS1_3repE0EEENS1_30default_config_static_selectorELNS0_4arch9wavefront6targetE1EEEvT1_.has_recursion, 0
	.set _ZN7rocprim17ROCPRIM_400000_NS6detail17trampoline_kernelINS0_14default_configENS1_35adjacent_difference_config_selectorILb0EiEEZNS1_24adjacent_difference_implIS3_Lb0ELb0EPiS7_N6thrust23THRUST_200600_302600_NS4plusIiEEEE10hipError_tPvRmT2_T3_mT4_P12ihipStream_tbEUlT_E_NS1_11comp_targetILNS1_3genE9ELNS1_11target_archE1100ELNS1_3gpuE3ELNS1_3repE0EEENS1_30default_config_static_selectorELNS0_4arch9wavefront6targetE1EEEvT1_.has_indirect_call, 0
	.section	.AMDGPU.csdata,"",@progbits
; Kernel info:
; codeLenInByte = 0
; TotalNumSgprs: 4
; NumVgprs: 0
; ScratchSize: 0
; MemoryBound: 0
; FloatMode: 240
; IeeeMode: 1
; LDSByteSize: 0 bytes/workgroup (compile time only)
; SGPRBlocks: 0
; VGPRBlocks: 0
; NumSGPRsForWavesPerEU: 4
; NumVGPRsForWavesPerEU: 1
; Occupancy: 10
; WaveLimiterHint : 0
; COMPUTE_PGM_RSRC2:SCRATCH_EN: 0
; COMPUTE_PGM_RSRC2:USER_SGPR: 6
; COMPUTE_PGM_RSRC2:TRAP_HANDLER: 0
; COMPUTE_PGM_RSRC2:TGID_X_EN: 1
; COMPUTE_PGM_RSRC2:TGID_Y_EN: 0
; COMPUTE_PGM_RSRC2:TGID_Z_EN: 0
; COMPUTE_PGM_RSRC2:TIDIG_COMP_CNT: 0
	.section	.text._ZN7rocprim17ROCPRIM_400000_NS6detail17trampoline_kernelINS0_14default_configENS1_35adjacent_difference_config_selectorILb0EiEEZNS1_24adjacent_difference_implIS3_Lb0ELb0EPiS7_N6thrust23THRUST_200600_302600_NS4plusIiEEEE10hipError_tPvRmT2_T3_mT4_P12ihipStream_tbEUlT_E_NS1_11comp_targetILNS1_3genE8ELNS1_11target_archE1030ELNS1_3gpuE2ELNS1_3repE0EEENS1_30default_config_static_selectorELNS0_4arch9wavefront6targetE1EEEvT1_,"axG",@progbits,_ZN7rocprim17ROCPRIM_400000_NS6detail17trampoline_kernelINS0_14default_configENS1_35adjacent_difference_config_selectorILb0EiEEZNS1_24adjacent_difference_implIS3_Lb0ELb0EPiS7_N6thrust23THRUST_200600_302600_NS4plusIiEEEE10hipError_tPvRmT2_T3_mT4_P12ihipStream_tbEUlT_E_NS1_11comp_targetILNS1_3genE8ELNS1_11target_archE1030ELNS1_3gpuE2ELNS1_3repE0EEENS1_30default_config_static_selectorELNS0_4arch9wavefront6targetE1EEEvT1_,comdat
	.protected	_ZN7rocprim17ROCPRIM_400000_NS6detail17trampoline_kernelINS0_14default_configENS1_35adjacent_difference_config_selectorILb0EiEEZNS1_24adjacent_difference_implIS3_Lb0ELb0EPiS7_N6thrust23THRUST_200600_302600_NS4plusIiEEEE10hipError_tPvRmT2_T3_mT4_P12ihipStream_tbEUlT_E_NS1_11comp_targetILNS1_3genE8ELNS1_11target_archE1030ELNS1_3gpuE2ELNS1_3repE0EEENS1_30default_config_static_selectorELNS0_4arch9wavefront6targetE1EEEvT1_ ; -- Begin function _ZN7rocprim17ROCPRIM_400000_NS6detail17trampoline_kernelINS0_14default_configENS1_35adjacent_difference_config_selectorILb0EiEEZNS1_24adjacent_difference_implIS3_Lb0ELb0EPiS7_N6thrust23THRUST_200600_302600_NS4plusIiEEEE10hipError_tPvRmT2_T3_mT4_P12ihipStream_tbEUlT_E_NS1_11comp_targetILNS1_3genE8ELNS1_11target_archE1030ELNS1_3gpuE2ELNS1_3repE0EEENS1_30default_config_static_selectorELNS0_4arch9wavefront6targetE1EEEvT1_
	.globl	_ZN7rocprim17ROCPRIM_400000_NS6detail17trampoline_kernelINS0_14default_configENS1_35adjacent_difference_config_selectorILb0EiEEZNS1_24adjacent_difference_implIS3_Lb0ELb0EPiS7_N6thrust23THRUST_200600_302600_NS4plusIiEEEE10hipError_tPvRmT2_T3_mT4_P12ihipStream_tbEUlT_E_NS1_11comp_targetILNS1_3genE8ELNS1_11target_archE1030ELNS1_3gpuE2ELNS1_3repE0EEENS1_30default_config_static_selectorELNS0_4arch9wavefront6targetE1EEEvT1_
	.p2align	8
	.type	_ZN7rocprim17ROCPRIM_400000_NS6detail17trampoline_kernelINS0_14default_configENS1_35adjacent_difference_config_selectorILb0EiEEZNS1_24adjacent_difference_implIS3_Lb0ELb0EPiS7_N6thrust23THRUST_200600_302600_NS4plusIiEEEE10hipError_tPvRmT2_T3_mT4_P12ihipStream_tbEUlT_E_NS1_11comp_targetILNS1_3genE8ELNS1_11target_archE1030ELNS1_3gpuE2ELNS1_3repE0EEENS1_30default_config_static_selectorELNS0_4arch9wavefront6targetE1EEEvT1_,@function
_ZN7rocprim17ROCPRIM_400000_NS6detail17trampoline_kernelINS0_14default_configENS1_35adjacent_difference_config_selectorILb0EiEEZNS1_24adjacent_difference_implIS3_Lb0ELb0EPiS7_N6thrust23THRUST_200600_302600_NS4plusIiEEEE10hipError_tPvRmT2_T3_mT4_P12ihipStream_tbEUlT_E_NS1_11comp_targetILNS1_3genE8ELNS1_11target_archE1030ELNS1_3gpuE2ELNS1_3repE0EEENS1_30default_config_static_selectorELNS0_4arch9wavefront6targetE1EEEvT1_: ; @_ZN7rocprim17ROCPRIM_400000_NS6detail17trampoline_kernelINS0_14default_configENS1_35adjacent_difference_config_selectorILb0EiEEZNS1_24adjacent_difference_implIS3_Lb0ELb0EPiS7_N6thrust23THRUST_200600_302600_NS4plusIiEEEE10hipError_tPvRmT2_T3_mT4_P12ihipStream_tbEUlT_E_NS1_11comp_targetILNS1_3genE8ELNS1_11target_archE1030ELNS1_3gpuE2ELNS1_3repE0EEENS1_30default_config_static_selectorELNS0_4arch9wavefront6targetE1EEEvT1_
; %bb.0:
	.section	.rodata,"a",@progbits
	.p2align	6, 0x0
	.amdhsa_kernel _ZN7rocprim17ROCPRIM_400000_NS6detail17trampoline_kernelINS0_14default_configENS1_35adjacent_difference_config_selectorILb0EiEEZNS1_24adjacent_difference_implIS3_Lb0ELb0EPiS7_N6thrust23THRUST_200600_302600_NS4plusIiEEEE10hipError_tPvRmT2_T3_mT4_P12ihipStream_tbEUlT_E_NS1_11comp_targetILNS1_3genE8ELNS1_11target_archE1030ELNS1_3gpuE2ELNS1_3repE0EEENS1_30default_config_static_selectorELNS0_4arch9wavefront6targetE1EEEvT1_
		.amdhsa_group_segment_fixed_size 0
		.amdhsa_private_segment_fixed_size 0
		.amdhsa_kernarg_size 56
		.amdhsa_user_sgpr_count 6
		.amdhsa_user_sgpr_private_segment_buffer 1
		.amdhsa_user_sgpr_dispatch_ptr 0
		.amdhsa_user_sgpr_queue_ptr 0
		.amdhsa_user_sgpr_kernarg_segment_ptr 1
		.amdhsa_user_sgpr_dispatch_id 0
		.amdhsa_user_sgpr_flat_scratch_init 0
		.amdhsa_user_sgpr_private_segment_size 0
		.amdhsa_uses_dynamic_stack 0
		.amdhsa_system_sgpr_private_segment_wavefront_offset 0
		.amdhsa_system_sgpr_workgroup_id_x 1
		.amdhsa_system_sgpr_workgroup_id_y 0
		.amdhsa_system_sgpr_workgroup_id_z 0
		.amdhsa_system_sgpr_workgroup_info 0
		.amdhsa_system_vgpr_workitem_id 0
		.amdhsa_next_free_vgpr 1
		.amdhsa_next_free_sgpr 0
		.amdhsa_reserve_vcc 0
		.amdhsa_reserve_flat_scratch 0
		.amdhsa_float_round_mode_32 0
		.amdhsa_float_round_mode_16_64 0
		.amdhsa_float_denorm_mode_32 3
		.amdhsa_float_denorm_mode_16_64 3
		.amdhsa_dx10_clamp 1
		.amdhsa_ieee_mode 1
		.amdhsa_fp16_overflow 0
		.amdhsa_exception_fp_ieee_invalid_op 0
		.amdhsa_exception_fp_denorm_src 0
		.amdhsa_exception_fp_ieee_div_zero 0
		.amdhsa_exception_fp_ieee_overflow 0
		.amdhsa_exception_fp_ieee_underflow 0
		.amdhsa_exception_fp_ieee_inexact 0
		.amdhsa_exception_int_div_zero 0
	.end_amdhsa_kernel
	.section	.text._ZN7rocprim17ROCPRIM_400000_NS6detail17trampoline_kernelINS0_14default_configENS1_35adjacent_difference_config_selectorILb0EiEEZNS1_24adjacent_difference_implIS3_Lb0ELb0EPiS7_N6thrust23THRUST_200600_302600_NS4plusIiEEEE10hipError_tPvRmT2_T3_mT4_P12ihipStream_tbEUlT_E_NS1_11comp_targetILNS1_3genE8ELNS1_11target_archE1030ELNS1_3gpuE2ELNS1_3repE0EEENS1_30default_config_static_selectorELNS0_4arch9wavefront6targetE1EEEvT1_,"axG",@progbits,_ZN7rocprim17ROCPRIM_400000_NS6detail17trampoline_kernelINS0_14default_configENS1_35adjacent_difference_config_selectorILb0EiEEZNS1_24adjacent_difference_implIS3_Lb0ELb0EPiS7_N6thrust23THRUST_200600_302600_NS4plusIiEEEE10hipError_tPvRmT2_T3_mT4_P12ihipStream_tbEUlT_E_NS1_11comp_targetILNS1_3genE8ELNS1_11target_archE1030ELNS1_3gpuE2ELNS1_3repE0EEENS1_30default_config_static_selectorELNS0_4arch9wavefront6targetE1EEEvT1_,comdat
.Lfunc_end339:
	.size	_ZN7rocprim17ROCPRIM_400000_NS6detail17trampoline_kernelINS0_14default_configENS1_35adjacent_difference_config_selectorILb0EiEEZNS1_24adjacent_difference_implIS3_Lb0ELb0EPiS7_N6thrust23THRUST_200600_302600_NS4plusIiEEEE10hipError_tPvRmT2_T3_mT4_P12ihipStream_tbEUlT_E_NS1_11comp_targetILNS1_3genE8ELNS1_11target_archE1030ELNS1_3gpuE2ELNS1_3repE0EEENS1_30default_config_static_selectorELNS0_4arch9wavefront6targetE1EEEvT1_, .Lfunc_end339-_ZN7rocprim17ROCPRIM_400000_NS6detail17trampoline_kernelINS0_14default_configENS1_35adjacent_difference_config_selectorILb0EiEEZNS1_24adjacent_difference_implIS3_Lb0ELb0EPiS7_N6thrust23THRUST_200600_302600_NS4plusIiEEEE10hipError_tPvRmT2_T3_mT4_P12ihipStream_tbEUlT_E_NS1_11comp_targetILNS1_3genE8ELNS1_11target_archE1030ELNS1_3gpuE2ELNS1_3repE0EEENS1_30default_config_static_selectorELNS0_4arch9wavefront6targetE1EEEvT1_
                                        ; -- End function
	.set _ZN7rocprim17ROCPRIM_400000_NS6detail17trampoline_kernelINS0_14default_configENS1_35adjacent_difference_config_selectorILb0EiEEZNS1_24adjacent_difference_implIS3_Lb0ELb0EPiS7_N6thrust23THRUST_200600_302600_NS4plusIiEEEE10hipError_tPvRmT2_T3_mT4_P12ihipStream_tbEUlT_E_NS1_11comp_targetILNS1_3genE8ELNS1_11target_archE1030ELNS1_3gpuE2ELNS1_3repE0EEENS1_30default_config_static_selectorELNS0_4arch9wavefront6targetE1EEEvT1_.num_vgpr, 0
	.set _ZN7rocprim17ROCPRIM_400000_NS6detail17trampoline_kernelINS0_14default_configENS1_35adjacent_difference_config_selectorILb0EiEEZNS1_24adjacent_difference_implIS3_Lb0ELb0EPiS7_N6thrust23THRUST_200600_302600_NS4plusIiEEEE10hipError_tPvRmT2_T3_mT4_P12ihipStream_tbEUlT_E_NS1_11comp_targetILNS1_3genE8ELNS1_11target_archE1030ELNS1_3gpuE2ELNS1_3repE0EEENS1_30default_config_static_selectorELNS0_4arch9wavefront6targetE1EEEvT1_.num_agpr, 0
	.set _ZN7rocprim17ROCPRIM_400000_NS6detail17trampoline_kernelINS0_14default_configENS1_35adjacent_difference_config_selectorILb0EiEEZNS1_24adjacent_difference_implIS3_Lb0ELb0EPiS7_N6thrust23THRUST_200600_302600_NS4plusIiEEEE10hipError_tPvRmT2_T3_mT4_P12ihipStream_tbEUlT_E_NS1_11comp_targetILNS1_3genE8ELNS1_11target_archE1030ELNS1_3gpuE2ELNS1_3repE0EEENS1_30default_config_static_selectorELNS0_4arch9wavefront6targetE1EEEvT1_.numbered_sgpr, 0
	.set _ZN7rocprim17ROCPRIM_400000_NS6detail17trampoline_kernelINS0_14default_configENS1_35adjacent_difference_config_selectorILb0EiEEZNS1_24adjacent_difference_implIS3_Lb0ELb0EPiS7_N6thrust23THRUST_200600_302600_NS4plusIiEEEE10hipError_tPvRmT2_T3_mT4_P12ihipStream_tbEUlT_E_NS1_11comp_targetILNS1_3genE8ELNS1_11target_archE1030ELNS1_3gpuE2ELNS1_3repE0EEENS1_30default_config_static_selectorELNS0_4arch9wavefront6targetE1EEEvT1_.num_named_barrier, 0
	.set _ZN7rocprim17ROCPRIM_400000_NS6detail17trampoline_kernelINS0_14default_configENS1_35adjacent_difference_config_selectorILb0EiEEZNS1_24adjacent_difference_implIS3_Lb0ELb0EPiS7_N6thrust23THRUST_200600_302600_NS4plusIiEEEE10hipError_tPvRmT2_T3_mT4_P12ihipStream_tbEUlT_E_NS1_11comp_targetILNS1_3genE8ELNS1_11target_archE1030ELNS1_3gpuE2ELNS1_3repE0EEENS1_30default_config_static_selectorELNS0_4arch9wavefront6targetE1EEEvT1_.private_seg_size, 0
	.set _ZN7rocprim17ROCPRIM_400000_NS6detail17trampoline_kernelINS0_14default_configENS1_35adjacent_difference_config_selectorILb0EiEEZNS1_24adjacent_difference_implIS3_Lb0ELb0EPiS7_N6thrust23THRUST_200600_302600_NS4plusIiEEEE10hipError_tPvRmT2_T3_mT4_P12ihipStream_tbEUlT_E_NS1_11comp_targetILNS1_3genE8ELNS1_11target_archE1030ELNS1_3gpuE2ELNS1_3repE0EEENS1_30default_config_static_selectorELNS0_4arch9wavefront6targetE1EEEvT1_.uses_vcc, 0
	.set _ZN7rocprim17ROCPRIM_400000_NS6detail17trampoline_kernelINS0_14default_configENS1_35adjacent_difference_config_selectorILb0EiEEZNS1_24adjacent_difference_implIS3_Lb0ELb0EPiS7_N6thrust23THRUST_200600_302600_NS4plusIiEEEE10hipError_tPvRmT2_T3_mT4_P12ihipStream_tbEUlT_E_NS1_11comp_targetILNS1_3genE8ELNS1_11target_archE1030ELNS1_3gpuE2ELNS1_3repE0EEENS1_30default_config_static_selectorELNS0_4arch9wavefront6targetE1EEEvT1_.uses_flat_scratch, 0
	.set _ZN7rocprim17ROCPRIM_400000_NS6detail17trampoline_kernelINS0_14default_configENS1_35adjacent_difference_config_selectorILb0EiEEZNS1_24adjacent_difference_implIS3_Lb0ELb0EPiS7_N6thrust23THRUST_200600_302600_NS4plusIiEEEE10hipError_tPvRmT2_T3_mT4_P12ihipStream_tbEUlT_E_NS1_11comp_targetILNS1_3genE8ELNS1_11target_archE1030ELNS1_3gpuE2ELNS1_3repE0EEENS1_30default_config_static_selectorELNS0_4arch9wavefront6targetE1EEEvT1_.has_dyn_sized_stack, 0
	.set _ZN7rocprim17ROCPRIM_400000_NS6detail17trampoline_kernelINS0_14default_configENS1_35adjacent_difference_config_selectorILb0EiEEZNS1_24adjacent_difference_implIS3_Lb0ELb0EPiS7_N6thrust23THRUST_200600_302600_NS4plusIiEEEE10hipError_tPvRmT2_T3_mT4_P12ihipStream_tbEUlT_E_NS1_11comp_targetILNS1_3genE8ELNS1_11target_archE1030ELNS1_3gpuE2ELNS1_3repE0EEENS1_30default_config_static_selectorELNS0_4arch9wavefront6targetE1EEEvT1_.has_recursion, 0
	.set _ZN7rocprim17ROCPRIM_400000_NS6detail17trampoline_kernelINS0_14default_configENS1_35adjacent_difference_config_selectorILb0EiEEZNS1_24adjacent_difference_implIS3_Lb0ELb0EPiS7_N6thrust23THRUST_200600_302600_NS4plusIiEEEE10hipError_tPvRmT2_T3_mT4_P12ihipStream_tbEUlT_E_NS1_11comp_targetILNS1_3genE8ELNS1_11target_archE1030ELNS1_3gpuE2ELNS1_3repE0EEENS1_30default_config_static_selectorELNS0_4arch9wavefront6targetE1EEEvT1_.has_indirect_call, 0
	.section	.AMDGPU.csdata,"",@progbits
; Kernel info:
; codeLenInByte = 0
; TotalNumSgprs: 4
; NumVgprs: 0
; ScratchSize: 0
; MemoryBound: 0
; FloatMode: 240
; IeeeMode: 1
; LDSByteSize: 0 bytes/workgroup (compile time only)
; SGPRBlocks: 0
; VGPRBlocks: 0
; NumSGPRsForWavesPerEU: 4
; NumVGPRsForWavesPerEU: 1
; Occupancy: 10
; WaveLimiterHint : 0
; COMPUTE_PGM_RSRC2:SCRATCH_EN: 0
; COMPUTE_PGM_RSRC2:USER_SGPR: 6
; COMPUTE_PGM_RSRC2:TRAP_HANDLER: 0
; COMPUTE_PGM_RSRC2:TGID_X_EN: 1
; COMPUTE_PGM_RSRC2:TGID_Y_EN: 0
; COMPUTE_PGM_RSRC2:TGID_Z_EN: 0
; COMPUTE_PGM_RSRC2:TIDIG_COMP_CNT: 0
	.section	.text._ZN7rocprim17ROCPRIM_400000_NS6detail17trampoline_kernelINS0_14default_configENS1_25transform_config_selectorIiLb0EEEZNS1_14transform_implILb0ES3_S5_NS0_18transform_iteratorINS0_17counting_iteratorImlEEZNS1_24adjacent_difference_implIS3_Lb1ELb0EPiSB_N6thrust23THRUST_200600_302600_NS4plusIiEEEE10hipError_tPvRmT2_T3_mT4_P12ihipStream_tbEUlmE_iEESB_NS0_8identityIvEEEESG_SJ_SK_mSL_SN_bEUlT_E_NS1_11comp_targetILNS1_3genE0ELNS1_11target_archE4294967295ELNS1_3gpuE0ELNS1_3repE0EEENS1_30default_config_static_selectorELNS0_4arch9wavefront6targetE1EEEvT1_,"axG",@progbits,_ZN7rocprim17ROCPRIM_400000_NS6detail17trampoline_kernelINS0_14default_configENS1_25transform_config_selectorIiLb0EEEZNS1_14transform_implILb0ES3_S5_NS0_18transform_iteratorINS0_17counting_iteratorImlEEZNS1_24adjacent_difference_implIS3_Lb1ELb0EPiSB_N6thrust23THRUST_200600_302600_NS4plusIiEEEE10hipError_tPvRmT2_T3_mT4_P12ihipStream_tbEUlmE_iEESB_NS0_8identityIvEEEESG_SJ_SK_mSL_SN_bEUlT_E_NS1_11comp_targetILNS1_3genE0ELNS1_11target_archE4294967295ELNS1_3gpuE0ELNS1_3repE0EEENS1_30default_config_static_selectorELNS0_4arch9wavefront6targetE1EEEvT1_,comdat
	.protected	_ZN7rocprim17ROCPRIM_400000_NS6detail17trampoline_kernelINS0_14default_configENS1_25transform_config_selectorIiLb0EEEZNS1_14transform_implILb0ES3_S5_NS0_18transform_iteratorINS0_17counting_iteratorImlEEZNS1_24adjacent_difference_implIS3_Lb1ELb0EPiSB_N6thrust23THRUST_200600_302600_NS4plusIiEEEE10hipError_tPvRmT2_T3_mT4_P12ihipStream_tbEUlmE_iEESB_NS0_8identityIvEEEESG_SJ_SK_mSL_SN_bEUlT_E_NS1_11comp_targetILNS1_3genE0ELNS1_11target_archE4294967295ELNS1_3gpuE0ELNS1_3repE0EEENS1_30default_config_static_selectorELNS0_4arch9wavefront6targetE1EEEvT1_ ; -- Begin function _ZN7rocprim17ROCPRIM_400000_NS6detail17trampoline_kernelINS0_14default_configENS1_25transform_config_selectorIiLb0EEEZNS1_14transform_implILb0ES3_S5_NS0_18transform_iteratorINS0_17counting_iteratorImlEEZNS1_24adjacent_difference_implIS3_Lb1ELb0EPiSB_N6thrust23THRUST_200600_302600_NS4plusIiEEEE10hipError_tPvRmT2_T3_mT4_P12ihipStream_tbEUlmE_iEESB_NS0_8identityIvEEEESG_SJ_SK_mSL_SN_bEUlT_E_NS1_11comp_targetILNS1_3genE0ELNS1_11target_archE4294967295ELNS1_3gpuE0ELNS1_3repE0EEENS1_30default_config_static_selectorELNS0_4arch9wavefront6targetE1EEEvT1_
	.globl	_ZN7rocprim17ROCPRIM_400000_NS6detail17trampoline_kernelINS0_14default_configENS1_25transform_config_selectorIiLb0EEEZNS1_14transform_implILb0ES3_S5_NS0_18transform_iteratorINS0_17counting_iteratorImlEEZNS1_24adjacent_difference_implIS3_Lb1ELb0EPiSB_N6thrust23THRUST_200600_302600_NS4plusIiEEEE10hipError_tPvRmT2_T3_mT4_P12ihipStream_tbEUlmE_iEESB_NS0_8identityIvEEEESG_SJ_SK_mSL_SN_bEUlT_E_NS1_11comp_targetILNS1_3genE0ELNS1_11target_archE4294967295ELNS1_3gpuE0ELNS1_3repE0EEENS1_30default_config_static_selectorELNS0_4arch9wavefront6targetE1EEEvT1_
	.p2align	8
	.type	_ZN7rocprim17ROCPRIM_400000_NS6detail17trampoline_kernelINS0_14default_configENS1_25transform_config_selectorIiLb0EEEZNS1_14transform_implILb0ES3_S5_NS0_18transform_iteratorINS0_17counting_iteratorImlEEZNS1_24adjacent_difference_implIS3_Lb1ELb0EPiSB_N6thrust23THRUST_200600_302600_NS4plusIiEEEE10hipError_tPvRmT2_T3_mT4_P12ihipStream_tbEUlmE_iEESB_NS0_8identityIvEEEESG_SJ_SK_mSL_SN_bEUlT_E_NS1_11comp_targetILNS1_3genE0ELNS1_11target_archE4294967295ELNS1_3gpuE0ELNS1_3repE0EEENS1_30default_config_static_selectorELNS0_4arch9wavefront6targetE1EEEvT1_,@function
_ZN7rocprim17ROCPRIM_400000_NS6detail17trampoline_kernelINS0_14default_configENS1_25transform_config_selectorIiLb0EEEZNS1_14transform_implILb0ES3_S5_NS0_18transform_iteratorINS0_17counting_iteratorImlEEZNS1_24adjacent_difference_implIS3_Lb1ELb0EPiSB_N6thrust23THRUST_200600_302600_NS4plusIiEEEE10hipError_tPvRmT2_T3_mT4_P12ihipStream_tbEUlmE_iEESB_NS0_8identityIvEEEESG_SJ_SK_mSL_SN_bEUlT_E_NS1_11comp_targetILNS1_3genE0ELNS1_11target_archE4294967295ELNS1_3gpuE0ELNS1_3repE0EEENS1_30default_config_static_selectorELNS0_4arch9wavefront6targetE1EEEvT1_: ; @_ZN7rocprim17ROCPRIM_400000_NS6detail17trampoline_kernelINS0_14default_configENS1_25transform_config_selectorIiLb0EEEZNS1_14transform_implILb0ES3_S5_NS0_18transform_iteratorINS0_17counting_iteratorImlEEZNS1_24adjacent_difference_implIS3_Lb1ELb0EPiSB_N6thrust23THRUST_200600_302600_NS4plusIiEEEE10hipError_tPvRmT2_T3_mT4_P12ihipStream_tbEUlmE_iEESB_NS0_8identityIvEEEESG_SJ_SK_mSL_SN_bEUlT_E_NS1_11comp_targetILNS1_3genE0ELNS1_11target_archE4294967295ELNS1_3gpuE0ELNS1_3repE0EEENS1_30default_config_static_selectorELNS0_4arch9wavefront6targetE1EEEvT1_
; %bb.0:
	.section	.rodata,"a",@progbits
	.p2align	6, 0x0
	.amdhsa_kernel _ZN7rocprim17ROCPRIM_400000_NS6detail17trampoline_kernelINS0_14default_configENS1_25transform_config_selectorIiLb0EEEZNS1_14transform_implILb0ES3_S5_NS0_18transform_iteratorINS0_17counting_iteratorImlEEZNS1_24adjacent_difference_implIS3_Lb1ELb0EPiSB_N6thrust23THRUST_200600_302600_NS4plusIiEEEE10hipError_tPvRmT2_T3_mT4_P12ihipStream_tbEUlmE_iEESB_NS0_8identityIvEEEESG_SJ_SK_mSL_SN_bEUlT_E_NS1_11comp_targetILNS1_3genE0ELNS1_11target_archE4294967295ELNS1_3gpuE0ELNS1_3repE0EEENS1_30default_config_static_selectorELNS0_4arch9wavefront6targetE1EEEvT1_
		.amdhsa_group_segment_fixed_size 0
		.amdhsa_private_segment_fixed_size 0
		.amdhsa_kernarg_size 56
		.amdhsa_user_sgpr_count 6
		.amdhsa_user_sgpr_private_segment_buffer 1
		.amdhsa_user_sgpr_dispatch_ptr 0
		.amdhsa_user_sgpr_queue_ptr 0
		.amdhsa_user_sgpr_kernarg_segment_ptr 1
		.amdhsa_user_sgpr_dispatch_id 0
		.amdhsa_user_sgpr_flat_scratch_init 0
		.amdhsa_user_sgpr_private_segment_size 0
		.amdhsa_uses_dynamic_stack 0
		.amdhsa_system_sgpr_private_segment_wavefront_offset 0
		.amdhsa_system_sgpr_workgroup_id_x 1
		.amdhsa_system_sgpr_workgroup_id_y 0
		.amdhsa_system_sgpr_workgroup_id_z 0
		.amdhsa_system_sgpr_workgroup_info 0
		.amdhsa_system_vgpr_workitem_id 0
		.amdhsa_next_free_vgpr 1
		.amdhsa_next_free_sgpr 0
		.amdhsa_reserve_vcc 0
		.amdhsa_reserve_flat_scratch 0
		.amdhsa_float_round_mode_32 0
		.amdhsa_float_round_mode_16_64 0
		.amdhsa_float_denorm_mode_32 3
		.amdhsa_float_denorm_mode_16_64 3
		.amdhsa_dx10_clamp 1
		.amdhsa_ieee_mode 1
		.amdhsa_fp16_overflow 0
		.amdhsa_exception_fp_ieee_invalid_op 0
		.amdhsa_exception_fp_denorm_src 0
		.amdhsa_exception_fp_ieee_div_zero 0
		.amdhsa_exception_fp_ieee_overflow 0
		.amdhsa_exception_fp_ieee_underflow 0
		.amdhsa_exception_fp_ieee_inexact 0
		.amdhsa_exception_int_div_zero 0
	.end_amdhsa_kernel
	.section	.text._ZN7rocprim17ROCPRIM_400000_NS6detail17trampoline_kernelINS0_14default_configENS1_25transform_config_selectorIiLb0EEEZNS1_14transform_implILb0ES3_S5_NS0_18transform_iteratorINS0_17counting_iteratorImlEEZNS1_24adjacent_difference_implIS3_Lb1ELb0EPiSB_N6thrust23THRUST_200600_302600_NS4plusIiEEEE10hipError_tPvRmT2_T3_mT4_P12ihipStream_tbEUlmE_iEESB_NS0_8identityIvEEEESG_SJ_SK_mSL_SN_bEUlT_E_NS1_11comp_targetILNS1_3genE0ELNS1_11target_archE4294967295ELNS1_3gpuE0ELNS1_3repE0EEENS1_30default_config_static_selectorELNS0_4arch9wavefront6targetE1EEEvT1_,"axG",@progbits,_ZN7rocprim17ROCPRIM_400000_NS6detail17trampoline_kernelINS0_14default_configENS1_25transform_config_selectorIiLb0EEEZNS1_14transform_implILb0ES3_S5_NS0_18transform_iteratorINS0_17counting_iteratorImlEEZNS1_24adjacent_difference_implIS3_Lb1ELb0EPiSB_N6thrust23THRUST_200600_302600_NS4plusIiEEEE10hipError_tPvRmT2_T3_mT4_P12ihipStream_tbEUlmE_iEESB_NS0_8identityIvEEEESG_SJ_SK_mSL_SN_bEUlT_E_NS1_11comp_targetILNS1_3genE0ELNS1_11target_archE4294967295ELNS1_3gpuE0ELNS1_3repE0EEENS1_30default_config_static_selectorELNS0_4arch9wavefront6targetE1EEEvT1_,comdat
.Lfunc_end340:
	.size	_ZN7rocprim17ROCPRIM_400000_NS6detail17trampoline_kernelINS0_14default_configENS1_25transform_config_selectorIiLb0EEEZNS1_14transform_implILb0ES3_S5_NS0_18transform_iteratorINS0_17counting_iteratorImlEEZNS1_24adjacent_difference_implIS3_Lb1ELb0EPiSB_N6thrust23THRUST_200600_302600_NS4plusIiEEEE10hipError_tPvRmT2_T3_mT4_P12ihipStream_tbEUlmE_iEESB_NS0_8identityIvEEEESG_SJ_SK_mSL_SN_bEUlT_E_NS1_11comp_targetILNS1_3genE0ELNS1_11target_archE4294967295ELNS1_3gpuE0ELNS1_3repE0EEENS1_30default_config_static_selectorELNS0_4arch9wavefront6targetE1EEEvT1_, .Lfunc_end340-_ZN7rocprim17ROCPRIM_400000_NS6detail17trampoline_kernelINS0_14default_configENS1_25transform_config_selectorIiLb0EEEZNS1_14transform_implILb0ES3_S5_NS0_18transform_iteratorINS0_17counting_iteratorImlEEZNS1_24adjacent_difference_implIS3_Lb1ELb0EPiSB_N6thrust23THRUST_200600_302600_NS4plusIiEEEE10hipError_tPvRmT2_T3_mT4_P12ihipStream_tbEUlmE_iEESB_NS0_8identityIvEEEESG_SJ_SK_mSL_SN_bEUlT_E_NS1_11comp_targetILNS1_3genE0ELNS1_11target_archE4294967295ELNS1_3gpuE0ELNS1_3repE0EEENS1_30default_config_static_selectorELNS0_4arch9wavefront6targetE1EEEvT1_
                                        ; -- End function
	.set _ZN7rocprim17ROCPRIM_400000_NS6detail17trampoline_kernelINS0_14default_configENS1_25transform_config_selectorIiLb0EEEZNS1_14transform_implILb0ES3_S5_NS0_18transform_iteratorINS0_17counting_iteratorImlEEZNS1_24adjacent_difference_implIS3_Lb1ELb0EPiSB_N6thrust23THRUST_200600_302600_NS4plusIiEEEE10hipError_tPvRmT2_T3_mT4_P12ihipStream_tbEUlmE_iEESB_NS0_8identityIvEEEESG_SJ_SK_mSL_SN_bEUlT_E_NS1_11comp_targetILNS1_3genE0ELNS1_11target_archE4294967295ELNS1_3gpuE0ELNS1_3repE0EEENS1_30default_config_static_selectorELNS0_4arch9wavefront6targetE1EEEvT1_.num_vgpr, 0
	.set _ZN7rocprim17ROCPRIM_400000_NS6detail17trampoline_kernelINS0_14default_configENS1_25transform_config_selectorIiLb0EEEZNS1_14transform_implILb0ES3_S5_NS0_18transform_iteratorINS0_17counting_iteratorImlEEZNS1_24adjacent_difference_implIS3_Lb1ELb0EPiSB_N6thrust23THRUST_200600_302600_NS4plusIiEEEE10hipError_tPvRmT2_T3_mT4_P12ihipStream_tbEUlmE_iEESB_NS0_8identityIvEEEESG_SJ_SK_mSL_SN_bEUlT_E_NS1_11comp_targetILNS1_3genE0ELNS1_11target_archE4294967295ELNS1_3gpuE0ELNS1_3repE0EEENS1_30default_config_static_selectorELNS0_4arch9wavefront6targetE1EEEvT1_.num_agpr, 0
	.set _ZN7rocprim17ROCPRIM_400000_NS6detail17trampoline_kernelINS0_14default_configENS1_25transform_config_selectorIiLb0EEEZNS1_14transform_implILb0ES3_S5_NS0_18transform_iteratorINS0_17counting_iteratorImlEEZNS1_24adjacent_difference_implIS3_Lb1ELb0EPiSB_N6thrust23THRUST_200600_302600_NS4plusIiEEEE10hipError_tPvRmT2_T3_mT4_P12ihipStream_tbEUlmE_iEESB_NS0_8identityIvEEEESG_SJ_SK_mSL_SN_bEUlT_E_NS1_11comp_targetILNS1_3genE0ELNS1_11target_archE4294967295ELNS1_3gpuE0ELNS1_3repE0EEENS1_30default_config_static_selectorELNS0_4arch9wavefront6targetE1EEEvT1_.numbered_sgpr, 0
	.set _ZN7rocprim17ROCPRIM_400000_NS6detail17trampoline_kernelINS0_14default_configENS1_25transform_config_selectorIiLb0EEEZNS1_14transform_implILb0ES3_S5_NS0_18transform_iteratorINS0_17counting_iteratorImlEEZNS1_24adjacent_difference_implIS3_Lb1ELb0EPiSB_N6thrust23THRUST_200600_302600_NS4plusIiEEEE10hipError_tPvRmT2_T3_mT4_P12ihipStream_tbEUlmE_iEESB_NS0_8identityIvEEEESG_SJ_SK_mSL_SN_bEUlT_E_NS1_11comp_targetILNS1_3genE0ELNS1_11target_archE4294967295ELNS1_3gpuE0ELNS1_3repE0EEENS1_30default_config_static_selectorELNS0_4arch9wavefront6targetE1EEEvT1_.num_named_barrier, 0
	.set _ZN7rocprim17ROCPRIM_400000_NS6detail17trampoline_kernelINS0_14default_configENS1_25transform_config_selectorIiLb0EEEZNS1_14transform_implILb0ES3_S5_NS0_18transform_iteratorINS0_17counting_iteratorImlEEZNS1_24adjacent_difference_implIS3_Lb1ELb0EPiSB_N6thrust23THRUST_200600_302600_NS4plusIiEEEE10hipError_tPvRmT2_T3_mT4_P12ihipStream_tbEUlmE_iEESB_NS0_8identityIvEEEESG_SJ_SK_mSL_SN_bEUlT_E_NS1_11comp_targetILNS1_3genE0ELNS1_11target_archE4294967295ELNS1_3gpuE0ELNS1_3repE0EEENS1_30default_config_static_selectorELNS0_4arch9wavefront6targetE1EEEvT1_.private_seg_size, 0
	.set _ZN7rocprim17ROCPRIM_400000_NS6detail17trampoline_kernelINS0_14default_configENS1_25transform_config_selectorIiLb0EEEZNS1_14transform_implILb0ES3_S5_NS0_18transform_iteratorINS0_17counting_iteratorImlEEZNS1_24adjacent_difference_implIS3_Lb1ELb0EPiSB_N6thrust23THRUST_200600_302600_NS4plusIiEEEE10hipError_tPvRmT2_T3_mT4_P12ihipStream_tbEUlmE_iEESB_NS0_8identityIvEEEESG_SJ_SK_mSL_SN_bEUlT_E_NS1_11comp_targetILNS1_3genE0ELNS1_11target_archE4294967295ELNS1_3gpuE0ELNS1_3repE0EEENS1_30default_config_static_selectorELNS0_4arch9wavefront6targetE1EEEvT1_.uses_vcc, 0
	.set _ZN7rocprim17ROCPRIM_400000_NS6detail17trampoline_kernelINS0_14default_configENS1_25transform_config_selectorIiLb0EEEZNS1_14transform_implILb0ES3_S5_NS0_18transform_iteratorINS0_17counting_iteratorImlEEZNS1_24adjacent_difference_implIS3_Lb1ELb0EPiSB_N6thrust23THRUST_200600_302600_NS4plusIiEEEE10hipError_tPvRmT2_T3_mT4_P12ihipStream_tbEUlmE_iEESB_NS0_8identityIvEEEESG_SJ_SK_mSL_SN_bEUlT_E_NS1_11comp_targetILNS1_3genE0ELNS1_11target_archE4294967295ELNS1_3gpuE0ELNS1_3repE0EEENS1_30default_config_static_selectorELNS0_4arch9wavefront6targetE1EEEvT1_.uses_flat_scratch, 0
	.set _ZN7rocprim17ROCPRIM_400000_NS6detail17trampoline_kernelINS0_14default_configENS1_25transform_config_selectorIiLb0EEEZNS1_14transform_implILb0ES3_S5_NS0_18transform_iteratorINS0_17counting_iteratorImlEEZNS1_24adjacent_difference_implIS3_Lb1ELb0EPiSB_N6thrust23THRUST_200600_302600_NS4plusIiEEEE10hipError_tPvRmT2_T3_mT4_P12ihipStream_tbEUlmE_iEESB_NS0_8identityIvEEEESG_SJ_SK_mSL_SN_bEUlT_E_NS1_11comp_targetILNS1_3genE0ELNS1_11target_archE4294967295ELNS1_3gpuE0ELNS1_3repE0EEENS1_30default_config_static_selectorELNS0_4arch9wavefront6targetE1EEEvT1_.has_dyn_sized_stack, 0
	.set _ZN7rocprim17ROCPRIM_400000_NS6detail17trampoline_kernelINS0_14default_configENS1_25transform_config_selectorIiLb0EEEZNS1_14transform_implILb0ES3_S5_NS0_18transform_iteratorINS0_17counting_iteratorImlEEZNS1_24adjacent_difference_implIS3_Lb1ELb0EPiSB_N6thrust23THRUST_200600_302600_NS4plusIiEEEE10hipError_tPvRmT2_T3_mT4_P12ihipStream_tbEUlmE_iEESB_NS0_8identityIvEEEESG_SJ_SK_mSL_SN_bEUlT_E_NS1_11comp_targetILNS1_3genE0ELNS1_11target_archE4294967295ELNS1_3gpuE0ELNS1_3repE0EEENS1_30default_config_static_selectorELNS0_4arch9wavefront6targetE1EEEvT1_.has_recursion, 0
	.set _ZN7rocprim17ROCPRIM_400000_NS6detail17trampoline_kernelINS0_14default_configENS1_25transform_config_selectorIiLb0EEEZNS1_14transform_implILb0ES3_S5_NS0_18transform_iteratorINS0_17counting_iteratorImlEEZNS1_24adjacent_difference_implIS3_Lb1ELb0EPiSB_N6thrust23THRUST_200600_302600_NS4plusIiEEEE10hipError_tPvRmT2_T3_mT4_P12ihipStream_tbEUlmE_iEESB_NS0_8identityIvEEEESG_SJ_SK_mSL_SN_bEUlT_E_NS1_11comp_targetILNS1_3genE0ELNS1_11target_archE4294967295ELNS1_3gpuE0ELNS1_3repE0EEENS1_30default_config_static_selectorELNS0_4arch9wavefront6targetE1EEEvT1_.has_indirect_call, 0
	.section	.AMDGPU.csdata,"",@progbits
; Kernel info:
; codeLenInByte = 0
; TotalNumSgprs: 4
; NumVgprs: 0
; ScratchSize: 0
; MemoryBound: 0
; FloatMode: 240
; IeeeMode: 1
; LDSByteSize: 0 bytes/workgroup (compile time only)
; SGPRBlocks: 0
; VGPRBlocks: 0
; NumSGPRsForWavesPerEU: 4
; NumVGPRsForWavesPerEU: 1
; Occupancy: 10
; WaveLimiterHint : 0
; COMPUTE_PGM_RSRC2:SCRATCH_EN: 0
; COMPUTE_PGM_RSRC2:USER_SGPR: 6
; COMPUTE_PGM_RSRC2:TRAP_HANDLER: 0
; COMPUTE_PGM_RSRC2:TGID_X_EN: 1
; COMPUTE_PGM_RSRC2:TGID_Y_EN: 0
; COMPUTE_PGM_RSRC2:TGID_Z_EN: 0
; COMPUTE_PGM_RSRC2:TIDIG_COMP_CNT: 0
	.section	.text._ZN7rocprim17ROCPRIM_400000_NS6detail17trampoline_kernelINS0_14default_configENS1_25transform_config_selectorIiLb0EEEZNS1_14transform_implILb0ES3_S5_NS0_18transform_iteratorINS0_17counting_iteratorImlEEZNS1_24adjacent_difference_implIS3_Lb1ELb0EPiSB_N6thrust23THRUST_200600_302600_NS4plusIiEEEE10hipError_tPvRmT2_T3_mT4_P12ihipStream_tbEUlmE_iEESB_NS0_8identityIvEEEESG_SJ_SK_mSL_SN_bEUlT_E_NS1_11comp_targetILNS1_3genE5ELNS1_11target_archE942ELNS1_3gpuE9ELNS1_3repE0EEENS1_30default_config_static_selectorELNS0_4arch9wavefront6targetE1EEEvT1_,"axG",@progbits,_ZN7rocprim17ROCPRIM_400000_NS6detail17trampoline_kernelINS0_14default_configENS1_25transform_config_selectorIiLb0EEEZNS1_14transform_implILb0ES3_S5_NS0_18transform_iteratorINS0_17counting_iteratorImlEEZNS1_24adjacent_difference_implIS3_Lb1ELb0EPiSB_N6thrust23THRUST_200600_302600_NS4plusIiEEEE10hipError_tPvRmT2_T3_mT4_P12ihipStream_tbEUlmE_iEESB_NS0_8identityIvEEEESG_SJ_SK_mSL_SN_bEUlT_E_NS1_11comp_targetILNS1_3genE5ELNS1_11target_archE942ELNS1_3gpuE9ELNS1_3repE0EEENS1_30default_config_static_selectorELNS0_4arch9wavefront6targetE1EEEvT1_,comdat
	.protected	_ZN7rocprim17ROCPRIM_400000_NS6detail17trampoline_kernelINS0_14default_configENS1_25transform_config_selectorIiLb0EEEZNS1_14transform_implILb0ES3_S5_NS0_18transform_iteratorINS0_17counting_iteratorImlEEZNS1_24adjacent_difference_implIS3_Lb1ELb0EPiSB_N6thrust23THRUST_200600_302600_NS4plusIiEEEE10hipError_tPvRmT2_T3_mT4_P12ihipStream_tbEUlmE_iEESB_NS0_8identityIvEEEESG_SJ_SK_mSL_SN_bEUlT_E_NS1_11comp_targetILNS1_3genE5ELNS1_11target_archE942ELNS1_3gpuE9ELNS1_3repE0EEENS1_30default_config_static_selectorELNS0_4arch9wavefront6targetE1EEEvT1_ ; -- Begin function _ZN7rocprim17ROCPRIM_400000_NS6detail17trampoline_kernelINS0_14default_configENS1_25transform_config_selectorIiLb0EEEZNS1_14transform_implILb0ES3_S5_NS0_18transform_iteratorINS0_17counting_iteratorImlEEZNS1_24adjacent_difference_implIS3_Lb1ELb0EPiSB_N6thrust23THRUST_200600_302600_NS4plusIiEEEE10hipError_tPvRmT2_T3_mT4_P12ihipStream_tbEUlmE_iEESB_NS0_8identityIvEEEESG_SJ_SK_mSL_SN_bEUlT_E_NS1_11comp_targetILNS1_3genE5ELNS1_11target_archE942ELNS1_3gpuE9ELNS1_3repE0EEENS1_30default_config_static_selectorELNS0_4arch9wavefront6targetE1EEEvT1_
	.globl	_ZN7rocprim17ROCPRIM_400000_NS6detail17trampoline_kernelINS0_14default_configENS1_25transform_config_selectorIiLb0EEEZNS1_14transform_implILb0ES3_S5_NS0_18transform_iteratorINS0_17counting_iteratorImlEEZNS1_24adjacent_difference_implIS3_Lb1ELb0EPiSB_N6thrust23THRUST_200600_302600_NS4plusIiEEEE10hipError_tPvRmT2_T3_mT4_P12ihipStream_tbEUlmE_iEESB_NS0_8identityIvEEEESG_SJ_SK_mSL_SN_bEUlT_E_NS1_11comp_targetILNS1_3genE5ELNS1_11target_archE942ELNS1_3gpuE9ELNS1_3repE0EEENS1_30default_config_static_selectorELNS0_4arch9wavefront6targetE1EEEvT1_
	.p2align	8
	.type	_ZN7rocprim17ROCPRIM_400000_NS6detail17trampoline_kernelINS0_14default_configENS1_25transform_config_selectorIiLb0EEEZNS1_14transform_implILb0ES3_S5_NS0_18transform_iteratorINS0_17counting_iteratorImlEEZNS1_24adjacent_difference_implIS3_Lb1ELb0EPiSB_N6thrust23THRUST_200600_302600_NS4plusIiEEEE10hipError_tPvRmT2_T3_mT4_P12ihipStream_tbEUlmE_iEESB_NS0_8identityIvEEEESG_SJ_SK_mSL_SN_bEUlT_E_NS1_11comp_targetILNS1_3genE5ELNS1_11target_archE942ELNS1_3gpuE9ELNS1_3repE0EEENS1_30default_config_static_selectorELNS0_4arch9wavefront6targetE1EEEvT1_,@function
_ZN7rocprim17ROCPRIM_400000_NS6detail17trampoline_kernelINS0_14default_configENS1_25transform_config_selectorIiLb0EEEZNS1_14transform_implILb0ES3_S5_NS0_18transform_iteratorINS0_17counting_iteratorImlEEZNS1_24adjacent_difference_implIS3_Lb1ELb0EPiSB_N6thrust23THRUST_200600_302600_NS4plusIiEEEE10hipError_tPvRmT2_T3_mT4_P12ihipStream_tbEUlmE_iEESB_NS0_8identityIvEEEESG_SJ_SK_mSL_SN_bEUlT_E_NS1_11comp_targetILNS1_3genE5ELNS1_11target_archE942ELNS1_3gpuE9ELNS1_3repE0EEENS1_30default_config_static_selectorELNS0_4arch9wavefront6targetE1EEEvT1_: ; @_ZN7rocprim17ROCPRIM_400000_NS6detail17trampoline_kernelINS0_14default_configENS1_25transform_config_selectorIiLb0EEEZNS1_14transform_implILb0ES3_S5_NS0_18transform_iteratorINS0_17counting_iteratorImlEEZNS1_24adjacent_difference_implIS3_Lb1ELb0EPiSB_N6thrust23THRUST_200600_302600_NS4plusIiEEEE10hipError_tPvRmT2_T3_mT4_P12ihipStream_tbEUlmE_iEESB_NS0_8identityIvEEEESG_SJ_SK_mSL_SN_bEUlT_E_NS1_11comp_targetILNS1_3genE5ELNS1_11target_archE942ELNS1_3gpuE9ELNS1_3repE0EEENS1_30default_config_static_selectorELNS0_4arch9wavefront6targetE1EEEvT1_
; %bb.0:
	.section	.rodata,"a",@progbits
	.p2align	6, 0x0
	.amdhsa_kernel _ZN7rocprim17ROCPRIM_400000_NS6detail17trampoline_kernelINS0_14default_configENS1_25transform_config_selectorIiLb0EEEZNS1_14transform_implILb0ES3_S5_NS0_18transform_iteratorINS0_17counting_iteratorImlEEZNS1_24adjacent_difference_implIS3_Lb1ELb0EPiSB_N6thrust23THRUST_200600_302600_NS4plusIiEEEE10hipError_tPvRmT2_T3_mT4_P12ihipStream_tbEUlmE_iEESB_NS0_8identityIvEEEESG_SJ_SK_mSL_SN_bEUlT_E_NS1_11comp_targetILNS1_3genE5ELNS1_11target_archE942ELNS1_3gpuE9ELNS1_3repE0EEENS1_30default_config_static_selectorELNS0_4arch9wavefront6targetE1EEEvT1_
		.amdhsa_group_segment_fixed_size 0
		.amdhsa_private_segment_fixed_size 0
		.amdhsa_kernarg_size 56
		.amdhsa_user_sgpr_count 6
		.amdhsa_user_sgpr_private_segment_buffer 1
		.amdhsa_user_sgpr_dispatch_ptr 0
		.amdhsa_user_sgpr_queue_ptr 0
		.amdhsa_user_sgpr_kernarg_segment_ptr 1
		.amdhsa_user_sgpr_dispatch_id 0
		.amdhsa_user_sgpr_flat_scratch_init 0
		.amdhsa_user_sgpr_private_segment_size 0
		.amdhsa_uses_dynamic_stack 0
		.amdhsa_system_sgpr_private_segment_wavefront_offset 0
		.amdhsa_system_sgpr_workgroup_id_x 1
		.amdhsa_system_sgpr_workgroup_id_y 0
		.amdhsa_system_sgpr_workgroup_id_z 0
		.amdhsa_system_sgpr_workgroup_info 0
		.amdhsa_system_vgpr_workitem_id 0
		.amdhsa_next_free_vgpr 1
		.amdhsa_next_free_sgpr 0
		.amdhsa_reserve_vcc 0
		.amdhsa_reserve_flat_scratch 0
		.amdhsa_float_round_mode_32 0
		.amdhsa_float_round_mode_16_64 0
		.amdhsa_float_denorm_mode_32 3
		.amdhsa_float_denorm_mode_16_64 3
		.amdhsa_dx10_clamp 1
		.amdhsa_ieee_mode 1
		.amdhsa_fp16_overflow 0
		.amdhsa_exception_fp_ieee_invalid_op 0
		.amdhsa_exception_fp_denorm_src 0
		.amdhsa_exception_fp_ieee_div_zero 0
		.amdhsa_exception_fp_ieee_overflow 0
		.amdhsa_exception_fp_ieee_underflow 0
		.amdhsa_exception_fp_ieee_inexact 0
		.amdhsa_exception_int_div_zero 0
	.end_amdhsa_kernel
	.section	.text._ZN7rocprim17ROCPRIM_400000_NS6detail17trampoline_kernelINS0_14default_configENS1_25transform_config_selectorIiLb0EEEZNS1_14transform_implILb0ES3_S5_NS0_18transform_iteratorINS0_17counting_iteratorImlEEZNS1_24adjacent_difference_implIS3_Lb1ELb0EPiSB_N6thrust23THRUST_200600_302600_NS4plusIiEEEE10hipError_tPvRmT2_T3_mT4_P12ihipStream_tbEUlmE_iEESB_NS0_8identityIvEEEESG_SJ_SK_mSL_SN_bEUlT_E_NS1_11comp_targetILNS1_3genE5ELNS1_11target_archE942ELNS1_3gpuE9ELNS1_3repE0EEENS1_30default_config_static_selectorELNS0_4arch9wavefront6targetE1EEEvT1_,"axG",@progbits,_ZN7rocprim17ROCPRIM_400000_NS6detail17trampoline_kernelINS0_14default_configENS1_25transform_config_selectorIiLb0EEEZNS1_14transform_implILb0ES3_S5_NS0_18transform_iteratorINS0_17counting_iteratorImlEEZNS1_24adjacent_difference_implIS3_Lb1ELb0EPiSB_N6thrust23THRUST_200600_302600_NS4plusIiEEEE10hipError_tPvRmT2_T3_mT4_P12ihipStream_tbEUlmE_iEESB_NS0_8identityIvEEEESG_SJ_SK_mSL_SN_bEUlT_E_NS1_11comp_targetILNS1_3genE5ELNS1_11target_archE942ELNS1_3gpuE9ELNS1_3repE0EEENS1_30default_config_static_selectorELNS0_4arch9wavefront6targetE1EEEvT1_,comdat
.Lfunc_end341:
	.size	_ZN7rocprim17ROCPRIM_400000_NS6detail17trampoline_kernelINS0_14default_configENS1_25transform_config_selectorIiLb0EEEZNS1_14transform_implILb0ES3_S5_NS0_18transform_iteratorINS0_17counting_iteratorImlEEZNS1_24adjacent_difference_implIS3_Lb1ELb0EPiSB_N6thrust23THRUST_200600_302600_NS4plusIiEEEE10hipError_tPvRmT2_T3_mT4_P12ihipStream_tbEUlmE_iEESB_NS0_8identityIvEEEESG_SJ_SK_mSL_SN_bEUlT_E_NS1_11comp_targetILNS1_3genE5ELNS1_11target_archE942ELNS1_3gpuE9ELNS1_3repE0EEENS1_30default_config_static_selectorELNS0_4arch9wavefront6targetE1EEEvT1_, .Lfunc_end341-_ZN7rocprim17ROCPRIM_400000_NS6detail17trampoline_kernelINS0_14default_configENS1_25transform_config_selectorIiLb0EEEZNS1_14transform_implILb0ES3_S5_NS0_18transform_iteratorINS0_17counting_iteratorImlEEZNS1_24adjacent_difference_implIS3_Lb1ELb0EPiSB_N6thrust23THRUST_200600_302600_NS4plusIiEEEE10hipError_tPvRmT2_T3_mT4_P12ihipStream_tbEUlmE_iEESB_NS0_8identityIvEEEESG_SJ_SK_mSL_SN_bEUlT_E_NS1_11comp_targetILNS1_3genE5ELNS1_11target_archE942ELNS1_3gpuE9ELNS1_3repE0EEENS1_30default_config_static_selectorELNS0_4arch9wavefront6targetE1EEEvT1_
                                        ; -- End function
	.set _ZN7rocprim17ROCPRIM_400000_NS6detail17trampoline_kernelINS0_14default_configENS1_25transform_config_selectorIiLb0EEEZNS1_14transform_implILb0ES3_S5_NS0_18transform_iteratorINS0_17counting_iteratorImlEEZNS1_24adjacent_difference_implIS3_Lb1ELb0EPiSB_N6thrust23THRUST_200600_302600_NS4plusIiEEEE10hipError_tPvRmT2_T3_mT4_P12ihipStream_tbEUlmE_iEESB_NS0_8identityIvEEEESG_SJ_SK_mSL_SN_bEUlT_E_NS1_11comp_targetILNS1_3genE5ELNS1_11target_archE942ELNS1_3gpuE9ELNS1_3repE0EEENS1_30default_config_static_selectorELNS0_4arch9wavefront6targetE1EEEvT1_.num_vgpr, 0
	.set _ZN7rocprim17ROCPRIM_400000_NS6detail17trampoline_kernelINS0_14default_configENS1_25transform_config_selectorIiLb0EEEZNS1_14transform_implILb0ES3_S5_NS0_18transform_iteratorINS0_17counting_iteratorImlEEZNS1_24adjacent_difference_implIS3_Lb1ELb0EPiSB_N6thrust23THRUST_200600_302600_NS4plusIiEEEE10hipError_tPvRmT2_T3_mT4_P12ihipStream_tbEUlmE_iEESB_NS0_8identityIvEEEESG_SJ_SK_mSL_SN_bEUlT_E_NS1_11comp_targetILNS1_3genE5ELNS1_11target_archE942ELNS1_3gpuE9ELNS1_3repE0EEENS1_30default_config_static_selectorELNS0_4arch9wavefront6targetE1EEEvT1_.num_agpr, 0
	.set _ZN7rocprim17ROCPRIM_400000_NS6detail17trampoline_kernelINS0_14default_configENS1_25transform_config_selectorIiLb0EEEZNS1_14transform_implILb0ES3_S5_NS0_18transform_iteratorINS0_17counting_iteratorImlEEZNS1_24adjacent_difference_implIS3_Lb1ELb0EPiSB_N6thrust23THRUST_200600_302600_NS4plusIiEEEE10hipError_tPvRmT2_T3_mT4_P12ihipStream_tbEUlmE_iEESB_NS0_8identityIvEEEESG_SJ_SK_mSL_SN_bEUlT_E_NS1_11comp_targetILNS1_3genE5ELNS1_11target_archE942ELNS1_3gpuE9ELNS1_3repE0EEENS1_30default_config_static_selectorELNS0_4arch9wavefront6targetE1EEEvT1_.numbered_sgpr, 0
	.set _ZN7rocprim17ROCPRIM_400000_NS6detail17trampoline_kernelINS0_14default_configENS1_25transform_config_selectorIiLb0EEEZNS1_14transform_implILb0ES3_S5_NS0_18transform_iteratorINS0_17counting_iteratorImlEEZNS1_24adjacent_difference_implIS3_Lb1ELb0EPiSB_N6thrust23THRUST_200600_302600_NS4plusIiEEEE10hipError_tPvRmT2_T3_mT4_P12ihipStream_tbEUlmE_iEESB_NS0_8identityIvEEEESG_SJ_SK_mSL_SN_bEUlT_E_NS1_11comp_targetILNS1_3genE5ELNS1_11target_archE942ELNS1_3gpuE9ELNS1_3repE0EEENS1_30default_config_static_selectorELNS0_4arch9wavefront6targetE1EEEvT1_.num_named_barrier, 0
	.set _ZN7rocprim17ROCPRIM_400000_NS6detail17trampoline_kernelINS0_14default_configENS1_25transform_config_selectorIiLb0EEEZNS1_14transform_implILb0ES3_S5_NS0_18transform_iteratorINS0_17counting_iteratorImlEEZNS1_24adjacent_difference_implIS3_Lb1ELb0EPiSB_N6thrust23THRUST_200600_302600_NS4plusIiEEEE10hipError_tPvRmT2_T3_mT4_P12ihipStream_tbEUlmE_iEESB_NS0_8identityIvEEEESG_SJ_SK_mSL_SN_bEUlT_E_NS1_11comp_targetILNS1_3genE5ELNS1_11target_archE942ELNS1_3gpuE9ELNS1_3repE0EEENS1_30default_config_static_selectorELNS0_4arch9wavefront6targetE1EEEvT1_.private_seg_size, 0
	.set _ZN7rocprim17ROCPRIM_400000_NS6detail17trampoline_kernelINS0_14default_configENS1_25transform_config_selectorIiLb0EEEZNS1_14transform_implILb0ES3_S5_NS0_18transform_iteratorINS0_17counting_iteratorImlEEZNS1_24adjacent_difference_implIS3_Lb1ELb0EPiSB_N6thrust23THRUST_200600_302600_NS4plusIiEEEE10hipError_tPvRmT2_T3_mT4_P12ihipStream_tbEUlmE_iEESB_NS0_8identityIvEEEESG_SJ_SK_mSL_SN_bEUlT_E_NS1_11comp_targetILNS1_3genE5ELNS1_11target_archE942ELNS1_3gpuE9ELNS1_3repE0EEENS1_30default_config_static_selectorELNS0_4arch9wavefront6targetE1EEEvT1_.uses_vcc, 0
	.set _ZN7rocprim17ROCPRIM_400000_NS6detail17trampoline_kernelINS0_14default_configENS1_25transform_config_selectorIiLb0EEEZNS1_14transform_implILb0ES3_S5_NS0_18transform_iteratorINS0_17counting_iteratorImlEEZNS1_24adjacent_difference_implIS3_Lb1ELb0EPiSB_N6thrust23THRUST_200600_302600_NS4plusIiEEEE10hipError_tPvRmT2_T3_mT4_P12ihipStream_tbEUlmE_iEESB_NS0_8identityIvEEEESG_SJ_SK_mSL_SN_bEUlT_E_NS1_11comp_targetILNS1_3genE5ELNS1_11target_archE942ELNS1_3gpuE9ELNS1_3repE0EEENS1_30default_config_static_selectorELNS0_4arch9wavefront6targetE1EEEvT1_.uses_flat_scratch, 0
	.set _ZN7rocprim17ROCPRIM_400000_NS6detail17trampoline_kernelINS0_14default_configENS1_25transform_config_selectorIiLb0EEEZNS1_14transform_implILb0ES3_S5_NS0_18transform_iteratorINS0_17counting_iteratorImlEEZNS1_24adjacent_difference_implIS3_Lb1ELb0EPiSB_N6thrust23THRUST_200600_302600_NS4plusIiEEEE10hipError_tPvRmT2_T3_mT4_P12ihipStream_tbEUlmE_iEESB_NS0_8identityIvEEEESG_SJ_SK_mSL_SN_bEUlT_E_NS1_11comp_targetILNS1_3genE5ELNS1_11target_archE942ELNS1_3gpuE9ELNS1_3repE0EEENS1_30default_config_static_selectorELNS0_4arch9wavefront6targetE1EEEvT1_.has_dyn_sized_stack, 0
	.set _ZN7rocprim17ROCPRIM_400000_NS6detail17trampoline_kernelINS0_14default_configENS1_25transform_config_selectorIiLb0EEEZNS1_14transform_implILb0ES3_S5_NS0_18transform_iteratorINS0_17counting_iteratorImlEEZNS1_24adjacent_difference_implIS3_Lb1ELb0EPiSB_N6thrust23THRUST_200600_302600_NS4plusIiEEEE10hipError_tPvRmT2_T3_mT4_P12ihipStream_tbEUlmE_iEESB_NS0_8identityIvEEEESG_SJ_SK_mSL_SN_bEUlT_E_NS1_11comp_targetILNS1_3genE5ELNS1_11target_archE942ELNS1_3gpuE9ELNS1_3repE0EEENS1_30default_config_static_selectorELNS0_4arch9wavefront6targetE1EEEvT1_.has_recursion, 0
	.set _ZN7rocprim17ROCPRIM_400000_NS6detail17trampoline_kernelINS0_14default_configENS1_25transform_config_selectorIiLb0EEEZNS1_14transform_implILb0ES3_S5_NS0_18transform_iteratorINS0_17counting_iteratorImlEEZNS1_24adjacent_difference_implIS3_Lb1ELb0EPiSB_N6thrust23THRUST_200600_302600_NS4plusIiEEEE10hipError_tPvRmT2_T3_mT4_P12ihipStream_tbEUlmE_iEESB_NS0_8identityIvEEEESG_SJ_SK_mSL_SN_bEUlT_E_NS1_11comp_targetILNS1_3genE5ELNS1_11target_archE942ELNS1_3gpuE9ELNS1_3repE0EEENS1_30default_config_static_selectorELNS0_4arch9wavefront6targetE1EEEvT1_.has_indirect_call, 0
	.section	.AMDGPU.csdata,"",@progbits
; Kernel info:
; codeLenInByte = 0
; TotalNumSgprs: 4
; NumVgprs: 0
; ScratchSize: 0
; MemoryBound: 0
; FloatMode: 240
; IeeeMode: 1
; LDSByteSize: 0 bytes/workgroup (compile time only)
; SGPRBlocks: 0
; VGPRBlocks: 0
; NumSGPRsForWavesPerEU: 4
; NumVGPRsForWavesPerEU: 1
; Occupancy: 10
; WaveLimiterHint : 0
; COMPUTE_PGM_RSRC2:SCRATCH_EN: 0
; COMPUTE_PGM_RSRC2:USER_SGPR: 6
; COMPUTE_PGM_RSRC2:TRAP_HANDLER: 0
; COMPUTE_PGM_RSRC2:TGID_X_EN: 1
; COMPUTE_PGM_RSRC2:TGID_Y_EN: 0
; COMPUTE_PGM_RSRC2:TGID_Z_EN: 0
; COMPUTE_PGM_RSRC2:TIDIG_COMP_CNT: 0
	.section	.text._ZN7rocprim17ROCPRIM_400000_NS6detail17trampoline_kernelINS0_14default_configENS1_25transform_config_selectorIiLb0EEEZNS1_14transform_implILb0ES3_S5_NS0_18transform_iteratorINS0_17counting_iteratorImlEEZNS1_24adjacent_difference_implIS3_Lb1ELb0EPiSB_N6thrust23THRUST_200600_302600_NS4plusIiEEEE10hipError_tPvRmT2_T3_mT4_P12ihipStream_tbEUlmE_iEESB_NS0_8identityIvEEEESG_SJ_SK_mSL_SN_bEUlT_E_NS1_11comp_targetILNS1_3genE4ELNS1_11target_archE910ELNS1_3gpuE8ELNS1_3repE0EEENS1_30default_config_static_selectorELNS0_4arch9wavefront6targetE1EEEvT1_,"axG",@progbits,_ZN7rocprim17ROCPRIM_400000_NS6detail17trampoline_kernelINS0_14default_configENS1_25transform_config_selectorIiLb0EEEZNS1_14transform_implILb0ES3_S5_NS0_18transform_iteratorINS0_17counting_iteratorImlEEZNS1_24adjacent_difference_implIS3_Lb1ELb0EPiSB_N6thrust23THRUST_200600_302600_NS4plusIiEEEE10hipError_tPvRmT2_T3_mT4_P12ihipStream_tbEUlmE_iEESB_NS0_8identityIvEEEESG_SJ_SK_mSL_SN_bEUlT_E_NS1_11comp_targetILNS1_3genE4ELNS1_11target_archE910ELNS1_3gpuE8ELNS1_3repE0EEENS1_30default_config_static_selectorELNS0_4arch9wavefront6targetE1EEEvT1_,comdat
	.protected	_ZN7rocprim17ROCPRIM_400000_NS6detail17trampoline_kernelINS0_14default_configENS1_25transform_config_selectorIiLb0EEEZNS1_14transform_implILb0ES3_S5_NS0_18transform_iteratorINS0_17counting_iteratorImlEEZNS1_24adjacent_difference_implIS3_Lb1ELb0EPiSB_N6thrust23THRUST_200600_302600_NS4plusIiEEEE10hipError_tPvRmT2_T3_mT4_P12ihipStream_tbEUlmE_iEESB_NS0_8identityIvEEEESG_SJ_SK_mSL_SN_bEUlT_E_NS1_11comp_targetILNS1_3genE4ELNS1_11target_archE910ELNS1_3gpuE8ELNS1_3repE0EEENS1_30default_config_static_selectorELNS0_4arch9wavefront6targetE1EEEvT1_ ; -- Begin function _ZN7rocprim17ROCPRIM_400000_NS6detail17trampoline_kernelINS0_14default_configENS1_25transform_config_selectorIiLb0EEEZNS1_14transform_implILb0ES3_S5_NS0_18transform_iteratorINS0_17counting_iteratorImlEEZNS1_24adjacent_difference_implIS3_Lb1ELb0EPiSB_N6thrust23THRUST_200600_302600_NS4plusIiEEEE10hipError_tPvRmT2_T3_mT4_P12ihipStream_tbEUlmE_iEESB_NS0_8identityIvEEEESG_SJ_SK_mSL_SN_bEUlT_E_NS1_11comp_targetILNS1_3genE4ELNS1_11target_archE910ELNS1_3gpuE8ELNS1_3repE0EEENS1_30default_config_static_selectorELNS0_4arch9wavefront6targetE1EEEvT1_
	.globl	_ZN7rocprim17ROCPRIM_400000_NS6detail17trampoline_kernelINS0_14default_configENS1_25transform_config_selectorIiLb0EEEZNS1_14transform_implILb0ES3_S5_NS0_18transform_iteratorINS0_17counting_iteratorImlEEZNS1_24adjacent_difference_implIS3_Lb1ELb0EPiSB_N6thrust23THRUST_200600_302600_NS4plusIiEEEE10hipError_tPvRmT2_T3_mT4_P12ihipStream_tbEUlmE_iEESB_NS0_8identityIvEEEESG_SJ_SK_mSL_SN_bEUlT_E_NS1_11comp_targetILNS1_3genE4ELNS1_11target_archE910ELNS1_3gpuE8ELNS1_3repE0EEENS1_30default_config_static_selectorELNS0_4arch9wavefront6targetE1EEEvT1_
	.p2align	8
	.type	_ZN7rocprim17ROCPRIM_400000_NS6detail17trampoline_kernelINS0_14default_configENS1_25transform_config_selectorIiLb0EEEZNS1_14transform_implILb0ES3_S5_NS0_18transform_iteratorINS0_17counting_iteratorImlEEZNS1_24adjacent_difference_implIS3_Lb1ELb0EPiSB_N6thrust23THRUST_200600_302600_NS4plusIiEEEE10hipError_tPvRmT2_T3_mT4_P12ihipStream_tbEUlmE_iEESB_NS0_8identityIvEEEESG_SJ_SK_mSL_SN_bEUlT_E_NS1_11comp_targetILNS1_3genE4ELNS1_11target_archE910ELNS1_3gpuE8ELNS1_3repE0EEENS1_30default_config_static_selectorELNS0_4arch9wavefront6targetE1EEEvT1_,@function
_ZN7rocprim17ROCPRIM_400000_NS6detail17trampoline_kernelINS0_14default_configENS1_25transform_config_selectorIiLb0EEEZNS1_14transform_implILb0ES3_S5_NS0_18transform_iteratorINS0_17counting_iteratorImlEEZNS1_24adjacent_difference_implIS3_Lb1ELb0EPiSB_N6thrust23THRUST_200600_302600_NS4plusIiEEEE10hipError_tPvRmT2_T3_mT4_P12ihipStream_tbEUlmE_iEESB_NS0_8identityIvEEEESG_SJ_SK_mSL_SN_bEUlT_E_NS1_11comp_targetILNS1_3genE4ELNS1_11target_archE910ELNS1_3gpuE8ELNS1_3repE0EEENS1_30default_config_static_selectorELNS0_4arch9wavefront6targetE1EEEvT1_: ; @_ZN7rocprim17ROCPRIM_400000_NS6detail17trampoline_kernelINS0_14default_configENS1_25transform_config_selectorIiLb0EEEZNS1_14transform_implILb0ES3_S5_NS0_18transform_iteratorINS0_17counting_iteratorImlEEZNS1_24adjacent_difference_implIS3_Lb1ELb0EPiSB_N6thrust23THRUST_200600_302600_NS4plusIiEEEE10hipError_tPvRmT2_T3_mT4_P12ihipStream_tbEUlmE_iEESB_NS0_8identityIvEEEESG_SJ_SK_mSL_SN_bEUlT_E_NS1_11comp_targetILNS1_3genE4ELNS1_11target_archE910ELNS1_3gpuE8ELNS1_3repE0EEENS1_30default_config_static_selectorELNS0_4arch9wavefront6targetE1EEEvT1_
; %bb.0:
	.section	.rodata,"a",@progbits
	.p2align	6, 0x0
	.amdhsa_kernel _ZN7rocprim17ROCPRIM_400000_NS6detail17trampoline_kernelINS0_14default_configENS1_25transform_config_selectorIiLb0EEEZNS1_14transform_implILb0ES3_S5_NS0_18transform_iteratorINS0_17counting_iteratorImlEEZNS1_24adjacent_difference_implIS3_Lb1ELb0EPiSB_N6thrust23THRUST_200600_302600_NS4plusIiEEEE10hipError_tPvRmT2_T3_mT4_P12ihipStream_tbEUlmE_iEESB_NS0_8identityIvEEEESG_SJ_SK_mSL_SN_bEUlT_E_NS1_11comp_targetILNS1_3genE4ELNS1_11target_archE910ELNS1_3gpuE8ELNS1_3repE0EEENS1_30default_config_static_selectorELNS0_4arch9wavefront6targetE1EEEvT1_
		.amdhsa_group_segment_fixed_size 0
		.amdhsa_private_segment_fixed_size 0
		.amdhsa_kernarg_size 56
		.amdhsa_user_sgpr_count 6
		.amdhsa_user_sgpr_private_segment_buffer 1
		.amdhsa_user_sgpr_dispatch_ptr 0
		.amdhsa_user_sgpr_queue_ptr 0
		.amdhsa_user_sgpr_kernarg_segment_ptr 1
		.amdhsa_user_sgpr_dispatch_id 0
		.amdhsa_user_sgpr_flat_scratch_init 0
		.amdhsa_user_sgpr_private_segment_size 0
		.amdhsa_uses_dynamic_stack 0
		.amdhsa_system_sgpr_private_segment_wavefront_offset 0
		.amdhsa_system_sgpr_workgroup_id_x 1
		.amdhsa_system_sgpr_workgroup_id_y 0
		.amdhsa_system_sgpr_workgroup_id_z 0
		.amdhsa_system_sgpr_workgroup_info 0
		.amdhsa_system_vgpr_workitem_id 0
		.amdhsa_next_free_vgpr 1
		.amdhsa_next_free_sgpr 0
		.amdhsa_reserve_vcc 0
		.amdhsa_reserve_flat_scratch 0
		.amdhsa_float_round_mode_32 0
		.amdhsa_float_round_mode_16_64 0
		.amdhsa_float_denorm_mode_32 3
		.amdhsa_float_denorm_mode_16_64 3
		.amdhsa_dx10_clamp 1
		.amdhsa_ieee_mode 1
		.amdhsa_fp16_overflow 0
		.amdhsa_exception_fp_ieee_invalid_op 0
		.amdhsa_exception_fp_denorm_src 0
		.amdhsa_exception_fp_ieee_div_zero 0
		.amdhsa_exception_fp_ieee_overflow 0
		.amdhsa_exception_fp_ieee_underflow 0
		.amdhsa_exception_fp_ieee_inexact 0
		.amdhsa_exception_int_div_zero 0
	.end_amdhsa_kernel
	.section	.text._ZN7rocprim17ROCPRIM_400000_NS6detail17trampoline_kernelINS0_14default_configENS1_25transform_config_selectorIiLb0EEEZNS1_14transform_implILb0ES3_S5_NS0_18transform_iteratorINS0_17counting_iteratorImlEEZNS1_24adjacent_difference_implIS3_Lb1ELb0EPiSB_N6thrust23THRUST_200600_302600_NS4plusIiEEEE10hipError_tPvRmT2_T3_mT4_P12ihipStream_tbEUlmE_iEESB_NS0_8identityIvEEEESG_SJ_SK_mSL_SN_bEUlT_E_NS1_11comp_targetILNS1_3genE4ELNS1_11target_archE910ELNS1_3gpuE8ELNS1_3repE0EEENS1_30default_config_static_selectorELNS0_4arch9wavefront6targetE1EEEvT1_,"axG",@progbits,_ZN7rocprim17ROCPRIM_400000_NS6detail17trampoline_kernelINS0_14default_configENS1_25transform_config_selectorIiLb0EEEZNS1_14transform_implILb0ES3_S5_NS0_18transform_iteratorINS0_17counting_iteratorImlEEZNS1_24adjacent_difference_implIS3_Lb1ELb0EPiSB_N6thrust23THRUST_200600_302600_NS4plusIiEEEE10hipError_tPvRmT2_T3_mT4_P12ihipStream_tbEUlmE_iEESB_NS0_8identityIvEEEESG_SJ_SK_mSL_SN_bEUlT_E_NS1_11comp_targetILNS1_3genE4ELNS1_11target_archE910ELNS1_3gpuE8ELNS1_3repE0EEENS1_30default_config_static_selectorELNS0_4arch9wavefront6targetE1EEEvT1_,comdat
.Lfunc_end342:
	.size	_ZN7rocprim17ROCPRIM_400000_NS6detail17trampoline_kernelINS0_14default_configENS1_25transform_config_selectorIiLb0EEEZNS1_14transform_implILb0ES3_S5_NS0_18transform_iteratorINS0_17counting_iteratorImlEEZNS1_24adjacent_difference_implIS3_Lb1ELb0EPiSB_N6thrust23THRUST_200600_302600_NS4plusIiEEEE10hipError_tPvRmT2_T3_mT4_P12ihipStream_tbEUlmE_iEESB_NS0_8identityIvEEEESG_SJ_SK_mSL_SN_bEUlT_E_NS1_11comp_targetILNS1_3genE4ELNS1_11target_archE910ELNS1_3gpuE8ELNS1_3repE0EEENS1_30default_config_static_selectorELNS0_4arch9wavefront6targetE1EEEvT1_, .Lfunc_end342-_ZN7rocprim17ROCPRIM_400000_NS6detail17trampoline_kernelINS0_14default_configENS1_25transform_config_selectorIiLb0EEEZNS1_14transform_implILb0ES3_S5_NS0_18transform_iteratorINS0_17counting_iteratorImlEEZNS1_24adjacent_difference_implIS3_Lb1ELb0EPiSB_N6thrust23THRUST_200600_302600_NS4plusIiEEEE10hipError_tPvRmT2_T3_mT4_P12ihipStream_tbEUlmE_iEESB_NS0_8identityIvEEEESG_SJ_SK_mSL_SN_bEUlT_E_NS1_11comp_targetILNS1_3genE4ELNS1_11target_archE910ELNS1_3gpuE8ELNS1_3repE0EEENS1_30default_config_static_selectorELNS0_4arch9wavefront6targetE1EEEvT1_
                                        ; -- End function
	.set _ZN7rocprim17ROCPRIM_400000_NS6detail17trampoline_kernelINS0_14default_configENS1_25transform_config_selectorIiLb0EEEZNS1_14transform_implILb0ES3_S5_NS0_18transform_iteratorINS0_17counting_iteratorImlEEZNS1_24adjacent_difference_implIS3_Lb1ELb0EPiSB_N6thrust23THRUST_200600_302600_NS4plusIiEEEE10hipError_tPvRmT2_T3_mT4_P12ihipStream_tbEUlmE_iEESB_NS0_8identityIvEEEESG_SJ_SK_mSL_SN_bEUlT_E_NS1_11comp_targetILNS1_3genE4ELNS1_11target_archE910ELNS1_3gpuE8ELNS1_3repE0EEENS1_30default_config_static_selectorELNS0_4arch9wavefront6targetE1EEEvT1_.num_vgpr, 0
	.set _ZN7rocprim17ROCPRIM_400000_NS6detail17trampoline_kernelINS0_14default_configENS1_25transform_config_selectorIiLb0EEEZNS1_14transform_implILb0ES3_S5_NS0_18transform_iteratorINS0_17counting_iteratorImlEEZNS1_24adjacent_difference_implIS3_Lb1ELb0EPiSB_N6thrust23THRUST_200600_302600_NS4plusIiEEEE10hipError_tPvRmT2_T3_mT4_P12ihipStream_tbEUlmE_iEESB_NS0_8identityIvEEEESG_SJ_SK_mSL_SN_bEUlT_E_NS1_11comp_targetILNS1_3genE4ELNS1_11target_archE910ELNS1_3gpuE8ELNS1_3repE0EEENS1_30default_config_static_selectorELNS0_4arch9wavefront6targetE1EEEvT1_.num_agpr, 0
	.set _ZN7rocprim17ROCPRIM_400000_NS6detail17trampoline_kernelINS0_14default_configENS1_25transform_config_selectorIiLb0EEEZNS1_14transform_implILb0ES3_S5_NS0_18transform_iteratorINS0_17counting_iteratorImlEEZNS1_24adjacent_difference_implIS3_Lb1ELb0EPiSB_N6thrust23THRUST_200600_302600_NS4plusIiEEEE10hipError_tPvRmT2_T3_mT4_P12ihipStream_tbEUlmE_iEESB_NS0_8identityIvEEEESG_SJ_SK_mSL_SN_bEUlT_E_NS1_11comp_targetILNS1_3genE4ELNS1_11target_archE910ELNS1_3gpuE8ELNS1_3repE0EEENS1_30default_config_static_selectorELNS0_4arch9wavefront6targetE1EEEvT1_.numbered_sgpr, 0
	.set _ZN7rocprim17ROCPRIM_400000_NS6detail17trampoline_kernelINS0_14default_configENS1_25transform_config_selectorIiLb0EEEZNS1_14transform_implILb0ES3_S5_NS0_18transform_iteratorINS0_17counting_iteratorImlEEZNS1_24adjacent_difference_implIS3_Lb1ELb0EPiSB_N6thrust23THRUST_200600_302600_NS4plusIiEEEE10hipError_tPvRmT2_T3_mT4_P12ihipStream_tbEUlmE_iEESB_NS0_8identityIvEEEESG_SJ_SK_mSL_SN_bEUlT_E_NS1_11comp_targetILNS1_3genE4ELNS1_11target_archE910ELNS1_3gpuE8ELNS1_3repE0EEENS1_30default_config_static_selectorELNS0_4arch9wavefront6targetE1EEEvT1_.num_named_barrier, 0
	.set _ZN7rocprim17ROCPRIM_400000_NS6detail17trampoline_kernelINS0_14default_configENS1_25transform_config_selectorIiLb0EEEZNS1_14transform_implILb0ES3_S5_NS0_18transform_iteratorINS0_17counting_iteratorImlEEZNS1_24adjacent_difference_implIS3_Lb1ELb0EPiSB_N6thrust23THRUST_200600_302600_NS4plusIiEEEE10hipError_tPvRmT2_T3_mT4_P12ihipStream_tbEUlmE_iEESB_NS0_8identityIvEEEESG_SJ_SK_mSL_SN_bEUlT_E_NS1_11comp_targetILNS1_3genE4ELNS1_11target_archE910ELNS1_3gpuE8ELNS1_3repE0EEENS1_30default_config_static_selectorELNS0_4arch9wavefront6targetE1EEEvT1_.private_seg_size, 0
	.set _ZN7rocprim17ROCPRIM_400000_NS6detail17trampoline_kernelINS0_14default_configENS1_25transform_config_selectorIiLb0EEEZNS1_14transform_implILb0ES3_S5_NS0_18transform_iteratorINS0_17counting_iteratorImlEEZNS1_24adjacent_difference_implIS3_Lb1ELb0EPiSB_N6thrust23THRUST_200600_302600_NS4plusIiEEEE10hipError_tPvRmT2_T3_mT4_P12ihipStream_tbEUlmE_iEESB_NS0_8identityIvEEEESG_SJ_SK_mSL_SN_bEUlT_E_NS1_11comp_targetILNS1_3genE4ELNS1_11target_archE910ELNS1_3gpuE8ELNS1_3repE0EEENS1_30default_config_static_selectorELNS0_4arch9wavefront6targetE1EEEvT1_.uses_vcc, 0
	.set _ZN7rocprim17ROCPRIM_400000_NS6detail17trampoline_kernelINS0_14default_configENS1_25transform_config_selectorIiLb0EEEZNS1_14transform_implILb0ES3_S5_NS0_18transform_iteratorINS0_17counting_iteratorImlEEZNS1_24adjacent_difference_implIS3_Lb1ELb0EPiSB_N6thrust23THRUST_200600_302600_NS4plusIiEEEE10hipError_tPvRmT2_T3_mT4_P12ihipStream_tbEUlmE_iEESB_NS0_8identityIvEEEESG_SJ_SK_mSL_SN_bEUlT_E_NS1_11comp_targetILNS1_3genE4ELNS1_11target_archE910ELNS1_3gpuE8ELNS1_3repE0EEENS1_30default_config_static_selectorELNS0_4arch9wavefront6targetE1EEEvT1_.uses_flat_scratch, 0
	.set _ZN7rocprim17ROCPRIM_400000_NS6detail17trampoline_kernelINS0_14default_configENS1_25transform_config_selectorIiLb0EEEZNS1_14transform_implILb0ES3_S5_NS0_18transform_iteratorINS0_17counting_iteratorImlEEZNS1_24adjacent_difference_implIS3_Lb1ELb0EPiSB_N6thrust23THRUST_200600_302600_NS4plusIiEEEE10hipError_tPvRmT2_T3_mT4_P12ihipStream_tbEUlmE_iEESB_NS0_8identityIvEEEESG_SJ_SK_mSL_SN_bEUlT_E_NS1_11comp_targetILNS1_3genE4ELNS1_11target_archE910ELNS1_3gpuE8ELNS1_3repE0EEENS1_30default_config_static_selectorELNS0_4arch9wavefront6targetE1EEEvT1_.has_dyn_sized_stack, 0
	.set _ZN7rocprim17ROCPRIM_400000_NS6detail17trampoline_kernelINS0_14default_configENS1_25transform_config_selectorIiLb0EEEZNS1_14transform_implILb0ES3_S5_NS0_18transform_iteratorINS0_17counting_iteratorImlEEZNS1_24adjacent_difference_implIS3_Lb1ELb0EPiSB_N6thrust23THRUST_200600_302600_NS4plusIiEEEE10hipError_tPvRmT2_T3_mT4_P12ihipStream_tbEUlmE_iEESB_NS0_8identityIvEEEESG_SJ_SK_mSL_SN_bEUlT_E_NS1_11comp_targetILNS1_3genE4ELNS1_11target_archE910ELNS1_3gpuE8ELNS1_3repE0EEENS1_30default_config_static_selectorELNS0_4arch9wavefront6targetE1EEEvT1_.has_recursion, 0
	.set _ZN7rocprim17ROCPRIM_400000_NS6detail17trampoline_kernelINS0_14default_configENS1_25transform_config_selectorIiLb0EEEZNS1_14transform_implILb0ES3_S5_NS0_18transform_iteratorINS0_17counting_iteratorImlEEZNS1_24adjacent_difference_implIS3_Lb1ELb0EPiSB_N6thrust23THRUST_200600_302600_NS4plusIiEEEE10hipError_tPvRmT2_T3_mT4_P12ihipStream_tbEUlmE_iEESB_NS0_8identityIvEEEESG_SJ_SK_mSL_SN_bEUlT_E_NS1_11comp_targetILNS1_3genE4ELNS1_11target_archE910ELNS1_3gpuE8ELNS1_3repE0EEENS1_30default_config_static_selectorELNS0_4arch9wavefront6targetE1EEEvT1_.has_indirect_call, 0
	.section	.AMDGPU.csdata,"",@progbits
; Kernel info:
; codeLenInByte = 0
; TotalNumSgprs: 4
; NumVgprs: 0
; ScratchSize: 0
; MemoryBound: 0
; FloatMode: 240
; IeeeMode: 1
; LDSByteSize: 0 bytes/workgroup (compile time only)
; SGPRBlocks: 0
; VGPRBlocks: 0
; NumSGPRsForWavesPerEU: 4
; NumVGPRsForWavesPerEU: 1
; Occupancy: 10
; WaveLimiterHint : 0
; COMPUTE_PGM_RSRC2:SCRATCH_EN: 0
; COMPUTE_PGM_RSRC2:USER_SGPR: 6
; COMPUTE_PGM_RSRC2:TRAP_HANDLER: 0
; COMPUTE_PGM_RSRC2:TGID_X_EN: 1
; COMPUTE_PGM_RSRC2:TGID_Y_EN: 0
; COMPUTE_PGM_RSRC2:TGID_Z_EN: 0
; COMPUTE_PGM_RSRC2:TIDIG_COMP_CNT: 0
	.section	.text._ZN7rocprim17ROCPRIM_400000_NS6detail17trampoline_kernelINS0_14default_configENS1_25transform_config_selectorIiLb0EEEZNS1_14transform_implILb0ES3_S5_NS0_18transform_iteratorINS0_17counting_iteratorImlEEZNS1_24adjacent_difference_implIS3_Lb1ELb0EPiSB_N6thrust23THRUST_200600_302600_NS4plusIiEEEE10hipError_tPvRmT2_T3_mT4_P12ihipStream_tbEUlmE_iEESB_NS0_8identityIvEEEESG_SJ_SK_mSL_SN_bEUlT_E_NS1_11comp_targetILNS1_3genE3ELNS1_11target_archE908ELNS1_3gpuE7ELNS1_3repE0EEENS1_30default_config_static_selectorELNS0_4arch9wavefront6targetE1EEEvT1_,"axG",@progbits,_ZN7rocprim17ROCPRIM_400000_NS6detail17trampoline_kernelINS0_14default_configENS1_25transform_config_selectorIiLb0EEEZNS1_14transform_implILb0ES3_S5_NS0_18transform_iteratorINS0_17counting_iteratorImlEEZNS1_24adjacent_difference_implIS3_Lb1ELb0EPiSB_N6thrust23THRUST_200600_302600_NS4plusIiEEEE10hipError_tPvRmT2_T3_mT4_P12ihipStream_tbEUlmE_iEESB_NS0_8identityIvEEEESG_SJ_SK_mSL_SN_bEUlT_E_NS1_11comp_targetILNS1_3genE3ELNS1_11target_archE908ELNS1_3gpuE7ELNS1_3repE0EEENS1_30default_config_static_selectorELNS0_4arch9wavefront6targetE1EEEvT1_,comdat
	.protected	_ZN7rocprim17ROCPRIM_400000_NS6detail17trampoline_kernelINS0_14default_configENS1_25transform_config_selectorIiLb0EEEZNS1_14transform_implILb0ES3_S5_NS0_18transform_iteratorINS0_17counting_iteratorImlEEZNS1_24adjacent_difference_implIS3_Lb1ELb0EPiSB_N6thrust23THRUST_200600_302600_NS4plusIiEEEE10hipError_tPvRmT2_T3_mT4_P12ihipStream_tbEUlmE_iEESB_NS0_8identityIvEEEESG_SJ_SK_mSL_SN_bEUlT_E_NS1_11comp_targetILNS1_3genE3ELNS1_11target_archE908ELNS1_3gpuE7ELNS1_3repE0EEENS1_30default_config_static_selectorELNS0_4arch9wavefront6targetE1EEEvT1_ ; -- Begin function _ZN7rocprim17ROCPRIM_400000_NS6detail17trampoline_kernelINS0_14default_configENS1_25transform_config_selectorIiLb0EEEZNS1_14transform_implILb0ES3_S5_NS0_18transform_iteratorINS0_17counting_iteratorImlEEZNS1_24adjacent_difference_implIS3_Lb1ELb0EPiSB_N6thrust23THRUST_200600_302600_NS4plusIiEEEE10hipError_tPvRmT2_T3_mT4_P12ihipStream_tbEUlmE_iEESB_NS0_8identityIvEEEESG_SJ_SK_mSL_SN_bEUlT_E_NS1_11comp_targetILNS1_3genE3ELNS1_11target_archE908ELNS1_3gpuE7ELNS1_3repE0EEENS1_30default_config_static_selectorELNS0_4arch9wavefront6targetE1EEEvT1_
	.globl	_ZN7rocprim17ROCPRIM_400000_NS6detail17trampoline_kernelINS0_14default_configENS1_25transform_config_selectorIiLb0EEEZNS1_14transform_implILb0ES3_S5_NS0_18transform_iteratorINS0_17counting_iteratorImlEEZNS1_24adjacent_difference_implIS3_Lb1ELb0EPiSB_N6thrust23THRUST_200600_302600_NS4plusIiEEEE10hipError_tPvRmT2_T3_mT4_P12ihipStream_tbEUlmE_iEESB_NS0_8identityIvEEEESG_SJ_SK_mSL_SN_bEUlT_E_NS1_11comp_targetILNS1_3genE3ELNS1_11target_archE908ELNS1_3gpuE7ELNS1_3repE0EEENS1_30default_config_static_selectorELNS0_4arch9wavefront6targetE1EEEvT1_
	.p2align	8
	.type	_ZN7rocprim17ROCPRIM_400000_NS6detail17trampoline_kernelINS0_14default_configENS1_25transform_config_selectorIiLb0EEEZNS1_14transform_implILb0ES3_S5_NS0_18transform_iteratorINS0_17counting_iteratorImlEEZNS1_24adjacent_difference_implIS3_Lb1ELb0EPiSB_N6thrust23THRUST_200600_302600_NS4plusIiEEEE10hipError_tPvRmT2_T3_mT4_P12ihipStream_tbEUlmE_iEESB_NS0_8identityIvEEEESG_SJ_SK_mSL_SN_bEUlT_E_NS1_11comp_targetILNS1_3genE3ELNS1_11target_archE908ELNS1_3gpuE7ELNS1_3repE0EEENS1_30default_config_static_selectorELNS0_4arch9wavefront6targetE1EEEvT1_,@function
_ZN7rocprim17ROCPRIM_400000_NS6detail17trampoline_kernelINS0_14default_configENS1_25transform_config_selectorIiLb0EEEZNS1_14transform_implILb0ES3_S5_NS0_18transform_iteratorINS0_17counting_iteratorImlEEZNS1_24adjacent_difference_implIS3_Lb1ELb0EPiSB_N6thrust23THRUST_200600_302600_NS4plusIiEEEE10hipError_tPvRmT2_T3_mT4_P12ihipStream_tbEUlmE_iEESB_NS0_8identityIvEEEESG_SJ_SK_mSL_SN_bEUlT_E_NS1_11comp_targetILNS1_3genE3ELNS1_11target_archE908ELNS1_3gpuE7ELNS1_3repE0EEENS1_30default_config_static_selectorELNS0_4arch9wavefront6targetE1EEEvT1_: ; @_ZN7rocprim17ROCPRIM_400000_NS6detail17trampoline_kernelINS0_14default_configENS1_25transform_config_selectorIiLb0EEEZNS1_14transform_implILb0ES3_S5_NS0_18transform_iteratorINS0_17counting_iteratorImlEEZNS1_24adjacent_difference_implIS3_Lb1ELb0EPiSB_N6thrust23THRUST_200600_302600_NS4plusIiEEEE10hipError_tPvRmT2_T3_mT4_P12ihipStream_tbEUlmE_iEESB_NS0_8identityIvEEEESG_SJ_SK_mSL_SN_bEUlT_E_NS1_11comp_targetILNS1_3genE3ELNS1_11target_archE908ELNS1_3gpuE7ELNS1_3repE0EEENS1_30default_config_static_selectorELNS0_4arch9wavefront6targetE1EEEvT1_
; %bb.0:
	.section	.rodata,"a",@progbits
	.p2align	6, 0x0
	.amdhsa_kernel _ZN7rocprim17ROCPRIM_400000_NS6detail17trampoline_kernelINS0_14default_configENS1_25transform_config_selectorIiLb0EEEZNS1_14transform_implILb0ES3_S5_NS0_18transform_iteratorINS0_17counting_iteratorImlEEZNS1_24adjacent_difference_implIS3_Lb1ELb0EPiSB_N6thrust23THRUST_200600_302600_NS4plusIiEEEE10hipError_tPvRmT2_T3_mT4_P12ihipStream_tbEUlmE_iEESB_NS0_8identityIvEEEESG_SJ_SK_mSL_SN_bEUlT_E_NS1_11comp_targetILNS1_3genE3ELNS1_11target_archE908ELNS1_3gpuE7ELNS1_3repE0EEENS1_30default_config_static_selectorELNS0_4arch9wavefront6targetE1EEEvT1_
		.amdhsa_group_segment_fixed_size 0
		.amdhsa_private_segment_fixed_size 0
		.amdhsa_kernarg_size 56
		.amdhsa_user_sgpr_count 6
		.amdhsa_user_sgpr_private_segment_buffer 1
		.amdhsa_user_sgpr_dispatch_ptr 0
		.amdhsa_user_sgpr_queue_ptr 0
		.amdhsa_user_sgpr_kernarg_segment_ptr 1
		.amdhsa_user_sgpr_dispatch_id 0
		.amdhsa_user_sgpr_flat_scratch_init 0
		.amdhsa_user_sgpr_private_segment_size 0
		.amdhsa_uses_dynamic_stack 0
		.amdhsa_system_sgpr_private_segment_wavefront_offset 0
		.amdhsa_system_sgpr_workgroup_id_x 1
		.amdhsa_system_sgpr_workgroup_id_y 0
		.amdhsa_system_sgpr_workgroup_id_z 0
		.amdhsa_system_sgpr_workgroup_info 0
		.amdhsa_system_vgpr_workitem_id 0
		.amdhsa_next_free_vgpr 1
		.amdhsa_next_free_sgpr 0
		.amdhsa_reserve_vcc 0
		.amdhsa_reserve_flat_scratch 0
		.amdhsa_float_round_mode_32 0
		.amdhsa_float_round_mode_16_64 0
		.amdhsa_float_denorm_mode_32 3
		.amdhsa_float_denorm_mode_16_64 3
		.amdhsa_dx10_clamp 1
		.amdhsa_ieee_mode 1
		.amdhsa_fp16_overflow 0
		.amdhsa_exception_fp_ieee_invalid_op 0
		.amdhsa_exception_fp_denorm_src 0
		.amdhsa_exception_fp_ieee_div_zero 0
		.amdhsa_exception_fp_ieee_overflow 0
		.amdhsa_exception_fp_ieee_underflow 0
		.amdhsa_exception_fp_ieee_inexact 0
		.amdhsa_exception_int_div_zero 0
	.end_amdhsa_kernel
	.section	.text._ZN7rocprim17ROCPRIM_400000_NS6detail17trampoline_kernelINS0_14default_configENS1_25transform_config_selectorIiLb0EEEZNS1_14transform_implILb0ES3_S5_NS0_18transform_iteratorINS0_17counting_iteratorImlEEZNS1_24adjacent_difference_implIS3_Lb1ELb0EPiSB_N6thrust23THRUST_200600_302600_NS4plusIiEEEE10hipError_tPvRmT2_T3_mT4_P12ihipStream_tbEUlmE_iEESB_NS0_8identityIvEEEESG_SJ_SK_mSL_SN_bEUlT_E_NS1_11comp_targetILNS1_3genE3ELNS1_11target_archE908ELNS1_3gpuE7ELNS1_3repE0EEENS1_30default_config_static_selectorELNS0_4arch9wavefront6targetE1EEEvT1_,"axG",@progbits,_ZN7rocprim17ROCPRIM_400000_NS6detail17trampoline_kernelINS0_14default_configENS1_25transform_config_selectorIiLb0EEEZNS1_14transform_implILb0ES3_S5_NS0_18transform_iteratorINS0_17counting_iteratorImlEEZNS1_24adjacent_difference_implIS3_Lb1ELb0EPiSB_N6thrust23THRUST_200600_302600_NS4plusIiEEEE10hipError_tPvRmT2_T3_mT4_P12ihipStream_tbEUlmE_iEESB_NS0_8identityIvEEEESG_SJ_SK_mSL_SN_bEUlT_E_NS1_11comp_targetILNS1_3genE3ELNS1_11target_archE908ELNS1_3gpuE7ELNS1_3repE0EEENS1_30default_config_static_selectorELNS0_4arch9wavefront6targetE1EEEvT1_,comdat
.Lfunc_end343:
	.size	_ZN7rocprim17ROCPRIM_400000_NS6detail17trampoline_kernelINS0_14default_configENS1_25transform_config_selectorIiLb0EEEZNS1_14transform_implILb0ES3_S5_NS0_18transform_iteratorINS0_17counting_iteratorImlEEZNS1_24adjacent_difference_implIS3_Lb1ELb0EPiSB_N6thrust23THRUST_200600_302600_NS4plusIiEEEE10hipError_tPvRmT2_T3_mT4_P12ihipStream_tbEUlmE_iEESB_NS0_8identityIvEEEESG_SJ_SK_mSL_SN_bEUlT_E_NS1_11comp_targetILNS1_3genE3ELNS1_11target_archE908ELNS1_3gpuE7ELNS1_3repE0EEENS1_30default_config_static_selectorELNS0_4arch9wavefront6targetE1EEEvT1_, .Lfunc_end343-_ZN7rocprim17ROCPRIM_400000_NS6detail17trampoline_kernelINS0_14default_configENS1_25transform_config_selectorIiLb0EEEZNS1_14transform_implILb0ES3_S5_NS0_18transform_iteratorINS0_17counting_iteratorImlEEZNS1_24adjacent_difference_implIS3_Lb1ELb0EPiSB_N6thrust23THRUST_200600_302600_NS4plusIiEEEE10hipError_tPvRmT2_T3_mT4_P12ihipStream_tbEUlmE_iEESB_NS0_8identityIvEEEESG_SJ_SK_mSL_SN_bEUlT_E_NS1_11comp_targetILNS1_3genE3ELNS1_11target_archE908ELNS1_3gpuE7ELNS1_3repE0EEENS1_30default_config_static_selectorELNS0_4arch9wavefront6targetE1EEEvT1_
                                        ; -- End function
	.set _ZN7rocprim17ROCPRIM_400000_NS6detail17trampoline_kernelINS0_14default_configENS1_25transform_config_selectorIiLb0EEEZNS1_14transform_implILb0ES3_S5_NS0_18transform_iteratorINS0_17counting_iteratorImlEEZNS1_24adjacent_difference_implIS3_Lb1ELb0EPiSB_N6thrust23THRUST_200600_302600_NS4plusIiEEEE10hipError_tPvRmT2_T3_mT4_P12ihipStream_tbEUlmE_iEESB_NS0_8identityIvEEEESG_SJ_SK_mSL_SN_bEUlT_E_NS1_11comp_targetILNS1_3genE3ELNS1_11target_archE908ELNS1_3gpuE7ELNS1_3repE0EEENS1_30default_config_static_selectorELNS0_4arch9wavefront6targetE1EEEvT1_.num_vgpr, 0
	.set _ZN7rocprim17ROCPRIM_400000_NS6detail17trampoline_kernelINS0_14default_configENS1_25transform_config_selectorIiLb0EEEZNS1_14transform_implILb0ES3_S5_NS0_18transform_iteratorINS0_17counting_iteratorImlEEZNS1_24adjacent_difference_implIS3_Lb1ELb0EPiSB_N6thrust23THRUST_200600_302600_NS4plusIiEEEE10hipError_tPvRmT2_T3_mT4_P12ihipStream_tbEUlmE_iEESB_NS0_8identityIvEEEESG_SJ_SK_mSL_SN_bEUlT_E_NS1_11comp_targetILNS1_3genE3ELNS1_11target_archE908ELNS1_3gpuE7ELNS1_3repE0EEENS1_30default_config_static_selectorELNS0_4arch9wavefront6targetE1EEEvT1_.num_agpr, 0
	.set _ZN7rocprim17ROCPRIM_400000_NS6detail17trampoline_kernelINS0_14default_configENS1_25transform_config_selectorIiLb0EEEZNS1_14transform_implILb0ES3_S5_NS0_18transform_iteratorINS0_17counting_iteratorImlEEZNS1_24adjacent_difference_implIS3_Lb1ELb0EPiSB_N6thrust23THRUST_200600_302600_NS4plusIiEEEE10hipError_tPvRmT2_T3_mT4_P12ihipStream_tbEUlmE_iEESB_NS0_8identityIvEEEESG_SJ_SK_mSL_SN_bEUlT_E_NS1_11comp_targetILNS1_3genE3ELNS1_11target_archE908ELNS1_3gpuE7ELNS1_3repE0EEENS1_30default_config_static_selectorELNS0_4arch9wavefront6targetE1EEEvT1_.numbered_sgpr, 0
	.set _ZN7rocprim17ROCPRIM_400000_NS6detail17trampoline_kernelINS0_14default_configENS1_25transform_config_selectorIiLb0EEEZNS1_14transform_implILb0ES3_S5_NS0_18transform_iteratorINS0_17counting_iteratorImlEEZNS1_24adjacent_difference_implIS3_Lb1ELb0EPiSB_N6thrust23THRUST_200600_302600_NS4plusIiEEEE10hipError_tPvRmT2_T3_mT4_P12ihipStream_tbEUlmE_iEESB_NS0_8identityIvEEEESG_SJ_SK_mSL_SN_bEUlT_E_NS1_11comp_targetILNS1_3genE3ELNS1_11target_archE908ELNS1_3gpuE7ELNS1_3repE0EEENS1_30default_config_static_selectorELNS0_4arch9wavefront6targetE1EEEvT1_.num_named_barrier, 0
	.set _ZN7rocprim17ROCPRIM_400000_NS6detail17trampoline_kernelINS0_14default_configENS1_25transform_config_selectorIiLb0EEEZNS1_14transform_implILb0ES3_S5_NS0_18transform_iteratorINS0_17counting_iteratorImlEEZNS1_24adjacent_difference_implIS3_Lb1ELb0EPiSB_N6thrust23THRUST_200600_302600_NS4plusIiEEEE10hipError_tPvRmT2_T3_mT4_P12ihipStream_tbEUlmE_iEESB_NS0_8identityIvEEEESG_SJ_SK_mSL_SN_bEUlT_E_NS1_11comp_targetILNS1_3genE3ELNS1_11target_archE908ELNS1_3gpuE7ELNS1_3repE0EEENS1_30default_config_static_selectorELNS0_4arch9wavefront6targetE1EEEvT1_.private_seg_size, 0
	.set _ZN7rocprim17ROCPRIM_400000_NS6detail17trampoline_kernelINS0_14default_configENS1_25transform_config_selectorIiLb0EEEZNS1_14transform_implILb0ES3_S5_NS0_18transform_iteratorINS0_17counting_iteratorImlEEZNS1_24adjacent_difference_implIS3_Lb1ELb0EPiSB_N6thrust23THRUST_200600_302600_NS4plusIiEEEE10hipError_tPvRmT2_T3_mT4_P12ihipStream_tbEUlmE_iEESB_NS0_8identityIvEEEESG_SJ_SK_mSL_SN_bEUlT_E_NS1_11comp_targetILNS1_3genE3ELNS1_11target_archE908ELNS1_3gpuE7ELNS1_3repE0EEENS1_30default_config_static_selectorELNS0_4arch9wavefront6targetE1EEEvT1_.uses_vcc, 0
	.set _ZN7rocprim17ROCPRIM_400000_NS6detail17trampoline_kernelINS0_14default_configENS1_25transform_config_selectorIiLb0EEEZNS1_14transform_implILb0ES3_S5_NS0_18transform_iteratorINS0_17counting_iteratorImlEEZNS1_24adjacent_difference_implIS3_Lb1ELb0EPiSB_N6thrust23THRUST_200600_302600_NS4plusIiEEEE10hipError_tPvRmT2_T3_mT4_P12ihipStream_tbEUlmE_iEESB_NS0_8identityIvEEEESG_SJ_SK_mSL_SN_bEUlT_E_NS1_11comp_targetILNS1_3genE3ELNS1_11target_archE908ELNS1_3gpuE7ELNS1_3repE0EEENS1_30default_config_static_selectorELNS0_4arch9wavefront6targetE1EEEvT1_.uses_flat_scratch, 0
	.set _ZN7rocprim17ROCPRIM_400000_NS6detail17trampoline_kernelINS0_14default_configENS1_25transform_config_selectorIiLb0EEEZNS1_14transform_implILb0ES3_S5_NS0_18transform_iteratorINS0_17counting_iteratorImlEEZNS1_24adjacent_difference_implIS3_Lb1ELb0EPiSB_N6thrust23THRUST_200600_302600_NS4plusIiEEEE10hipError_tPvRmT2_T3_mT4_P12ihipStream_tbEUlmE_iEESB_NS0_8identityIvEEEESG_SJ_SK_mSL_SN_bEUlT_E_NS1_11comp_targetILNS1_3genE3ELNS1_11target_archE908ELNS1_3gpuE7ELNS1_3repE0EEENS1_30default_config_static_selectorELNS0_4arch9wavefront6targetE1EEEvT1_.has_dyn_sized_stack, 0
	.set _ZN7rocprim17ROCPRIM_400000_NS6detail17trampoline_kernelINS0_14default_configENS1_25transform_config_selectorIiLb0EEEZNS1_14transform_implILb0ES3_S5_NS0_18transform_iteratorINS0_17counting_iteratorImlEEZNS1_24adjacent_difference_implIS3_Lb1ELb0EPiSB_N6thrust23THRUST_200600_302600_NS4plusIiEEEE10hipError_tPvRmT2_T3_mT4_P12ihipStream_tbEUlmE_iEESB_NS0_8identityIvEEEESG_SJ_SK_mSL_SN_bEUlT_E_NS1_11comp_targetILNS1_3genE3ELNS1_11target_archE908ELNS1_3gpuE7ELNS1_3repE0EEENS1_30default_config_static_selectorELNS0_4arch9wavefront6targetE1EEEvT1_.has_recursion, 0
	.set _ZN7rocprim17ROCPRIM_400000_NS6detail17trampoline_kernelINS0_14default_configENS1_25transform_config_selectorIiLb0EEEZNS1_14transform_implILb0ES3_S5_NS0_18transform_iteratorINS0_17counting_iteratorImlEEZNS1_24adjacent_difference_implIS3_Lb1ELb0EPiSB_N6thrust23THRUST_200600_302600_NS4plusIiEEEE10hipError_tPvRmT2_T3_mT4_P12ihipStream_tbEUlmE_iEESB_NS0_8identityIvEEEESG_SJ_SK_mSL_SN_bEUlT_E_NS1_11comp_targetILNS1_3genE3ELNS1_11target_archE908ELNS1_3gpuE7ELNS1_3repE0EEENS1_30default_config_static_selectorELNS0_4arch9wavefront6targetE1EEEvT1_.has_indirect_call, 0
	.section	.AMDGPU.csdata,"",@progbits
; Kernel info:
; codeLenInByte = 0
; TotalNumSgprs: 4
; NumVgprs: 0
; ScratchSize: 0
; MemoryBound: 0
; FloatMode: 240
; IeeeMode: 1
; LDSByteSize: 0 bytes/workgroup (compile time only)
; SGPRBlocks: 0
; VGPRBlocks: 0
; NumSGPRsForWavesPerEU: 4
; NumVGPRsForWavesPerEU: 1
; Occupancy: 10
; WaveLimiterHint : 0
; COMPUTE_PGM_RSRC2:SCRATCH_EN: 0
; COMPUTE_PGM_RSRC2:USER_SGPR: 6
; COMPUTE_PGM_RSRC2:TRAP_HANDLER: 0
; COMPUTE_PGM_RSRC2:TGID_X_EN: 1
; COMPUTE_PGM_RSRC2:TGID_Y_EN: 0
; COMPUTE_PGM_RSRC2:TGID_Z_EN: 0
; COMPUTE_PGM_RSRC2:TIDIG_COMP_CNT: 0
	.section	.text._ZN7rocprim17ROCPRIM_400000_NS6detail17trampoline_kernelINS0_14default_configENS1_25transform_config_selectorIiLb0EEEZNS1_14transform_implILb0ES3_S5_NS0_18transform_iteratorINS0_17counting_iteratorImlEEZNS1_24adjacent_difference_implIS3_Lb1ELb0EPiSB_N6thrust23THRUST_200600_302600_NS4plusIiEEEE10hipError_tPvRmT2_T3_mT4_P12ihipStream_tbEUlmE_iEESB_NS0_8identityIvEEEESG_SJ_SK_mSL_SN_bEUlT_E_NS1_11comp_targetILNS1_3genE2ELNS1_11target_archE906ELNS1_3gpuE6ELNS1_3repE0EEENS1_30default_config_static_selectorELNS0_4arch9wavefront6targetE1EEEvT1_,"axG",@progbits,_ZN7rocprim17ROCPRIM_400000_NS6detail17trampoline_kernelINS0_14default_configENS1_25transform_config_selectorIiLb0EEEZNS1_14transform_implILb0ES3_S5_NS0_18transform_iteratorINS0_17counting_iteratorImlEEZNS1_24adjacent_difference_implIS3_Lb1ELb0EPiSB_N6thrust23THRUST_200600_302600_NS4plusIiEEEE10hipError_tPvRmT2_T3_mT4_P12ihipStream_tbEUlmE_iEESB_NS0_8identityIvEEEESG_SJ_SK_mSL_SN_bEUlT_E_NS1_11comp_targetILNS1_3genE2ELNS1_11target_archE906ELNS1_3gpuE6ELNS1_3repE0EEENS1_30default_config_static_selectorELNS0_4arch9wavefront6targetE1EEEvT1_,comdat
	.protected	_ZN7rocprim17ROCPRIM_400000_NS6detail17trampoline_kernelINS0_14default_configENS1_25transform_config_selectorIiLb0EEEZNS1_14transform_implILb0ES3_S5_NS0_18transform_iteratorINS0_17counting_iteratorImlEEZNS1_24adjacent_difference_implIS3_Lb1ELb0EPiSB_N6thrust23THRUST_200600_302600_NS4plusIiEEEE10hipError_tPvRmT2_T3_mT4_P12ihipStream_tbEUlmE_iEESB_NS0_8identityIvEEEESG_SJ_SK_mSL_SN_bEUlT_E_NS1_11comp_targetILNS1_3genE2ELNS1_11target_archE906ELNS1_3gpuE6ELNS1_3repE0EEENS1_30default_config_static_selectorELNS0_4arch9wavefront6targetE1EEEvT1_ ; -- Begin function _ZN7rocprim17ROCPRIM_400000_NS6detail17trampoline_kernelINS0_14default_configENS1_25transform_config_selectorIiLb0EEEZNS1_14transform_implILb0ES3_S5_NS0_18transform_iteratorINS0_17counting_iteratorImlEEZNS1_24adjacent_difference_implIS3_Lb1ELb0EPiSB_N6thrust23THRUST_200600_302600_NS4plusIiEEEE10hipError_tPvRmT2_T3_mT4_P12ihipStream_tbEUlmE_iEESB_NS0_8identityIvEEEESG_SJ_SK_mSL_SN_bEUlT_E_NS1_11comp_targetILNS1_3genE2ELNS1_11target_archE906ELNS1_3gpuE6ELNS1_3repE0EEENS1_30default_config_static_selectorELNS0_4arch9wavefront6targetE1EEEvT1_
	.globl	_ZN7rocprim17ROCPRIM_400000_NS6detail17trampoline_kernelINS0_14default_configENS1_25transform_config_selectorIiLb0EEEZNS1_14transform_implILb0ES3_S5_NS0_18transform_iteratorINS0_17counting_iteratorImlEEZNS1_24adjacent_difference_implIS3_Lb1ELb0EPiSB_N6thrust23THRUST_200600_302600_NS4plusIiEEEE10hipError_tPvRmT2_T3_mT4_P12ihipStream_tbEUlmE_iEESB_NS0_8identityIvEEEESG_SJ_SK_mSL_SN_bEUlT_E_NS1_11comp_targetILNS1_3genE2ELNS1_11target_archE906ELNS1_3gpuE6ELNS1_3repE0EEENS1_30default_config_static_selectorELNS0_4arch9wavefront6targetE1EEEvT1_
	.p2align	8
	.type	_ZN7rocprim17ROCPRIM_400000_NS6detail17trampoline_kernelINS0_14default_configENS1_25transform_config_selectorIiLb0EEEZNS1_14transform_implILb0ES3_S5_NS0_18transform_iteratorINS0_17counting_iteratorImlEEZNS1_24adjacent_difference_implIS3_Lb1ELb0EPiSB_N6thrust23THRUST_200600_302600_NS4plusIiEEEE10hipError_tPvRmT2_T3_mT4_P12ihipStream_tbEUlmE_iEESB_NS0_8identityIvEEEESG_SJ_SK_mSL_SN_bEUlT_E_NS1_11comp_targetILNS1_3genE2ELNS1_11target_archE906ELNS1_3gpuE6ELNS1_3repE0EEENS1_30default_config_static_selectorELNS0_4arch9wavefront6targetE1EEEvT1_,@function
_ZN7rocprim17ROCPRIM_400000_NS6detail17trampoline_kernelINS0_14default_configENS1_25transform_config_selectorIiLb0EEEZNS1_14transform_implILb0ES3_S5_NS0_18transform_iteratorINS0_17counting_iteratorImlEEZNS1_24adjacent_difference_implIS3_Lb1ELb0EPiSB_N6thrust23THRUST_200600_302600_NS4plusIiEEEE10hipError_tPvRmT2_T3_mT4_P12ihipStream_tbEUlmE_iEESB_NS0_8identityIvEEEESG_SJ_SK_mSL_SN_bEUlT_E_NS1_11comp_targetILNS1_3genE2ELNS1_11target_archE906ELNS1_3gpuE6ELNS1_3repE0EEENS1_30default_config_static_selectorELNS0_4arch9wavefront6targetE1EEEvT1_: ; @_ZN7rocprim17ROCPRIM_400000_NS6detail17trampoline_kernelINS0_14default_configENS1_25transform_config_selectorIiLb0EEEZNS1_14transform_implILb0ES3_S5_NS0_18transform_iteratorINS0_17counting_iteratorImlEEZNS1_24adjacent_difference_implIS3_Lb1ELb0EPiSB_N6thrust23THRUST_200600_302600_NS4plusIiEEEE10hipError_tPvRmT2_T3_mT4_P12ihipStream_tbEUlmE_iEESB_NS0_8identityIvEEEESG_SJ_SK_mSL_SN_bEUlT_E_NS1_11comp_targetILNS1_3genE2ELNS1_11target_archE906ELNS1_3gpuE6ELNS1_3repE0EEENS1_30default_config_static_selectorELNS0_4arch9wavefront6targetE1EEEvT1_
; %bb.0:
	s_load_dwordx4 s[0:3], s[4:5], 0x18
	s_load_dwordx2 s[14:15], s[4:5], 0x28
	s_load_dwordx4 s[8:11], s[4:5], 0x0
	s_load_dword s12, s[4:5], 0x10
	s_waitcnt lgkmcnt(0)
	s_load_dword s3, s[4:5], 0x38
                                        ; kill: killed $sgpr4_sgpr5
	s_lshl_b64 s[4:5], s[0:1], 2
	s_add_u32 s14, s14, s4
	s_addc_u32 s15, s15, s5
	s_lshl_b32 s4, s6, 11
	s_waitcnt lgkmcnt(0)
	s_add_i32 s3, s3, -1
	s_add_u32 s7, s8, s4
	s_addc_u32 s8, s9, 0
	s_add_u32 s16, s7, s0
	s_addc_u32 s17, s8, s1
	s_mov_b32 s5, 0
	s_cmp_lg_u32 s6, s3
	v_lshlrev_b32_e32 v5, 2, v0
	s_cbranch_scc0 .LBB344_2
; %bb.1:
	v_mov_b32_e32 v1, s17
	v_add_co_u32_e32 v2, vcc, s16, v0
	v_addc_co_u32_e32 v3, vcc, 0, v1, vcc
	v_mad_u64_u32 v[1:2], s[0:1], v2, s12, 0
	s_mov_b32 s13, s5
	s_lshl_b64 s[6:7], s[4:5], 2
	v_mad_u64_u32 v[2:3], s[0:1], v3, s12, v[2:3]
	v_mov_b32_e32 v3, s11
	s_lshl_b64 s[0:1], s[12:13], 12
	v_lshlrev_b64 v[1:2], 2, v[1:2]
	s_add_u32 s6, s14, s6
	v_add_co_u32_e32 v1, vcc, s10, v1
	v_addc_co_u32_e32 v2, vcc, v3, v2, vcc
	global_load_dword v6, v[1:2], off
	v_mov_b32_e32 v3, s1
	v_add_co_u32_e32 v1, vcc, s0, v1
	v_addc_co_u32_e32 v2, vcc, v2, v3, vcc
	global_load_dword v1, v[1:2], off
	s_addc_u32 s7, s15, s7
	v_mov_b32_e32 v2, s7
	v_add_co_u32_e32 v3, vcc, s6, v5
	v_addc_co_u32_e32 v4, vcc, 0, v2, vcc
	s_waitcnt vmcnt(1)
	global_store_dword v5, v6, s[6:7]
	s_mov_b64 s[6:7], -1
	s_cbranch_execz .LBB344_3
	s_branch .LBB344_12
.LBB344_2:
	s_mov_b64 s[6:7], 0
                                        ; implicit-def: $vgpr1
                                        ; implicit-def: $vgpr3_vgpr4
.LBB344_3:
	s_sub_i32 s8, s2, s4
	s_waitcnt vmcnt(1)
	v_mov_b32_e32 v1, 0
	v_cmp_gt_u32_e32 vcc, s8, v0
	v_mov_b32_e32 v2, v1
	s_and_saveexec_b64 s[2:3], vcc
	s_cbranch_execz .LBB344_5
; %bb.4:
	v_mov_b32_e32 v2, s17
	v_add_co_u32_e64 v3, s[0:1], s16, v0
	v_addc_co_u32_e64 v4, s[0:1], 0, v2, s[0:1]
	v_mad_u64_u32 v[2:3], s[0:1], v3, s12, 0
	v_mad_u64_u32 v[3:4], s[0:1], v4, s12, v[3:4]
	v_mov_b32_e32 v4, s11
	v_lshlrev_b64 v[2:3], 2, v[2:3]
	v_add_co_u32_e64 v2, s[0:1], s10, v2
	v_addc_co_u32_e64 v3, s[0:1], v4, v3, s[0:1]
	global_load_dword v2, v[2:3], off
	v_mov_b32_e32 v3, v1
	s_waitcnt vmcnt(0)
	v_mov_b32_e32 v1, v2
	v_mov_b32_e32 v2, v3
.LBB344_5:
	s_or_b64 exec, exec, s[2:3]
	v_or_b32_e32 v0, 0x400, v0
	v_cmp_gt_u32_e64 s[0:1], s8, v0
	s_and_saveexec_b64 s[8:9], s[0:1]
	s_cbranch_execz .LBB344_7
; %bb.6:
	v_mov_b32_e32 v2, s17
	v_add_co_u32_e64 v0, s[2:3], s16, v0
	v_addc_co_u32_e64 v4, s[2:3], 0, v2, s[2:3]
	v_mad_u64_u32 v[2:3], s[2:3], v0, s12, 0
	v_mov_b32_e32 v0, v3
	v_mad_u64_u32 v[3:4], s[2:3], v4, s12, v[0:1]
	v_mov_b32_e32 v0, s11
	v_lshlrev_b64 v[2:3], 2, v[2:3]
	v_add_co_u32_e64 v2, s[2:3], s10, v2
	v_addc_co_u32_e64 v3, s[2:3], v0, v3, s[2:3]
	global_load_dword v2, v[2:3], off
.LBB344_7:
	s_or_b64 exec, exec, s[8:9]
	s_lshl_b64 s[2:3], s[4:5], 2
	s_add_u32 s2, s14, s2
	s_addc_u32 s3, s15, s3
	v_cndmask_b32_e32 v0, 0, v1, vcc
	v_mov_b32_e32 v1, s3
	v_add_co_u32_e64 v3, s[2:3], s2, v5
	v_addc_co_u32_e64 v4, s[2:3], 0, v1, s[2:3]
	s_and_saveexec_b64 s[2:3], vcc
	s_cbranch_execz .LBB344_9
; %bb.8:
	global_store_dword v[3:4], v0, off
.LBB344_9:
	s_or_b64 exec, exec, s[2:3]
                                        ; implicit-def: $vgpr1
	s_and_saveexec_b64 s[2:3], s[0:1]
	s_cbranch_execz .LBB344_11
; %bb.10:
	s_waitcnt vmcnt(0)
	v_cndmask_b32_e64 v1, 0, v2, s[0:1]
	s_or_b64 s[6:7], s[6:7], exec
.LBB344_11:
	s_or_b64 exec, exec, s[2:3]
.LBB344_12:
	s_and_saveexec_b64 s[0:1], s[6:7]
	s_cbranch_execnz .LBB344_14
; %bb.13:
	s_endpgm
.LBB344_14:
	s_waitcnt vmcnt(0)
	v_add_co_u32_e32 v2, vcc, 0x1000, v3
	v_addc_co_u32_e32 v3, vcc, 0, v4, vcc
	global_store_dword v[2:3], v1, off
	s_endpgm
	.section	.rodata,"a",@progbits
	.p2align	6, 0x0
	.amdhsa_kernel _ZN7rocprim17ROCPRIM_400000_NS6detail17trampoline_kernelINS0_14default_configENS1_25transform_config_selectorIiLb0EEEZNS1_14transform_implILb0ES3_S5_NS0_18transform_iteratorINS0_17counting_iteratorImlEEZNS1_24adjacent_difference_implIS3_Lb1ELb0EPiSB_N6thrust23THRUST_200600_302600_NS4plusIiEEEE10hipError_tPvRmT2_T3_mT4_P12ihipStream_tbEUlmE_iEESB_NS0_8identityIvEEEESG_SJ_SK_mSL_SN_bEUlT_E_NS1_11comp_targetILNS1_3genE2ELNS1_11target_archE906ELNS1_3gpuE6ELNS1_3repE0EEENS1_30default_config_static_selectorELNS0_4arch9wavefront6targetE1EEEvT1_
		.amdhsa_group_segment_fixed_size 0
		.amdhsa_private_segment_fixed_size 0
		.amdhsa_kernarg_size 312
		.amdhsa_user_sgpr_count 6
		.amdhsa_user_sgpr_private_segment_buffer 1
		.amdhsa_user_sgpr_dispatch_ptr 0
		.amdhsa_user_sgpr_queue_ptr 0
		.amdhsa_user_sgpr_kernarg_segment_ptr 1
		.amdhsa_user_sgpr_dispatch_id 0
		.amdhsa_user_sgpr_flat_scratch_init 0
		.amdhsa_user_sgpr_private_segment_size 0
		.amdhsa_uses_dynamic_stack 0
		.amdhsa_system_sgpr_private_segment_wavefront_offset 0
		.amdhsa_system_sgpr_workgroup_id_x 1
		.amdhsa_system_sgpr_workgroup_id_y 0
		.amdhsa_system_sgpr_workgroup_id_z 0
		.amdhsa_system_sgpr_workgroup_info 0
		.amdhsa_system_vgpr_workitem_id 0
		.amdhsa_next_free_vgpr 7
		.amdhsa_next_free_sgpr 18
		.amdhsa_reserve_vcc 1
		.amdhsa_reserve_flat_scratch 0
		.amdhsa_float_round_mode_32 0
		.amdhsa_float_round_mode_16_64 0
		.amdhsa_float_denorm_mode_32 3
		.amdhsa_float_denorm_mode_16_64 3
		.amdhsa_dx10_clamp 1
		.amdhsa_ieee_mode 1
		.amdhsa_fp16_overflow 0
		.amdhsa_exception_fp_ieee_invalid_op 0
		.amdhsa_exception_fp_denorm_src 0
		.amdhsa_exception_fp_ieee_div_zero 0
		.amdhsa_exception_fp_ieee_overflow 0
		.amdhsa_exception_fp_ieee_underflow 0
		.amdhsa_exception_fp_ieee_inexact 0
		.amdhsa_exception_int_div_zero 0
	.end_amdhsa_kernel
	.section	.text._ZN7rocprim17ROCPRIM_400000_NS6detail17trampoline_kernelINS0_14default_configENS1_25transform_config_selectorIiLb0EEEZNS1_14transform_implILb0ES3_S5_NS0_18transform_iteratorINS0_17counting_iteratorImlEEZNS1_24adjacent_difference_implIS3_Lb1ELb0EPiSB_N6thrust23THRUST_200600_302600_NS4plusIiEEEE10hipError_tPvRmT2_T3_mT4_P12ihipStream_tbEUlmE_iEESB_NS0_8identityIvEEEESG_SJ_SK_mSL_SN_bEUlT_E_NS1_11comp_targetILNS1_3genE2ELNS1_11target_archE906ELNS1_3gpuE6ELNS1_3repE0EEENS1_30default_config_static_selectorELNS0_4arch9wavefront6targetE1EEEvT1_,"axG",@progbits,_ZN7rocprim17ROCPRIM_400000_NS6detail17trampoline_kernelINS0_14default_configENS1_25transform_config_selectorIiLb0EEEZNS1_14transform_implILb0ES3_S5_NS0_18transform_iteratorINS0_17counting_iteratorImlEEZNS1_24adjacent_difference_implIS3_Lb1ELb0EPiSB_N6thrust23THRUST_200600_302600_NS4plusIiEEEE10hipError_tPvRmT2_T3_mT4_P12ihipStream_tbEUlmE_iEESB_NS0_8identityIvEEEESG_SJ_SK_mSL_SN_bEUlT_E_NS1_11comp_targetILNS1_3genE2ELNS1_11target_archE906ELNS1_3gpuE6ELNS1_3repE0EEENS1_30default_config_static_selectorELNS0_4arch9wavefront6targetE1EEEvT1_,comdat
.Lfunc_end344:
	.size	_ZN7rocprim17ROCPRIM_400000_NS6detail17trampoline_kernelINS0_14default_configENS1_25transform_config_selectorIiLb0EEEZNS1_14transform_implILb0ES3_S5_NS0_18transform_iteratorINS0_17counting_iteratorImlEEZNS1_24adjacent_difference_implIS3_Lb1ELb0EPiSB_N6thrust23THRUST_200600_302600_NS4plusIiEEEE10hipError_tPvRmT2_T3_mT4_P12ihipStream_tbEUlmE_iEESB_NS0_8identityIvEEEESG_SJ_SK_mSL_SN_bEUlT_E_NS1_11comp_targetILNS1_3genE2ELNS1_11target_archE906ELNS1_3gpuE6ELNS1_3repE0EEENS1_30default_config_static_selectorELNS0_4arch9wavefront6targetE1EEEvT1_, .Lfunc_end344-_ZN7rocprim17ROCPRIM_400000_NS6detail17trampoline_kernelINS0_14default_configENS1_25transform_config_selectorIiLb0EEEZNS1_14transform_implILb0ES3_S5_NS0_18transform_iteratorINS0_17counting_iteratorImlEEZNS1_24adjacent_difference_implIS3_Lb1ELb0EPiSB_N6thrust23THRUST_200600_302600_NS4plusIiEEEE10hipError_tPvRmT2_T3_mT4_P12ihipStream_tbEUlmE_iEESB_NS0_8identityIvEEEESG_SJ_SK_mSL_SN_bEUlT_E_NS1_11comp_targetILNS1_3genE2ELNS1_11target_archE906ELNS1_3gpuE6ELNS1_3repE0EEENS1_30default_config_static_selectorELNS0_4arch9wavefront6targetE1EEEvT1_
                                        ; -- End function
	.set _ZN7rocprim17ROCPRIM_400000_NS6detail17trampoline_kernelINS0_14default_configENS1_25transform_config_selectorIiLb0EEEZNS1_14transform_implILb0ES3_S5_NS0_18transform_iteratorINS0_17counting_iteratorImlEEZNS1_24adjacent_difference_implIS3_Lb1ELb0EPiSB_N6thrust23THRUST_200600_302600_NS4plusIiEEEE10hipError_tPvRmT2_T3_mT4_P12ihipStream_tbEUlmE_iEESB_NS0_8identityIvEEEESG_SJ_SK_mSL_SN_bEUlT_E_NS1_11comp_targetILNS1_3genE2ELNS1_11target_archE906ELNS1_3gpuE6ELNS1_3repE0EEENS1_30default_config_static_selectorELNS0_4arch9wavefront6targetE1EEEvT1_.num_vgpr, 7
	.set _ZN7rocprim17ROCPRIM_400000_NS6detail17trampoline_kernelINS0_14default_configENS1_25transform_config_selectorIiLb0EEEZNS1_14transform_implILb0ES3_S5_NS0_18transform_iteratorINS0_17counting_iteratorImlEEZNS1_24adjacent_difference_implIS3_Lb1ELb0EPiSB_N6thrust23THRUST_200600_302600_NS4plusIiEEEE10hipError_tPvRmT2_T3_mT4_P12ihipStream_tbEUlmE_iEESB_NS0_8identityIvEEEESG_SJ_SK_mSL_SN_bEUlT_E_NS1_11comp_targetILNS1_3genE2ELNS1_11target_archE906ELNS1_3gpuE6ELNS1_3repE0EEENS1_30default_config_static_selectorELNS0_4arch9wavefront6targetE1EEEvT1_.num_agpr, 0
	.set _ZN7rocprim17ROCPRIM_400000_NS6detail17trampoline_kernelINS0_14default_configENS1_25transform_config_selectorIiLb0EEEZNS1_14transform_implILb0ES3_S5_NS0_18transform_iteratorINS0_17counting_iteratorImlEEZNS1_24adjacent_difference_implIS3_Lb1ELb0EPiSB_N6thrust23THRUST_200600_302600_NS4plusIiEEEE10hipError_tPvRmT2_T3_mT4_P12ihipStream_tbEUlmE_iEESB_NS0_8identityIvEEEESG_SJ_SK_mSL_SN_bEUlT_E_NS1_11comp_targetILNS1_3genE2ELNS1_11target_archE906ELNS1_3gpuE6ELNS1_3repE0EEENS1_30default_config_static_selectorELNS0_4arch9wavefront6targetE1EEEvT1_.numbered_sgpr, 18
	.set _ZN7rocprim17ROCPRIM_400000_NS6detail17trampoline_kernelINS0_14default_configENS1_25transform_config_selectorIiLb0EEEZNS1_14transform_implILb0ES3_S5_NS0_18transform_iteratorINS0_17counting_iteratorImlEEZNS1_24adjacent_difference_implIS3_Lb1ELb0EPiSB_N6thrust23THRUST_200600_302600_NS4plusIiEEEE10hipError_tPvRmT2_T3_mT4_P12ihipStream_tbEUlmE_iEESB_NS0_8identityIvEEEESG_SJ_SK_mSL_SN_bEUlT_E_NS1_11comp_targetILNS1_3genE2ELNS1_11target_archE906ELNS1_3gpuE6ELNS1_3repE0EEENS1_30default_config_static_selectorELNS0_4arch9wavefront6targetE1EEEvT1_.num_named_barrier, 0
	.set _ZN7rocprim17ROCPRIM_400000_NS6detail17trampoline_kernelINS0_14default_configENS1_25transform_config_selectorIiLb0EEEZNS1_14transform_implILb0ES3_S5_NS0_18transform_iteratorINS0_17counting_iteratorImlEEZNS1_24adjacent_difference_implIS3_Lb1ELb0EPiSB_N6thrust23THRUST_200600_302600_NS4plusIiEEEE10hipError_tPvRmT2_T3_mT4_P12ihipStream_tbEUlmE_iEESB_NS0_8identityIvEEEESG_SJ_SK_mSL_SN_bEUlT_E_NS1_11comp_targetILNS1_3genE2ELNS1_11target_archE906ELNS1_3gpuE6ELNS1_3repE0EEENS1_30default_config_static_selectorELNS0_4arch9wavefront6targetE1EEEvT1_.private_seg_size, 0
	.set _ZN7rocprim17ROCPRIM_400000_NS6detail17trampoline_kernelINS0_14default_configENS1_25transform_config_selectorIiLb0EEEZNS1_14transform_implILb0ES3_S5_NS0_18transform_iteratorINS0_17counting_iteratorImlEEZNS1_24adjacent_difference_implIS3_Lb1ELb0EPiSB_N6thrust23THRUST_200600_302600_NS4plusIiEEEE10hipError_tPvRmT2_T3_mT4_P12ihipStream_tbEUlmE_iEESB_NS0_8identityIvEEEESG_SJ_SK_mSL_SN_bEUlT_E_NS1_11comp_targetILNS1_3genE2ELNS1_11target_archE906ELNS1_3gpuE6ELNS1_3repE0EEENS1_30default_config_static_selectorELNS0_4arch9wavefront6targetE1EEEvT1_.uses_vcc, 1
	.set _ZN7rocprim17ROCPRIM_400000_NS6detail17trampoline_kernelINS0_14default_configENS1_25transform_config_selectorIiLb0EEEZNS1_14transform_implILb0ES3_S5_NS0_18transform_iteratorINS0_17counting_iteratorImlEEZNS1_24adjacent_difference_implIS3_Lb1ELb0EPiSB_N6thrust23THRUST_200600_302600_NS4plusIiEEEE10hipError_tPvRmT2_T3_mT4_P12ihipStream_tbEUlmE_iEESB_NS0_8identityIvEEEESG_SJ_SK_mSL_SN_bEUlT_E_NS1_11comp_targetILNS1_3genE2ELNS1_11target_archE906ELNS1_3gpuE6ELNS1_3repE0EEENS1_30default_config_static_selectorELNS0_4arch9wavefront6targetE1EEEvT1_.uses_flat_scratch, 0
	.set _ZN7rocprim17ROCPRIM_400000_NS6detail17trampoline_kernelINS0_14default_configENS1_25transform_config_selectorIiLb0EEEZNS1_14transform_implILb0ES3_S5_NS0_18transform_iteratorINS0_17counting_iteratorImlEEZNS1_24adjacent_difference_implIS3_Lb1ELb0EPiSB_N6thrust23THRUST_200600_302600_NS4plusIiEEEE10hipError_tPvRmT2_T3_mT4_P12ihipStream_tbEUlmE_iEESB_NS0_8identityIvEEEESG_SJ_SK_mSL_SN_bEUlT_E_NS1_11comp_targetILNS1_3genE2ELNS1_11target_archE906ELNS1_3gpuE6ELNS1_3repE0EEENS1_30default_config_static_selectorELNS0_4arch9wavefront6targetE1EEEvT1_.has_dyn_sized_stack, 0
	.set _ZN7rocprim17ROCPRIM_400000_NS6detail17trampoline_kernelINS0_14default_configENS1_25transform_config_selectorIiLb0EEEZNS1_14transform_implILb0ES3_S5_NS0_18transform_iteratorINS0_17counting_iteratorImlEEZNS1_24adjacent_difference_implIS3_Lb1ELb0EPiSB_N6thrust23THRUST_200600_302600_NS4plusIiEEEE10hipError_tPvRmT2_T3_mT4_P12ihipStream_tbEUlmE_iEESB_NS0_8identityIvEEEESG_SJ_SK_mSL_SN_bEUlT_E_NS1_11comp_targetILNS1_3genE2ELNS1_11target_archE906ELNS1_3gpuE6ELNS1_3repE0EEENS1_30default_config_static_selectorELNS0_4arch9wavefront6targetE1EEEvT1_.has_recursion, 0
	.set _ZN7rocprim17ROCPRIM_400000_NS6detail17trampoline_kernelINS0_14default_configENS1_25transform_config_selectorIiLb0EEEZNS1_14transform_implILb0ES3_S5_NS0_18transform_iteratorINS0_17counting_iteratorImlEEZNS1_24adjacent_difference_implIS3_Lb1ELb0EPiSB_N6thrust23THRUST_200600_302600_NS4plusIiEEEE10hipError_tPvRmT2_T3_mT4_P12ihipStream_tbEUlmE_iEESB_NS0_8identityIvEEEESG_SJ_SK_mSL_SN_bEUlT_E_NS1_11comp_targetILNS1_3genE2ELNS1_11target_archE906ELNS1_3gpuE6ELNS1_3repE0EEENS1_30default_config_static_selectorELNS0_4arch9wavefront6targetE1EEEvT1_.has_indirect_call, 0
	.section	.AMDGPU.csdata,"",@progbits
; Kernel info:
; codeLenInByte = 584
; TotalNumSgprs: 22
; NumVgprs: 7
; ScratchSize: 0
; MemoryBound: 0
; FloatMode: 240
; IeeeMode: 1
; LDSByteSize: 0 bytes/workgroup (compile time only)
; SGPRBlocks: 2
; VGPRBlocks: 1
; NumSGPRsForWavesPerEU: 22
; NumVGPRsForWavesPerEU: 7
; Occupancy: 10
; WaveLimiterHint : 0
; COMPUTE_PGM_RSRC2:SCRATCH_EN: 0
; COMPUTE_PGM_RSRC2:USER_SGPR: 6
; COMPUTE_PGM_RSRC2:TRAP_HANDLER: 0
; COMPUTE_PGM_RSRC2:TGID_X_EN: 1
; COMPUTE_PGM_RSRC2:TGID_Y_EN: 0
; COMPUTE_PGM_RSRC2:TGID_Z_EN: 0
; COMPUTE_PGM_RSRC2:TIDIG_COMP_CNT: 0
	.section	.text._ZN7rocprim17ROCPRIM_400000_NS6detail17trampoline_kernelINS0_14default_configENS1_25transform_config_selectorIiLb0EEEZNS1_14transform_implILb0ES3_S5_NS0_18transform_iteratorINS0_17counting_iteratorImlEEZNS1_24adjacent_difference_implIS3_Lb1ELb0EPiSB_N6thrust23THRUST_200600_302600_NS4plusIiEEEE10hipError_tPvRmT2_T3_mT4_P12ihipStream_tbEUlmE_iEESB_NS0_8identityIvEEEESG_SJ_SK_mSL_SN_bEUlT_E_NS1_11comp_targetILNS1_3genE10ELNS1_11target_archE1201ELNS1_3gpuE5ELNS1_3repE0EEENS1_30default_config_static_selectorELNS0_4arch9wavefront6targetE1EEEvT1_,"axG",@progbits,_ZN7rocprim17ROCPRIM_400000_NS6detail17trampoline_kernelINS0_14default_configENS1_25transform_config_selectorIiLb0EEEZNS1_14transform_implILb0ES3_S5_NS0_18transform_iteratorINS0_17counting_iteratorImlEEZNS1_24adjacent_difference_implIS3_Lb1ELb0EPiSB_N6thrust23THRUST_200600_302600_NS4plusIiEEEE10hipError_tPvRmT2_T3_mT4_P12ihipStream_tbEUlmE_iEESB_NS0_8identityIvEEEESG_SJ_SK_mSL_SN_bEUlT_E_NS1_11comp_targetILNS1_3genE10ELNS1_11target_archE1201ELNS1_3gpuE5ELNS1_3repE0EEENS1_30default_config_static_selectorELNS0_4arch9wavefront6targetE1EEEvT1_,comdat
	.protected	_ZN7rocprim17ROCPRIM_400000_NS6detail17trampoline_kernelINS0_14default_configENS1_25transform_config_selectorIiLb0EEEZNS1_14transform_implILb0ES3_S5_NS0_18transform_iteratorINS0_17counting_iteratorImlEEZNS1_24adjacent_difference_implIS3_Lb1ELb0EPiSB_N6thrust23THRUST_200600_302600_NS4plusIiEEEE10hipError_tPvRmT2_T3_mT4_P12ihipStream_tbEUlmE_iEESB_NS0_8identityIvEEEESG_SJ_SK_mSL_SN_bEUlT_E_NS1_11comp_targetILNS1_3genE10ELNS1_11target_archE1201ELNS1_3gpuE5ELNS1_3repE0EEENS1_30default_config_static_selectorELNS0_4arch9wavefront6targetE1EEEvT1_ ; -- Begin function _ZN7rocprim17ROCPRIM_400000_NS6detail17trampoline_kernelINS0_14default_configENS1_25transform_config_selectorIiLb0EEEZNS1_14transform_implILb0ES3_S5_NS0_18transform_iteratorINS0_17counting_iteratorImlEEZNS1_24adjacent_difference_implIS3_Lb1ELb0EPiSB_N6thrust23THRUST_200600_302600_NS4plusIiEEEE10hipError_tPvRmT2_T3_mT4_P12ihipStream_tbEUlmE_iEESB_NS0_8identityIvEEEESG_SJ_SK_mSL_SN_bEUlT_E_NS1_11comp_targetILNS1_3genE10ELNS1_11target_archE1201ELNS1_3gpuE5ELNS1_3repE0EEENS1_30default_config_static_selectorELNS0_4arch9wavefront6targetE1EEEvT1_
	.globl	_ZN7rocprim17ROCPRIM_400000_NS6detail17trampoline_kernelINS0_14default_configENS1_25transform_config_selectorIiLb0EEEZNS1_14transform_implILb0ES3_S5_NS0_18transform_iteratorINS0_17counting_iteratorImlEEZNS1_24adjacent_difference_implIS3_Lb1ELb0EPiSB_N6thrust23THRUST_200600_302600_NS4plusIiEEEE10hipError_tPvRmT2_T3_mT4_P12ihipStream_tbEUlmE_iEESB_NS0_8identityIvEEEESG_SJ_SK_mSL_SN_bEUlT_E_NS1_11comp_targetILNS1_3genE10ELNS1_11target_archE1201ELNS1_3gpuE5ELNS1_3repE0EEENS1_30default_config_static_selectorELNS0_4arch9wavefront6targetE1EEEvT1_
	.p2align	8
	.type	_ZN7rocprim17ROCPRIM_400000_NS6detail17trampoline_kernelINS0_14default_configENS1_25transform_config_selectorIiLb0EEEZNS1_14transform_implILb0ES3_S5_NS0_18transform_iteratorINS0_17counting_iteratorImlEEZNS1_24adjacent_difference_implIS3_Lb1ELb0EPiSB_N6thrust23THRUST_200600_302600_NS4plusIiEEEE10hipError_tPvRmT2_T3_mT4_P12ihipStream_tbEUlmE_iEESB_NS0_8identityIvEEEESG_SJ_SK_mSL_SN_bEUlT_E_NS1_11comp_targetILNS1_3genE10ELNS1_11target_archE1201ELNS1_3gpuE5ELNS1_3repE0EEENS1_30default_config_static_selectorELNS0_4arch9wavefront6targetE1EEEvT1_,@function
_ZN7rocprim17ROCPRIM_400000_NS6detail17trampoline_kernelINS0_14default_configENS1_25transform_config_selectorIiLb0EEEZNS1_14transform_implILb0ES3_S5_NS0_18transform_iteratorINS0_17counting_iteratorImlEEZNS1_24adjacent_difference_implIS3_Lb1ELb0EPiSB_N6thrust23THRUST_200600_302600_NS4plusIiEEEE10hipError_tPvRmT2_T3_mT4_P12ihipStream_tbEUlmE_iEESB_NS0_8identityIvEEEESG_SJ_SK_mSL_SN_bEUlT_E_NS1_11comp_targetILNS1_3genE10ELNS1_11target_archE1201ELNS1_3gpuE5ELNS1_3repE0EEENS1_30default_config_static_selectorELNS0_4arch9wavefront6targetE1EEEvT1_: ; @_ZN7rocprim17ROCPRIM_400000_NS6detail17trampoline_kernelINS0_14default_configENS1_25transform_config_selectorIiLb0EEEZNS1_14transform_implILb0ES3_S5_NS0_18transform_iteratorINS0_17counting_iteratorImlEEZNS1_24adjacent_difference_implIS3_Lb1ELb0EPiSB_N6thrust23THRUST_200600_302600_NS4plusIiEEEE10hipError_tPvRmT2_T3_mT4_P12ihipStream_tbEUlmE_iEESB_NS0_8identityIvEEEESG_SJ_SK_mSL_SN_bEUlT_E_NS1_11comp_targetILNS1_3genE10ELNS1_11target_archE1201ELNS1_3gpuE5ELNS1_3repE0EEENS1_30default_config_static_selectorELNS0_4arch9wavefront6targetE1EEEvT1_
; %bb.0:
	.section	.rodata,"a",@progbits
	.p2align	6, 0x0
	.amdhsa_kernel _ZN7rocprim17ROCPRIM_400000_NS6detail17trampoline_kernelINS0_14default_configENS1_25transform_config_selectorIiLb0EEEZNS1_14transform_implILb0ES3_S5_NS0_18transform_iteratorINS0_17counting_iteratorImlEEZNS1_24adjacent_difference_implIS3_Lb1ELb0EPiSB_N6thrust23THRUST_200600_302600_NS4plusIiEEEE10hipError_tPvRmT2_T3_mT4_P12ihipStream_tbEUlmE_iEESB_NS0_8identityIvEEEESG_SJ_SK_mSL_SN_bEUlT_E_NS1_11comp_targetILNS1_3genE10ELNS1_11target_archE1201ELNS1_3gpuE5ELNS1_3repE0EEENS1_30default_config_static_selectorELNS0_4arch9wavefront6targetE1EEEvT1_
		.amdhsa_group_segment_fixed_size 0
		.amdhsa_private_segment_fixed_size 0
		.amdhsa_kernarg_size 56
		.amdhsa_user_sgpr_count 6
		.amdhsa_user_sgpr_private_segment_buffer 1
		.amdhsa_user_sgpr_dispatch_ptr 0
		.amdhsa_user_sgpr_queue_ptr 0
		.amdhsa_user_sgpr_kernarg_segment_ptr 1
		.amdhsa_user_sgpr_dispatch_id 0
		.amdhsa_user_sgpr_flat_scratch_init 0
		.amdhsa_user_sgpr_private_segment_size 0
		.amdhsa_uses_dynamic_stack 0
		.amdhsa_system_sgpr_private_segment_wavefront_offset 0
		.amdhsa_system_sgpr_workgroup_id_x 1
		.amdhsa_system_sgpr_workgroup_id_y 0
		.amdhsa_system_sgpr_workgroup_id_z 0
		.amdhsa_system_sgpr_workgroup_info 0
		.amdhsa_system_vgpr_workitem_id 0
		.amdhsa_next_free_vgpr 1
		.amdhsa_next_free_sgpr 0
		.amdhsa_reserve_vcc 0
		.amdhsa_reserve_flat_scratch 0
		.amdhsa_float_round_mode_32 0
		.amdhsa_float_round_mode_16_64 0
		.amdhsa_float_denorm_mode_32 3
		.amdhsa_float_denorm_mode_16_64 3
		.amdhsa_dx10_clamp 1
		.amdhsa_ieee_mode 1
		.amdhsa_fp16_overflow 0
		.amdhsa_exception_fp_ieee_invalid_op 0
		.amdhsa_exception_fp_denorm_src 0
		.amdhsa_exception_fp_ieee_div_zero 0
		.amdhsa_exception_fp_ieee_overflow 0
		.amdhsa_exception_fp_ieee_underflow 0
		.amdhsa_exception_fp_ieee_inexact 0
		.amdhsa_exception_int_div_zero 0
	.end_amdhsa_kernel
	.section	.text._ZN7rocprim17ROCPRIM_400000_NS6detail17trampoline_kernelINS0_14default_configENS1_25transform_config_selectorIiLb0EEEZNS1_14transform_implILb0ES3_S5_NS0_18transform_iteratorINS0_17counting_iteratorImlEEZNS1_24adjacent_difference_implIS3_Lb1ELb0EPiSB_N6thrust23THRUST_200600_302600_NS4plusIiEEEE10hipError_tPvRmT2_T3_mT4_P12ihipStream_tbEUlmE_iEESB_NS0_8identityIvEEEESG_SJ_SK_mSL_SN_bEUlT_E_NS1_11comp_targetILNS1_3genE10ELNS1_11target_archE1201ELNS1_3gpuE5ELNS1_3repE0EEENS1_30default_config_static_selectorELNS0_4arch9wavefront6targetE1EEEvT1_,"axG",@progbits,_ZN7rocprim17ROCPRIM_400000_NS6detail17trampoline_kernelINS0_14default_configENS1_25transform_config_selectorIiLb0EEEZNS1_14transform_implILb0ES3_S5_NS0_18transform_iteratorINS0_17counting_iteratorImlEEZNS1_24adjacent_difference_implIS3_Lb1ELb0EPiSB_N6thrust23THRUST_200600_302600_NS4plusIiEEEE10hipError_tPvRmT2_T3_mT4_P12ihipStream_tbEUlmE_iEESB_NS0_8identityIvEEEESG_SJ_SK_mSL_SN_bEUlT_E_NS1_11comp_targetILNS1_3genE10ELNS1_11target_archE1201ELNS1_3gpuE5ELNS1_3repE0EEENS1_30default_config_static_selectorELNS0_4arch9wavefront6targetE1EEEvT1_,comdat
.Lfunc_end345:
	.size	_ZN7rocprim17ROCPRIM_400000_NS6detail17trampoline_kernelINS0_14default_configENS1_25transform_config_selectorIiLb0EEEZNS1_14transform_implILb0ES3_S5_NS0_18transform_iteratorINS0_17counting_iteratorImlEEZNS1_24adjacent_difference_implIS3_Lb1ELb0EPiSB_N6thrust23THRUST_200600_302600_NS4plusIiEEEE10hipError_tPvRmT2_T3_mT4_P12ihipStream_tbEUlmE_iEESB_NS0_8identityIvEEEESG_SJ_SK_mSL_SN_bEUlT_E_NS1_11comp_targetILNS1_3genE10ELNS1_11target_archE1201ELNS1_3gpuE5ELNS1_3repE0EEENS1_30default_config_static_selectorELNS0_4arch9wavefront6targetE1EEEvT1_, .Lfunc_end345-_ZN7rocprim17ROCPRIM_400000_NS6detail17trampoline_kernelINS0_14default_configENS1_25transform_config_selectorIiLb0EEEZNS1_14transform_implILb0ES3_S5_NS0_18transform_iteratorINS0_17counting_iteratorImlEEZNS1_24adjacent_difference_implIS3_Lb1ELb0EPiSB_N6thrust23THRUST_200600_302600_NS4plusIiEEEE10hipError_tPvRmT2_T3_mT4_P12ihipStream_tbEUlmE_iEESB_NS0_8identityIvEEEESG_SJ_SK_mSL_SN_bEUlT_E_NS1_11comp_targetILNS1_3genE10ELNS1_11target_archE1201ELNS1_3gpuE5ELNS1_3repE0EEENS1_30default_config_static_selectorELNS0_4arch9wavefront6targetE1EEEvT1_
                                        ; -- End function
	.set _ZN7rocprim17ROCPRIM_400000_NS6detail17trampoline_kernelINS0_14default_configENS1_25transform_config_selectorIiLb0EEEZNS1_14transform_implILb0ES3_S5_NS0_18transform_iteratorINS0_17counting_iteratorImlEEZNS1_24adjacent_difference_implIS3_Lb1ELb0EPiSB_N6thrust23THRUST_200600_302600_NS4plusIiEEEE10hipError_tPvRmT2_T3_mT4_P12ihipStream_tbEUlmE_iEESB_NS0_8identityIvEEEESG_SJ_SK_mSL_SN_bEUlT_E_NS1_11comp_targetILNS1_3genE10ELNS1_11target_archE1201ELNS1_3gpuE5ELNS1_3repE0EEENS1_30default_config_static_selectorELNS0_4arch9wavefront6targetE1EEEvT1_.num_vgpr, 0
	.set _ZN7rocprim17ROCPRIM_400000_NS6detail17trampoline_kernelINS0_14default_configENS1_25transform_config_selectorIiLb0EEEZNS1_14transform_implILb0ES3_S5_NS0_18transform_iteratorINS0_17counting_iteratorImlEEZNS1_24adjacent_difference_implIS3_Lb1ELb0EPiSB_N6thrust23THRUST_200600_302600_NS4plusIiEEEE10hipError_tPvRmT2_T3_mT4_P12ihipStream_tbEUlmE_iEESB_NS0_8identityIvEEEESG_SJ_SK_mSL_SN_bEUlT_E_NS1_11comp_targetILNS1_3genE10ELNS1_11target_archE1201ELNS1_3gpuE5ELNS1_3repE0EEENS1_30default_config_static_selectorELNS0_4arch9wavefront6targetE1EEEvT1_.num_agpr, 0
	.set _ZN7rocprim17ROCPRIM_400000_NS6detail17trampoline_kernelINS0_14default_configENS1_25transform_config_selectorIiLb0EEEZNS1_14transform_implILb0ES3_S5_NS0_18transform_iteratorINS0_17counting_iteratorImlEEZNS1_24adjacent_difference_implIS3_Lb1ELb0EPiSB_N6thrust23THRUST_200600_302600_NS4plusIiEEEE10hipError_tPvRmT2_T3_mT4_P12ihipStream_tbEUlmE_iEESB_NS0_8identityIvEEEESG_SJ_SK_mSL_SN_bEUlT_E_NS1_11comp_targetILNS1_3genE10ELNS1_11target_archE1201ELNS1_3gpuE5ELNS1_3repE0EEENS1_30default_config_static_selectorELNS0_4arch9wavefront6targetE1EEEvT1_.numbered_sgpr, 0
	.set _ZN7rocprim17ROCPRIM_400000_NS6detail17trampoline_kernelINS0_14default_configENS1_25transform_config_selectorIiLb0EEEZNS1_14transform_implILb0ES3_S5_NS0_18transform_iteratorINS0_17counting_iteratorImlEEZNS1_24adjacent_difference_implIS3_Lb1ELb0EPiSB_N6thrust23THRUST_200600_302600_NS4plusIiEEEE10hipError_tPvRmT2_T3_mT4_P12ihipStream_tbEUlmE_iEESB_NS0_8identityIvEEEESG_SJ_SK_mSL_SN_bEUlT_E_NS1_11comp_targetILNS1_3genE10ELNS1_11target_archE1201ELNS1_3gpuE5ELNS1_3repE0EEENS1_30default_config_static_selectorELNS0_4arch9wavefront6targetE1EEEvT1_.num_named_barrier, 0
	.set _ZN7rocprim17ROCPRIM_400000_NS6detail17trampoline_kernelINS0_14default_configENS1_25transform_config_selectorIiLb0EEEZNS1_14transform_implILb0ES3_S5_NS0_18transform_iteratorINS0_17counting_iteratorImlEEZNS1_24adjacent_difference_implIS3_Lb1ELb0EPiSB_N6thrust23THRUST_200600_302600_NS4plusIiEEEE10hipError_tPvRmT2_T3_mT4_P12ihipStream_tbEUlmE_iEESB_NS0_8identityIvEEEESG_SJ_SK_mSL_SN_bEUlT_E_NS1_11comp_targetILNS1_3genE10ELNS1_11target_archE1201ELNS1_3gpuE5ELNS1_3repE0EEENS1_30default_config_static_selectorELNS0_4arch9wavefront6targetE1EEEvT1_.private_seg_size, 0
	.set _ZN7rocprim17ROCPRIM_400000_NS6detail17trampoline_kernelINS0_14default_configENS1_25transform_config_selectorIiLb0EEEZNS1_14transform_implILb0ES3_S5_NS0_18transform_iteratorINS0_17counting_iteratorImlEEZNS1_24adjacent_difference_implIS3_Lb1ELb0EPiSB_N6thrust23THRUST_200600_302600_NS4plusIiEEEE10hipError_tPvRmT2_T3_mT4_P12ihipStream_tbEUlmE_iEESB_NS0_8identityIvEEEESG_SJ_SK_mSL_SN_bEUlT_E_NS1_11comp_targetILNS1_3genE10ELNS1_11target_archE1201ELNS1_3gpuE5ELNS1_3repE0EEENS1_30default_config_static_selectorELNS0_4arch9wavefront6targetE1EEEvT1_.uses_vcc, 0
	.set _ZN7rocprim17ROCPRIM_400000_NS6detail17trampoline_kernelINS0_14default_configENS1_25transform_config_selectorIiLb0EEEZNS1_14transform_implILb0ES3_S5_NS0_18transform_iteratorINS0_17counting_iteratorImlEEZNS1_24adjacent_difference_implIS3_Lb1ELb0EPiSB_N6thrust23THRUST_200600_302600_NS4plusIiEEEE10hipError_tPvRmT2_T3_mT4_P12ihipStream_tbEUlmE_iEESB_NS0_8identityIvEEEESG_SJ_SK_mSL_SN_bEUlT_E_NS1_11comp_targetILNS1_3genE10ELNS1_11target_archE1201ELNS1_3gpuE5ELNS1_3repE0EEENS1_30default_config_static_selectorELNS0_4arch9wavefront6targetE1EEEvT1_.uses_flat_scratch, 0
	.set _ZN7rocprim17ROCPRIM_400000_NS6detail17trampoline_kernelINS0_14default_configENS1_25transform_config_selectorIiLb0EEEZNS1_14transform_implILb0ES3_S5_NS0_18transform_iteratorINS0_17counting_iteratorImlEEZNS1_24adjacent_difference_implIS3_Lb1ELb0EPiSB_N6thrust23THRUST_200600_302600_NS4plusIiEEEE10hipError_tPvRmT2_T3_mT4_P12ihipStream_tbEUlmE_iEESB_NS0_8identityIvEEEESG_SJ_SK_mSL_SN_bEUlT_E_NS1_11comp_targetILNS1_3genE10ELNS1_11target_archE1201ELNS1_3gpuE5ELNS1_3repE0EEENS1_30default_config_static_selectorELNS0_4arch9wavefront6targetE1EEEvT1_.has_dyn_sized_stack, 0
	.set _ZN7rocprim17ROCPRIM_400000_NS6detail17trampoline_kernelINS0_14default_configENS1_25transform_config_selectorIiLb0EEEZNS1_14transform_implILb0ES3_S5_NS0_18transform_iteratorINS0_17counting_iteratorImlEEZNS1_24adjacent_difference_implIS3_Lb1ELb0EPiSB_N6thrust23THRUST_200600_302600_NS4plusIiEEEE10hipError_tPvRmT2_T3_mT4_P12ihipStream_tbEUlmE_iEESB_NS0_8identityIvEEEESG_SJ_SK_mSL_SN_bEUlT_E_NS1_11comp_targetILNS1_3genE10ELNS1_11target_archE1201ELNS1_3gpuE5ELNS1_3repE0EEENS1_30default_config_static_selectorELNS0_4arch9wavefront6targetE1EEEvT1_.has_recursion, 0
	.set _ZN7rocprim17ROCPRIM_400000_NS6detail17trampoline_kernelINS0_14default_configENS1_25transform_config_selectorIiLb0EEEZNS1_14transform_implILb0ES3_S5_NS0_18transform_iteratorINS0_17counting_iteratorImlEEZNS1_24adjacent_difference_implIS3_Lb1ELb0EPiSB_N6thrust23THRUST_200600_302600_NS4plusIiEEEE10hipError_tPvRmT2_T3_mT4_P12ihipStream_tbEUlmE_iEESB_NS0_8identityIvEEEESG_SJ_SK_mSL_SN_bEUlT_E_NS1_11comp_targetILNS1_3genE10ELNS1_11target_archE1201ELNS1_3gpuE5ELNS1_3repE0EEENS1_30default_config_static_selectorELNS0_4arch9wavefront6targetE1EEEvT1_.has_indirect_call, 0
	.section	.AMDGPU.csdata,"",@progbits
; Kernel info:
; codeLenInByte = 0
; TotalNumSgprs: 4
; NumVgprs: 0
; ScratchSize: 0
; MemoryBound: 0
; FloatMode: 240
; IeeeMode: 1
; LDSByteSize: 0 bytes/workgroup (compile time only)
; SGPRBlocks: 0
; VGPRBlocks: 0
; NumSGPRsForWavesPerEU: 4
; NumVGPRsForWavesPerEU: 1
; Occupancy: 10
; WaveLimiterHint : 0
; COMPUTE_PGM_RSRC2:SCRATCH_EN: 0
; COMPUTE_PGM_RSRC2:USER_SGPR: 6
; COMPUTE_PGM_RSRC2:TRAP_HANDLER: 0
; COMPUTE_PGM_RSRC2:TGID_X_EN: 1
; COMPUTE_PGM_RSRC2:TGID_Y_EN: 0
; COMPUTE_PGM_RSRC2:TGID_Z_EN: 0
; COMPUTE_PGM_RSRC2:TIDIG_COMP_CNT: 0
	.section	.text._ZN7rocprim17ROCPRIM_400000_NS6detail17trampoline_kernelINS0_14default_configENS1_25transform_config_selectorIiLb0EEEZNS1_14transform_implILb0ES3_S5_NS0_18transform_iteratorINS0_17counting_iteratorImlEEZNS1_24adjacent_difference_implIS3_Lb1ELb0EPiSB_N6thrust23THRUST_200600_302600_NS4plusIiEEEE10hipError_tPvRmT2_T3_mT4_P12ihipStream_tbEUlmE_iEESB_NS0_8identityIvEEEESG_SJ_SK_mSL_SN_bEUlT_E_NS1_11comp_targetILNS1_3genE10ELNS1_11target_archE1200ELNS1_3gpuE4ELNS1_3repE0EEENS1_30default_config_static_selectorELNS0_4arch9wavefront6targetE1EEEvT1_,"axG",@progbits,_ZN7rocprim17ROCPRIM_400000_NS6detail17trampoline_kernelINS0_14default_configENS1_25transform_config_selectorIiLb0EEEZNS1_14transform_implILb0ES3_S5_NS0_18transform_iteratorINS0_17counting_iteratorImlEEZNS1_24adjacent_difference_implIS3_Lb1ELb0EPiSB_N6thrust23THRUST_200600_302600_NS4plusIiEEEE10hipError_tPvRmT2_T3_mT4_P12ihipStream_tbEUlmE_iEESB_NS0_8identityIvEEEESG_SJ_SK_mSL_SN_bEUlT_E_NS1_11comp_targetILNS1_3genE10ELNS1_11target_archE1200ELNS1_3gpuE4ELNS1_3repE0EEENS1_30default_config_static_selectorELNS0_4arch9wavefront6targetE1EEEvT1_,comdat
	.protected	_ZN7rocprim17ROCPRIM_400000_NS6detail17trampoline_kernelINS0_14default_configENS1_25transform_config_selectorIiLb0EEEZNS1_14transform_implILb0ES3_S5_NS0_18transform_iteratorINS0_17counting_iteratorImlEEZNS1_24adjacent_difference_implIS3_Lb1ELb0EPiSB_N6thrust23THRUST_200600_302600_NS4plusIiEEEE10hipError_tPvRmT2_T3_mT4_P12ihipStream_tbEUlmE_iEESB_NS0_8identityIvEEEESG_SJ_SK_mSL_SN_bEUlT_E_NS1_11comp_targetILNS1_3genE10ELNS1_11target_archE1200ELNS1_3gpuE4ELNS1_3repE0EEENS1_30default_config_static_selectorELNS0_4arch9wavefront6targetE1EEEvT1_ ; -- Begin function _ZN7rocprim17ROCPRIM_400000_NS6detail17trampoline_kernelINS0_14default_configENS1_25transform_config_selectorIiLb0EEEZNS1_14transform_implILb0ES3_S5_NS0_18transform_iteratorINS0_17counting_iteratorImlEEZNS1_24adjacent_difference_implIS3_Lb1ELb0EPiSB_N6thrust23THRUST_200600_302600_NS4plusIiEEEE10hipError_tPvRmT2_T3_mT4_P12ihipStream_tbEUlmE_iEESB_NS0_8identityIvEEEESG_SJ_SK_mSL_SN_bEUlT_E_NS1_11comp_targetILNS1_3genE10ELNS1_11target_archE1200ELNS1_3gpuE4ELNS1_3repE0EEENS1_30default_config_static_selectorELNS0_4arch9wavefront6targetE1EEEvT1_
	.globl	_ZN7rocprim17ROCPRIM_400000_NS6detail17trampoline_kernelINS0_14default_configENS1_25transform_config_selectorIiLb0EEEZNS1_14transform_implILb0ES3_S5_NS0_18transform_iteratorINS0_17counting_iteratorImlEEZNS1_24adjacent_difference_implIS3_Lb1ELb0EPiSB_N6thrust23THRUST_200600_302600_NS4plusIiEEEE10hipError_tPvRmT2_T3_mT4_P12ihipStream_tbEUlmE_iEESB_NS0_8identityIvEEEESG_SJ_SK_mSL_SN_bEUlT_E_NS1_11comp_targetILNS1_3genE10ELNS1_11target_archE1200ELNS1_3gpuE4ELNS1_3repE0EEENS1_30default_config_static_selectorELNS0_4arch9wavefront6targetE1EEEvT1_
	.p2align	8
	.type	_ZN7rocprim17ROCPRIM_400000_NS6detail17trampoline_kernelINS0_14default_configENS1_25transform_config_selectorIiLb0EEEZNS1_14transform_implILb0ES3_S5_NS0_18transform_iteratorINS0_17counting_iteratorImlEEZNS1_24adjacent_difference_implIS3_Lb1ELb0EPiSB_N6thrust23THRUST_200600_302600_NS4plusIiEEEE10hipError_tPvRmT2_T3_mT4_P12ihipStream_tbEUlmE_iEESB_NS0_8identityIvEEEESG_SJ_SK_mSL_SN_bEUlT_E_NS1_11comp_targetILNS1_3genE10ELNS1_11target_archE1200ELNS1_3gpuE4ELNS1_3repE0EEENS1_30default_config_static_selectorELNS0_4arch9wavefront6targetE1EEEvT1_,@function
_ZN7rocprim17ROCPRIM_400000_NS6detail17trampoline_kernelINS0_14default_configENS1_25transform_config_selectorIiLb0EEEZNS1_14transform_implILb0ES3_S5_NS0_18transform_iteratorINS0_17counting_iteratorImlEEZNS1_24adjacent_difference_implIS3_Lb1ELb0EPiSB_N6thrust23THRUST_200600_302600_NS4plusIiEEEE10hipError_tPvRmT2_T3_mT4_P12ihipStream_tbEUlmE_iEESB_NS0_8identityIvEEEESG_SJ_SK_mSL_SN_bEUlT_E_NS1_11comp_targetILNS1_3genE10ELNS1_11target_archE1200ELNS1_3gpuE4ELNS1_3repE0EEENS1_30default_config_static_selectorELNS0_4arch9wavefront6targetE1EEEvT1_: ; @_ZN7rocprim17ROCPRIM_400000_NS6detail17trampoline_kernelINS0_14default_configENS1_25transform_config_selectorIiLb0EEEZNS1_14transform_implILb0ES3_S5_NS0_18transform_iteratorINS0_17counting_iteratorImlEEZNS1_24adjacent_difference_implIS3_Lb1ELb0EPiSB_N6thrust23THRUST_200600_302600_NS4plusIiEEEE10hipError_tPvRmT2_T3_mT4_P12ihipStream_tbEUlmE_iEESB_NS0_8identityIvEEEESG_SJ_SK_mSL_SN_bEUlT_E_NS1_11comp_targetILNS1_3genE10ELNS1_11target_archE1200ELNS1_3gpuE4ELNS1_3repE0EEENS1_30default_config_static_selectorELNS0_4arch9wavefront6targetE1EEEvT1_
; %bb.0:
	.section	.rodata,"a",@progbits
	.p2align	6, 0x0
	.amdhsa_kernel _ZN7rocprim17ROCPRIM_400000_NS6detail17trampoline_kernelINS0_14default_configENS1_25transform_config_selectorIiLb0EEEZNS1_14transform_implILb0ES3_S5_NS0_18transform_iteratorINS0_17counting_iteratorImlEEZNS1_24adjacent_difference_implIS3_Lb1ELb0EPiSB_N6thrust23THRUST_200600_302600_NS4plusIiEEEE10hipError_tPvRmT2_T3_mT4_P12ihipStream_tbEUlmE_iEESB_NS0_8identityIvEEEESG_SJ_SK_mSL_SN_bEUlT_E_NS1_11comp_targetILNS1_3genE10ELNS1_11target_archE1200ELNS1_3gpuE4ELNS1_3repE0EEENS1_30default_config_static_selectorELNS0_4arch9wavefront6targetE1EEEvT1_
		.amdhsa_group_segment_fixed_size 0
		.amdhsa_private_segment_fixed_size 0
		.amdhsa_kernarg_size 56
		.amdhsa_user_sgpr_count 6
		.amdhsa_user_sgpr_private_segment_buffer 1
		.amdhsa_user_sgpr_dispatch_ptr 0
		.amdhsa_user_sgpr_queue_ptr 0
		.amdhsa_user_sgpr_kernarg_segment_ptr 1
		.amdhsa_user_sgpr_dispatch_id 0
		.amdhsa_user_sgpr_flat_scratch_init 0
		.amdhsa_user_sgpr_private_segment_size 0
		.amdhsa_uses_dynamic_stack 0
		.amdhsa_system_sgpr_private_segment_wavefront_offset 0
		.amdhsa_system_sgpr_workgroup_id_x 1
		.amdhsa_system_sgpr_workgroup_id_y 0
		.amdhsa_system_sgpr_workgroup_id_z 0
		.amdhsa_system_sgpr_workgroup_info 0
		.amdhsa_system_vgpr_workitem_id 0
		.amdhsa_next_free_vgpr 1
		.amdhsa_next_free_sgpr 0
		.amdhsa_reserve_vcc 0
		.amdhsa_reserve_flat_scratch 0
		.amdhsa_float_round_mode_32 0
		.amdhsa_float_round_mode_16_64 0
		.amdhsa_float_denorm_mode_32 3
		.amdhsa_float_denorm_mode_16_64 3
		.amdhsa_dx10_clamp 1
		.amdhsa_ieee_mode 1
		.amdhsa_fp16_overflow 0
		.amdhsa_exception_fp_ieee_invalid_op 0
		.amdhsa_exception_fp_denorm_src 0
		.amdhsa_exception_fp_ieee_div_zero 0
		.amdhsa_exception_fp_ieee_overflow 0
		.amdhsa_exception_fp_ieee_underflow 0
		.amdhsa_exception_fp_ieee_inexact 0
		.amdhsa_exception_int_div_zero 0
	.end_amdhsa_kernel
	.section	.text._ZN7rocprim17ROCPRIM_400000_NS6detail17trampoline_kernelINS0_14default_configENS1_25transform_config_selectorIiLb0EEEZNS1_14transform_implILb0ES3_S5_NS0_18transform_iteratorINS0_17counting_iteratorImlEEZNS1_24adjacent_difference_implIS3_Lb1ELb0EPiSB_N6thrust23THRUST_200600_302600_NS4plusIiEEEE10hipError_tPvRmT2_T3_mT4_P12ihipStream_tbEUlmE_iEESB_NS0_8identityIvEEEESG_SJ_SK_mSL_SN_bEUlT_E_NS1_11comp_targetILNS1_3genE10ELNS1_11target_archE1200ELNS1_3gpuE4ELNS1_3repE0EEENS1_30default_config_static_selectorELNS0_4arch9wavefront6targetE1EEEvT1_,"axG",@progbits,_ZN7rocprim17ROCPRIM_400000_NS6detail17trampoline_kernelINS0_14default_configENS1_25transform_config_selectorIiLb0EEEZNS1_14transform_implILb0ES3_S5_NS0_18transform_iteratorINS0_17counting_iteratorImlEEZNS1_24adjacent_difference_implIS3_Lb1ELb0EPiSB_N6thrust23THRUST_200600_302600_NS4plusIiEEEE10hipError_tPvRmT2_T3_mT4_P12ihipStream_tbEUlmE_iEESB_NS0_8identityIvEEEESG_SJ_SK_mSL_SN_bEUlT_E_NS1_11comp_targetILNS1_3genE10ELNS1_11target_archE1200ELNS1_3gpuE4ELNS1_3repE0EEENS1_30default_config_static_selectorELNS0_4arch9wavefront6targetE1EEEvT1_,comdat
.Lfunc_end346:
	.size	_ZN7rocprim17ROCPRIM_400000_NS6detail17trampoline_kernelINS0_14default_configENS1_25transform_config_selectorIiLb0EEEZNS1_14transform_implILb0ES3_S5_NS0_18transform_iteratorINS0_17counting_iteratorImlEEZNS1_24adjacent_difference_implIS3_Lb1ELb0EPiSB_N6thrust23THRUST_200600_302600_NS4plusIiEEEE10hipError_tPvRmT2_T3_mT4_P12ihipStream_tbEUlmE_iEESB_NS0_8identityIvEEEESG_SJ_SK_mSL_SN_bEUlT_E_NS1_11comp_targetILNS1_3genE10ELNS1_11target_archE1200ELNS1_3gpuE4ELNS1_3repE0EEENS1_30default_config_static_selectorELNS0_4arch9wavefront6targetE1EEEvT1_, .Lfunc_end346-_ZN7rocprim17ROCPRIM_400000_NS6detail17trampoline_kernelINS0_14default_configENS1_25transform_config_selectorIiLb0EEEZNS1_14transform_implILb0ES3_S5_NS0_18transform_iteratorINS0_17counting_iteratorImlEEZNS1_24adjacent_difference_implIS3_Lb1ELb0EPiSB_N6thrust23THRUST_200600_302600_NS4plusIiEEEE10hipError_tPvRmT2_T3_mT4_P12ihipStream_tbEUlmE_iEESB_NS0_8identityIvEEEESG_SJ_SK_mSL_SN_bEUlT_E_NS1_11comp_targetILNS1_3genE10ELNS1_11target_archE1200ELNS1_3gpuE4ELNS1_3repE0EEENS1_30default_config_static_selectorELNS0_4arch9wavefront6targetE1EEEvT1_
                                        ; -- End function
	.set _ZN7rocprim17ROCPRIM_400000_NS6detail17trampoline_kernelINS0_14default_configENS1_25transform_config_selectorIiLb0EEEZNS1_14transform_implILb0ES3_S5_NS0_18transform_iteratorINS0_17counting_iteratorImlEEZNS1_24adjacent_difference_implIS3_Lb1ELb0EPiSB_N6thrust23THRUST_200600_302600_NS4plusIiEEEE10hipError_tPvRmT2_T3_mT4_P12ihipStream_tbEUlmE_iEESB_NS0_8identityIvEEEESG_SJ_SK_mSL_SN_bEUlT_E_NS1_11comp_targetILNS1_3genE10ELNS1_11target_archE1200ELNS1_3gpuE4ELNS1_3repE0EEENS1_30default_config_static_selectorELNS0_4arch9wavefront6targetE1EEEvT1_.num_vgpr, 0
	.set _ZN7rocprim17ROCPRIM_400000_NS6detail17trampoline_kernelINS0_14default_configENS1_25transform_config_selectorIiLb0EEEZNS1_14transform_implILb0ES3_S5_NS0_18transform_iteratorINS0_17counting_iteratorImlEEZNS1_24adjacent_difference_implIS3_Lb1ELb0EPiSB_N6thrust23THRUST_200600_302600_NS4plusIiEEEE10hipError_tPvRmT2_T3_mT4_P12ihipStream_tbEUlmE_iEESB_NS0_8identityIvEEEESG_SJ_SK_mSL_SN_bEUlT_E_NS1_11comp_targetILNS1_3genE10ELNS1_11target_archE1200ELNS1_3gpuE4ELNS1_3repE0EEENS1_30default_config_static_selectorELNS0_4arch9wavefront6targetE1EEEvT1_.num_agpr, 0
	.set _ZN7rocprim17ROCPRIM_400000_NS6detail17trampoline_kernelINS0_14default_configENS1_25transform_config_selectorIiLb0EEEZNS1_14transform_implILb0ES3_S5_NS0_18transform_iteratorINS0_17counting_iteratorImlEEZNS1_24adjacent_difference_implIS3_Lb1ELb0EPiSB_N6thrust23THRUST_200600_302600_NS4plusIiEEEE10hipError_tPvRmT2_T3_mT4_P12ihipStream_tbEUlmE_iEESB_NS0_8identityIvEEEESG_SJ_SK_mSL_SN_bEUlT_E_NS1_11comp_targetILNS1_3genE10ELNS1_11target_archE1200ELNS1_3gpuE4ELNS1_3repE0EEENS1_30default_config_static_selectorELNS0_4arch9wavefront6targetE1EEEvT1_.numbered_sgpr, 0
	.set _ZN7rocprim17ROCPRIM_400000_NS6detail17trampoline_kernelINS0_14default_configENS1_25transform_config_selectorIiLb0EEEZNS1_14transform_implILb0ES3_S5_NS0_18transform_iteratorINS0_17counting_iteratorImlEEZNS1_24adjacent_difference_implIS3_Lb1ELb0EPiSB_N6thrust23THRUST_200600_302600_NS4plusIiEEEE10hipError_tPvRmT2_T3_mT4_P12ihipStream_tbEUlmE_iEESB_NS0_8identityIvEEEESG_SJ_SK_mSL_SN_bEUlT_E_NS1_11comp_targetILNS1_3genE10ELNS1_11target_archE1200ELNS1_3gpuE4ELNS1_3repE0EEENS1_30default_config_static_selectorELNS0_4arch9wavefront6targetE1EEEvT1_.num_named_barrier, 0
	.set _ZN7rocprim17ROCPRIM_400000_NS6detail17trampoline_kernelINS0_14default_configENS1_25transform_config_selectorIiLb0EEEZNS1_14transform_implILb0ES3_S5_NS0_18transform_iteratorINS0_17counting_iteratorImlEEZNS1_24adjacent_difference_implIS3_Lb1ELb0EPiSB_N6thrust23THRUST_200600_302600_NS4plusIiEEEE10hipError_tPvRmT2_T3_mT4_P12ihipStream_tbEUlmE_iEESB_NS0_8identityIvEEEESG_SJ_SK_mSL_SN_bEUlT_E_NS1_11comp_targetILNS1_3genE10ELNS1_11target_archE1200ELNS1_3gpuE4ELNS1_3repE0EEENS1_30default_config_static_selectorELNS0_4arch9wavefront6targetE1EEEvT1_.private_seg_size, 0
	.set _ZN7rocprim17ROCPRIM_400000_NS6detail17trampoline_kernelINS0_14default_configENS1_25transform_config_selectorIiLb0EEEZNS1_14transform_implILb0ES3_S5_NS0_18transform_iteratorINS0_17counting_iteratorImlEEZNS1_24adjacent_difference_implIS3_Lb1ELb0EPiSB_N6thrust23THRUST_200600_302600_NS4plusIiEEEE10hipError_tPvRmT2_T3_mT4_P12ihipStream_tbEUlmE_iEESB_NS0_8identityIvEEEESG_SJ_SK_mSL_SN_bEUlT_E_NS1_11comp_targetILNS1_3genE10ELNS1_11target_archE1200ELNS1_3gpuE4ELNS1_3repE0EEENS1_30default_config_static_selectorELNS0_4arch9wavefront6targetE1EEEvT1_.uses_vcc, 0
	.set _ZN7rocprim17ROCPRIM_400000_NS6detail17trampoline_kernelINS0_14default_configENS1_25transform_config_selectorIiLb0EEEZNS1_14transform_implILb0ES3_S5_NS0_18transform_iteratorINS0_17counting_iteratorImlEEZNS1_24adjacent_difference_implIS3_Lb1ELb0EPiSB_N6thrust23THRUST_200600_302600_NS4plusIiEEEE10hipError_tPvRmT2_T3_mT4_P12ihipStream_tbEUlmE_iEESB_NS0_8identityIvEEEESG_SJ_SK_mSL_SN_bEUlT_E_NS1_11comp_targetILNS1_3genE10ELNS1_11target_archE1200ELNS1_3gpuE4ELNS1_3repE0EEENS1_30default_config_static_selectorELNS0_4arch9wavefront6targetE1EEEvT1_.uses_flat_scratch, 0
	.set _ZN7rocprim17ROCPRIM_400000_NS6detail17trampoline_kernelINS0_14default_configENS1_25transform_config_selectorIiLb0EEEZNS1_14transform_implILb0ES3_S5_NS0_18transform_iteratorINS0_17counting_iteratorImlEEZNS1_24adjacent_difference_implIS3_Lb1ELb0EPiSB_N6thrust23THRUST_200600_302600_NS4plusIiEEEE10hipError_tPvRmT2_T3_mT4_P12ihipStream_tbEUlmE_iEESB_NS0_8identityIvEEEESG_SJ_SK_mSL_SN_bEUlT_E_NS1_11comp_targetILNS1_3genE10ELNS1_11target_archE1200ELNS1_3gpuE4ELNS1_3repE0EEENS1_30default_config_static_selectorELNS0_4arch9wavefront6targetE1EEEvT1_.has_dyn_sized_stack, 0
	.set _ZN7rocprim17ROCPRIM_400000_NS6detail17trampoline_kernelINS0_14default_configENS1_25transform_config_selectorIiLb0EEEZNS1_14transform_implILb0ES3_S5_NS0_18transform_iteratorINS0_17counting_iteratorImlEEZNS1_24adjacent_difference_implIS3_Lb1ELb0EPiSB_N6thrust23THRUST_200600_302600_NS4plusIiEEEE10hipError_tPvRmT2_T3_mT4_P12ihipStream_tbEUlmE_iEESB_NS0_8identityIvEEEESG_SJ_SK_mSL_SN_bEUlT_E_NS1_11comp_targetILNS1_3genE10ELNS1_11target_archE1200ELNS1_3gpuE4ELNS1_3repE0EEENS1_30default_config_static_selectorELNS0_4arch9wavefront6targetE1EEEvT1_.has_recursion, 0
	.set _ZN7rocprim17ROCPRIM_400000_NS6detail17trampoline_kernelINS0_14default_configENS1_25transform_config_selectorIiLb0EEEZNS1_14transform_implILb0ES3_S5_NS0_18transform_iteratorINS0_17counting_iteratorImlEEZNS1_24adjacent_difference_implIS3_Lb1ELb0EPiSB_N6thrust23THRUST_200600_302600_NS4plusIiEEEE10hipError_tPvRmT2_T3_mT4_P12ihipStream_tbEUlmE_iEESB_NS0_8identityIvEEEESG_SJ_SK_mSL_SN_bEUlT_E_NS1_11comp_targetILNS1_3genE10ELNS1_11target_archE1200ELNS1_3gpuE4ELNS1_3repE0EEENS1_30default_config_static_selectorELNS0_4arch9wavefront6targetE1EEEvT1_.has_indirect_call, 0
	.section	.AMDGPU.csdata,"",@progbits
; Kernel info:
; codeLenInByte = 0
; TotalNumSgprs: 4
; NumVgprs: 0
; ScratchSize: 0
; MemoryBound: 0
; FloatMode: 240
; IeeeMode: 1
; LDSByteSize: 0 bytes/workgroup (compile time only)
; SGPRBlocks: 0
; VGPRBlocks: 0
; NumSGPRsForWavesPerEU: 4
; NumVGPRsForWavesPerEU: 1
; Occupancy: 10
; WaveLimiterHint : 0
; COMPUTE_PGM_RSRC2:SCRATCH_EN: 0
; COMPUTE_PGM_RSRC2:USER_SGPR: 6
; COMPUTE_PGM_RSRC2:TRAP_HANDLER: 0
; COMPUTE_PGM_RSRC2:TGID_X_EN: 1
; COMPUTE_PGM_RSRC2:TGID_Y_EN: 0
; COMPUTE_PGM_RSRC2:TGID_Z_EN: 0
; COMPUTE_PGM_RSRC2:TIDIG_COMP_CNT: 0
	.section	.text._ZN7rocprim17ROCPRIM_400000_NS6detail17trampoline_kernelINS0_14default_configENS1_25transform_config_selectorIiLb0EEEZNS1_14transform_implILb0ES3_S5_NS0_18transform_iteratorINS0_17counting_iteratorImlEEZNS1_24adjacent_difference_implIS3_Lb1ELb0EPiSB_N6thrust23THRUST_200600_302600_NS4plusIiEEEE10hipError_tPvRmT2_T3_mT4_P12ihipStream_tbEUlmE_iEESB_NS0_8identityIvEEEESG_SJ_SK_mSL_SN_bEUlT_E_NS1_11comp_targetILNS1_3genE9ELNS1_11target_archE1100ELNS1_3gpuE3ELNS1_3repE0EEENS1_30default_config_static_selectorELNS0_4arch9wavefront6targetE1EEEvT1_,"axG",@progbits,_ZN7rocprim17ROCPRIM_400000_NS6detail17trampoline_kernelINS0_14default_configENS1_25transform_config_selectorIiLb0EEEZNS1_14transform_implILb0ES3_S5_NS0_18transform_iteratorINS0_17counting_iteratorImlEEZNS1_24adjacent_difference_implIS3_Lb1ELb0EPiSB_N6thrust23THRUST_200600_302600_NS4plusIiEEEE10hipError_tPvRmT2_T3_mT4_P12ihipStream_tbEUlmE_iEESB_NS0_8identityIvEEEESG_SJ_SK_mSL_SN_bEUlT_E_NS1_11comp_targetILNS1_3genE9ELNS1_11target_archE1100ELNS1_3gpuE3ELNS1_3repE0EEENS1_30default_config_static_selectorELNS0_4arch9wavefront6targetE1EEEvT1_,comdat
	.protected	_ZN7rocprim17ROCPRIM_400000_NS6detail17trampoline_kernelINS0_14default_configENS1_25transform_config_selectorIiLb0EEEZNS1_14transform_implILb0ES3_S5_NS0_18transform_iteratorINS0_17counting_iteratorImlEEZNS1_24adjacent_difference_implIS3_Lb1ELb0EPiSB_N6thrust23THRUST_200600_302600_NS4plusIiEEEE10hipError_tPvRmT2_T3_mT4_P12ihipStream_tbEUlmE_iEESB_NS0_8identityIvEEEESG_SJ_SK_mSL_SN_bEUlT_E_NS1_11comp_targetILNS1_3genE9ELNS1_11target_archE1100ELNS1_3gpuE3ELNS1_3repE0EEENS1_30default_config_static_selectorELNS0_4arch9wavefront6targetE1EEEvT1_ ; -- Begin function _ZN7rocprim17ROCPRIM_400000_NS6detail17trampoline_kernelINS0_14default_configENS1_25transform_config_selectorIiLb0EEEZNS1_14transform_implILb0ES3_S5_NS0_18transform_iteratorINS0_17counting_iteratorImlEEZNS1_24adjacent_difference_implIS3_Lb1ELb0EPiSB_N6thrust23THRUST_200600_302600_NS4plusIiEEEE10hipError_tPvRmT2_T3_mT4_P12ihipStream_tbEUlmE_iEESB_NS0_8identityIvEEEESG_SJ_SK_mSL_SN_bEUlT_E_NS1_11comp_targetILNS1_3genE9ELNS1_11target_archE1100ELNS1_3gpuE3ELNS1_3repE0EEENS1_30default_config_static_selectorELNS0_4arch9wavefront6targetE1EEEvT1_
	.globl	_ZN7rocprim17ROCPRIM_400000_NS6detail17trampoline_kernelINS0_14default_configENS1_25transform_config_selectorIiLb0EEEZNS1_14transform_implILb0ES3_S5_NS0_18transform_iteratorINS0_17counting_iteratorImlEEZNS1_24adjacent_difference_implIS3_Lb1ELb0EPiSB_N6thrust23THRUST_200600_302600_NS4plusIiEEEE10hipError_tPvRmT2_T3_mT4_P12ihipStream_tbEUlmE_iEESB_NS0_8identityIvEEEESG_SJ_SK_mSL_SN_bEUlT_E_NS1_11comp_targetILNS1_3genE9ELNS1_11target_archE1100ELNS1_3gpuE3ELNS1_3repE0EEENS1_30default_config_static_selectorELNS0_4arch9wavefront6targetE1EEEvT1_
	.p2align	8
	.type	_ZN7rocprim17ROCPRIM_400000_NS6detail17trampoline_kernelINS0_14default_configENS1_25transform_config_selectorIiLb0EEEZNS1_14transform_implILb0ES3_S5_NS0_18transform_iteratorINS0_17counting_iteratorImlEEZNS1_24adjacent_difference_implIS3_Lb1ELb0EPiSB_N6thrust23THRUST_200600_302600_NS4plusIiEEEE10hipError_tPvRmT2_T3_mT4_P12ihipStream_tbEUlmE_iEESB_NS0_8identityIvEEEESG_SJ_SK_mSL_SN_bEUlT_E_NS1_11comp_targetILNS1_3genE9ELNS1_11target_archE1100ELNS1_3gpuE3ELNS1_3repE0EEENS1_30default_config_static_selectorELNS0_4arch9wavefront6targetE1EEEvT1_,@function
_ZN7rocprim17ROCPRIM_400000_NS6detail17trampoline_kernelINS0_14default_configENS1_25transform_config_selectorIiLb0EEEZNS1_14transform_implILb0ES3_S5_NS0_18transform_iteratorINS0_17counting_iteratorImlEEZNS1_24adjacent_difference_implIS3_Lb1ELb0EPiSB_N6thrust23THRUST_200600_302600_NS4plusIiEEEE10hipError_tPvRmT2_T3_mT4_P12ihipStream_tbEUlmE_iEESB_NS0_8identityIvEEEESG_SJ_SK_mSL_SN_bEUlT_E_NS1_11comp_targetILNS1_3genE9ELNS1_11target_archE1100ELNS1_3gpuE3ELNS1_3repE0EEENS1_30default_config_static_selectorELNS0_4arch9wavefront6targetE1EEEvT1_: ; @_ZN7rocprim17ROCPRIM_400000_NS6detail17trampoline_kernelINS0_14default_configENS1_25transform_config_selectorIiLb0EEEZNS1_14transform_implILb0ES3_S5_NS0_18transform_iteratorINS0_17counting_iteratorImlEEZNS1_24adjacent_difference_implIS3_Lb1ELb0EPiSB_N6thrust23THRUST_200600_302600_NS4plusIiEEEE10hipError_tPvRmT2_T3_mT4_P12ihipStream_tbEUlmE_iEESB_NS0_8identityIvEEEESG_SJ_SK_mSL_SN_bEUlT_E_NS1_11comp_targetILNS1_3genE9ELNS1_11target_archE1100ELNS1_3gpuE3ELNS1_3repE0EEENS1_30default_config_static_selectorELNS0_4arch9wavefront6targetE1EEEvT1_
; %bb.0:
	.section	.rodata,"a",@progbits
	.p2align	6, 0x0
	.amdhsa_kernel _ZN7rocprim17ROCPRIM_400000_NS6detail17trampoline_kernelINS0_14default_configENS1_25transform_config_selectorIiLb0EEEZNS1_14transform_implILb0ES3_S5_NS0_18transform_iteratorINS0_17counting_iteratorImlEEZNS1_24adjacent_difference_implIS3_Lb1ELb0EPiSB_N6thrust23THRUST_200600_302600_NS4plusIiEEEE10hipError_tPvRmT2_T3_mT4_P12ihipStream_tbEUlmE_iEESB_NS0_8identityIvEEEESG_SJ_SK_mSL_SN_bEUlT_E_NS1_11comp_targetILNS1_3genE9ELNS1_11target_archE1100ELNS1_3gpuE3ELNS1_3repE0EEENS1_30default_config_static_selectorELNS0_4arch9wavefront6targetE1EEEvT1_
		.amdhsa_group_segment_fixed_size 0
		.amdhsa_private_segment_fixed_size 0
		.amdhsa_kernarg_size 56
		.amdhsa_user_sgpr_count 6
		.amdhsa_user_sgpr_private_segment_buffer 1
		.amdhsa_user_sgpr_dispatch_ptr 0
		.amdhsa_user_sgpr_queue_ptr 0
		.amdhsa_user_sgpr_kernarg_segment_ptr 1
		.amdhsa_user_sgpr_dispatch_id 0
		.amdhsa_user_sgpr_flat_scratch_init 0
		.amdhsa_user_sgpr_private_segment_size 0
		.amdhsa_uses_dynamic_stack 0
		.amdhsa_system_sgpr_private_segment_wavefront_offset 0
		.amdhsa_system_sgpr_workgroup_id_x 1
		.amdhsa_system_sgpr_workgroup_id_y 0
		.amdhsa_system_sgpr_workgroup_id_z 0
		.amdhsa_system_sgpr_workgroup_info 0
		.amdhsa_system_vgpr_workitem_id 0
		.amdhsa_next_free_vgpr 1
		.amdhsa_next_free_sgpr 0
		.amdhsa_reserve_vcc 0
		.amdhsa_reserve_flat_scratch 0
		.amdhsa_float_round_mode_32 0
		.amdhsa_float_round_mode_16_64 0
		.amdhsa_float_denorm_mode_32 3
		.amdhsa_float_denorm_mode_16_64 3
		.amdhsa_dx10_clamp 1
		.amdhsa_ieee_mode 1
		.amdhsa_fp16_overflow 0
		.amdhsa_exception_fp_ieee_invalid_op 0
		.amdhsa_exception_fp_denorm_src 0
		.amdhsa_exception_fp_ieee_div_zero 0
		.amdhsa_exception_fp_ieee_overflow 0
		.amdhsa_exception_fp_ieee_underflow 0
		.amdhsa_exception_fp_ieee_inexact 0
		.amdhsa_exception_int_div_zero 0
	.end_amdhsa_kernel
	.section	.text._ZN7rocprim17ROCPRIM_400000_NS6detail17trampoline_kernelINS0_14default_configENS1_25transform_config_selectorIiLb0EEEZNS1_14transform_implILb0ES3_S5_NS0_18transform_iteratorINS0_17counting_iteratorImlEEZNS1_24adjacent_difference_implIS3_Lb1ELb0EPiSB_N6thrust23THRUST_200600_302600_NS4plusIiEEEE10hipError_tPvRmT2_T3_mT4_P12ihipStream_tbEUlmE_iEESB_NS0_8identityIvEEEESG_SJ_SK_mSL_SN_bEUlT_E_NS1_11comp_targetILNS1_3genE9ELNS1_11target_archE1100ELNS1_3gpuE3ELNS1_3repE0EEENS1_30default_config_static_selectorELNS0_4arch9wavefront6targetE1EEEvT1_,"axG",@progbits,_ZN7rocprim17ROCPRIM_400000_NS6detail17trampoline_kernelINS0_14default_configENS1_25transform_config_selectorIiLb0EEEZNS1_14transform_implILb0ES3_S5_NS0_18transform_iteratorINS0_17counting_iteratorImlEEZNS1_24adjacent_difference_implIS3_Lb1ELb0EPiSB_N6thrust23THRUST_200600_302600_NS4plusIiEEEE10hipError_tPvRmT2_T3_mT4_P12ihipStream_tbEUlmE_iEESB_NS0_8identityIvEEEESG_SJ_SK_mSL_SN_bEUlT_E_NS1_11comp_targetILNS1_3genE9ELNS1_11target_archE1100ELNS1_3gpuE3ELNS1_3repE0EEENS1_30default_config_static_selectorELNS0_4arch9wavefront6targetE1EEEvT1_,comdat
.Lfunc_end347:
	.size	_ZN7rocprim17ROCPRIM_400000_NS6detail17trampoline_kernelINS0_14default_configENS1_25transform_config_selectorIiLb0EEEZNS1_14transform_implILb0ES3_S5_NS0_18transform_iteratorINS0_17counting_iteratorImlEEZNS1_24adjacent_difference_implIS3_Lb1ELb0EPiSB_N6thrust23THRUST_200600_302600_NS4plusIiEEEE10hipError_tPvRmT2_T3_mT4_P12ihipStream_tbEUlmE_iEESB_NS0_8identityIvEEEESG_SJ_SK_mSL_SN_bEUlT_E_NS1_11comp_targetILNS1_3genE9ELNS1_11target_archE1100ELNS1_3gpuE3ELNS1_3repE0EEENS1_30default_config_static_selectorELNS0_4arch9wavefront6targetE1EEEvT1_, .Lfunc_end347-_ZN7rocprim17ROCPRIM_400000_NS6detail17trampoline_kernelINS0_14default_configENS1_25transform_config_selectorIiLb0EEEZNS1_14transform_implILb0ES3_S5_NS0_18transform_iteratorINS0_17counting_iteratorImlEEZNS1_24adjacent_difference_implIS3_Lb1ELb0EPiSB_N6thrust23THRUST_200600_302600_NS4plusIiEEEE10hipError_tPvRmT2_T3_mT4_P12ihipStream_tbEUlmE_iEESB_NS0_8identityIvEEEESG_SJ_SK_mSL_SN_bEUlT_E_NS1_11comp_targetILNS1_3genE9ELNS1_11target_archE1100ELNS1_3gpuE3ELNS1_3repE0EEENS1_30default_config_static_selectorELNS0_4arch9wavefront6targetE1EEEvT1_
                                        ; -- End function
	.set _ZN7rocprim17ROCPRIM_400000_NS6detail17trampoline_kernelINS0_14default_configENS1_25transform_config_selectorIiLb0EEEZNS1_14transform_implILb0ES3_S5_NS0_18transform_iteratorINS0_17counting_iteratorImlEEZNS1_24adjacent_difference_implIS3_Lb1ELb0EPiSB_N6thrust23THRUST_200600_302600_NS4plusIiEEEE10hipError_tPvRmT2_T3_mT4_P12ihipStream_tbEUlmE_iEESB_NS0_8identityIvEEEESG_SJ_SK_mSL_SN_bEUlT_E_NS1_11comp_targetILNS1_3genE9ELNS1_11target_archE1100ELNS1_3gpuE3ELNS1_3repE0EEENS1_30default_config_static_selectorELNS0_4arch9wavefront6targetE1EEEvT1_.num_vgpr, 0
	.set _ZN7rocprim17ROCPRIM_400000_NS6detail17trampoline_kernelINS0_14default_configENS1_25transform_config_selectorIiLb0EEEZNS1_14transform_implILb0ES3_S5_NS0_18transform_iteratorINS0_17counting_iteratorImlEEZNS1_24adjacent_difference_implIS3_Lb1ELb0EPiSB_N6thrust23THRUST_200600_302600_NS4plusIiEEEE10hipError_tPvRmT2_T3_mT4_P12ihipStream_tbEUlmE_iEESB_NS0_8identityIvEEEESG_SJ_SK_mSL_SN_bEUlT_E_NS1_11comp_targetILNS1_3genE9ELNS1_11target_archE1100ELNS1_3gpuE3ELNS1_3repE0EEENS1_30default_config_static_selectorELNS0_4arch9wavefront6targetE1EEEvT1_.num_agpr, 0
	.set _ZN7rocprim17ROCPRIM_400000_NS6detail17trampoline_kernelINS0_14default_configENS1_25transform_config_selectorIiLb0EEEZNS1_14transform_implILb0ES3_S5_NS0_18transform_iteratorINS0_17counting_iteratorImlEEZNS1_24adjacent_difference_implIS3_Lb1ELb0EPiSB_N6thrust23THRUST_200600_302600_NS4plusIiEEEE10hipError_tPvRmT2_T3_mT4_P12ihipStream_tbEUlmE_iEESB_NS0_8identityIvEEEESG_SJ_SK_mSL_SN_bEUlT_E_NS1_11comp_targetILNS1_3genE9ELNS1_11target_archE1100ELNS1_3gpuE3ELNS1_3repE0EEENS1_30default_config_static_selectorELNS0_4arch9wavefront6targetE1EEEvT1_.numbered_sgpr, 0
	.set _ZN7rocprim17ROCPRIM_400000_NS6detail17trampoline_kernelINS0_14default_configENS1_25transform_config_selectorIiLb0EEEZNS1_14transform_implILb0ES3_S5_NS0_18transform_iteratorINS0_17counting_iteratorImlEEZNS1_24adjacent_difference_implIS3_Lb1ELb0EPiSB_N6thrust23THRUST_200600_302600_NS4plusIiEEEE10hipError_tPvRmT2_T3_mT4_P12ihipStream_tbEUlmE_iEESB_NS0_8identityIvEEEESG_SJ_SK_mSL_SN_bEUlT_E_NS1_11comp_targetILNS1_3genE9ELNS1_11target_archE1100ELNS1_3gpuE3ELNS1_3repE0EEENS1_30default_config_static_selectorELNS0_4arch9wavefront6targetE1EEEvT1_.num_named_barrier, 0
	.set _ZN7rocprim17ROCPRIM_400000_NS6detail17trampoline_kernelINS0_14default_configENS1_25transform_config_selectorIiLb0EEEZNS1_14transform_implILb0ES3_S5_NS0_18transform_iteratorINS0_17counting_iteratorImlEEZNS1_24adjacent_difference_implIS3_Lb1ELb0EPiSB_N6thrust23THRUST_200600_302600_NS4plusIiEEEE10hipError_tPvRmT2_T3_mT4_P12ihipStream_tbEUlmE_iEESB_NS0_8identityIvEEEESG_SJ_SK_mSL_SN_bEUlT_E_NS1_11comp_targetILNS1_3genE9ELNS1_11target_archE1100ELNS1_3gpuE3ELNS1_3repE0EEENS1_30default_config_static_selectorELNS0_4arch9wavefront6targetE1EEEvT1_.private_seg_size, 0
	.set _ZN7rocprim17ROCPRIM_400000_NS6detail17trampoline_kernelINS0_14default_configENS1_25transform_config_selectorIiLb0EEEZNS1_14transform_implILb0ES3_S5_NS0_18transform_iteratorINS0_17counting_iteratorImlEEZNS1_24adjacent_difference_implIS3_Lb1ELb0EPiSB_N6thrust23THRUST_200600_302600_NS4plusIiEEEE10hipError_tPvRmT2_T3_mT4_P12ihipStream_tbEUlmE_iEESB_NS0_8identityIvEEEESG_SJ_SK_mSL_SN_bEUlT_E_NS1_11comp_targetILNS1_3genE9ELNS1_11target_archE1100ELNS1_3gpuE3ELNS1_3repE0EEENS1_30default_config_static_selectorELNS0_4arch9wavefront6targetE1EEEvT1_.uses_vcc, 0
	.set _ZN7rocprim17ROCPRIM_400000_NS6detail17trampoline_kernelINS0_14default_configENS1_25transform_config_selectorIiLb0EEEZNS1_14transform_implILb0ES3_S5_NS0_18transform_iteratorINS0_17counting_iteratorImlEEZNS1_24adjacent_difference_implIS3_Lb1ELb0EPiSB_N6thrust23THRUST_200600_302600_NS4plusIiEEEE10hipError_tPvRmT2_T3_mT4_P12ihipStream_tbEUlmE_iEESB_NS0_8identityIvEEEESG_SJ_SK_mSL_SN_bEUlT_E_NS1_11comp_targetILNS1_3genE9ELNS1_11target_archE1100ELNS1_3gpuE3ELNS1_3repE0EEENS1_30default_config_static_selectorELNS0_4arch9wavefront6targetE1EEEvT1_.uses_flat_scratch, 0
	.set _ZN7rocprim17ROCPRIM_400000_NS6detail17trampoline_kernelINS0_14default_configENS1_25transform_config_selectorIiLb0EEEZNS1_14transform_implILb0ES3_S5_NS0_18transform_iteratorINS0_17counting_iteratorImlEEZNS1_24adjacent_difference_implIS3_Lb1ELb0EPiSB_N6thrust23THRUST_200600_302600_NS4plusIiEEEE10hipError_tPvRmT2_T3_mT4_P12ihipStream_tbEUlmE_iEESB_NS0_8identityIvEEEESG_SJ_SK_mSL_SN_bEUlT_E_NS1_11comp_targetILNS1_3genE9ELNS1_11target_archE1100ELNS1_3gpuE3ELNS1_3repE0EEENS1_30default_config_static_selectorELNS0_4arch9wavefront6targetE1EEEvT1_.has_dyn_sized_stack, 0
	.set _ZN7rocprim17ROCPRIM_400000_NS6detail17trampoline_kernelINS0_14default_configENS1_25transform_config_selectorIiLb0EEEZNS1_14transform_implILb0ES3_S5_NS0_18transform_iteratorINS0_17counting_iteratorImlEEZNS1_24adjacent_difference_implIS3_Lb1ELb0EPiSB_N6thrust23THRUST_200600_302600_NS4plusIiEEEE10hipError_tPvRmT2_T3_mT4_P12ihipStream_tbEUlmE_iEESB_NS0_8identityIvEEEESG_SJ_SK_mSL_SN_bEUlT_E_NS1_11comp_targetILNS1_3genE9ELNS1_11target_archE1100ELNS1_3gpuE3ELNS1_3repE0EEENS1_30default_config_static_selectorELNS0_4arch9wavefront6targetE1EEEvT1_.has_recursion, 0
	.set _ZN7rocprim17ROCPRIM_400000_NS6detail17trampoline_kernelINS0_14default_configENS1_25transform_config_selectorIiLb0EEEZNS1_14transform_implILb0ES3_S5_NS0_18transform_iteratorINS0_17counting_iteratorImlEEZNS1_24adjacent_difference_implIS3_Lb1ELb0EPiSB_N6thrust23THRUST_200600_302600_NS4plusIiEEEE10hipError_tPvRmT2_T3_mT4_P12ihipStream_tbEUlmE_iEESB_NS0_8identityIvEEEESG_SJ_SK_mSL_SN_bEUlT_E_NS1_11comp_targetILNS1_3genE9ELNS1_11target_archE1100ELNS1_3gpuE3ELNS1_3repE0EEENS1_30default_config_static_selectorELNS0_4arch9wavefront6targetE1EEEvT1_.has_indirect_call, 0
	.section	.AMDGPU.csdata,"",@progbits
; Kernel info:
; codeLenInByte = 0
; TotalNumSgprs: 4
; NumVgprs: 0
; ScratchSize: 0
; MemoryBound: 0
; FloatMode: 240
; IeeeMode: 1
; LDSByteSize: 0 bytes/workgroup (compile time only)
; SGPRBlocks: 0
; VGPRBlocks: 0
; NumSGPRsForWavesPerEU: 4
; NumVGPRsForWavesPerEU: 1
; Occupancy: 10
; WaveLimiterHint : 0
; COMPUTE_PGM_RSRC2:SCRATCH_EN: 0
; COMPUTE_PGM_RSRC2:USER_SGPR: 6
; COMPUTE_PGM_RSRC2:TRAP_HANDLER: 0
; COMPUTE_PGM_RSRC2:TGID_X_EN: 1
; COMPUTE_PGM_RSRC2:TGID_Y_EN: 0
; COMPUTE_PGM_RSRC2:TGID_Z_EN: 0
; COMPUTE_PGM_RSRC2:TIDIG_COMP_CNT: 0
	.section	.text._ZN7rocprim17ROCPRIM_400000_NS6detail17trampoline_kernelINS0_14default_configENS1_25transform_config_selectorIiLb0EEEZNS1_14transform_implILb0ES3_S5_NS0_18transform_iteratorINS0_17counting_iteratorImlEEZNS1_24adjacent_difference_implIS3_Lb1ELb0EPiSB_N6thrust23THRUST_200600_302600_NS4plusIiEEEE10hipError_tPvRmT2_T3_mT4_P12ihipStream_tbEUlmE_iEESB_NS0_8identityIvEEEESG_SJ_SK_mSL_SN_bEUlT_E_NS1_11comp_targetILNS1_3genE8ELNS1_11target_archE1030ELNS1_3gpuE2ELNS1_3repE0EEENS1_30default_config_static_selectorELNS0_4arch9wavefront6targetE1EEEvT1_,"axG",@progbits,_ZN7rocprim17ROCPRIM_400000_NS6detail17trampoline_kernelINS0_14default_configENS1_25transform_config_selectorIiLb0EEEZNS1_14transform_implILb0ES3_S5_NS0_18transform_iteratorINS0_17counting_iteratorImlEEZNS1_24adjacent_difference_implIS3_Lb1ELb0EPiSB_N6thrust23THRUST_200600_302600_NS4plusIiEEEE10hipError_tPvRmT2_T3_mT4_P12ihipStream_tbEUlmE_iEESB_NS0_8identityIvEEEESG_SJ_SK_mSL_SN_bEUlT_E_NS1_11comp_targetILNS1_3genE8ELNS1_11target_archE1030ELNS1_3gpuE2ELNS1_3repE0EEENS1_30default_config_static_selectorELNS0_4arch9wavefront6targetE1EEEvT1_,comdat
	.protected	_ZN7rocprim17ROCPRIM_400000_NS6detail17trampoline_kernelINS0_14default_configENS1_25transform_config_selectorIiLb0EEEZNS1_14transform_implILb0ES3_S5_NS0_18transform_iteratorINS0_17counting_iteratorImlEEZNS1_24adjacent_difference_implIS3_Lb1ELb0EPiSB_N6thrust23THRUST_200600_302600_NS4plusIiEEEE10hipError_tPvRmT2_T3_mT4_P12ihipStream_tbEUlmE_iEESB_NS0_8identityIvEEEESG_SJ_SK_mSL_SN_bEUlT_E_NS1_11comp_targetILNS1_3genE8ELNS1_11target_archE1030ELNS1_3gpuE2ELNS1_3repE0EEENS1_30default_config_static_selectorELNS0_4arch9wavefront6targetE1EEEvT1_ ; -- Begin function _ZN7rocprim17ROCPRIM_400000_NS6detail17trampoline_kernelINS0_14default_configENS1_25transform_config_selectorIiLb0EEEZNS1_14transform_implILb0ES3_S5_NS0_18transform_iteratorINS0_17counting_iteratorImlEEZNS1_24adjacent_difference_implIS3_Lb1ELb0EPiSB_N6thrust23THRUST_200600_302600_NS4plusIiEEEE10hipError_tPvRmT2_T3_mT4_P12ihipStream_tbEUlmE_iEESB_NS0_8identityIvEEEESG_SJ_SK_mSL_SN_bEUlT_E_NS1_11comp_targetILNS1_3genE8ELNS1_11target_archE1030ELNS1_3gpuE2ELNS1_3repE0EEENS1_30default_config_static_selectorELNS0_4arch9wavefront6targetE1EEEvT1_
	.globl	_ZN7rocprim17ROCPRIM_400000_NS6detail17trampoline_kernelINS0_14default_configENS1_25transform_config_selectorIiLb0EEEZNS1_14transform_implILb0ES3_S5_NS0_18transform_iteratorINS0_17counting_iteratorImlEEZNS1_24adjacent_difference_implIS3_Lb1ELb0EPiSB_N6thrust23THRUST_200600_302600_NS4plusIiEEEE10hipError_tPvRmT2_T3_mT4_P12ihipStream_tbEUlmE_iEESB_NS0_8identityIvEEEESG_SJ_SK_mSL_SN_bEUlT_E_NS1_11comp_targetILNS1_3genE8ELNS1_11target_archE1030ELNS1_3gpuE2ELNS1_3repE0EEENS1_30default_config_static_selectorELNS0_4arch9wavefront6targetE1EEEvT1_
	.p2align	8
	.type	_ZN7rocprim17ROCPRIM_400000_NS6detail17trampoline_kernelINS0_14default_configENS1_25transform_config_selectorIiLb0EEEZNS1_14transform_implILb0ES3_S5_NS0_18transform_iteratorINS0_17counting_iteratorImlEEZNS1_24adjacent_difference_implIS3_Lb1ELb0EPiSB_N6thrust23THRUST_200600_302600_NS4plusIiEEEE10hipError_tPvRmT2_T3_mT4_P12ihipStream_tbEUlmE_iEESB_NS0_8identityIvEEEESG_SJ_SK_mSL_SN_bEUlT_E_NS1_11comp_targetILNS1_3genE8ELNS1_11target_archE1030ELNS1_3gpuE2ELNS1_3repE0EEENS1_30default_config_static_selectorELNS0_4arch9wavefront6targetE1EEEvT1_,@function
_ZN7rocprim17ROCPRIM_400000_NS6detail17trampoline_kernelINS0_14default_configENS1_25transform_config_selectorIiLb0EEEZNS1_14transform_implILb0ES3_S5_NS0_18transform_iteratorINS0_17counting_iteratorImlEEZNS1_24adjacent_difference_implIS3_Lb1ELb0EPiSB_N6thrust23THRUST_200600_302600_NS4plusIiEEEE10hipError_tPvRmT2_T3_mT4_P12ihipStream_tbEUlmE_iEESB_NS0_8identityIvEEEESG_SJ_SK_mSL_SN_bEUlT_E_NS1_11comp_targetILNS1_3genE8ELNS1_11target_archE1030ELNS1_3gpuE2ELNS1_3repE0EEENS1_30default_config_static_selectorELNS0_4arch9wavefront6targetE1EEEvT1_: ; @_ZN7rocprim17ROCPRIM_400000_NS6detail17trampoline_kernelINS0_14default_configENS1_25transform_config_selectorIiLb0EEEZNS1_14transform_implILb0ES3_S5_NS0_18transform_iteratorINS0_17counting_iteratorImlEEZNS1_24adjacent_difference_implIS3_Lb1ELb0EPiSB_N6thrust23THRUST_200600_302600_NS4plusIiEEEE10hipError_tPvRmT2_T3_mT4_P12ihipStream_tbEUlmE_iEESB_NS0_8identityIvEEEESG_SJ_SK_mSL_SN_bEUlT_E_NS1_11comp_targetILNS1_3genE8ELNS1_11target_archE1030ELNS1_3gpuE2ELNS1_3repE0EEENS1_30default_config_static_selectorELNS0_4arch9wavefront6targetE1EEEvT1_
; %bb.0:
	.section	.rodata,"a",@progbits
	.p2align	6, 0x0
	.amdhsa_kernel _ZN7rocprim17ROCPRIM_400000_NS6detail17trampoline_kernelINS0_14default_configENS1_25transform_config_selectorIiLb0EEEZNS1_14transform_implILb0ES3_S5_NS0_18transform_iteratorINS0_17counting_iteratorImlEEZNS1_24adjacent_difference_implIS3_Lb1ELb0EPiSB_N6thrust23THRUST_200600_302600_NS4plusIiEEEE10hipError_tPvRmT2_T3_mT4_P12ihipStream_tbEUlmE_iEESB_NS0_8identityIvEEEESG_SJ_SK_mSL_SN_bEUlT_E_NS1_11comp_targetILNS1_3genE8ELNS1_11target_archE1030ELNS1_3gpuE2ELNS1_3repE0EEENS1_30default_config_static_selectorELNS0_4arch9wavefront6targetE1EEEvT1_
		.amdhsa_group_segment_fixed_size 0
		.amdhsa_private_segment_fixed_size 0
		.amdhsa_kernarg_size 56
		.amdhsa_user_sgpr_count 6
		.amdhsa_user_sgpr_private_segment_buffer 1
		.amdhsa_user_sgpr_dispatch_ptr 0
		.amdhsa_user_sgpr_queue_ptr 0
		.amdhsa_user_sgpr_kernarg_segment_ptr 1
		.amdhsa_user_sgpr_dispatch_id 0
		.amdhsa_user_sgpr_flat_scratch_init 0
		.amdhsa_user_sgpr_private_segment_size 0
		.amdhsa_uses_dynamic_stack 0
		.amdhsa_system_sgpr_private_segment_wavefront_offset 0
		.amdhsa_system_sgpr_workgroup_id_x 1
		.amdhsa_system_sgpr_workgroup_id_y 0
		.amdhsa_system_sgpr_workgroup_id_z 0
		.amdhsa_system_sgpr_workgroup_info 0
		.amdhsa_system_vgpr_workitem_id 0
		.amdhsa_next_free_vgpr 1
		.amdhsa_next_free_sgpr 0
		.amdhsa_reserve_vcc 0
		.amdhsa_reserve_flat_scratch 0
		.amdhsa_float_round_mode_32 0
		.amdhsa_float_round_mode_16_64 0
		.amdhsa_float_denorm_mode_32 3
		.amdhsa_float_denorm_mode_16_64 3
		.amdhsa_dx10_clamp 1
		.amdhsa_ieee_mode 1
		.amdhsa_fp16_overflow 0
		.amdhsa_exception_fp_ieee_invalid_op 0
		.amdhsa_exception_fp_denorm_src 0
		.amdhsa_exception_fp_ieee_div_zero 0
		.amdhsa_exception_fp_ieee_overflow 0
		.amdhsa_exception_fp_ieee_underflow 0
		.amdhsa_exception_fp_ieee_inexact 0
		.amdhsa_exception_int_div_zero 0
	.end_amdhsa_kernel
	.section	.text._ZN7rocprim17ROCPRIM_400000_NS6detail17trampoline_kernelINS0_14default_configENS1_25transform_config_selectorIiLb0EEEZNS1_14transform_implILb0ES3_S5_NS0_18transform_iteratorINS0_17counting_iteratorImlEEZNS1_24adjacent_difference_implIS3_Lb1ELb0EPiSB_N6thrust23THRUST_200600_302600_NS4plusIiEEEE10hipError_tPvRmT2_T3_mT4_P12ihipStream_tbEUlmE_iEESB_NS0_8identityIvEEEESG_SJ_SK_mSL_SN_bEUlT_E_NS1_11comp_targetILNS1_3genE8ELNS1_11target_archE1030ELNS1_3gpuE2ELNS1_3repE0EEENS1_30default_config_static_selectorELNS0_4arch9wavefront6targetE1EEEvT1_,"axG",@progbits,_ZN7rocprim17ROCPRIM_400000_NS6detail17trampoline_kernelINS0_14default_configENS1_25transform_config_selectorIiLb0EEEZNS1_14transform_implILb0ES3_S5_NS0_18transform_iteratorINS0_17counting_iteratorImlEEZNS1_24adjacent_difference_implIS3_Lb1ELb0EPiSB_N6thrust23THRUST_200600_302600_NS4plusIiEEEE10hipError_tPvRmT2_T3_mT4_P12ihipStream_tbEUlmE_iEESB_NS0_8identityIvEEEESG_SJ_SK_mSL_SN_bEUlT_E_NS1_11comp_targetILNS1_3genE8ELNS1_11target_archE1030ELNS1_3gpuE2ELNS1_3repE0EEENS1_30default_config_static_selectorELNS0_4arch9wavefront6targetE1EEEvT1_,comdat
.Lfunc_end348:
	.size	_ZN7rocprim17ROCPRIM_400000_NS6detail17trampoline_kernelINS0_14default_configENS1_25transform_config_selectorIiLb0EEEZNS1_14transform_implILb0ES3_S5_NS0_18transform_iteratorINS0_17counting_iteratorImlEEZNS1_24adjacent_difference_implIS3_Lb1ELb0EPiSB_N6thrust23THRUST_200600_302600_NS4plusIiEEEE10hipError_tPvRmT2_T3_mT4_P12ihipStream_tbEUlmE_iEESB_NS0_8identityIvEEEESG_SJ_SK_mSL_SN_bEUlT_E_NS1_11comp_targetILNS1_3genE8ELNS1_11target_archE1030ELNS1_3gpuE2ELNS1_3repE0EEENS1_30default_config_static_selectorELNS0_4arch9wavefront6targetE1EEEvT1_, .Lfunc_end348-_ZN7rocprim17ROCPRIM_400000_NS6detail17trampoline_kernelINS0_14default_configENS1_25transform_config_selectorIiLb0EEEZNS1_14transform_implILb0ES3_S5_NS0_18transform_iteratorINS0_17counting_iteratorImlEEZNS1_24adjacent_difference_implIS3_Lb1ELb0EPiSB_N6thrust23THRUST_200600_302600_NS4plusIiEEEE10hipError_tPvRmT2_T3_mT4_P12ihipStream_tbEUlmE_iEESB_NS0_8identityIvEEEESG_SJ_SK_mSL_SN_bEUlT_E_NS1_11comp_targetILNS1_3genE8ELNS1_11target_archE1030ELNS1_3gpuE2ELNS1_3repE0EEENS1_30default_config_static_selectorELNS0_4arch9wavefront6targetE1EEEvT1_
                                        ; -- End function
	.set _ZN7rocprim17ROCPRIM_400000_NS6detail17trampoline_kernelINS0_14default_configENS1_25transform_config_selectorIiLb0EEEZNS1_14transform_implILb0ES3_S5_NS0_18transform_iteratorINS0_17counting_iteratorImlEEZNS1_24adjacent_difference_implIS3_Lb1ELb0EPiSB_N6thrust23THRUST_200600_302600_NS4plusIiEEEE10hipError_tPvRmT2_T3_mT4_P12ihipStream_tbEUlmE_iEESB_NS0_8identityIvEEEESG_SJ_SK_mSL_SN_bEUlT_E_NS1_11comp_targetILNS1_3genE8ELNS1_11target_archE1030ELNS1_3gpuE2ELNS1_3repE0EEENS1_30default_config_static_selectorELNS0_4arch9wavefront6targetE1EEEvT1_.num_vgpr, 0
	.set _ZN7rocprim17ROCPRIM_400000_NS6detail17trampoline_kernelINS0_14default_configENS1_25transform_config_selectorIiLb0EEEZNS1_14transform_implILb0ES3_S5_NS0_18transform_iteratorINS0_17counting_iteratorImlEEZNS1_24adjacent_difference_implIS3_Lb1ELb0EPiSB_N6thrust23THRUST_200600_302600_NS4plusIiEEEE10hipError_tPvRmT2_T3_mT4_P12ihipStream_tbEUlmE_iEESB_NS0_8identityIvEEEESG_SJ_SK_mSL_SN_bEUlT_E_NS1_11comp_targetILNS1_3genE8ELNS1_11target_archE1030ELNS1_3gpuE2ELNS1_3repE0EEENS1_30default_config_static_selectorELNS0_4arch9wavefront6targetE1EEEvT1_.num_agpr, 0
	.set _ZN7rocprim17ROCPRIM_400000_NS6detail17trampoline_kernelINS0_14default_configENS1_25transform_config_selectorIiLb0EEEZNS1_14transform_implILb0ES3_S5_NS0_18transform_iteratorINS0_17counting_iteratorImlEEZNS1_24adjacent_difference_implIS3_Lb1ELb0EPiSB_N6thrust23THRUST_200600_302600_NS4plusIiEEEE10hipError_tPvRmT2_T3_mT4_P12ihipStream_tbEUlmE_iEESB_NS0_8identityIvEEEESG_SJ_SK_mSL_SN_bEUlT_E_NS1_11comp_targetILNS1_3genE8ELNS1_11target_archE1030ELNS1_3gpuE2ELNS1_3repE0EEENS1_30default_config_static_selectorELNS0_4arch9wavefront6targetE1EEEvT1_.numbered_sgpr, 0
	.set _ZN7rocprim17ROCPRIM_400000_NS6detail17trampoline_kernelINS0_14default_configENS1_25transform_config_selectorIiLb0EEEZNS1_14transform_implILb0ES3_S5_NS0_18transform_iteratorINS0_17counting_iteratorImlEEZNS1_24adjacent_difference_implIS3_Lb1ELb0EPiSB_N6thrust23THRUST_200600_302600_NS4plusIiEEEE10hipError_tPvRmT2_T3_mT4_P12ihipStream_tbEUlmE_iEESB_NS0_8identityIvEEEESG_SJ_SK_mSL_SN_bEUlT_E_NS1_11comp_targetILNS1_3genE8ELNS1_11target_archE1030ELNS1_3gpuE2ELNS1_3repE0EEENS1_30default_config_static_selectorELNS0_4arch9wavefront6targetE1EEEvT1_.num_named_barrier, 0
	.set _ZN7rocprim17ROCPRIM_400000_NS6detail17trampoline_kernelINS0_14default_configENS1_25transform_config_selectorIiLb0EEEZNS1_14transform_implILb0ES3_S5_NS0_18transform_iteratorINS0_17counting_iteratorImlEEZNS1_24adjacent_difference_implIS3_Lb1ELb0EPiSB_N6thrust23THRUST_200600_302600_NS4plusIiEEEE10hipError_tPvRmT2_T3_mT4_P12ihipStream_tbEUlmE_iEESB_NS0_8identityIvEEEESG_SJ_SK_mSL_SN_bEUlT_E_NS1_11comp_targetILNS1_3genE8ELNS1_11target_archE1030ELNS1_3gpuE2ELNS1_3repE0EEENS1_30default_config_static_selectorELNS0_4arch9wavefront6targetE1EEEvT1_.private_seg_size, 0
	.set _ZN7rocprim17ROCPRIM_400000_NS6detail17trampoline_kernelINS0_14default_configENS1_25transform_config_selectorIiLb0EEEZNS1_14transform_implILb0ES3_S5_NS0_18transform_iteratorINS0_17counting_iteratorImlEEZNS1_24adjacent_difference_implIS3_Lb1ELb0EPiSB_N6thrust23THRUST_200600_302600_NS4plusIiEEEE10hipError_tPvRmT2_T3_mT4_P12ihipStream_tbEUlmE_iEESB_NS0_8identityIvEEEESG_SJ_SK_mSL_SN_bEUlT_E_NS1_11comp_targetILNS1_3genE8ELNS1_11target_archE1030ELNS1_3gpuE2ELNS1_3repE0EEENS1_30default_config_static_selectorELNS0_4arch9wavefront6targetE1EEEvT1_.uses_vcc, 0
	.set _ZN7rocprim17ROCPRIM_400000_NS6detail17trampoline_kernelINS0_14default_configENS1_25transform_config_selectorIiLb0EEEZNS1_14transform_implILb0ES3_S5_NS0_18transform_iteratorINS0_17counting_iteratorImlEEZNS1_24adjacent_difference_implIS3_Lb1ELb0EPiSB_N6thrust23THRUST_200600_302600_NS4plusIiEEEE10hipError_tPvRmT2_T3_mT4_P12ihipStream_tbEUlmE_iEESB_NS0_8identityIvEEEESG_SJ_SK_mSL_SN_bEUlT_E_NS1_11comp_targetILNS1_3genE8ELNS1_11target_archE1030ELNS1_3gpuE2ELNS1_3repE0EEENS1_30default_config_static_selectorELNS0_4arch9wavefront6targetE1EEEvT1_.uses_flat_scratch, 0
	.set _ZN7rocprim17ROCPRIM_400000_NS6detail17trampoline_kernelINS0_14default_configENS1_25transform_config_selectorIiLb0EEEZNS1_14transform_implILb0ES3_S5_NS0_18transform_iteratorINS0_17counting_iteratorImlEEZNS1_24adjacent_difference_implIS3_Lb1ELb0EPiSB_N6thrust23THRUST_200600_302600_NS4plusIiEEEE10hipError_tPvRmT2_T3_mT4_P12ihipStream_tbEUlmE_iEESB_NS0_8identityIvEEEESG_SJ_SK_mSL_SN_bEUlT_E_NS1_11comp_targetILNS1_3genE8ELNS1_11target_archE1030ELNS1_3gpuE2ELNS1_3repE0EEENS1_30default_config_static_selectorELNS0_4arch9wavefront6targetE1EEEvT1_.has_dyn_sized_stack, 0
	.set _ZN7rocprim17ROCPRIM_400000_NS6detail17trampoline_kernelINS0_14default_configENS1_25transform_config_selectorIiLb0EEEZNS1_14transform_implILb0ES3_S5_NS0_18transform_iteratorINS0_17counting_iteratorImlEEZNS1_24adjacent_difference_implIS3_Lb1ELb0EPiSB_N6thrust23THRUST_200600_302600_NS4plusIiEEEE10hipError_tPvRmT2_T3_mT4_P12ihipStream_tbEUlmE_iEESB_NS0_8identityIvEEEESG_SJ_SK_mSL_SN_bEUlT_E_NS1_11comp_targetILNS1_3genE8ELNS1_11target_archE1030ELNS1_3gpuE2ELNS1_3repE0EEENS1_30default_config_static_selectorELNS0_4arch9wavefront6targetE1EEEvT1_.has_recursion, 0
	.set _ZN7rocprim17ROCPRIM_400000_NS6detail17trampoline_kernelINS0_14default_configENS1_25transform_config_selectorIiLb0EEEZNS1_14transform_implILb0ES3_S5_NS0_18transform_iteratorINS0_17counting_iteratorImlEEZNS1_24adjacent_difference_implIS3_Lb1ELb0EPiSB_N6thrust23THRUST_200600_302600_NS4plusIiEEEE10hipError_tPvRmT2_T3_mT4_P12ihipStream_tbEUlmE_iEESB_NS0_8identityIvEEEESG_SJ_SK_mSL_SN_bEUlT_E_NS1_11comp_targetILNS1_3genE8ELNS1_11target_archE1030ELNS1_3gpuE2ELNS1_3repE0EEENS1_30default_config_static_selectorELNS0_4arch9wavefront6targetE1EEEvT1_.has_indirect_call, 0
	.section	.AMDGPU.csdata,"",@progbits
; Kernel info:
; codeLenInByte = 0
; TotalNumSgprs: 4
; NumVgprs: 0
; ScratchSize: 0
; MemoryBound: 0
; FloatMode: 240
; IeeeMode: 1
; LDSByteSize: 0 bytes/workgroup (compile time only)
; SGPRBlocks: 0
; VGPRBlocks: 0
; NumSGPRsForWavesPerEU: 4
; NumVGPRsForWavesPerEU: 1
; Occupancy: 10
; WaveLimiterHint : 0
; COMPUTE_PGM_RSRC2:SCRATCH_EN: 0
; COMPUTE_PGM_RSRC2:USER_SGPR: 6
; COMPUTE_PGM_RSRC2:TRAP_HANDLER: 0
; COMPUTE_PGM_RSRC2:TGID_X_EN: 1
; COMPUTE_PGM_RSRC2:TGID_Y_EN: 0
; COMPUTE_PGM_RSRC2:TGID_Z_EN: 0
; COMPUTE_PGM_RSRC2:TIDIG_COMP_CNT: 0
	.section	.text._ZN7rocprim17ROCPRIM_400000_NS6detail17trampoline_kernelINS0_14default_configENS1_35adjacent_difference_config_selectorILb1EiEEZNS1_24adjacent_difference_implIS3_Lb1ELb0EPiS7_N6thrust23THRUST_200600_302600_NS4plusIiEEEE10hipError_tPvRmT2_T3_mT4_P12ihipStream_tbEUlT_E_NS1_11comp_targetILNS1_3genE0ELNS1_11target_archE4294967295ELNS1_3gpuE0ELNS1_3repE0EEENS1_30default_config_static_selectorELNS0_4arch9wavefront6targetE1EEEvT1_,"axG",@progbits,_ZN7rocprim17ROCPRIM_400000_NS6detail17trampoline_kernelINS0_14default_configENS1_35adjacent_difference_config_selectorILb1EiEEZNS1_24adjacent_difference_implIS3_Lb1ELb0EPiS7_N6thrust23THRUST_200600_302600_NS4plusIiEEEE10hipError_tPvRmT2_T3_mT4_P12ihipStream_tbEUlT_E_NS1_11comp_targetILNS1_3genE0ELNS1_11target_archE4294967295ELNS1_3gpuE0ELNS1_3repE0EEENS1_30default_config_static_selectorELNS0_4arch9wavefront6targetE1EEEvT1_,comdat
	.protected	_ZN7rocprim17ROCPRIM_400000_NS6detail17trampoline_kernelINS0_14default_configENS1_35adjacent_difference_config_selectorILb1EiEEZNS1_24adjacent_difference_implIS3_Lb1ELb0EPiS7_N6thrust23THRUST_200600_302600_NS4plusIiEEEE10hipError_tPvRmT2_T3_mT4_P12ihipStream_tbEUlT_E_NS1_11comp_targetILNS1_3genE0ELNS1_11target_archE4294967295ELNS1_3gpuE0ELNS1_3repE0EEENS1_30default_config_static_selectorELNS0_4arch9wavefront6targetE1EEEvT1_ ; -- Begin function _ZN7rocprim17ROCPRIM_400000_NS6detail17trampoline_kernelINS0_14default_configENS1_35adjacent_difference_config_selectorILb1EiEEZNS1_24adjacent_difference_implIS3_Lb1ELb0EPiS7_N6thrust23THRUST_200600_302600_NS4plusIiEEEE10hipError_tPvRmT2_T3_mT4_P12ihipStream_tbEUlT_E_NS1_11comp_targetILNS1_3genE0ELNS1_11target_archE4294967295ELNS1_3gpuE0ELNS1_3repE0EEENS1_30default_config_static_selectorELNS0_4arch9wavefront6targetE1EEEvT1_
	.globl	_ZN7rocprim17ROCPRIM_400000_NS6detail17trampoline_kernelINS0_14default_configENS1_35adjacent_difference_config_selectorILb1EiEEZNS1_24adjacent_difference_implIS3_Lb1ELb0EPiS7_N6thrust23THRUST_200600_302600_NS4plusIiEEEE10hipError_tPvRmT2_T3_mT4_P12ihipStream_tbEUlT_E_NS1_11comp_targetILNS1_3genE0ELNS1_11target_archE4294967295ELNS1_3gpuE0ELNS1_3repE0EEENS1_30default_config_static_selectorELNS0_4arch9wavefront6targetE1EEEvT1_
	.p2align	8
	.type	_ZN7rocprim17ROCPRIM_400000_NS6detail17trampoline_kernelINS0_14default_configENS1_35adjacent_difference_config_selectorILb1EiEEZNS1_24adjacent_difference_implIS3_Lb1ELb0EPiS7_N6thrust23THRUST_200600_302600_NS4plusIiEEEE10hipError_tPvRmT2_T3_mT4_P12ihipStream_tbEUlT_E_NS1_11comp_targetILNS1_3genE0ELNS1_11target_archE4294967295ELNS1_3gpuE0ELNS1_3repE0EEENS1_30default_config_static_selectorELNS0_4arch9wavefront6targetE1EEEvT1_,@function
_ZN7rocprim17ROCPRIM_400000_NS6detail17trampoline_kernelINS0_14default_configENS1_35adjacent_difference_config_selectorILb1EiEEZNS1_24adjacent_difference_implIS3_Lb1ELb0EPiS7_N6thrust23THRUST_200600_302600_NS4plusIiEEEE10hipError_tPvRmT2_T3_mT4_P12ihipStream_tbEUlT_E_NS1_11comp_targetILNS1_3genE0ELNS1_11target_archE4294967295ELNS1_3gpuE0ELNS1_3repE0EEENS1_30default_config_static_selectorELNS0_4arch9wavefront6targetE1EEEvT1_: ; @_ZN7rocprim17ROCPRIM_400000_NS6detail17trampoline_kernelINS0_14default_configENS1_35adjacent_difference_config_selectorILb1EiEEZNS1_24adjacent_difference_implIS3_Lb1ELb0EPiS7_N6thrust23THRUST_200600_302600_NS4plusIiEEEE10hipError_tPvRmT2_T3_mT4_P12ihipStream_tbEUlT_E_NS1_11comp_targetILNS1_3genE0ELNS1_11target_archE4294967295ELNS1_3gpuE0ELNS1_3repE0EEENS1_30default_config_static_selectorELNS0_4arch9wavefront6targetE1EEEvT1_
; %bb.0:
	.section	.rodata,"a",@progbits
	.p2align	6, 0x0
	.amdhsa_kernel _ZN7rocprim17ROCPRIM_400000_NS6detail17trampoline_kernelINS0_14default_configENS1_35adjacent_difference_config_selectorILb1EiEEZNS1_24adjacent_difference_implIS3_Lb1ELb0EPiS7_N6thrust23THRUST_200600_302600_NS4plusIiEEEE10hipError_tPvRmT2_T3_mT4_P12ihipStream_tbEUlT_E_NS1_11comp_targetILNS1_3genE0ELNS1_11target_archE4294967295ELNS1_3gpuE0ELNS1_3repE0EEENS1_30default_config_static_selectorELNS0_4arch9wavefront6targetE1EEEvT1_
		.amdhsa_group_segment_fixed_size 0
		.amdhsa_private_segment_fixed_size 0
		.amdhsa_kernarg_size 56
		.amdhsa_user_sgpr_count 6
		.amdhsa_user_sgpr_private_segment_buffer 1
		.amdhsa_user_sgpr_dispatch_ptr 0
		.amdhsa_user_sgpr_queue_ptr 0
		.amdhsa_user_sgpr_kernarg_segment_ptr 1
		.amdhsa_user_sgpr_dispatch_id 0
		.amdhsa_user_sgpr_flat_scratch_init 0
		.amdhsa_user_sgpr_private_segment_size 0
		.amdhsa_uses_dynamic_stack 0
		.amdhsa_system_sgpr_private_segment_wavefront_offset 0
		.amdhsa_system_sgpr_workgroup_id_x 1
		.amdhsa_system_sgpr_workgroup_id_y 0
		.amdhsa_system_sgpr_workgroup_id_z 0
		.amdhsa_system_sgpr_workgroup_info 0
		.amdhsa_system_vgpr_workitem_id 0
		.amdhsa_next_free_vgpr 1
		.amdhsa_next_free_sgpr 0
		.amdhsa_reserve_vcc 0
		.amdhsa_reserve_flat_scratch 0
		.amdhsa_float_round_mode_32 0
		.amdhsa_float_round_mode_16_64 0
		.amdhsa_float_denorm_mode_32 3
		.amdhsa_float_denorm_mode_16_64 3
		.amdhsa_dx10_clamp 1
		.amdhsa_ieee_mode 1
		.amdhsa_fp16_overflow 0
		.amdhsa_exception_fp_ieee_invalid_op 0
		.amdhsa_exception_fp_denorm_src 0
		.amdhsa_exception_fp_ieee_div_zero 0
		.amdhsa_exception_fp_ieee_overflow 0
		.amdhsa_exception_fp_ieee_underflow 0
		.amdhsa_exception_fp_ieee_inexact 0
		.amdhsa_exception_int_div_zero 0
	.end_amdhsa_kernel
	.section	.text._ZN7rocprim17ROCPRIM_400000_NS6detail17trampoline_kernelINS0_14default_configENS1_35adjacent_difference_config_selectorILb1EiEEZNS1_24adjacent_difference_implIS3_Lb1ELb0EPiS7_N6thrust23THRUST_200600_302600_NS4plusIiEEEE10hipError_tPvRmT2_T3_mT4_P12ihipStream_tbEUlT_E_NS1_11comp_targetILNS1_3genE0ELNS1_11target_archE4294967295ELNS1_3gpuE0ELNS1_3repE0EEENS1_30default_config_static_selectorELNS0_4arch9wavefront6targetE1EEEvT1_,"axG",@progbits,_ZN7rocprim17ROCPRIM_400000_NS6detail17trampoline_kernelINS0_14default_configENS1_35adjacent_difference_config_selectorILb1EiEEZNS1_24adjacent_difference_implIS3_Lb1ELb0EPiS7_N6thrust23THRUST_200600_302600_NS4plusIiEEEE10hipError_tPvRmT2_T3_mT4_P12ihipStream_tbEUlT_E_NS1_11comp_targetILNS1_3genE0ELNS1_11target_archE4294967295ELNS1_3gpuE0ELNS1_3repE0EEENS1_30default_config_static_selectorELNS0_4arch9wavefront6targetE1EEEvT1_,comdat
.Lfunc_end349:
	.size	_ZN7rocprim17ROCPRIM_400000_NS6detail17trampoline_kernelINS0_14default_configENS1_35adjacent_difference_config_selectorILb1EiEEZNS1_24adjacent_difference_implIS3_Lb1ELb0EPiS7_N6thrust23THRUST_200600_302600_NS4plusIiEEEE10hipError_tPvRmT2_T3_mT4_P12ihipStream_tbEUlT_E_NS1_11comp_targetILNS1_3genE0ELNS1_11target_archE4294967295ELNS1_3gpuE0ELNS1_3repE0EEENS1_30default_config_static_selectorELNS0_4arch9wavefront6targetE1EEEvT1_, .Lfunc_end349-_ZN7rocprim17ROCPRIM_400000_NS6detail17trampoline_kernelINS0_14default_configENS1_35adjacent_difference_config_selectorILb1EiEEZNS1_24adjacent_difference_implIS3_Lb1ELb0EPiS7_N6thrust23THRUST_200600_302600_NS4plusIiEEEE10hipError_tPvRmT2_T3_mT4_P12ihipStream_tbEUlT_E_NS1_11comp_targetILNS1_3genE0ELNS1_11target_archE4294967295ELNS1_3gpuE0ELNS1_3repE0EEENS1_30default_config_static_selectorELNS0_4arch9wavefront6targetE1EEEvT1_
                                        ; -- End function
	.set _ZN7rocprim17ROCPRIM_400000_NS6detail17trampoline_kernelINS0_14default_configENS1_35adjacent_difference_config_selectorILb1EiEEZNS1_24adjacent_difference_implIS3_Lb1ELb0EPiS7_N6thrust23THRUST_200600_302600_NS4plusIiEEEE10hipError_tPvRmT2_T3_mT4_P12ihipStream_tbEUlT_E_NS1_11comp_targetILNS1_3genE0ELNS1_11target_archE4294967295ELNS1_3gpuE0ELNS1_3repE0EEENS1_30default_config_static_selectorELNS0_4arch9wavefront6targetE1EEEvT1_.num_vgpr, 0
	.set _ZN7rocprim17ROCPRIM_400000_NS6detail17trampoline_kernelINS0_14default_configENS1_35adjacent_difference_config_selectorILb1EiEEZNS1_24adjacent_difference_implIS3_Lb1ELb0EPiS7_N6thrust23THRUST_200600_302600_NS4plusIiEEEE10hipError_tPvRmT2_T3_mT4_P12ihipStream_tbEUlT_E_NS1_11comp_targetILNS1_3genE0ELNS1_11target_archE4294967295ELNS1_3gpuE0ELNS1_3repE0EEENS1_30default_config_static_selectorELNS0_4arch9wavefront6targetE1EEEvT1_.num_agpr, 0
	.set _ZN7rocprim17ROCPRIM_400000_NS6detail17trampoline_kernelINS0_14default_configENS1_35adjacent_difference_config_selectorILb1EiEEZNS1_24adjacent_difference_implIS3_Lb1ELb0EPiS7_N6thrust23THRUST_200600_302600_NS4plusIiEEEE10hipError_tPvRmT2_T3_mT4_P12ihipStream_tbEUlT_E_NS1_11comp_targetILNS1_3genE0ELNS1_11target_archE4294967295ELNS1_3gpuE0ELNS1_3repE0EEENS1_30default_config_static_selectorELNS0_4arch9wavefront6targetE1EEEvT1_.numbered_sgpr, 0
	.set _ZN7rocprim17ROCPRIM_400000_NS6detail17trampoline_kernelINS0_14default_configENS1_35adjacent_difference_config_selectorILb1EiEEZNS1_24adjacent_difference_implIS3_Lb1ELb0EPiS7_N6thrust23THRUST_200600_302600_NS4plusIiEEEE10hipError_tPvRmT2_T3_mT4_P12ihipStream_tbEUlT_E_NS1_11comp_targetILNS1_3genE0ELNS1_11target_archE4294967295ELNS1_3gpuE0ELNS1_3repE0EEENS1_30default_config_static_selectorELNS0_4arch9wavefront6targetE1EEEvT1_.num_named_barrier, 0
	.set _ZN7rocprim17ROCPRIM_400000_NS6detail17trampoline_kernelINS0_14default_configENS1_35adjacent_difference_config_selectorILb1EiEEZNS1_24adjacent_difference_implIS3_Lb1ELb0EPiS7_N6thrust23THRUST_200600_302600_NS4plusIiEEEE10hipError_tPvRmT2_T3_mT4_P12ihipStream_tbEUlT_E_NS1_11comp_targetILNS1_3genE0ELNS1_11target_archE4294967295ELNS1_3gpuE0ELNS1_3repE0EEENS1_30default_config_static_selectorELNS0_4arch9wavefront6targetE1EEEvT1_.private_seg_size, 0
	.set _ZN7rocprim17ROCPRIM_400000_NS6detail17trampoline_kernelINS0_14default_configENS1_35adjacent_difference_config_selectorILb1EiEEZNS1_24adjacent_difference_implIS3_Lb1ELb0EPiS7_N6thrust23THRUST_200600_302600_NS4plusIiEEEE10hipError_tPvRmT2_T3_mT4_P12ihipStream_tbEUlT_E_NS1_11comp_targetILNS1_3genE0ELNS1_11target_archE4294967295ELNS1_3gpuE0ELNS1_3repE0EEENS1_30default_config_static_selectorELNS0_4arch9wavefront6targetE1EEEvT1_.uses_vcc, 0
	.set _ZN7rocprim17ROCPRIM_400000_NS6detail17trampoline_kernelINS0_14default_configENS1_35adjacent_difference_config_selectorILb1EiEEZNS1_24adjacent_difference_implIS3_Lb1ELb0EPiS7_N6thrust23THRUST_200600_302600_NS4plusIiEEEE10hipError_tPvRmT2_T3_mT4_P12ihipStream_tbEUlT_E_NS1_11comp_targetILNS1_3genE0ELNS1_11target_archE4294967295ELNS1_3gpuE0ELNS1_3repE0EEENS1_30default_config_static_selectorELNS0_4arch9wavefront6targetE1EEEvT1_.uses_flat_scratch, 0
	.set _ZN7rocprim17ROCPRIM_400000_NS6detail17trampoline_kernelINS0_14default_configENS1_35adjacent_difference_config_selectorILb1EiEEZNS1_24adjacent_difference_implIS3_Lb1ELb0EPiS7_N6thrust23THRUST_200600_302600_NS4plusIiEEEE10hipError_tPvRmT2_T3_mT4_P12ihipStream_tbEUlT_E_NS1_11comp_targetILNS1_3genE0ELNS1_11target_archE4294967295ELNS1_3gpuE0ELNS1_3repE0EEENS1_30default_config_static_selectorELNS0_4arch9wavefront6targetE1EEEvT1_.has_dyn_sized_stack, 0
	.set _ZN7rocprim17ROCPRIM_400000_NS6detail17trampoline_kernelINS0_14default_configENS1_35adjacent_difference_config_selectorILb1EiEEZNS1_24adjacent_difference_implIS3_Lb1ELb0EPiS7_N6thrust23THRUST_200600_302600_NS4plusIiEEEE10hipError_tPvRmT2_T3_mT4_P12ihipStream_tbEUlT_E_NS1_11comp_targetILNS1_3genE0ELNS1_11target_archE4294967295ELNS1_3gpuE0ELNS1_3repE0EEENS1_30default_config_static_selectorELNS0_4arch9wavefront6targetE1EEEvT1_.has_recursion, 0
	.set _ZN7rocprim17ROCPRIM_400000_NS6detail17trampoline_kernelINS0_14default_configENS1_35adjacent_difference_config_selectorILb1EiEEZNS1_24adjacent_difference_implIS3_Lb1ELb0EPiS7_N6thrust23THRUST_200600_302600_NS4plusIiEEEE10hipError_tPvRmT2_T3_mT4_P12ihipStream_tbEUlT_E_NS1_11comp_targetILNS1_3genE0ELNS1_11target_archE4294967295ELNS1_3gpuE0ELNS1_3repE0EEENS1_30default_config_static_selectorELNS0_4arch9wavefront6targetE1EEEvT1_.has_indirect_call, 0
	.section	.AMDGPU.csdata,"",@progbits
; Kernel info:
; codeLenInByte = 0
; TotalNumSgprs: 4
; NumVgprs: 0
; ScratchSize: 0
; MemoryBound: 0
; FloatMode: 240
; IeeeMode: 1
; LDSByteSize: 0 bytes/workgroup (compile time only)
; SGPRBlocks: 0
; VGPRBlocks: 0
; NumSGPRsForWavesPerEU: 4
; NumVGPRsForWavesPerEU: 1
; Occupancy: 10
; WaveLimiterHint : 0
; COMPUTE_PGM_RSRC2:SCRATCH_EN: 0
; COMPUTE_PGM_RSRC2:USER_SGPR: 6
; COMPUTE_PGM_RSRC2:TRAP_HANDLER: 0
; COMPUTE_PGM_RSRC2:TGID_X_EN: 1
; COMPUTE_PGM_RSRC2:TGID_Y_EN: 0
; COMPUTE_PGM_RSRC2:TGID_Z_EN: 0
; COMPUTE_PGM_RSRC2:TIDIG_COMP_CNT: 0
	.section	.text._ZN7rocprim17ROCPRIM_400000_NS6detail17trampoline_kernelINS0_14default_configENS1_35adjacent_difference_config_selectorILb1EiEEZNS1_24adjacent_difference_implIS3_Lb1ELb0EPiS7_N6thrust23THRUST_200600_302600_NS4plusIiEEEE10hipError_tPvRmT2_T3_mT4_P12ihipStream_tbEUlT_E_NS1_11comp_targetILNS1_3genE10ELNS1_11target_archE1201ELNS1_3gpuE5ELNS1_3repE0EEENS1_30default_config_static_selectorELNS0_4arch9wavefront6targetE1EEEvT1_,"axG",@progbits,_ZN7rocprim17ROCPRIM_400000_NS6detail17trampoline_kernelINS0_14default_configENS1_35adjacent_difference_config_selectorILb1EiEEZNS1_24adjacent_difference_implIS3_Lb1ELb0EPiS7_N6thrust23THRUST_200600_302600_NS4plusIiEEEE10hipError_tPvRmT2_T3_mT4_P12ihipStream_tbEUlT_E_NS1_11comp_targetILNS1_3genE10ELNS1_11target_archE1201ELNS1_3gpuE5ELNS1_3repE0EEENS1_30default_config_static_selectorELNS0_4arch9wavefront6targetE1EEEvT1_,comdat
	.protected	_ZN7rocprim17ROCPRIM_400000_NS6detail17trampoline_kernelINS0_14default_configENS1_35adjacent_difference_config_selectorILb1EiEEZNS1_24adjacent_difference_implIS3_Lb1ELb0EPiS7_N6thrust23THRUST_200600_302600_NS4plusIiEEEE10hipError_tPvRmT2_T3_mT4_P12ihipStream_tbEUlT_E_NS1_11comp_targetILNS1_3genE10ELNS1_11target_archE1201ELNS1_3gpuE5ELNS1_3repE0EEENS1_30default_config_static_selectorELNS0_4arch9wavefront6targetE1EEEvT1_ ; -- Begin function _ZN7rocprim17ROCPRIM_400000_NS6detail17trampoline_kernelINS0_14default_configENS1_35adjacent_difference_config_selectorILb1EiEEZNS1_24adjacent_difference_implIS3_Lb1ELb0EPiS7_N6thrust23THRUST_200600_302600_NS4plusIiEEEE10hipError_tPvRmT2_T3_mT4_P12ihipStream_tbEUlT_E_NS1_11comp_targetILNS1_3genE10ELNS1_11target_archE1201ELNS1_3gpuE5ELNS1_3repE0EEENS1_30default_config_static_selectorELNS0_4arch9wavefront6targetE1EEEvT1_
	.globl	_ZN7rocprim17ROCPRIM_400000_NS6detail17trampoline_kernelINS0_14default_configENS1_35adjacent_difference_config_selectorILb1EiEEZNS1_24adjacent_difference_implIS3_Lb1ELb0EPiS7_N6thrust23THRUST_200600_302600_NS4plusIiEEEE10hipError_tPvRmT2_T3_mT4_P12ihipStream_tbEUlT_E_NS1_11comp_targetILNS1_3genE10ELNS1_11target_archE1201ELNS1_3gpuE5ELNS1_3repE0EEENS1_30default_config_static_selectorELNS0_4arch9wavefront6targetE1EEEvT1_
	.p2align	8
	.type	_ZN7rocprim17ROCPRIM_400000_NS6detail17trampoline_kernelINS0_14default_configENS1_35adjacent_difference_config_selectorILb1EiEEZNS1_24adjacent_difference_implIS3_Lb1ELb0EPiS7_N6thrust23THRUST_200600_302600_NS4plusIiEEEE10hipError_tPvRmT2_T3_mT4_P12ihipStream_tbEUlT_E_NS1_11comp_targetILNS1_3genE10ELNS1_11target_archE1201ELNS1_3gpuE5ELNS1_3repE0EEENS1_30default_config_static_selectorELNS0_4arch9wavefront6targetE1EEEvT1_,@function
_ZN7rocprim17ROCPRIM_400000_NS6detail17trampoline_kernelINS0_14default_configENS1_35adjacent_difference_config_selectorILb1EiEEZNS1_24adjacent_difference_implIS3_Lb1ELb0EPiS7_N6thrust23THRUST_200600_302600_NS4plusIiEEEE10hipError_tPvRmT2_T3_mT4_P12ihipStream_tbEUlT_E_NS1_11comp_targetILNS1_3genE10ELNS1_11target_archE1201ELNS1_3gpuE5ELNS1_3repE0EEENS1_30default_config_static_selectorELNS0_4arch9wavefront6targetE1EEEvT1_: ; @_ZN7rocprim17ROCPRIM_400000_NS6detail17trampoline_kernelINS0_14default_configENS1_35adjacent_difference_config_selectorILb1EiEEZNS1_24adjacent_difference_implIS3_Lb1ELb0EPiS7_N6thrust23THRUST_200600_302600_NS4plusIiEEEE10hipError_tPvRmT2_T3_mT4_P12ihipStream_tbEUlT_E_NS1_11comp_targetILNS1_3genE10ELNS1_11target_archE1201ELNS1_3gpuE5ELNS1_3repE0EEENS1_30default_config_static_selectorELNS0_4arch9wavefront6targetE1EEEvT1_
; %bb.0:
	.section	.rodata,"a",@progbits
	.p2align	6, 0x0
	.amdhsa_kernel _ZN7rocprim17ROCPRIM_400000_NS6detail17trampoline_kernelINS0_14default_configENS1_35adjacent_difference_config_selectorILb1EiEEZNS1_24adjacent_difference_implIS3_Lb1ELb0EPiS7_N6thrust23THRUST_200600_302600_NS4plusIiEEEE10hipError_tPvRmT2_T3_mT4_P12ihipStream_tbEUlT_E_NS1_11comp_targetILNS1_3genE10ELNS1_11target_archE1201ELNS1_3gpuE5ELNS1_3repE0EEENS1_30default_config_static_selectorELNS0_4arch9wavefront6targetE1EEEvT1_
		.amdhsa_group_segment_fixed_size 0
		.amdhsa_private_segment_fixed_size 0
		.amdhsa_kernarg_size 56
		.amdhsa_user_sgpr_count 6
		.amdhsa_user_sgpr_private_segment_buffer 1
		.amdhsa_user_sgpr_dispatch_ptr 0
		.amdhsa_user_sgpr_queue_ptr 0
		.amdhsa_user_sgpr_kernarg_segment_ptr 1
		.amdhsa_user_sgpr_dispatch_id 0
		.amdhsa_user_sgpr_flat_scratch_init 0
		.amdhsa_user_sgpr_private_segment_size 0
		.amdhsa_uses_dynamic_stack 0
		.amdhsa_system_sgpr_private_segment_wavefront_offset 0
		.amdhsa_system_sgpr_workgroup_id_x 1
		.amdhsa_system_sgpr_workgroup_id_y 0
		.amdhsa_system_sgpr_workgroup_id_z 0
		.amdhsa_system_sgpr_workgroup_info 0
		.amdhsa_system_vgpr_workitem_id 0
		.amdhsa_next_free_vgpr 1
		.amdhsa_next_free_sgpr 0
		.amdhsa_reserve_vcc 0
		.amdhsa_reserve_flat_scratch 0
		.amdhsa_float_round_mode_32 0
		.amdhsa_float_round_mode_16_64 0
		.amdhsa_float_denorm_mode_32 3
		.amdhsa_float_denorm_mode_16_64 3
		.amdhsa_dx10_clamp 1
		.amdhsa_ieee_mode 1
		.amdhsa_fp16_overflow 0
		.amdhsa_exception_fp_ieee_invalid_op 0
		.amdhsa_exception_fp_denorm_src 0
		.amdhsa_exception_fp_ieee_div_zero 0
		.amdhsa_exception_fp_ieee_overflow 0
		.amdhsa_exception_fp_ieee_underflow 0
		.amdhsa_exception_fp_ieee_inexact 0
		.amdhsa_exception_int_div_zero 0
	.end_amdhsa_kernel
	.section	.text._ZN7rocprim17ROCPRIM_400000_NS6detail17trampoline_kernelINS0_14default_configENS1_35adjacent_difference_config_selectorILb1EiEEZNS1_24adjacent_difference_implIS3_Lb1ELb0EPiS7_N6thrust23THRUST_200600_302600_NS4plusIiEEEE10hipError_tPvRmT2_T3_mT4_P12ihipStream_tbEUlT_E_NS1_11comp_targetILNS1_3genE10ELNS1_11target_archE1201ELNS1_3gpuE5ELNS1_3repE0EEENS1_30default_config_static_selectorELNS0_4arch9wavefront6targetE1EEEvT1_,"axG",@progbits,_ZN7rocprim17ROCPRIM_400000_NS6detail17trampoline_kernelINS0_14default_configENS1_35adjacent_difference_config_selectorILb1EiEEZNS1_24adjacent_difference_implIS3_Lb1ELb0EPiS7_N6thrust23THRUST_200600_302600_NS4plusIiEEEE10hipError_tPvRmT2_T3_mT4_P12ihipStream_tbEUlT_E_NS1_11comp_targetILNS1_3genE10ELNS1_11target_archE1201ELNS1_3gpuE5ELNS1_3repE0EEENS1_30default_config_static_selectorELNS0_4arch9wavefront6targetE1EEEvT1_,comdat
.Lfunc_end350:
	.size	_ZN7rocprim17ROCPRIM_400000_NS6detail17trampoline_kernelINS0_14default_configENS1_35adjacent_difference_config_selectorILb1EiEEZNS1_24adjacent_difference_implIS3_Lb1ELb0EPiS7_N6thrust23THRUST_200600_302600_NS4plusIiEEEE10hipError_tPvRmT2_T3_mT4_P12ihipStream_tbEUlT_E_NS1_11comp_targetILNS1_3genE10ELNS1_11target_archE1201ELNS1_3gpuE5ELNS1_3repE0EEENS1_30default_config_static_selectorELNS0_4arch9wavefront6targetE1EEEvT1_, .Lfunc_end350-_ZN7rocprim17ROCPRIM_400000_NS6detail17trampoline_kernelINS0_14default_configENS1_35adjacent_difference_config_selectorILb1EiEEZNS1_24adjacent_difference_implIS3_Lb1ELb0EPiS7_N6thrust23THRUST_200600_302600_NS4plusIiEEEE10hipError_tPvRmT2_T3_mT4_P12ihipStream_tbEUlT_E_NS1_11comp_targetILNS1_3genE10ELNS1_11target_archE1201ELNS1_3gpuE5ELNS1_3repE0EEENS1_30default_config_static_selectorELNS0_4arch9wavefront6targetE1EEEvT1_
                                        ; -- End function
	.set _ZN7rocprim17ROCPRIM_400000_NS6detail17trampoline_kernelINS0_14default_configENS1_35adjacent_difference_config_selectorILb1EiEEZNS1_24adjacent_difference_implIS3_Lb1ELb0EPiS7_N6thrust23THRUST_200600_302600_NS4plusIiEEEE10hipError_tPvRmT2_T3_mT4_P12ihipStream_tbEUlT_E_NS1_11comp_targetILNS1_3genE10ELNS1_11target_archE1201ELNS1_3gpuE5ELNS1_3repE0EEENS1_30default_config_static_selectorELNS0_4arch9wavefront6targetE1EEEvT1_.num_vgpr, 0
	.set _ZN7rocprim17ROCPRIM_400000_NS6detail17trampoline_kernelINS0_14default_configENS1_35adjacent_difference_config_selectorILb1EiEEZNS1_24adjacent_difference_implIS3_Lb1ELb0EPiS7_N6thrust23THRUST_200600_302600_NS4plusIiEEEE10hipError_tPvRmT2_T3_mT4_P12ihipStream_tbEUlT_E_NS1_11comp_targetILNS1_3genE10ELNS1_11target_archE1201ELNS1_3gpuE5ELNS1_3repE0EEENS1_30default_config_static_selectorELNS0_4arch9wavefront6targetE1EEEvT1_.num_agpr, 0
	.set _ZN7rocprim17ROCPRIM_400000_NS6detail17trampoline_kernelINS0_14default_configENS1_35adjacent_difference_config_selectorILb1EiEEZNS1_24adjacent_difference_implIS3_Lb1ELb0EPiS7_N6thrust23THRUST_200600_302600_NS4plusIiEEEE10hipError_tPvRmT2_T3_mT4_P12ihipStream_tbEUlT_E_NS1_11comp_targetILNS1_3genE10ELNS1_11target_archE1201ELNS1_3gpuE5ELNS1_3repE0EEENS1_30default_config_static_selectorELNS0_4arch9wavefront6targetE1EEEvT1_.numbered_sgpr, 0
	.set _ZN7rocprim17ROCPRIM_400000_NS6detail17trampoline_kernelINS0_14default_configENS1_35adjacent_difference_config_selectorILb1EiEEZNS1_24adjacent_difference_implIS3_Lb1ELb0EPiS7_N6thrust23THRUST_200600_302600_NS4plusIiEEEE10hipError_tPvRmT2_T3_mT4_P12ihipStream_tbEUlT_E_NS1_11comp_targetILNS1_3genE10ELNS1_11target_archE1201ELNS1_3gpuE5ELNS1_3repE0EEENS1_30default_config_static_selectorELNS0_4arch9wavefront6targetE1EEEvT1_.num_named_barrier, 0
	.set _ZN7rocprim17ROCPRIM_400000_NS6detail17trampoline_kernelINS0_14default_configENS1_35adjacent_difference_config_selectorILb1EiEEZNS1_24adjacent_difference_implIS3_Lb1ELb0EPiS7_N6thrust23THRUST_200600_302600_NS4plusIiEEEE10hipError_tPvRmT2_T3_mT4_P12ihipStream_tbEUlT_E_NS1_11comp_targetILNS1_3genE10ELNS1_11target_archE1201ELNS1_3gpuE5ELNS1_3repE0EEENS1_30default_config_static_selectorELNS0_4arch9wavefront6targetE1EEEvT1_.private_seg_size, 0
	.set _ZN7rocprim17ROCPRIM_400000_NS6detail17trampoline_kernelINS0_14default_configENS1_35adjacent_difference_config_selectorILb1EiEEZNS1_24adjacent_difference_implIS3_Lb1ELb0EPiS7_N6thrust23THRUST_200600_302600_NS4plusIiEEEE10hipError_tPvRmT2_T3_mT4_P12ihipStream_tbEUlT_E_NS1_11comp_targetILNS1_3genE10ELNS1_11target_archE1201ELNS1_3gpuE5ELNS1_3repE0EEENS1_30default_config_static_selectorELNS0_4arch9wavefront6targetE1EEEvT1_.uses_vcc, 0
	.set _ZN7rocprim17ROCPRIM_400000_NS6detail17trampoline_kernelINS0_14default_configENS1_35adjacent_difference_config_selectorILb1EiEEZNS1_24adjacent_difference_implIS3_Lb1ELb0EPiS7_N6thrust23THRUST_200600_302600_NS4plusIiEEEE10hipError_tPvRmT2_T3_mT4_P12ihipStream_tbEUlT_E_NS1_11comp_targetILNS1_3genE10ELNS1_11target_archE1201ELNS1_3gpuE5ELNS1_3repE0EEENS1_30default_config_static_selectorELNS0_4arch9wavefront6targetE1EEEvT1_.uses_flat_scratch, 0
	.set _ZN7rocprim17ROCPRIM_400000_NS6detail17trampoline_kernelINS0_14default_configENS1_35adjacent_difference_config_selectorILb1EiEEZNS1_24adjacent_difference_implIS3_Lb1ELb0EPiS7_N6thrust23THRUST_200600_302600_NS4plusIiEEEE10hipError_tPvRmT2_T3_mT4_P12ihipStream_tbEUlT_E_NS1_11comp_targetILNS1_3genE10ELNS1_11target_archE1201ELNS1_3gpuE5ELNS1_3repE0EEENS1_30default_config_static_selectorELNS0_4arch9wavefront6targetE1EEEvT1_.has_dyn_sized_stack, 0
	.set _ZN7rocprim17ROCPRIM_400000_NS6detail17trampoline_kernelINS0_14default_configENS1_35adjacent_difference_config_selectorILb1EiEEZNS1_24adjacent_difference_implIS3_Lb1ELb0EPiS7_N6thrust23THRUST_200600_302600_NS4plusIiEEEE10hipError_tPvRmT2_T3_mT4_P12ihipStream_tbEUlT_E_NS1_11comp_targetILNS1_3genE10ELNS1_11target_archE1201ELNS1_3gpuE5ELNS1_3repE0EEENS1_30default_config_static_selectorELNS0_4arch9wavefront6targetE1EEEvT1_.has_recursion, 0
	.set _ZN7rocprim17ROCPRIM_400000_NS6detail17trampoline_kernelINS0_14default_configENS1_35adjacent_difference_config_selectorILb1EiEEZNS1_24adjacent_difference_implIS3_Lb1ELb0EPiS7_N6thrust23THRUST_200600_302600_NS4plusIiEEEE10hipError_tPvRmT2_T3_mT4_P12ihipStream_tbEUlT_E_NS1_11comp_targetILNS1_3genE10ELNS1_11target_archE1201ELNS1_3gpuE5ELNS1_3repE0EEENS1_30default_config_static_selectorELNS0_4arch9wavefront6targetE1EEEvT1_.has_indirect_call, 0
	.section	.AMDGPU.csdata,"",@progbits
; Kernel info:
; codeLenInByte = 0
; TotalNumSgprs: 4
; NumVgprs: 0
; ScratchSize: 0
; MemoryBound: 0
; FloatMode: 240
; IeeeMode: 1
; LDSByteSize: 0 bytes/workgroup (compile time only)
; SGPRBlocks: 0
; VGPRBlocks: 0
; NumSGPRsForWavesPerEU: 4
; NumVGPRsForWavesPerEU: 1
; Occupancy: 10
; WaveLimiterHint : 0
; COMPUTE_PGM_RSRC2:SCRATCH_EN: 0
; COMPUTE_PGM_RSRC2:USER_SGPR: 6
; COMPUTE_PGM_RSRC2:TRAP_HANDLER: 0
; COMPUTE_PGM_RSRC2:TGID_X_EN: 1
; COMPUTE_PGM_RSRC2:TGID_Y_EN: 0
; COMPUTE_PGM_RSRC2:TGID_Z_EN: 0
; COMPUTE_PGM_RSRC2:TIDIG_COMP_CNT: 0
	.section	.text._ZN7rocprim17ROCPRIM_400000_NS6detail17trampoline_kernelINS0_14default_configENS1_35adjacent_difference_config_selectorILb1EiEEZNS1_24adjacent_difference_implIS3_Lb1ELb0EPiS7_N6thrust23THRUST_200600_302600_NS4plusIiEEEE10hipError_tPvRmT2_T3_mT4_P12ihipStream_tbEUlT_E_NS1_11comp_targetILNS1_3genE5ELNS1_11target_archE942ELNS1_3gpuE9ELNS1_3repE0EEENS1_30default_config_static_selectorELNS0_4arch9wavefront6targetE1EEEvT1_,"axG",@progbits,_ZN7rocprim17ROCPRIM_400000_NS6detail17trampoline_kernelINS0_14default_configENS1_35adjacent_difference_config_selectorILb1EiEEZNS1_24adjacent_difference_implIS3_Lb1ELb0EPiS7_N6thrust23THRUST_200600_302600_NS4plusIiEEEE10hipError_tPvRmT2_T3_mT4_P12ihipStream_tbEUlT_E_NS1_11comp_targetILNS1_3genE5ELNS1_11target_archE942ELNS1_3gpuE9ELNS1_3repE0EEENS1_30default_config_static_selectorELNS0_4arch9wavefront6targetE1EEEvT1_,comdat
	.protected	_ZN7rocprim17ROCPRIM_400000_NS6detail17trampoline_kernelINS0_14default_configENS1_35adjacent_difference_config_selectorILb1EiEEZNS1_24adjacent_difference_implIS3_Lb1ELb0EPiS7_N6thrust23THRUST_200600_302600_NS4plusIiEEEE10hipError_tPvRmT2_T3_mT4_P12ihipStream_tbEUlT_E_NS1_11comp_targetILNS1_3genE5ELNS1_11target_archE942ELNS1_3gpuE9ELNS1_3repE0EEENS1_30default_config_static_selectorELNS0_4arch9wavefront6targetE1EEEvT1_ ; -- Begin function _ZN7rocprim17ROCPRIM_400000_NS6detail17trampoline_kernelINS0_14default_configENS1_35adjacent_difference_config_selectorILb1EiEEZNS1_24adjacent_difference_implIS3_Lb1ELb0EPiS7_N6thrust23THRUST_200600_302600_NS4plusIiEEEE10hipError_tPvRmT2_T3_mT4_P12ihipStream_tbEUlT_E_NS1_11comp_targetILNS1_3genE5ELNS1_11target_archE942ELNS1_3gpuE9ELNS1_3repE0EEENS1_30default_config_static_selectorELNS0_4arch9wavefront6targetE1EEEvT1_
	.globl	_ZN7rocprim17ROCPRIM_400000_NS6detail17trampoline_kernelINS0_14default_configENS1_35adjacent_difference_config_selectorILb1EiEEZNS1_24adjacent_difference_implIS3_Lb1ELb0EPiS7_N6thrust23THRUST_200600_302600_NS4plusIiEEEE10hipError_tPvRmT2_T3_mT4_P12ihipStream_tbEUlT_E_NS1_11comp_targetILNS1_3genE5ELNS1_11target_archE942ELNS1_3gpuE9ELNS1_3repE0EEENS1_30default_config_static_selectorELNS0_4arch9wavefront6targetE1EEEvT1_
	.p2align	8
	.type	_ZN7rocprim17ROCPRIM_400000_NS6detail17trampoline_kernelINS0_14default_configENS1_35adjacent_difference_config_selectorILb1EiEEZNS1_24adjacent_difference_implIS3_Lb1ELb0EPiS7_N6thrust23THRUST_200600_302600_NS4plusIiEEEE10hipError_tPvRmT2_T3_mT4_P12ihipStream_tbEUlT_E_NS1_11comp_targetILNS1_3genE5ELNS1_11target_archE942ELNS1_3gpuE9ELNS1_3repE0EEENS1_30default_config_static_selectorELNS0_4arch9wavefront6targetE1EEEvT1_,@function
_ZN7rocprim17ROCPRIM_400000_NS6detail17trampoline_kernelINS0_14default_configENS1_35adjacent_difference_config_selectorILb1EiEEZNS1_24adjacent_difference_implIS3_Lb1ELb0EPiS7_N6thrust23THRUST_200600_302600_NS4plusIiEEEE10hipError_tPvRmT2_T3_mT4_P12ihipStream_tbEUlT_E_NS1_11comp_targetILNS1_3genE5ELNS1_11target_archE942ELNS1_3gpuE9ELNS1_3repE0EEENS1_30default_config_static_selectorELNS0_4arch9wavefront6targetE1EEEvT1_: ; @_ZN7rocprim17ROCPRIM_400000_NS6detail17trampoline_kernelINS0_14default_configENS1_35adjacent_difference_config_selectorILb1EiEEZNS1_24adjacent_difference_implIS3_Lb1ELb0EPiS7_N6thrust23THRUST_200600_302600_NS4plusIiEEEE10hipError_tPvRmT2_T3_mT4_P12ihipStream_tbEUlT_E_NS1_11comp_targetILNS1_3genE5ELNS1_11target_archE942ELNS1_3gpuE9ELNS1_3repE0EEENS1_30default_config_static_selectorELNS0_4arch9wavefront6targetE1EEEvT1_
; %bb.0:
	.section	.rodata,"a",@progbits
	.p2align	6, 0x0
	.amdhsa_kernel _ZN7rocprim17ROCPRIM_400000_NS6detail17trampoline_kernelINS0_14default_configENS1_35adjacent_difference_config_selectorILb1EiEEZNS1_24adjacent_difference_implIS3_Lb1ELb0EPiS7_N6thrust23THRUST_200600_302600_NS4plusIiEEEE10hipError_tPvRmT2_T3_mT4_P12ihipStream_tbEUlT_E_NS1_11comp_targetILNS1_3genE5ELNS1_11target_archE942ELNS1_3gpuE9ELNS1_3repE0EEENS1_30default_config_static_selectorELNS0_4arch9wavefront6targetE1EEEvT1_
		.amdhsa_group_segment_fixed_size 0
		.amdhsa_private_segment_fixed_size 0
		.amdhsa_kernarg_size 56
		.amdhsa_user_sgpr_count 6
		.amdhsa_user_sgpr_private_segment_buffer 1
		.amdhsa_user_sgpr_dispatch_ptr 0
		.amdhsa_user_sgpr_queue_ptr 0
		.amdhsa_user_sgpr_kernarg_segment_ptr 1
		.amdhsa_user_sgpr_dispatch_id 0
		.amdhsa_user_sgpr_flat_scratch_init 0
		.amdhsa_user_sgpr_private_segment_size 0
		.amdhsa_uses_dynamic_stack 0
		.amdhsa_system_sgpr_private_segment_wavefront_offset 0
		.amdhsa_system_sgpr_workgroup_id_x 1
		.amdhsa_system_sgpr_workgroup_id_y 0
		.amdhsa_system_sgpr_workgroup_id_z 0
		.amdhsa_system_sgpr_workgroup_info 0
		.amdhsa_system_vgpr_workitem_id 0
		.amdhsa_next_free_vgpr 1
		.amdhsa_next_free_sgpr 0
		.amdhsa_reserve_vcc 0
		.amdhsa_reserve_flat_scratch 0
		.amdhsa_float_round_mode_32 0
		.amdhsa_float_round_mode_16_64 0
		.amdhsa_float_denorm_mode_32 3
		.amdhsa_float_denorm_mode_16_64 3
		.amdhsa_dx10_clamp 1
		.amdhsa_ieee_mode 1
		.amdhsa_fp16_overflow 0
		.amdhsa_exception_fp_ieee_invalid_op 0
		.amdhsa_exception_fp_denorm_src 0
		.amdhsa_exception_fp_ieee_div_zero 0
		.amdhsa_exception_fp_ieee_overflow 0
		.amdhsa_exception_fp_ieee_underflow 0
		.amdhsa_exception_fp_ieee_inexact 0
		.amdhsa_exception_int_div_zero 0
	.end_amdhsa_kernel
	.section	.text._ZN7rocprim17ROCPRIM_400000_NS6detail17trampoline_kernelINS0_14default_configENS1_35adjacent_difference_config_selectorILb1EiEEZNS1_24adjacent_difference_implIS3_Lb1ELb0EPiS7_N6thrust23THRUST_200600_302600_NS4plusIiEEEE10hipError_tPvRmT2_T3_mT4_P12ihipStream_tbEUlT_E_NS1_11comp_targetILNS1_3genE5ELNS1_11target_archE942ELNS1_3gpuE9ELNS1_3repE0EEENS1_30default_config_static_selectorELNS0_4arch9wavefront6targetE1EEEvT1_,"axG",@progbits,_ZN7rocprim17ROCPRIM_400000_NS6detail17trampoline_kernelINS0_14default_configENS1_35adjacent_difference_config_selectorILb1EiEEZNS1_24adjacent_difference_implIS3_Lb1ELb0EPiS7_N6thrust23THRUST_200600_302600_NS4plusIiEEEE10hipError_tPvRmT2_T3_mT4_P12ihipStream_tbEUlT_E_NS1_11comp_targetILNS1_3genE5ELNS1_11target_archE942ELNS1_3gpuE9ELNS1_3repE0EEENS1_30default_config_static_selectorELNS0_4arch9wavefront6targetE1EEEvT1_,comdat
.Lfunc_end351:
	.size	_ZN7rocprim17ROCPRIM_400000_NS6detail17trampoline_kernelINS0_14default_configENS1_35adjacent_difference_config_selectorILb1EiEEZNS1_24adjacent_difference_implIS3_Lb1ELb0EPiS7_N6thrust23THRUST_200600_302600_NS4plusIiEEEE10hipError_tPvRmT2_T3_mT4_P12ihipStream_tbEUlT_E_NS1_11comp_targetILNS1_3genE5ELNS1_11target_archE942ELNS1_3gpuE9ELNS1_3repE0EEENS1_30default_config_static_selectorELNS0_4arch9wavefront6targetE1EEEvT1_, .Lfunc_end351-_ZN7rocprim17ROCPRIM_400000_NS6detail17trampoline_kernelINS0_14default_configENS1_35adjacent_difference_config_selectorILb1EiEEZNS1_24adjacent_difference_implIS3_Lb1ELb0EPiS7_N6thrust23THRUST_200600_302600_NS4plusIiEEEE10hipError_tPvRmT2_T3_mT4_P12ihipStream_tbEUlT_E_NS1_11comp_targetILNS1_3genE5ELNS1_11target_archE942ELNS1_3gpuE9ELNS1_3repE0EEENS1_30default_config_static_selectorELNS0_4arch9wavefront6targetE1EEEvT1_
                                        ; -- End function
	.set _ZN7rocprim17ROCPRIM_400000_NS6detail17trampoline_kernelINS0_14default_configENS1_35adjacent_difference_config_selectorILb1EiEEZNS1_24adjacent_difference_implIS3_Lb1ELb0EPiS7_N6thrust23THRUST_200600_302600_NS4plusIiEEEE10hipError_tPvRmT2_T3_mT4_P12ihipStream_tbEUlT_E_NS1_11comp_targetILNS1_3genE5ELNS1_11target_archE942ELNS1_3gpuE9ELNS1_3repE0EEENS1_30default_config_static_selectorELNS0_4arch9wavefront6targetE1EEEvT1_.num_vgpr, 0
	.set _ZN7rocprim17ROCPRIM_400000_NS6detail17trampoline_kernelINS0_14default_configENS1_35adjacent_difference_config_selectorILb1EiEEZNS1_24adjacent_difference_implIS3_Lb1ELb0EPiS7_N6thrust23THRUST_200600_302600_NS4plusIiEEEE10hipError_tPvRmT2_T3_mT4_P12ihipStream_tbEUlT_E_NS1_11comp_targetILNS1_3genE5ELNS1_11target_archE942ELNS1_3gpuE9ELNS1_3repE0EEENS1_30default_config_static_selectorELNS0_4arch9wavefront6targetE1EEEvT1_.num_agpr, 0
	.set _ZN7rocprim17ROCPRIM_400000_NS6detail17trampoline_kernelINS0_14default_configENS1_35adjacent_difference_config_selectorILb1EiEEZNS1_24adjacent_difference_implIS3_Lb1ELb0EPiS7_N6thrust23THRUST_200600_302600_NS4plusIiEEEE10hipError_tPvRmT2_T3_mT4_P12ihipStream_tbEUlT_E_NS1_11comp_targetILNS1_3genE5ELNS1_11target_archE942ELNS1_3gpuE9ELNS1_3repE0EEENS1_30default_config_static_selectorELNS0_4arch9wavefront6targetE1EEEvT1_.numbered_sgpr, 0
	.set _ZN7rocprim17ROCPRIM_400000_NS6detail17trampoline_kernelINS0_14default_configENS1_35adjacent_difference_config_selectorILb1EiEEZNS1_24adjacent_difference_implIS3_Lb1ELb0EPiS7_N6thrust23THRUST_200600_302600_NS4plusIiEEEE10hipError_tPvRmT2_T3_mT4_P12ihipStream_tbEUlT_E_NS1_11comp_targetILNS1_3genE5ELNS1_11target_archE942ELNS1_3gpuE9ELNS1_3repE0EEENS1_30default_config_static_selectorELNS0_4arch9wavefront6targetE1EEEvT1_.num_named_barrier, 0
	.set _ZN7rocprim17ROCPRIM_400000_NS6detail17trampoline_kernelINS0_14default_configENS1_35adjacent_difference_config_selectorILb1EiEEZNS1_24adjacent_difference_implIS3_Lb1ELb0EPiS7_N6thrust23THRUST_200600_302600_NS4plusIiEEEE10hipError_tPvRmT2_T3_mT4_P12ihipStream_tbEUlT_E_NS1_11comp_targetILNS1_3genE5ELNS1_11target_archE942ELNS1_3gpuE9ELNS1_3repE0EEENS1_30default_config_static_selectorELNS0_4arch9wavefront6targetE1EEEvT1_.private_seg_size, 0
	.set _ZN7rocprim17ROCPRIM_400000_NS6detail17trampoline_kernelINS0_14default_configENS1_35adjacent_difference_config_selectorILb1EiEEZNS1_24adjacent_difference_implIS3_Lb1ELb0EPiS7_N6thrust23THRUST_200600_302600_NS4plusIiEEEE10hipError_tPvRmT2_T3_mT4_P12ihipStream_tbEUlT_E_NS1_11comp_targetILNS1_3genE5ELNS1_11target_archE942ELNS1_3gpuE9ELNS1_3repE0EEENS1_30default_config_static_selectorELNS0_4arch9wavefront6targetE1EEEvT1_.uses_vcc, 0
	.set _ZN7rocprim17ROCPRIM_400000_NS6detail17trampoline_kernelINS0_14default_configENS1_35adjacent_difference_config_selectorILb1EiEEZNS1_24adjacent_difference_implIS3_Lb1ELb0EPiS7_N6thrust23THRUST_200600_302600_NS4plusIiEEEE10hipError_tPvRmT2_T3_mT4_P12ihipStream_tbEUlT_E_NS1_11comp_targetILNS1_3genE5ELNS1_11target_archE942ELNS1_3gpuE9ELNS1_3repE0EEENS1_30default_config_static_selectorELNS0_4arch9wavefront6targetE1EEEvT1_.uses_flat_scratch, 0
	.set _ZN7rocprim17ROCPRIM_400000_NS6detail17trampoline_kernelINS0_14default_configENS1_35adjacent_difference_config_selectorILb1EiEEZNS1_24adjacent_difference_implIS3_Lb1ELb0EPiS7_N6thrust23THRUST_200600_302600_NS4plusIiEEEE10hipError_tPvRmT2_T3_mT4_P12ihipStream_tbEUlT_E_NS1_11comp_targetILNS1_3genE5ELNS1_11target_archE942ELNS1_3gpuE9ELNS1_3repE0EEENS1_30default_config_static_selectorELNS0_4arch9wavefront6targetE1EEEvT1_.has_dyn_sized_stack, 0
	.set _ZN7rocprim17ROCPRIM_400000_NS6detail17trampoline_kernelINS0_14default_configENS1_35adjacent_difference_config_selectorILb1EiEEZNS1_24adjacent_difference_implIS3_Lb1ELb0EPiS7_N6thrust23THRUST_200600_302600_NS4plusIiEEEE10hipError_tPvRmT2_T3_mT4_P12ihipStream_tbEUlT_E_NS1_11comp_targetILNS1_3genE5ELNS1_11target_archE942ELNS1_3gpuE9ELNS1_3repE0EEENS1_30default_config_static_selectorELNS0_4arch9wavefront6targetE1EEEvT1_.has_recursion, 0
	.set _ZN7rocprim17ROCPRIM_400000_NS6detail17trampoline_kernelINS0_14default_configENS1_35adjacent_difference_config_selectorILb1EiEEZNS1_24adjacent_difference_implIS3_Lb1ELb0EPiS7_N6thrust23THRUST_200600_302600_NS4plusIiEEEE10hipError_tPvRmT2_T3_mT4_P12ihipStream_tbEUlT_E_NS1_11comp_targetILNS1_3genE5ELNS1_11target_archE942ELNS1_3gpuE9ELNS1_3repE0EEENS1_30default_config_static_selectorELNS0_4arch9wavefront6targetE1EEEvT1_.has_indirect_call, 0
	.section	.AMDGPU.csdata,"",@progbits
; Kernel info:
; codeLenInByte = 0
; TotalNumSgprs: 4
; NumVgprs: 0
; ScratchSize: 0
; MemoryBound: 0
; FloatMode: 240
; IeeeMode: 1
; LDSByteSize: 0 bytes/workgroup (compile time only)
; SGPRBlocks: 0
; VGPRBlocks: 0
; NumSGPRsForWavesPerEU: 4
; NumVGPRsForWavesPerEU: 1
; Occupancy: 10
; WaveLimiterHint : 0
; COMPUTE_PGM_RSRC2:SCRATCH_EN: 0
; COMPUTE_PGM_RSRC2:USER_SGPR: 6
; COMPUTE_PGM_RSRC2:TRAP_HANDLER: 0
; COMPUTE_PGM_RSRC2:TGID_X_EN: 1
; COMPUTE_PGM_RSRC2:TGID_Y_EN: 0
; COMPUTE_PGM_RSRC2:TGID_Z_EN: 0
; COMPUTE_PGM_RSRC2:TIDIG_COMP_CNT: 0
	.section	.text._ZN7rocprim17ROCPRIM_400000_NS6detail17trampoline_kernelINS0_14default_configENS1_35adjacent_difference_config_selectorILb1EiEEZNS1_24adjacent_difference_implIS3_Lb1ELb0EPiS7_N6thrust23THRUST_200600_302600_NS4plusIiEEEE10hipError_tPvRmT2_T3_mT4_P12ihipStream_tbEUlT_E_NS1_11comp_targetILNS1_3genE4ELNS1_11target_archE910ELNS1_3gpuE8ELNS1_3repE0EEENS1_30default_config_static_selectorELNS0_4arch9wavefront6targetE1EEEvT1_,"axG",@progbits,_ZN7rocprim17ROCPRIM_400000_NS6detail17trampoline_kernelINS0_14default_configENS1_35adjacent_difference_config_selectorILb1EiEEZNS1_24adjacent_difference_implIS3_Lb1ELb0EPiS7_N6thrust23THRUST_200600_302600_NS4plusIiEEEE10hipError_tPvRmT2_T3_mT4_P12ihipStream_tbEUlT_E_NS1_11comp_targetILNS1_3genE4ELNS1_11target_archE910ELNS1_3gpuE8ELNS1_3repE0EEENS1_30default_config_static_selectorELNS0_4arch9wavefront6targetE1EEEvT1_,comdat
	.protected	_ZN7rocprim17ROCPRIM_400000_NS6detail17trampoline_kernelINS0_14default_configENS1_35adjacent_difference_config_selectorILb1EiEEZNS1_24adjacent_difference_implIS3_Lb1ELb0EPiS7_N6thrust23THRUST_200600_302600_NS4plusIiEEEE10hipError_tPvRmT2_T3_mT4_P12ihipStream_tbEUlT_E_NS1_11comp_targetILNS1_3genE4ELNS1_11target_archE910ELNS1_3gpuE8ELNS1_3repE0EEENS1_30default_config_static_selectorELNS0_4arch9wavefront6targetE1EEEvT1_ ; -- Begin function _ZN7rocprim17ROCPRIM_400000_NS6detail17trampoline_kernelINS0_14default_configENS1_35adjacent_difference_config_selectorILb1EiEEZNS1_24adjacent_difference_implIS3_Lb1ELb0EPiS7_N6thrust23THRUST_200600_302600_NS4plusIiEEEE10hipError_tPvRmT2_T3_mT4_P12ihipStream_tbEUlT_E_NS1_11comp_targetILNS1_3genE4ELNS1_11target_archE910ELNS1_3gpuE8ELNS1_3repE0EEENS1_30default_config_static_selectorELNS0_4arch9wavefront6targetE1EEEvT1_
	.globl	_ZN7rocprim17ROCPRIM_400000_NS6detail17trampoline_kernelINS0_14default_configENS1_35adjacent_difference_config_selectorILb1EiEEZNS1_24adjacent_difference_implIS3_Lb1ELb0EPiS7_N6thrust23THRUST_200600_302600_NS4plusIiEEEE10hipError_tPvRmT2_T3_mT4_P12ihipStream_tbEUlT_E_NS1_11comp_targetILNS1_3genE4ELNS1_11target_archE910ELNS1_3gpuE8ELNS1_3repE0EEENS1_30default_config_static_selectorELNS0_4arch9wavefront6targetE1EEEvT1_
	.p2align	8
	.type	_ZN7rocprim17ROCPRIM_400000_NS6detail17trampoline_kernelINS0_14default_configENS1_35adjacent_difference_config_selectorILb1EiEEZNS1_24adjacent_difference_implIS3_Lb1ELb0EPiS7_N6thrust23THRUST_200600_302600_NS4plusIiEEEE10hipError_tPvRmT2_T3_mT4_P12ihipStream_tbEUlT_E_NS1_11comp_targetILNS1_3genE4ELNS1_11target_archE910ELNS1_3gpuE8ELNS1_3repE0EEENS1_30default_config_static_selectorELNS0_4arch9wavefront6targetE1EEEvT1_,@function
_ZN7rocprim17ROCPRIM_400000_NS6detail17trampoline_kernelINS0_14default_configENS1_35adjacent_difference_config_selectorILb1EiEEZNS1_24adjacent_difference_implIS3_Lb1ELb0EPiS7_N6thrust23THRUST_200600_302600_NS4plusIiEEEE10hipError_tPvRmT2_T3_mT4_P12ihipStream_tbEUlT_E_NS1_11comp_targetILNS1_3genE4ELNS1_11target_archE910ELNS1_3gpuE8ELNS1_3repE0EEENS1_30default_config_static_selectorELNS0_4arch9wavefront6targetE1EEEvT1_: ; @_ZN7rocprim17ROCPRIM_400000_NS6detail17trampoline_kernelINS0_14default_configENS1_35adjacent_difference_config_selectorILb1EiEEZNS1_24adjacent_difference_implIS3_Lb1ELb0EPiS7_N6thrust23THRUST_200600_302600_NS4plusIiEEEE10hipError_tPvRmT2_T3_mT4_P12ihipStream_tbEUlT_E_NS1_11comp_targetILNS1_3genE4ELNS1_11target_archE910ELNS1_3gpuE8ELNS1_3repE0EEENS1_30default_config_static_selectorELNS0_4arch9wavefront6targetE1EEEvT1_
; %bb.0:
	.section	.rodata,"a",@progbits
	.p2align	6, 0x0
	.amdhsa_kernel _ZN7rocprim17ROCPRIM_400000_NS6detail17trampoline_kernelINS0_14default_configENS1_35adjacent_difference_config_selectorILb1EiEEZNS1_24adjacent_difference_implIS3_Lb1ELb0EPiS7_N6thrust23THRUST_200600_302600_NS4plusIiEEEE10hipError_tPvRmT2_T3_mT4_P12ihipStream_tbEUlT_E_NS1_11comp_targetILNS1_3genE4ELNS1_11target_archE910ELNS1_3gpuE8ELNS1_3repE0EEENS1_30default_config_static_selectorELNS0_4arch9wavefront6targetE1EEEvT1_
		.amdhsa_group_segment_fixed_size 0
		.amdhsa_private_segment_fixed_size 0
		.amdhsa_kernarg_size 56
		.amdhsa_user_sgpr_count 6
		.amdhsa_user_sgpr_private_segment_buffer 1
		.amdhsa_user_sgpr_dispatch_ptr 0
		.amdhsa_user_sgpr_queue_ptr 0
		.amdhsa_user_sgpr_kernarg_segment_ptr 1
		.amdhsa_user_sgpr_dispatch_id 0
		.amdhsa_user_sgpr_flat_scratch_init 0
		.amdhsa_user_sgpr_private_segment_size 0
		.amdhsa_uses_dynamic_stack 0
		.amdhsa_system_sgpr_private_segment_wavefront_offset 0
		.amdhsa_system_sgpr_workgroup_id_x 1
		.amdhsa_system_sgpr_workgroup_id_y 0
		.amdhsa_system_sgpr_workgroup_id_z 0
		.amdhsa_system_sgpr_workgroup_info 0
		.amdhsa_system_vgpr_workitem_id 0
		.amdhsa_next_free_vgpr 1
		.amdhsa_next_free_sgpr 0
		.amdhsa_reserve_vcc 0
		.amdhsa_reserve_flat_scratch 0
		.amdhsa_float_round_mode_32 0
		.amdhsa_float_round_mode_16_64 0
		.amdhsa_float_denorm_mode_32 3
		.amdhsa_float_denorm_mode_16_64 3
		.amdhsa_dx10_clamp 1
		.amdhsa_ieee_mode 1
		.amdhsa_fp16_overflow 0
		.amdhsa_exception_fp_ieee_invalid_op 0
		.amdhsa_exception_fp_denorm_src 0
		.amdhsa_exception_fp_ieee_div_zero 0
		.amdhsa_exception_fp_ieee_overflow 0
		.amdhsa_exception_fp_ieee_underflow 0
		.amdhsa_exception_fp_ieee_inexact 0
		.amdhsa_exception_int_div_zero 0
	.end_amdhsa_kernel
	.section	.text._ZN7rocprim17ROCPRIM_400000_NS6detail17trampoline_kernelINS0_14default_configENS1_35adjacent_difference_config_selectorILb1EiEEZNS1_24adjacent_difference_implIS3_Lb1ELb0EPiS7_N6thrust23THRUST_200600_302600_NS4plusIiEEEE10hipError_tPvRmT2_T3_mT4_P12ihipStream_tbEUlT_E_NS1_11comp_targetILNS1_3genE4ELNS1_11target_archE910ELNS1_3gpuE8ELNS1_3repE0EEENS1_30default_config_static_selectorELNS0_4arch9wavefront6targetE1EEEvT1_,"axG",@progbits,_ZN7rocprim17ROCPRIM_400000_NS6detail17trampoline_kernelINS0_14default_configENS1_35adjacent_difference_config_selectorILb1EiEEZNS1_24adjacent_difference_implIS3_Lb1ELb0EPiS7_N6thrust23THRUST_200600_302600_NS4plusIiEEEE10hipError_tPvRmT2_T3_mT4_P12ihipStream_tbEUlT_E_NS1_11comp_targetILNS1_3genE4ELNS1_11target_archE910ELNS1_3gpuE8ELNS1_3repE0EEENS1_30default_config_static_selectorELNS0_4arch9wavefront6targetE1EEEvT1_,comdat
.Lfunc_end352:
	.size	_ZN7rocprim17ROCPRIM_400000_NS6detail17trampoline_kernelINS0_14default_configENS1_35adjacent_difference_config_selectorILb1EiEEZNS1_24adjacent_difference_implIS3_Lb1ELb0EPiS7_N6thrust23THRUST_200600_302600_NS4plusIiEEEE10hipError_tPvRmT2_T3_mT4_P12ihipStream_tbEUlT_E_NS1_11comp_targetILNS1_3genE4ELNS1_11target_archE910ELNS1_3gpuE8ELNS1_3repE0EEENS1_30default_config_static_selectorELNS0_4arch9wavefront6targetE1EEEvT1_, .Lfunc_end352-_ZN7rocprim17ROCPRIM_400000_NS6detail17trampoline_kernelINS0_14default_configENS1_35adjacent_difference_config_selectorILb1EiEEZNS1_24adjacent_difference_implIS3_Lb1ELb0EPiS7_N6thrust23THRUST_200600_302600_NS4plusIiEEEE10hipError_tPvRmT2_T3_mT4_P12ihipStream_tbEUlT_E_NS1_11comp_targetILNS1_3genE4ELNS1_11target_archE910ELNS1_3gpuE8ELNS1_3repE0EEENS1_30default_config_static_selectorELNS0_4arch9wavefront6targetE1EEEvT1_
                                        ; -- End function
	.set _ZN7rocprim17ROCPRIM_400000_NS6detail17trampoline_kernelINS0_14default_configENS1_35adjacent_difference_config_selectorILb1EiEEZNS1_24adjacent_difference_implIS3_Lb1ELb0EPiS7_N6thrust23THRUST_200600_302600_NS4plusIiEEEE10hipError_tPvRmT2_T3_mT4_P12ihipStream_tbEUlT_E_NS1_11comp_targetILNS1_3genE4ELNS1_11target_archE910ELNS1_3gpuE8ELNS1_3repE0EEENS1_30default_config_static_selectorELNS0_4arch9wavefront6targetE1EEEvT1_.num_vgpr, 0
	.set _ZN7rocprim17ROCPRIM_400000_NS6detail17trampoline_kernelINS0_14default_configENS1_35adjacent_difference_config_selectorILb1EiEEZNS1_24adjacent_difference_implIS3_Lb1ELb0EPiS7_N6thrust23THRUST_200600_302600_NS4plusIiEEEE10hipError_tPvRmT2_T3_mT4_P12ihipStream_tbEUlT_E_NS1_11comp_targetILNS1_3genE4ELNS1_11target_archE910ELNS1_3gpuE8ELNS1_3repE0EEENS1_30default_config_static_selectorELNS0_4arch9wavefront6targetE1EEEvT1_.num_agpr, 0
	.set _ZN7rocprim17ROCPRIM_400000_NS6detail17trampoline_kernelINS0_14default_configENS1_35adjacent_difference_config_selectorILb1EiEEZNS1_24adjacent_difference_implIS3_Lb1ELb0EPiS7_N6thrust23THRUST_200600_302600_NS4plusIiEEEE10hipError_tPvRmT2_T3_mT4_P12ihipStream_tbEUlT_E_NS1_11comp_targetILNS1_3genE4ELNS1_11target_archE910ELNS1_3gpuE8ELNS1_3repE0EEENS1_30default_config_static_selectorELNS0_4arch9wavefront6targetE1EEEvT1_.numbered_sgpr, 0
	.set _ZN7rocprim17ROCPRIM_400000_NS6detail17trampoline_kernelINS0_14default_configENS1_35adjacent_difference_config_selectorILb1EiEEZNS1_24adjacent_difference_implIS3_Lb1ELb0EPiS7_N6thrust23THRUST_200600_302600_NS4plusIiEEEE10hipError_tPvRmT2_T3_mT4_P12ihipStream_tbEUlT_E_NS1_11comp_targetILNS1_3genE4ELNS1_11target_archE910ELNS1_3gpuE8ELNS1_3repE0EEENS1_30default_config_static_selectorELNS0_4arch9wavefront6targetE1EEEvT1_.num_named_barrier, 0
	.set _ZN7rocprim17ROCPRIM_400000_NS6detail17trampoline_kernelINS0_14default_configENS1_35adjacent_difference_config_selectorILb1EiEEZNS1_24adjacent_difference_implIS3_Lb1ELb0EPiS7_N6thrust23THRUST_200600_302600_NS4plusIiEEEE10hipError_tPvRmT2_T3_mT4_P12ihipStream_tbEUlT_E_NS1_11comp_targetILNS1_3genE4ELNS1_11target_archE910ELNS1_3gpuE8ELNS1_3repE0EEENS1_30default_config_static_selectorELNS0_4arch9wavefront6targetE1EEEvT1_.private_seg_size, 0
	.set _ZN7rocprim17ROCPRIM_400000_NS6detail17trampoline_kernelINS0_14default_configENS1_35adjacent_difference_config_selectorILb1EiEEZNS1_24adjacent_difference_implIS3_Lb1ELb0EPiS7_N6thrust23THRUST_200600_302600_NS4plusIiEEEE10hipError_tPvRmT2_T3_mT4_P12ihipStream_tbEUlT_E_NS1_11comp_targetILNS1_3genE4ELNS1_11target_archE910ELNS1_3gpuE8ELNS1_3repE0EEENS1_30default_config_static_selectorELNS0_4arch9wavefront6targetE1EEEvT1_.uses_vcc, 0
	.set _ZN7rocprim17ROCPRIM_400000_NS6detail17trampoline_kernelINS0_14default_configENS1_35adjacent_difference_config_selectorILb1EiEEZNS1_24adjacent_difference_implIS3_Lb1ELb0EPiS7_N6thrust23THRUST_200600_302600_NS4plusIiEEEE10hipError_tPvRmT2_T3_mT4_P12ihipStream_tbEUlT_E_NS1_11comp_targetILNS1_3genE4ELNS1_11target_archE910ELNS1_3gpuE8ELNS1_3repE0EEENS1_30default_config_static_selectorELNS0_4arch9wavefront6targetE1EEEvT1_.uses_flat_scratch, 0
	.set _ZN7rocprim17ROCPRIM_400000_NS6detail17trampoline_kernelINS0_14default_configENS1_35adjacent_difference_config_selectorILb1EiEEZNS1_24adjacent_difference_implIS3_Lb1ELb0EPiS7_N6thrust23THRUST_200600_302600_NS4plusIiEEEE10hipError_tPvRmT2_T3_mT4_P12ihipStream_tbEUlT_E_NS1_11comp_targetILNS1_3genE4ELNS1_11target_archE910ELNS1_3gpuE8ELNS1_3repE0EEENS1_30default_config_static_selectorELNS0_4arch9wavefront6targetE1EEEvT1_.has_dyn_sized_stack, 0
	.set _ZN7rocprim17ROCPRIM_400000_NS6detail17trampoline_kernelINS0_14default_configENS1_35adjacent_difference_config_selectorILb1EiEEZNS1_24adjacent_difference_implIS3_Lb1ELb0EPiS7_N6thrust23THRUST_200600_302600_NS4plusIiEEEE10hipError_tPvRmT2_T3_mT4_P12ihipStream_tbEUlT_E_NS1_11comp_targetILNS1_3genE4ELNS1_11target_archE910ELNS1_3gpuE8ELNS1_3repE0EEENS1_30default_config_static_selectorELNS0_4arch9wavefront6targetE1EEEvT1_.has_recursion, 0
	.set _ZN7rocprim17ROCPRIM_400000_NS6detail17trampoline_kernelINS0_14default_configENS1_35adjacent_difference_config_selectorILb1EiEEZNS1_24adjacent_difference_implIS3_Lb1ELb0EPiS7_N6thrust23THRUST_200600_302600_NS4plusIiEEEE10hipError_tPvRmT2_T3_mT4_P12ihipStream_tbEUlT_E_NS1_11comp_targetILNS1_3genE4ELNS1_11target_archE910ELNS1_3gpuE8ELNS1_3repE0EEENS1_30default_config_static_selectorELNS0_4arch9wavefront6targetE1EEEvT1_.has_indirect_call, 0
	.section	.AMDGPU.csdata,"",@progbits
; Kernel info:
; codeLenInByte = 0
; TotalNumSgprs: 4
; NumVgprs: 0
; ScratchSize: 0
; MemoryBound: 0
; FloatMode: 240
; IeeeMode: 1
; LDSByteSize: 0 bytes/workgroup (compile time only)
; SGPRBlocks: 0
; VGPRBlocks: 0
; NumSGPRsForWavesPerEU: 4
; NumVGPRsForWavesPerEU: 1
; Occupancy: 10
; WaveLimiterHint : 0
; COMPUTE_PGM_RSRC2:SCRATCH_EN: 0
; COMPUTE_PGM_RSRC2:USER_SGPR: 6
; COMPUTE_PGM_RSRC2:TRAP_HANDLER: 0
; COMPUTE_PGM_RSRC2:TGID_X_EN: 1
; COMPUTE_PGM_RSRC2:TGID_Y_EN: 0
; COMPUTE_PGM_RSRC2:TGID_Z_EN: 0
; COMPUTE_PGM_RSRC2:TIDIG_COMP_CNT: 0
	.section	.text._ZN7rocprim17ROCPRIM_400000_NS6detail17trampoline_kernelINS0_14default_configENS1_35adjacent_difference_config_selectorILb1EiEEZNS1_24adjacent_difference_implIS3_Lb1ELb0EPiS7_N6thrust23THRUST_200600_302600_NS4plusIiEEEE10hipError_tPvRmT2_T3_mT4_P12ihipStream_tbEUlT_E_NS1_11comp_targetILNS1_3genE3ELNS1_11target_archE908ELNS1_3gpuE7ELNS1_3repE0EEENS1_30default_config_static_selectorELNS0_4arch9wavefront6targetE1EEEvT1_,"axG",@progbits,_ZN7rocprim17ROCPRIM_400000_NS6detail17trampoline_kernelINS0_14default_configENS1_35adjacent_difference_config_selectorILb1EiEEZNS1_24adjacent_difference_implIS3_Lb1ELb0EPiS7_N6thrust23THRUST_200600_302600_NS4plusIiEEEE10hipError_tPvRmT2_T3_mT4_P12ihipStream_tbEUlT_E_NS1_11comp_targetILNS1_3genE3ELNS1_11target_archE908ELNS1_3gpuE7ELNS1_3repE0EEENS1_30default_config_static_selectorELNS0_4arch9wavefront6targetE1EEEvT1_,comdat
	.protected	_ZN7rocprim17ROCPRIM_400000_NS6detail17trampoline_kernelINS0_14default_configENS1_35adjacent_difference_config_selectorILb1EiEEZNS1_24adjacent_difference_implIS3_Lb1ELb0EPiS7_N6thrust23THRUST_200600_302600_NS4plusIiEEEE10hipError_tPvRmT2_T3_mT4_P12ihipStream_tbEUlT_E_NS1_11comp_targetILNS1_3genE3ELNS1_11target_archE908ELNS1_3gpuE7ELNS1_3repE0EEENS1_30default_config_static_selectorELNS0_4arch9wavefront6targetE1EEEvT1_ ; -- Begin function _ZN7rocprim17ROCPRIM_400000_NS6detail17trampoline_kernelINS0_14default_configENS1_35adjacent_difference_config_selectorILb1EiEEZNS1_24adjacent_difference_implIS3_Lb1ELb0EPiS7_N6thrust23THRUST_200600_302600_NS4plusIiEEEE10hipError_tPvRmT2_T3_mT4_P12ihipStream_tbEUlT_E_NS1_11comp_targetILNS1_3genE3ELNS1_11target_archE908ELNS1_3gpuE7ELNS1_3repE0EEENS1_30default_config_static_selectorELNS0_4arch9wavefront6targetE1EEEvT1_
	.globl	_ZN7rocprim17ROCPRIM_400000_NS6detail17trampoline_kernelINS0_14default_configENS1_35adjacent_difference_config_selectorILb1EiEEZNS1_24adjacent_difference_implIS3_Lb1ELb0EPiS7_N6thrust23THRUST_200600_302600_NS4plusIiEEEE10hipError_tPvRmT2_T3_mT4_P12ihipStream_tbEUlT_E_NS1_11comp_targetILNS1_3genE3ELNS1_11target_archE908ELNS1_3gpuE7ELNS1_3repE0EEENS1_30default_config_static_selectorELNS0_4arch9wavefront6targetE1EEEvT1_
	.p2align	8
	.type	_ZN7rocprim17ROCPRIM_400000_NS6detail17trampoline_kernelINS0_14default_configENS1_35adjacent_difference_config_selectorILb1EiEEZNS1_24adjacent_difference_implIS3_Lb1ELb0EPiS7_N6thrust23THRUST_200600_302600_NS4plusIiEEEE10hipError_tPvRmT2_T3_mT4_P12ihipStream_tbEUlT_E_NS1_11comp_targetILNS1_3genE3ELNS1_11target_archE908ELNS1_3gpuE7ELNS1_3repE0EEENS1_30default_config_static_selectorELNS0_4arch9wavefront6targetE1EEEvT1_,@function
_ZN7rocprim17ROCPRIM_400000_NS6detail17trampoline_kernelINS0_14default_configENS1_35adjacent_difference_config_selectorILb1EiEEZNS1_24adjacent_difference_implIS3_Lb1ELb0EPiS7_N6thrust23THRUST_200600_302600_NS4plusIiEEEE10hipError_tPvRmT2_T3_mT4_P12ihipStream_tbEUlT_E_NS1_11comp_targetILNS1_3genE3ELNS1_11target_archE908ELNS1_3gpuE7ELNS1_3repE0EEENS1_30default_config_static_selectorELNS0_4arch9wavefront6targetE1EEEvT1_: ; @_ZN7rocprim17ROCPRIM_400000_NS6detail17trampoline_kernelINS0_14default_configENS1_35adjacent_difference_config_selectorILb1EiEEZNS1_24adjacent_difference_implIS3_Lb1ELb0EPiS7_N6thrust23THRUST_200600_302600_NS4plusIiEEEE10hipError_tPvRmT2_T3_mT4_P12ihipStream_tbEUlT_E_NS1_11comp_targetILNS1_3genE3ELNS1_11target_archE908ELNS1_3gpuE7ELNS1_3repE0EEENS1_30default_config_static_selectorELNS0_4arch9wavefront6targetE1EEEvT1_
; %bb.0:
	.section	.rodata,"a",@progbits
	.p2align	6, 0x0
	.amdhsa_kernel _ZN7rocprim17ROCPRIM_400000_NS6detail17trampoline_kernelINS0_14default_configENS1_35adjacent_difference_config_selectorILb1EiEEZNS1_24adjacent_difference_implIS3_Lb1ELb0EPiS7_N6thrust23THRUST_200600_302600_NS4plusIiEEEE10hipError_tPvRmT2_T3_mT4_P12ihipStream_tbEUlT_E_NS1_11comp_targetILNS1_3genE3ELNS1_11target_archE908ELNS1_3gpuE7ELNS1_3repE0EEENS1_30default_config_static_selectorELNS0_4arch9wavefront6targetE1EEEvT1_
		.amdhsa_group_segment_fixed_size 0
		.amdhsa_private_segment_fixed_size 0
		.amdhsa_kernarg_size 56
		.amdhsa_user_sgpr_count 6
		.amdhsa_user_sgpr_private_segment_buffer 1
		.amdhsa_user_sgpr_dispatch_ptr 0
		.amdhsa_user_sgpr_queue_ptr 0
		.amdhsa_user_sgpr_kernarg_segment_ptr 1
		.amdhsa_user_sgpr_dispatch_id 0
		.amdhsa_user_sgpr_flat_scratch_init 0
		.amdhsa_user_sgpr_private_segment_size 0
		.amdhsa_uses_dynamic_stack 0
		.amdhsa_system_sgpr_private_segment_wavefront_offset 0
		.amdhsa_system_sgpr_workgroup_id_x 1
		.amdhsa_system_sgpr_workgroup_id_y 0
		.amdhsa_system_sgpr_workgroup_id_z 0
		.amdhsa_system_sgpr_workgroup_info 0
		.amdhsa_system_vgpr_workitem_id 0
		.amdhsa_next_free_vgpr 1
		.amdhsa_next_free_sgpr 0
		.amdhsa_reserve_vcc 0
		.amdhsa_reserve_flat_scratch 0
		.amdhsa_float_round_mode_32 0
		.amdhsa_float_round_mode_16_64 0
		.amdhsa_float_denorm_mode_32 3
		.amdhsa_float_denorm_mode_16_64 3
		.amdhsa_dx10_clamp 1
		.amdhsa_ieee_mode 1
		.amdhsa_fp16_overflow 0
		.amdhsa_exception_fp_ieee_invalid_op 0
		.amdhsa_exception_fp_denorm_src 0
		.amdhsa_exception_fp_ieee_div_zero 0
		.amdhsa_exception_fp_ieee_overflow 0
		.amdhsa_exception_fp_ieee_underflow 0
		.amdhsa_exception_fp_ieee_inexact 0
		.amdhsa_exception_int_div_zero 0
	.end_amdhsa_kernel
	.section	.text._ZN7rocprim17ROCPRIM_400000_NS6detail17trampoline_kernelINS0_14default_configENS1_35adjacent_difference_config_selectorILb1EiEEZNS1_24adjacent_difference_implIS3_Lb1ELb0EPiS7_N6thrust23THRUST_200600_302600_NS4plusIiEEEE10hipError_tPvRmT2_T3_mT4_P12ihipStream_tbEUlT_E_NS1_11comp_targetILNS1_3genE3ELNS1_11target_archE908ELNS1_3gpuE7ELNS1_3repE0EEENS1_30default_config_static_selectorELNS0_4arch9wavefront6targetE1EEEvT1_,"axG",@progbits,_ZN7rocprim17ROCPRIM_400000_NS6detail17trampoline_kernelINS0_14default_configENS1_35adjacent_difference_config_selectorILb1EiEEZNS1_24adjacent_difference_implIS3_Lb1ELb0EPiS7_N6thrust23THRUST_200600_302600_NS4plusIiEEEE10hipError_tPvRmT2_T3_mT4_P12ihipStream_tbEUlT_E_NS1_11comp_targetILNS1_3genE3ELNS1_11target_archE908ELNS1_3gpuE7ELNS1_3repE0EEENS1_30default_config_static_selectorELNS0_4arch9wavefront6targetE1EEEvT1_,comdat
.Lfunc_end353:
	.size	_ZN7rocprim17ROCPRIM_400000_NS6detail17trampoline_kernelINS0_14default_configENS1_35adjacent_difference_config_selectorILb1EiEEZNS1_24adjacent_difference_implIS3_Lb1ELb0EPiS7_N6thrust23THRUST_200600_302600_NS4plusIiEEEE10hipError_tPvRmT2_T3_mT4_P12ihipStream_tbEUlT_E_NS1_11comp_targetILNS1_3genE3ELNS1_11target_archE908ELNS1_3gpuE7ELNS1_3repE0EEENS1_30default_config_static_selectorELNS0_4arch9wavefront6targetE1EEEvT1_, .Lfunc_end353-_ZN7rocprim17ROCPRIM_400000_NS6detail17trampoline_kernelINS0_14default_configENS1_35adjacent_difference_config_selectorILb1EiEEZNS1_24adjacent_difference_implIS3_Lb1ELb0EPiS7_N6thrust23THRUST_200600_302600_NS4plusIiEEEE10hipError_tPvRmT2_T3_mT4_P12ihipStream_tbEUlT_E_NS1_11comp_targetILNS1_3genE3ELNS1_11target_archE908ELNS1_3gpuE7ELNS1_3repE0EEENS1_30default_config_static_selectorELNS0_4arch9wavefront6targetE1EEEvT1_
                                        ; -- End function
	.set _ZN7rocprim17ROCPRIM_400000_NS6detail17trampoline_kernelINS0_14default_configENS1_35adjacent_difference_config_selectorILb1EiEEZNS1_24adjacent_difference_implIS3_Lb1ELb0EPiS7_N6thrust23THRUST_200600_302600_NS4plusIiEEEE10hipError_tPvRmT2_T3_mT4_P12ihipStream_tbEUlT_E_NS1_11comp_targetILNS1_3genE3ELNS1_11target_archE908ELNS1_3gpuE7ELNS1_3repE0EEENS1_30default_config_static_selectorELNS0_4arch9wavefront6targetE1EEEvT1_.num_vgpr, 0
	.set _ZN7rocprim17ROCPRIM_400000_NS6detail17trampoline_kernelINS0_14default_configENS1_35adjacent_difference_config_selectorILb1EiEEZNS1_24adjacent_difference_implIS3_Lb1ELb0EPiS7_N6thrust23THRUST_200600_302600_NS4plusIiEEEE10hipError_tPvRmT2_T3_mT4_P12ihipStream_tbEUlT_E_NS1_11comp_targetILNS1_3genE3ELNS1_11target_archE908ELNS1_3gpuE7ELNS1_3repE0EEENS1_30default_config_static_selectorELNS0_4arch9wavefront6targetE1EEEvT1_.num_agpr, 0
	.set _ZN7rocprim17ROCPRIM_400000_NS6detail17trampoline_kernelINS0_14default_configENS1_35adjacent_difference_config_selectorILb1EiEEZNS1_24adjacent_difference_implIS3_Lb1ELb0EPiS7_N6thrust23THRUST_200600_302600_NS4plusIiEEEE10hipError_tPvRmT2_T3_mT4_P12ihipStream_tbEUlT_E_NS1_11comp_targetILNS1_3genE3ELNS1_11target_archE908ELNS1_3gpuE7ELNS1_3repE0EEENS1_30default_config_static_selectorELNS0_4arch9wavefront6targetE1EEEvT1_.numbered_sgpr, 0
	.set _ZN7rocprim17ROCPRIM_400000_NS6detail17trampoline_kernelINS0_14default_configENS1_35adjacent_difference_config_selectorILb1EiEEZNS1_24adjacent_difference_implIS3_Lb1ELb0EPiS7_N6thrust23THRUST_200600_302600_NS4plusIiEEEE10hipError_tPvRmT2_T3_mT4_P12ihipStream_tbEUlT_E_NS1_11comp_targetILNS1_3genE3ELNS1_11target_archE908ELNS1_3gpuE7ELNS1_3repE0EEENS1_30default_config_static_selectorELNS0_4arch9wavefront6targetE1EEEvT1_.num_named_barrier, 0
	.set _ZN7rocprim17ROCPRIM_400000_NS6detail17trampoline_kernelINS0_14default_configENS1_35adjacent_difference_config_selectorILb1EiEEZNS1_24adjacent_difference_implIS3_Lb1ELb0EPiS7_N6thrust23THRUST_200600_302600_NS4plusIiEEEE10hipError_tPvRmT2_T3_mT4_P12ihipStream_tbEUlT_E_NS1_11comp_targetILNS1_3genE3ELNS1_11target_archE908ELNS1_3gpuE7ELNS1_3repE0EEENS1_30default_config_static_selectorELNS0_4arch9wavefront6targetE1EEEvT1_.private_seg_size, 0
	.set _ZN7rocprim17ROCPRIM_400000_NS6detail17trampoline_kernelINS0_14default_configENS1_35adjacent_difference_config_selectorILb1EiEEZNS1_24adjacent_difference_implIS3_Lb1ELb0EPiS7_N6thrust23THRUST_200600_302600_NS4plusIiEEEE10hipError_tPvRmT2_T3_mT4_P12ihipStream_tbEUlT_E_NS1_11comp_targetILNS1_3genE3ELNS1_11target_archE908ELNS1_3gpuE7ELNS1_3repE0EEENS1_30default_config_static_selectorELNS0_4arch9wavefront6targetE1EEEvT1_.uses_vcc, 0
	.set _ZN7rocprim17ROCPRIM_400000_NS6detail17trampoline_kernelINS0_14default_configENS1_35adjacent_difference_config_selectorILb1EiEEZNS1_24adjacent_difference_implIS3_Lb1ELb0EPiS7_N6thrust23THRUST_200600_302600_NS4plusIiEEEE10hipError_tPvRmT2_T3_mT4_P12ihipStream_tbEUlT_E_NS1_11comp_targetILNS1_3genE3ELNS1_11target_archE908ELNS1_3gpuE7ELNS1_3repE0EEENS1_30default_config_static_selectorELNS0_4arch9wavefront6targetE1EEEvT1_.uses_flat_scratch, 0
	.set _ZN7rocprim17ROCPRIM_400000_NS6detail17trampoline_kernelINS0_14default_configENS1_35adjacent_difference_config_selectorILb1EiEEZNS1_24adjacent_difference_implIS3_Lb1ELb0EPiS7_N6thrust23THRUST_200600_302600_NS4plusIiEEEE10hipError_tPvRmT2_T3_mT4_P12ihipStream_tbEUlT_E_NS1_11comp_targetILNS1_3genE3ELNS1_11target_archE908ELNS1_3gpuE7ELNS1_3repE0EEENS1_30default_config_static_selectorELNS0_4arch9wavefront6targetE1EEEvT1_.has_dyn_sized_stack, 0
	.set _ZN7rocprim17ROCPRIM_400000_NS6detail17trampoline_kernelINS0_14default_configENS1_35adjacent_difference_config_selectorILb1EiEEZNS1_24adjacent_difference_implIS3_Lb1ELb0EPiS7_N6thrust23THRUST_200600_302600_NS4plusIiEEEE10hipError_tPvRmT2_T3_mT4_P12ihipStream_tbEUlT_E_NS1_11comp_targetILNS1_3genE3ELNS1_11target_archE908ELNS1_3gpuE7ELNS1_3repE0EEENS1_30default_config_static_selectorELNS0_4arch9wavefront6targetE1EEEvT1_.has_recursion, 0
	.set _ZN7rocprim17ROCPRIM_400000_NS6detail17trampoline_kernelINS0_14default_configENS1_35adjacent_difference_config_selectorILb1EiEEZNS1_24adjacent_difference_implIS3_Lb1ELb0EPiS7_N6thrust23THRUST_200600_302600_NS4plusIiEEEE10hipError_tPvRmT2_T3_mT4_P12ihipStream_tbEUlT_E_NS1_11comp_targetILNS1_3genE3ELNS1_11target_archE908ELNS1_3gpuE7ELNS1_3repE0EEENS1_30default_config_static_selectorELNS0_4arch9wavefront6targetE1EEEvT1_.has_indirect_call, 0
	.section	.AMDGPU.csdata,"",@progbits
; Kernel info:
; codeLenInByte = 0
; TotalNumSgprs: 4
; NumVgprs: 0
; ScratchSize: 0
; MemoryBound: 0
; FloatMode: 240
; IeeeMode: 1
; LDSByteSize: 0 bytes/workgroup (compile time only)
; SGPRBlocks: 0
; VGPRBlocks: 0
; NumSGPRsForWavesPerEU: 4
; NumVGPRsForWavesPerEU: 1
; Occupancy: 10
; WaveLimiterHint : 0
; COMPUTE_PGM_RSRC2:SCRATCH_EN: 0
; COMPUTE_PGM_RSRC2:USER_SGPR: 6
; COMPUTE_PGM_RSRC2:TRAP_HANDLER: 0
; COMPUTE_PGM_RSRC2:TGID_X_EN: 1
; COMPUTE_PGM_RSRC2:TGID_Y_EN: 0
; COMPUTE_PGM_RSRC2:TGID_Z_EN: 0
; COMPUTE_PGM_RSRC2:TIDIG_COMP_CNT: 0
	.section	.text._ZN7rocprim17ROCPRIM_400000_NS6detail17trampoline_kernelINS0_14default_configENS1_35adjacent_difference_config_selectorILb1EiEEZNS1_24adjacent_difference_implIS3_Lb1ELb0EPiS7_N6thrust23THRUST_200600_302600_NS4plusIiEEEE10hipError_tPvRmT2_T3_mT4_P12ihipStream_tbEUlT_E_NS1_11comp_targetILNS1_3genE2ELNS1_11target_archE906ELNS1_3gpuE6ELNS1_3repE0EEENS1_30default_config_static_selectorELNS0_4arch9wavefront6targetE1EEEvT1_,"axG",@progbits,_ZN7rocprim17ROCPRIM_400000_NS6detail17trampoline_kernelINS0_14default_configENS1_35adjacent_difference_config_selectorILb1EiEEZNS1_24adjacent_difference_implIS3_Lb1ELb0EPiS7_N6thrust23THRUST_200600_302600_NS4plusIiEEEE10hipError_tPvRmT2_T3_mT4_P12ihipStream_tbEUlT_E_NS1_11comp_targetILNS1_3genE2ELNS1_11target_archE906ELNS1_3gpuE6ELNS1_3repE0EEENS1_30default_config_static_selectorELNS0_4arch9wavefront6targetE1EEEvT1_,comdat
	.protected	_ZN7rocprim17ROCPRIM_400000_NS6detail17trampoline_kernelINS0_14default_configENS1_35adjacent_difference_config_selectorILb1EiEEZNS1_24adjacent_difference_implIS3_Lb1ELb0EPiS7_N6thrust23THRUST_200600_302600_NS4plusIiEEEE10hipError_tPvRmT2_T3_mT4_P12ihipStream_tbEUlT_E_NS1_11comp_targetILNS1_3genE2ELNS1_11target_archE906ELNS1_3gpuE6ELNS1_3repE0EEENS1_30default_config_static_selectorELNS0_4arch9wavefront6targetE1EEEvT1_ ; -- Begin function _ZN7rocprim17ROCPRIM_400000_NS6detail17trampoline_kernelINS0_14default_configENS1_35adjacent_difference_config_selectorILb1EiEEZNS1_24adjacent_difference_implIS3_Lb1ELb0EPiS7_N6thrust23THRUST_200600_302600_NS4plusIiEEEE10hipError_tPvRmT2_T3_mT4_P12ihipStream_tbEUlT_E_NS1_11comp_targetILNS1_3genE2ELNS1_11target_archE906ELNS1_3gpuE6ELNS1_3repE0EEENS1_30default_config_static_selectorELNS0_4arch9wavefront6targetE1EEEvT1_
	.globl	_ZN7rocprim17ROCPRIM_400000_NS6detail17trampoline_kernelINS0_14default_configENS1_35adjacent_difference_config_selectorILb1EiEEZNS1_24adjacent_difference_implIS3_Lb1ELb0EPiS7_N6thrust23THRUST_200600_302600_NS4plusIiEEEE10hipError_tPvRmT2_T3_mT4_P12ihipStream_tbEUlT_E_NS1_11comp_targetILNS1_3genE2ELNS1_11target_archE906ELNS1_3gpuE6ELNS1_3repE0EEENS1_30default_config_static_selectorELNS0_4arch9wavefront6targetE1EEEvT1_
	.p2align	8
	.type	_ZN7rocprim17ROCPRIM_400000_NS6detail17trampoline_kernelINS0_14default_configENS1_35adjacent_difference_config_selectorILb1EiEEZNS1_24adjacent_difference_implIS3_Lb1ELb0EPiS7_N6thrust23THRUST_200600_302600_NS4plusIiEEEE10hipError_tPvRmT2_T3_mT4_P12ihipStream_tbEUlT_E_NS1_11comp_targetILNS1_3genE2ELNS1_11target_archE906ELNS1_3gpuE6ELNS1_3repE0EEENS1_30default_config_static_selectorELNS0_4arch9wavefront6targetE1EEEvT1_,@function
_ZN7rocprim17ROCPRIM_400000_NS6detail17trampoline_kernelINS0_14default_configENS1_35adjacent_difference_config_selectorILb1EiEEZNS1_24adjacent_difference_implIS3_Lb1ELb0EPiS7_N6thrust23THRUST_200600_302600_NS4plusIiEEEE10hipError_tPvRmT2_T3_mT4_P12ihipStream_tbEUlT_E_NS1_11comp_targetILNS1_3genE2ELNS1_11target_archE906ELNS1_3gpuE6ELNS1_3repE0EEENS1_30default_config_static_selectorELNS0_4arch9wavefront6targetE1EEEvT1_: ; @_ZN7rocprim17ROCPRIM_400000_NS6detail17trampoline_kernelINS0_14default_configENS1_35adjacent_difference_config_selectorILb1EiEEZNS1_24adjacent_difference_implIS3_Lb1ELb0EPiS7_N6thrust23THRUST_200600_302600_NS4plusIiEEEE10hipError_tPvRmT2_T3_mT4_P12ihipStream_tbEUlT_E_NS1_11comp_targetILNS1_3genE2ELNS1_11target_archE906ELNS1_3gpuE6ELNS1_3repE0EEENS1_30default_config_static_selectorELNS0_4arch9wavefront6targetE1EEEvT1_
; %bb.0:
	s_load_dwordx8 s[8:15], s[4:5], 0x0
	s_load_dwordx4 s[16:19], s[4:5], 0x28
	s_mul_i32 s20, s6, 0xb00
	s_mov_b32 s7, 0
	s_mov_b64 s[22:23], -1
	s_waitcnt lgkmcnt(0)
	s_lshl_b64 s[10:11], s[10:11], 2
	s_add_u32 s26, s8, s10
	s_addc_u32 s27, s9, s11
	s_mul_i32 s3, s15, 0xba2e8ba3
	s_mul_hi_u32 s4, s14, 0xba2e8ba3
	s_mul_hi_u32 s2, s15, 0xba2e8ba3
	s_add_u32 s3, s3, s4
	s_mul_i32 s1, s14, 0x2e8ba2e8
	s_addc_u32 s2, s2, 0
	s_mul_hi_u32 s0, s14, 0x2e8ba2e8
	s_add_u32 s1, s1, s3
	s_addc_u32 s0, s0, 0
	s_add_u32 s0, s2, s0
	s_addc_u32 s1, 0, 0
	s_mul_i32 s3, s15, 0x2e8ba2e8
	s_mul_hi_u32 s2, s15, 0x2e8ba2e8
	s_add_u32 s0, s3, s0
	s_addc_u32 s1, s2, s1
	s_lshr_b64 s[2:3], s[0:1], 9
	s_lshr_b32 s0, s1, 9
	s_mulk_i32 s0, 0xb00
	s_mul_hi_u32 s1, s2, 0xb00
	s_add_i32 s1, s1, s0
	s_mul_i32 s0, s2, 0xb00
	s_sub_u32 s0, s14, s0
	s_subb_u32 s1, s15, s1
	s_cmp_lg_u64 s[0:1], 0
	s_cselect_b64 s[0:1], -1, 0
	v_cndmask_b32_e64 v1, 0, 1, s[0:1]
	v_readfirstlane_b32 s0, v1
	s_add_u32 s2, s2, s0
	s_addc_u32 s3, s3, 0
	s_add_u32 s4, s18, s6
	s_addc_u32 s5, s19, 0
	s_add_u32 s8, s2, -1
	s_addc_u32 s9, s3, -1
	v_mov_b32_e32 v1, s8
	v_mov_b32_e32 v2, s9
	v_cmp_ge_u64_e64 s[0:1], s[4:5], v[1:2]
	s_mul_i32 s15, s8, 0xfffff500
	s_and_b64 vcc, exec, s[0:1]
	s_cbranch_vccz .LBB354_24
; %bb.1:
	s_mov_b32 s21, s7
	s_add_i32 s28, s15, s14
	s_lshl_b64 s[22:23], s[20:21], 2
	s_add_u32 s22, s26, s22
	v_mov_b32_e32 v1, 0
	s_addc_u32 s23, s27, s23
	v_cmp_gt_u32_e32 vcc, s28, v0
	v_mov_b32_e32 v2, v1
	v_mov_b32_e32 v3, v1
	;; [unrolled: 1-line block ×10, first 2 shown]
	s_and_saveexec_b64 s[24:25], vcc
	s_cbranch_execz .LBB354_3
; %bb.2:
	v_lshlrev_b32_e32 v2, 2, v0
	global_load_dword v2, v2, s[22:23]
	v_mov_b32_e32 v3, v1
	v_mov_b32_e32 v4, v1
	;; [unrolled: 1-line block ×10, first 2 shown]
	s_waitcnt vmcnt(0)
	v_mov_b32_e32 v1, v2
	v_mov_b32_e32 v2, v3
	;; [unrolled: 1-line block ×11, first 2 shown]
.LBB354_3:
	s_or_b64 exec, exec, s[24:25]
	v_or_b32_e32 v12, 0x100, v0
	v_cmp_gt_u32_e32 vcc, s28, v12
	s_and_saveexec_b64 s[24:25], vcc
	s_cbranch_execz .LBB354_5
; %bb.4:
	v_lshlrev_b32_e32 v2, 2, v0
	global_load_dword v2, v2, s[22:23] offset:1024
.LBB354_5:
	s_or_b64 exec, exec, s[24:25]
	v_or_b32_e32 v12, 0x200, v0
	v_cmp_gt_u32_e32 vcc, s28, v12
	s_and_saveexec_b64 s[24:25], vcc
	s_cbranch_execz .LBB354_7
; %bb.6:
	v_lshlrev_b32_e32 v3, 2, v0
	global_load_dword v3, v3, s[22:23] offset:2048
.LBB354_7:
	s_or_b64 exec, exec, s[24:25]
	v_or_b32_e32 v12, 0x300, v0
	v_cmp_gt_u32_e32 vcc, s28, v12
	s_and_saveexec_b64 s[24:25], vcc
	s_cbranch_execz .LBB354_9
; %bb.8:
	v_lshlrev_b32_e32 v4, 2, v0
	global_load_dword v4, v4, s[22:23] offset:3072
.LBB354_9:
	s_or_b64 exec, exec, s[24:25]
	v_or_b32_e32 v12, 0x400, v0
	v_cmp_gt_u32_e32 vcc, s28, v12
	s_and_saveexec_b64 s[24:25], vcc
	s_cbranch_execz .LBB354_11
; %bb.10:
	v_lshlrev_b32_e32 v5, 2, v12
	global_load_dword v5, v5, s[22:23]
.LBB354_11:
	s_or_b64 exec, exec, s[24:25]
	v_or_b32_e32 v12, 0x500, v0
	v_cmp_gt_u32_e32 vcc, s28, v12
	s_and_saveexec_b64 s[24:25], vcc
	s_cbranch_execz .LBB354_13
; %bb.12:
	v_lshlrev_b32_e32 v6, 2, v12
	global_load_dword v6, v6, s[22:23]
.LBB354_13:
	;; [unrolled: 9-line block ×7, first 2 shown]
	s_or_b64 exec, exec, s[24:25]
	v_lshlrev_b32_e32 v12, 2, v0
	s_mov_b64 s[22:23], 0
	s_waitcnt vmcnt(0)
	ds_write2st64_b32 v12, v1, v2 offset1:4
	ds_write2st64_b32 v12, v3, v4 offset0:8 offset1:12
	ds_write2st64_b32 v12, v5, v6 offset0:16 offset1:20
	;; [unrolled: 1-line block ×4, first 2 shown]
	ds_write_b32 v12, v11 offset:10240
	s_waitcnt lgkmcnt(0)
	s_barrier
.LBB354_24:
	s_and_b64 vcc, exec, s[22:23]
	v_lshlrev_b32_e32 v13, 2, v0
	s_cbranch_vccz .LBB354_26
; %bb.25:
	s_mov_b32 s21, 0
	s_lshl_b64 s[22:23], s[20:21], 2
	s_add_u32 s22, s26, s22
	s_addc_u32 s23, s27, s23
	v_mov_b32_e32 v1, s23
	v_add_co_u32_e32 v3, vcc, s22, v13
	v_addc_co_u32_e32 v4, vcc, 0, v1, vcc
	v_add_co_u32_e32 v1, vcc, 0x1000, v3
	v_addc_co_u32_e32 v2, vcc, 0, v4, vcc
	v_add_co_u32_e32 v3, vcc, 0x2000, v3
	global_load_dword v5, v13, s[22:23] offset:1024
	global_load_dword v6, v13, s[22:23] offset:2048
	;; [unrolled: 1-line block ×3, first 2 shown]
	v_addc_co_u32_e32 v4, vcc, 0, v4, vcc
	global_load_dword v8, v13, s[22:23]
	global_load_dword v9, v[1:2], off
	global_load_dword v10, v[1:2], off offset:1024
	global_load_dword v11, v[1:2], off offset:2048
	global_load_dword v12, v[1:2], off offset:3072
	global_load_dword v14, v[3:4], off
	global_load_dword v15, v[3:4], off offset:1024
	global_load_dword v16, v[3:4], off offset:2048
	s_waitcnt vmcnt(7)
	ds_write2st64_b32 v13, v8, v5 offset1:4
	ds_write2st64_b32 v13, v6, v7 offset0:8 offset1:12
	s_waitcnt vmcnt(5)
	ds_write2st64_b32 v13, v9, v10 offset0:16 offset1:20
	s_waitcnt vmcnt(3)
	;; [unrolled: 2-line block ×4, first 2 shown]
	ds_write_b32 v13, v16 offset:10240
	s_waitcnt lgkmcnt(0)
	s_barrier
.LBB354_26:
	v_mul_u32_u24_e32 v14, 44, v0
	ds_read2_b32 v[3:4], v14 offset1:1
	ds_read2_b32 v[5:6], v14 offset0:2 offset1:3
	ds_read2_b32 v[7:8], v14 offset0:4 offset1:5
	ds_read2_b32 v[9:10], v14 offset0:6 offset1:7
	ds_read2_b32 v[1:2], v14 offset0:8 offset1:9
	ds_read_b32 v11, v14 offset:40
	s_cmp_eq_u64 s[4:5], 0
	s_waitcnt lgkmcnt(0)
	s_barrier
	s_cbranch_scc1 .LBB354_31
; %bb.27:
	s_lshl_b64 s[18:19], s[18:19], 2
	s_add_u32 s16, s16, s18
	s_addc_u32 s17, s17, s19
	s_lshl_b64 s[6:7], s[6:7], 2
	s_add_u32 s6, s16, s6
	s_addc_u32 s7, s17, s7
	s_add_u32 s6, s6, -4
	s_addc_u32 s7, s7, -1
	s_load_dword s16, s[6:7], 0x0
	s_cmp_eq_u64 s[4:5], s[8:9]
	s_cbranch_scc1 .LBB354_32
; %bb.28:
	v_cmp_ne_u32_e32 vcc, 0, v0
	s_waitcnt lgkmcnt(0)
	v_mov_b32_e32 v12, s16
	ds_write_b32 v13, v11
	s_waitcnt lgkmcnt(0)
	s_barrier
	s_and_saveexec_b64 s[6:7], vcc
; %bb.29:
	v_add_u32_e32 v12, -4, v13
	ds_read_b32 v12, v12
; %bb.30:
	s_or_b64 exec, exec, s[6:7]
	v_add_u32_e32 v15, v2, v1
	v_add_u32_e32 v16, v1, v10
	;; [unrolled: 1-line block ×9, first 2 shown]
	s_waitcnt lgkmcnt(0)
	v_add_u32_e32 v20, v12, v3
	v_mov_b32_e32 v12, v2
	s_branch .LBB354_36
.LBB354_31:
                                        ; implicit-def: $vgpr12
                                        ; implicit-def: $vgpr15
                                        ; implicit-def: $vgpr16
                                        ; implicit-def: $vgpr20
                                        ; implicit-def: $vgpr24
                                        ; implicit-def: $vgpr23
                                        ; implicit-def: $vgpr22
                                        ; implicit-def: $vgpr21
                                        ; implicit-def: $vgpr19
                                        ; implicit-def: $vgpr18
                                        ; implicit-def: $vgpr17
	s_branch .LBB354_37
.LBB354_32:
                                        ; implicit-def: $vgpr15
                                        ; implicit-def: $vgpr16
                                        ; implicit-def: $vgpr20
                                        ; implicit-def: $vgpr24
                                        ; implicit-def: $vgpr23
                                        ; implicit-def: $vgpr22
                                        ; implicit-def: $vgpr21
                                        ; implicit-def: $vgpr19
                                        ; implicit-def: $vgpr18
                                        ; implicit-def: $vgpr17
	v_mov_b32_e32 v12, v2
	s_cbranch_execz .LBB354_36
; %bb.33:
	v_mul_u32_u24_e32 v20, 11, v0
	v_cmp_ne_u32_e32 vcc, 0, v0
	s_waitcnt lgkmcnt(0)
	v_mov_b32_e32 v25, s16
	ds_write_b32 v13, v11
	s_waitcnt lgkmcnt(0)
	s_barrier
	s_and_saveexec_b64 s[6:7], vcc
; %bb.34:
	v_add_u32_e32 v12, -4, v13
	ds_read_b32 v25, v12
; %bb.35:
	s_or_b64 exec, exec, s[6:7]
	s_mulk_i32 s4, 0xf500
	s_add_i32 s4, s4, s14
	v_add_u32_e32 v12, 10, v20
	v_cmp_gt_u32_e32 vcc, s4, v12
	v_add_u32_e32 v15, 9, v20
	v_cndmask_b32_e32 v12, 0, v2, vcc
	v_cmp_gt_u32_e32 vcc, s4, v15
	v_add_u32_e32 v16, 8, v20
	v_cndmask_b32_e32 v15, 0, v1, vcc
	v_cmp_gt_u32_e32 vcc, s4, v16
	v_add_u32_e32 v17, 7, v20
	v_cndmask_b32_e32 v16, 0, v10, vcc
	v_cmp_gt_u32_e32 vcc, s4, v17
	v_add_u32_e32 v18, 6, v20
	v_cndmask_b32_e32 v17, 0, v9, vcc
	v_cmp_gt_u32_e32 vcc, s4, v18
	v_add_u32_e32 v19, 5, v20
	v_cndmask_b32_e32 v18, 0, v8, vcc
	v_cmp_gt_u32_e32 vcc, s4, v19
	v_add_u32_e32 v21, 4, v20
	v_cndmask_b32_e32 v19, 0, v7, vcc
	v_cmp_gt_u32_e32 vcc, s4, v21
	v_add_u32_e32 v22, 3, v20
	v_cndmask_b32_e32 v21, 0, v6, vcc
	v_cmp_gt_u32_e32 vcc, s4, v22
	v_add_u32_e32 v23, 2, v20
	v_cndmask_b32_e32 v22, 0, v5, vcc
	v_cmp_gt_u32_e32 vcc, s4, v23
	v_add_u32_e32 v24, 1, v20
	v_cndmask_b32_e32 v23, 0, v4, vcc
	v_cmp_gt_u32_e32 vcc, s4, v24
	v_cndmask_b32_e32 v24, 0, v3, vcc
	v_cmp_gt_u32_e32 vcc, s4, v20
	s_waitcnt lgkmcnt(0)
	v_cndmask_b32_e32 v20, 0, v25, vcc
	v_add_u32_e32 v15, v15, v2
	v_add_u32_e32 v16, v16, v1
	;; [unrolled: 1-line block ×10, first 2 shown]
.LBB354_36:
	s_cbranch_execnz .LBB354_46
.LBB354_37:
	s_cmp_eq_u64 s[2:3], 1
	v_cmp_ne_u32_e32 vcc, 0, v0
	s_cbranch_scc1 .LBB354_41
; %bb.38:
	v_mov_b32_e32 v20, v3
	ds_write_b32 v13, v11
	s_waitcnt lgkmcnt(0)
	s_barrier
	s_and_saveexec_b64 s[2:3], vcc
	s_cbranch_execz .LBB354_40
; %bb.39:
	v_add_u32_e32 v12, -4, v13
	ds_read_b32 v12, v12
	s_waitcnt lgkmcnt(0)
	v_add_u32_e32 v20, v12, v3
.LBB354_40:
	s_or_b64 exec, exec, s[2:3]
	v_add_u32_e32 v15, v2, v1
	v_add_u32_e32 v16, v1, v10
	;; [unrolled: 1-line block ×9, first 2 shown]
	s_cbranch_execz .LBB354_42
	s_branch .LBB354_45
.LBB354_41:
                                        ; implicit-def: $vgpr15
                                        ; implicit-def: $vgpr16
                                        ; implicit-def: $vgpr20
                                        ; implicit-def: $vgpr24
                                        ; implicit-def: $vgpr23
                                        ; implicit-def: $vgpr22
                                        ; implicit-def: $vgpr21
                                        ; implicit-def: $vgpr19
                                        ; implicit-def: $vgpr18
                                        ; implicit-def: $vgpr17
.LBB354_42:
	v_mad_u32_u24 v12, v0, 11, 10
	v_cmp_gt_u32_e32 vcc, s14, v12
	v_mad_u32_u24 v12, v0, 11, 9
	v_cmp_gt_u32_e64 s[2:3], s14, v12
	v_mad_u32_u24 v16, v0, 11, 8
	v_cndmask_b32_e64 v12, 0, v1, s[2:3]
	v_cmp_gt_u32_e64 s[2:3], s14, v16
	v_mad_u32_u24 v17, v0, 11, 7
	v_cndmask_b32_e64 v16, 0, v10, s[2:3]
	;; [unrolled: 3-line block ×7, first 2 shown]
	v_cmp_gt_u32_e64 s[2:3], s14, v21
	v_mad_u32_u24 v21, v0, 11, 1
	v_mul_u32_u24_e32 v15, 11, v0
	v_cndmask_b32_e64 v23, 0, v4, s[2:3]
	v_cmp_gt_u32_e64 s[2:3], s14, v21
	v_cndmask_b32_e64 v24, 0, v3, s[2:3]
	v_cmp_ne_u32_e64 s[2:3], 0, v0
	v_cmp_gt_u32_e64 s[4:5], s14, v15
	s_and_b64 s[4:5], s[2:3], s[4:5]
	ds_write_b32 v13, v11
	s_waitcnt lgkmcnt(0)
	s_barrier
	s_and_saveexec_b64 s[2:3], s[4:5]
	s_cbranch_execz .LBB354_44
; %bb.43:
	v_add_u32_e32 v15, -4, v13
	ds_read_b32 v15, v15
	s_waitcnt lgkmcnt(0)
	v_add_u32_e32 v3, v15, v3
.LBB354_44:
	s_or_b64 exec, exec, s[2:3]
	v_cndmask_b32_e32 v25, 0, v2, vcc
	v_add_u32_e32 v15, v12, v2
	v_add_u32_e32 v16, v16, v1
	;; [unrolled: 1-line block ×9, first 2 shown]
	v_mov_b32_e32 v2, v25
	v_mov_b32_e32 v20, v3
.LBB354_45:
	v_mov_b32_e32 v12, v2
.LBB354_46:
	s_add_u32 s4, s12, s10
	s_addc_u32 s5, s13, s11
	v_add_u32_e32 v25, v12, v11
	s_and_b64 vcc, exec, s[0:1]
	s_waitcnt lgkmcnt(0)
	s_barrier
	s_cbranch_vccz .LBB354_68
; %bb.47:
	v_mul_i32_i24_e32 v26, 0xffffffd8, v0
	v_mad_u32_u24 v1, v0, 44, v26
	ds_write2_b32 v14, v20, v24 offset1:1
	ds_write2_b32 v14, v23, v22 offset0:2 offset1:3
	ds_write2_b32 v14, v21, v19 offset0:4 offset1:5
	;; [unrolled: 1-line block ×4, first 2 shown]
	ds_write_b32 v14, v25 offset:40
	s_waitcnt lgkmcnt(0)
	s_barrier
	ds_read2st64_b32 v[11:12], v1 offset0:4 offset1:8
	ds_read2st64_b32 v[9:10], v1 offset0:12 offset1:16
	;; [unrolled: 1-line block ×5, first 2 shown]
	s_mov_b32 s21, 0
	s_add_i32 s15, s15, s14
	s_lshl_b64 s[0:1], s[20:21], 2
	s_add_u32 s0, s4, s0
	s_addc_u32 s1, s5, s1
	v_mov_b32_e32 v4, s1
	v_add_co_u32_e32 v3, vcc, s0, v13
	v_addc_co_u32_e32 v4, vcc, 0, v4, vcc
	v_cmp_gt_u32_e32 vcc, s15, v0
	s_and_saveexec_b64 s[0:1], vcc
	s_cbranch_execz .LBB354_49
; %bb.48:
	v_add_u32_e32 v26, v14, v26
	ds_read_b32 v26, v26
	s_waitcnt lgkmcnt(0)
	global_store_dword v[3:4], v26, off
.LBB354_49:
	s_or_b64 exec, exec, s[0:1]
	v_or_b32_e32 v26, 0x100, v0
	v_cmp_gt_u32_e32 vcc, s15, v26
	s_and_saveexec_b64 s[0:1], vcc
	s_cbranch_execz .LBB354_51
; %bb.50:
	s_waitcnt lgkmcnt(4)
	global_store_dword v[3:4], v11, off offset:1024
.LBB354_51:
	s_or_b64 exec, exec, s[0:1]
	s_waitcnt lgkmcnt(4)
	v_or_b32_e32 v11, 0x200, v0
	v_cmp_gt_u32_e32 vcc, s15, v11
	s_and_saveexec_b64 s[0:1], vcc
	s_cbranch_execz .LBB354_53
; %bb.52:
	global_store_dword v[3:4], v12, off offset:2048
.LBB354_53:
	s_or_b64 exec, exec, s[0:1]
	v_or_b32_e32 v11, 0x300, v0
	v_cmp_gt_u32_e32 vcc, s15, v11
	s_and_saveexec_b64 s[0:1], vcc
	s_cbranch_execz .LBB354_55
; %bb.54:
	s_waitcnt lgkmcnt(3)
	global_store_dword v[3:4], v9, off offset:3072
.LBB354_55:
	s_or_b64 exec, exec, s[0:1]
	s_waitcnt lgkmcnt(3)
	v_or_b32_e32 v9, 0x400, v0
	v_cmp_gt_u32_e32 vcc, s15, v9
	s_and_saveexec_b64 s[0:1], vcc
	s_cbranch_execz .LBB354_57
; %bb.56:
	v_add_co_u32_e32 v11, vcc, 0x1000, v3
	v_addc_co_u32_e32 v12, vcc, 0, v4, vcc
	global_store_dword v[11:12], v10, off
.LBB354_57:
	s_or_b64 exec, exec, s[0:1]
	v_or_b32_e32 v9, 0x500, v0
	v_cmp_gt_u32_e32 vcc, s15, v9
	s_and_saveexec_b64 s[0:1], vcc
	s_cbranch_execz .LBB354_59
; %bb.58:
	v_add_co_u32_e32 v9, vcc, 0x1000, v3
	v_addc_co_u32_e32 v10, vcc, 0, v4, vcc
	s_waitcnt lgkmcnt(2)
	global_store_dword v[9:10], v7, off offset:1024
.LBB354_59:
	s_or_b64 exec, exec, s[0:1]
	s_waitcnt lgkmcnt(2)
	v_or_b32_e32 v7, 0x600, v0
	v_cmp_gt_u32_e32 vcc, s15, v7
	s_and_saveexec_b64 s[0:1], vcc
	s_cbranch_execz .LBB354_61
; %bb.60:
	v_add_co_u32_e32 v9, vcc, 0x1000, v3
	v_addc_co_u32_e32 v10, vcc, 0, v4, vcc
	global_store_dword v[9:10], v8, off offset:2048
.LBB354_61:
	s_or_b64 exec, exec, s[0:1]
	v_or_b32_e32 v7, 0x700, v0
	v_cmp_gt_u32_e32 vcc, s15, v7
	s_and_saveexec_b64 s[0:1], vcc
	s_cbranch_execz .LBB354_63
; %bb.62:
	v_add_co_u32_e32 v7, vcc, 0x1000, v3
	v_addc_co_u32_e32 v8, vcc, 0, v4, vcc
	s_waitcnt lgkmcnt(1)
	global_store_dword v[7:8], v5, off offset:3072
.LBB354_63:
	s_or_b64 exec, exec, s[0:1]
	s_waitcnt lgkmcnt(1)
	v_or_b32_e32 v5, 0x800, v0
	v_cmp_gt_u32_e32 vcc, s15, v5
	s_and_saveexec_b64 s[0:1], vcc
	s_cbranch_execz .LBB354_65
; %bb.64:
	v_add_co_u32_e32 v7, vcc, 0x2000, v3
	v_addc_co_u32_e32 v8, vcc, 0, v4, vcc
	global_store_dword v[7:8], v6, off
.LBB354_65:
	s_or_b64 exec, exec, s[0:1]
	v_or_b32_e32 v5, 0x900, v0
	v_cmp_gt_u32_e32 vcc, s15, v5
	s_and_saveexec_b64 s[0:1], vcc
	s_cbranch_execz .LBB354_67
; %bb.66:
	v_add_co_u32_e32 v5, vcc, 0x2000, v3
	v_addc_co_u32_e32 v6, vcc, 0, v4, vcc
	s_waitcnt lgkmcnt(0)
	global_store_dword v[5:6], v1, off offset:1024
.LBB354_67:
	s_or_b64 exec, exec, s[0:1]
	s_waitcnt lgkmcnt(0)
	v_or_b32_e32 v1, 0xa00, v0
	v_cmp_gt_u32_e64 s[0:1], s15, v1
	s_branch .LBB354_70
.LBB354_68:
	s_mov_b64 s[0:1], 0
                                        ; implicit-def: $vgpr2
                                        ; implicit-def: $vgpr3_vgpr4
	s_cbranch_execz .LBB354_70
; %bb.69:
	s_mov_b32 s21, 0
	s_lshl_b64 s[2:3], s[20:21], 2
	s_add_u32 s2, s4, s2
	v_mul_i32_i24_e32 v1, 0xffffffd8, v0
	s_addc_u32 s3, s5, s3
	v_mad_u32_u24 v2, v0, 44, v1
	ds_write2_b32 v14, v20, v24 offset1:1
	ds_write2_b32 v14, v23, v22 offset0:2 offset1:3
	ds_write2_b32 v14, v21, v19 offset0:4 offset1:5
	;; [unrolled: 1-line block ×4, first 2 shown]
	ds_write_b32 v14, v25 offset:40
	s_waitcnt vmcnt(0) lgkmcnt(0)
	s_barrier
	ds_read2st64_b32 v[0:1], v2 offset1:4
	ds_read2st64_b32 v[5:6], v2 offset0:8 offset1:12
	ds_read2st64_b32 v[7:8], v2 offset0:16 offset1:20
	;; [unrolled: 1-line block ×4, first 2 shown]
	ds_read_b32 v2, v2 offset:10240
	v_mov_b32_e32 v4, s3
	v_add_co_u32_e32 v3, vcc, s2, v13
	v_addc_co_u32_e32 v4, vcc, 0, v4, vcc
	s_waitcnt lgkmcnt(5)
	global_store_dword v13, v0, s[2:3]
	global_store_dword v13, v1, s[2:3] offset:1024
	s_waitcnt lgkmcnt(4)
	global_store_dword v13, v5, s[2:3] offset:2048
	global_store_dword v13, v6, s[2:3] offset:3072
	s_movk_i32 s2, 0x1000
	v_add_co_u32_e32 v0, vcc, s2, v3
	v_addc_co_u32_e32 v1, vcc, 0, v4, vcc
	s_waitcnt lgkmcnt(3)
	global_store_dword v[0:1], v7, off
	global_store_dword v[0:1], v8, off offset:1024
	s_waitcnt lgkmcnt(2)
	global_store_dword v[0:1], v9, off offset:2048
	global_store_dword v[0:1], v10, off offset:3072
	v_add_co_u32_e32 v0, vcc, 0x2000, v3
	v_addc_co_u32_e32 v1, vcc, 0, v4, vcc
	s_or_b64 s[0:1], s[0:1], exec
	s_waitcnt lgkmcnt(1)
	global_store_dword v[0:1], v11, off
	global_store_dword v[0:1], v12, off offset:1024
.LBB354_70:
	s_and_saveexec_b64 s[2:3], s[0:1]
	s_cbranch_execnz .LBB354_72
; %bb.71:
	s_endpgm
.LBB354_72:
	v_add_co_u32_e32 v0, vcc, 0x2000, v3
	v_addc_co_u32_e32 v1, vcc, 0, v4, vcc
	s_waitcnt lgkmcnt(0)
	global_store_dword v[0:1], v2, off offset:2048
	s_endpgm
	.section	.rodata,"a",@progbits
	.p2align	6, 0x0
	.amdhsa_kernel _ZN7rocprim17ROCPRIM_400000_NS6detail17trampoline_kernelINS0_14default_configENS1_35adjacent_difference_config_selectorILb1EiEEZNS1_24adjacent_difference_implIS3_Lb1ELb0EPiS7_N6thrust23THRUST_200600_302600_NS4plusIiEEEE10hipError_tPvRmT2_T3_mT4_P12ihipStream_tbEUlT_E_NS1_11comp_targetILNS1_3genE2ELNS1_11target_archE906ELNS1_3gpuE6ELNS1_3repE0EEENS1_30default_config_static_selectorELNS0_4arch9wavefront6targetE1EEEvT1_
		.amdhsa_group_segment_fixed_size 11264
		.amdhsa_private_segment_fixed_size 0
		.amdhsa_kernarg_size 56
		.amdhsa_user_sgpr_count 6
		.amdhsa_user_sgpr_private_segment_buffer 1
		.amdhsa_user_sgpr_dispatch_ptr 0
		.amdhsa_user_sgpr_queue_ptr 0
		.amdhsa_user_sgpr_kernarg_segment_ptr 1
		.amdhsa_user_sgpr_dispatch_id 0
		.amdhsa_user_sgpr_flat_scratch_init 0
		.amdhsa_user_sgpr_private_segment_size 0
		.amdhsa_uses_dynamic_stack 0
		.amdhsa_system_sgpr_private_segment_wavefront_offset 0
		.amdhsa_system_sgpr_workgroup_id_x 1
		.amdhsa_system_sgpr_workgroup_id_y 0
		.amdhsa_system_sgpr_workgroup_id_z 0
		.amdhsa_system_sgpr_workgroup_info 0
		.amdhsa_system_vgpr_workitem_id 0
		.amdhsa_next_free_vgpr 41
		.amdhsa_next_free_sgpr 98
		.amdhsa_reserve_vcc 1
		.amdhsa_reserve_flat_scratch 0
		.amdhsa_float_round_mode_32 0
		.amdhsa_float_round_mode_16_64 0
		.amdhsa_float_denorm_mode_32 3
		.amdhsa_float_denorm_mode_16_64 3
		.amdhsa_dx10_clamp 1
		.amdhsa_ieee_mode 1
		.amdhsa_fp16_overflow 0
		.amdhsa_exception_fp_ieee_invalid_op 0
		.amdhsa_exception_fp_denorm_src 0
		.amdhsa_exception_fp_ieee_div_zero 0
		.amdhsa_exception_fp_ieee_overflow 0
		.amdhsa_exception_fp_ieee_underflow 0
		.amdhsa_exception_fp_ieee_inexact 0
		.amdhsa_exception_int_div_zero 0
	.end_amdhsa_kernel
	.section	.text._ZN7rocprim17ROCPRIM_400000_NS6detail17trampoline_kernelINS0_14default_configENS1_35adjacent_difference_config_selectorILb1EiEEZNS1_24adjacent_difference_implIS3_Lb1ELb0EPiS7_N6thrust23THRUST_200600_302600_NS4plusIiEEEE10hipError_tPvRmT2_T3_mT4_P12ihipStream_tbEUlT_E_NS1_11comp_targetILNS1_3genE2ELNS1_11target_archE906ELNS1_3gpuE6ELNS1_3repE0EEENS1_30default_config_static_selectorELNS0_4arch9wavefront6targetE1EEEvT1_,"axG",@progbits,_ZN7rocprim17ROCPRIM_400000_NS6detail17trampoline_kernelINS0_14default_configENS1_35adjacent_difference_config_selectorILb1EiEEZNS1_24adjacent_difference_implIS3_Lb1ELb0EPiS7_N6thrust23THRUST_200600_302600_NS4plusIiEEEE10hipError_tPvRmT2_T3_mT4_P12ihipStream_tbEUlT_E_NS1_11comp_targetILNS1_3genE2ELNS1_11target_archE906ELNS1_3gpuE6ELNS1_3repE0EEENS1_30default_config_static_selectorELNS0_4arch9wavefront6targetE1EEEvT1_,comdat
.Lfunc_end354:
	.size	_ZN7rocprim17ROCPRIM_400000_NS6detail17trampoline_kernelINS0_14default_configENS1_35adjacent_difference_config_selectorILb1EiEEZNS1_24adjacent_difference_implIS3_Lb1ELb0EPiS7_N6thrust23THRUST_200600_302600_NS4plusIiEEEE10hipError_tPvRmT2_T3_mT4_P12ihipStream_tbEUlT_E_NS1_11comp_targetILNS1_3genE2ELNS1_11target_archE906ELNS1_3gpuE6ELNS1_3repE0EEENS1_30default_config_static_selectorELNS0_4arch9wavefront6targetE1EEEvT1_, .Lfunc_end354-_ZN7rocprim17ROCPRIM_400000_NS6detail17trampoline_kernelINS0_14default_configENS1_35adjacent_difference_config_selectorILb1EiEEZNS1_24adjacent_difference_implIS3_Lb1ELb0EPiS7_N6thrust23THRUST_200600_302600_NS4plusIiEEEE10hipError_tPvRmT2_T3_mT4_P12ihipStream_tbEUlT_E_NS1_11comp_targetILNS1_3genE2ELNS1_11target_archE906ELNS1_3gpuE6ELNS1_3repE0EEENS1_30default_config_static_selectorELNS0_4arch9wavefront6targetE1EEEvT1_
                                        ; -- End function
	.set _ZN7rocprim17ROCPRIM_400000_NS6detail17trampoline_kernelINS0_14default_configENS1_35adjacent_difference_config_selectorILb1EiEEZNS1_24adjacent_difference_implIS3_Lb1ELb0EPiS7_N6thrust23THRUST_200600_302600_NS4plusIiEEEE10hipError_tPvRmT2_T3_mT4_P12ihipStream_tbEUlT_E_NS1_11comp_targetILNS1_3genE2ELNS1_11target_archE906ELNS1_3gpuE6ELNS1_3repE0EEENS1_30default_config_static_selectorELNS0_4arch9wavefront6targetE1EEEvT1_.num_vgpr, 27
	.set _ZN7rocprim17ROCPRIM_400000_NS6detail17trampoline_kernelINS0_14default_configENS1_35adjacent_difference_config_selectorILb1EiEEZNS1_24adjacent_difference_implIS3_Lb1ELb0EPiS7_N6thrust23THRUST_200600_302600_NS4plusIiEEEE10hipError_tPvRmT2_T3_mT4_P12ihipStream_tbEUlT_E_NS1_11comp_targetILNS1_3genE2ELNS1_11target_archE906ELNS1_3gpuE6ELNS1_3repE0EEENS1_30default_config_static_selectorELNS0_4arch9wavefront6targetE1EEEvT1_.num_agpr, 0
	.set _ZN7rocprim17ROCPRIM_400000_NS6detail17trampoline_kernelINS0_14default_configENS1_35adjacent_difference_config_selectorILb1EiEEZNS1_24adjacent_difference_implIS3_Lb1ELb0EPiS7_N6thrust23THRUST_200600_302600_NS4plusIiEEEE10hipError_tPvRmT2_T3_mT4_P12ihipStream_tbEUlT_E_NS1_11comp_targetILNS1_3genE2ELNS1_11target_archE906ELNS1_3gpuE6ELNS1_3repE0EEENS1_30default_config_static_selectorELNS0_4arch9wavefront6targetE1EEEvT1_.numbered_sgpr, 29
	.set _ZN7rocprim17ROCPRIM_400000_NS6detail17trampoline_kernelINS0_14default_configENS1_35adjacent_difference_config_selectorILb1EiEEZNS1_24adjacent_difference_implIS3_Lb1ELb0EPiS7_N6thrust23THRUST_200600_302600_NS4plusIiEEEE10hipError_tPvRmT2_T3_mT4_P12ihipStream_tbEUlT_E_NS1_11comp_targetILNS1_3genE2ELNS1_11target_archE906ELNS1_3gpuE6ELNS1_3repE0EEENS1_30default_config_static_selectorELNS0_4arch9wavefront6targetE1EEEvT1_.num_named_barrier, 0
	.set _ZN7rocprim17ROCPRIM_400000_NS6detail17trampoline_kernelINS0_14default_configENS1_35adjacent_difference_config_selectorILb1EiEEZNS1_24adjacent_difference_implIS3_Lb1ELb0EPiS7_N6thrust23THRUST_200600_302600_NS4plusIiEEEE10hipError_tPvRmT2_T3_mT4_P12ihipStream_tbEUlT_E_NS1_11comp_targetILNS1_3genE2ELNS1_11target_archE906ELNS1_3gpuE6ELNS1_3repE0EEENS1_30default_config_static_selectorELNS0_4arch9wavefront6targetE1EEEvT1_.private_seg_size, 0
	.set _ZN7rocprim17ROCPRIM_400000_NS6detail17trampoline_kernelINS0_14default_configENS1_35adjacent_difference_config_selectorILb1EiEEZNS1_24adjacent_difference_implIS3_Lb1ELb0EPiS7_N6thrust23THRUST_200600_302600_NS4plusIiEEEE10hipError_tPvRmT2_T3_mT4_P12ihipStream_tbEUlT_E_NS1_11comp_targetILNS1_3genE2ELNS1_11target_archE906ELNS1_3gpuE6ELNS1_3repE0EEENS1_30default_config_static_selectorELNS0_4arch9wavefront6targetE1EEEvT1_.uses_vcc, 1
	.set _ZN7rocprim17ROCPRIM_400000_NS6detail17trampoline_kernelINS0_14default_configENS1_35adjacent_difference_config_selectorILb1EiEEZNS1_24adjacent_difference_implIS3_Lb1ELb0EPiS7_N6thrust23THRUST_200600_302600_NS4plusIiEEEE10hipError_tPvRmT2_T3_mT4_P12ihipStream_tbEUlT_E_NS1_11comp_targetILNS1_3genE2ELNS1_11target_archE906ELNS1_3gpuE6ELNS1_3repE0EEENS1_30default_config_static_selectorELNS0_4arch9wavefront6targetE1EEEvT1_.uses_flat_scratch, 0
	.set _ZN7rocprim17ROCPRIM_400000_NS6detail17trampoline_kernelINS0_14default_configENS1_35adjacent_difference_config_selectorILb1EiEEZNS1_24adjacent_difference_implIS3_Lb1ELb0EPiS7_N6thrust23THRUST_200600_302600_NS4plusIiEEEE10hipError_tPvRmT2_T3_mT4_P12ihipStream_tbEUlT_E_NS1_11comp_targetILNS1_3genE2ELNS1_11target_archE906ELNS1_3gpuE6ELNS1_3repE0EEENS1_30default_config_static_selectorELNS0_4arch9wavefront6targetE1EEEvT1_.has_dyn_sized_stack, 0
	.set _ZN7rocprim17ROCPRIM_400000_NS6detail17trampoline_kernelINS0_14default_configENS1_35adjacent_difference_config_selectorILb1EiEEZNS1_24adjacent_difference_implIS3_Lb1ELb0EPiS7_N6thrust23THRUST_200600_302600_NS4plusIiEEEE10hipError_tPvRmT2_T3_mT4_P12ihipStream_tbEUlT_E_NS1_11comp_targetILNS1_3genE2ELNS1_11target_archE906ELNS1_3gpuE6ELNS1_3repE0EEENS1_30default_config_static_selectorELNS0_4arch9wavefront6targetE1EEEvT1_.has_recursion, 0
	.set _ZN7rocprim17ROCPRIM_400000_NS6detail17trampoline_kernelINS0_14default_configENS1_35adjacent_difference_config_selectorILb1EiEEZNS1_24adjacent_difference_implIS3_Lb1ELb0EPiS7_N6thrust23THRUST_200600_302600_NS4plusIiEEEE10hipError_tPvRmT2_T3_mT4_P12ihipStream_tbEUlT_E_NS1_11comp_targetILNS1_3genE2ELNS1_11target_archE906ELNS1_3gpuE6ELNS1_3repE0EEENS1_30default_config_static_selectorELNS0_4arch9wavefront6targetE1EEEvT1_.has_indirect_call, 0
	.section	.AMDGPU.csdata,"",@progbits
; Kernel info:
; codeLenInByte = 2968
; TotalNumSgprs: 33
; NumVgprs: 27
; ScratchSize: 0
; MemoryBound: 0
; FloatMode: 240
; IeeeMode: 1
; LDSByteSize: 11264 bytes/workgroup (compile time only)
; SGPRBlocks: 12
; VGPRBlocks: 10
; NumSGPRsForWavesPerEU: 102
; NumVGPRsForWavesPerEU: 41
; Occupancy: 5
; WaveLimiterHint : 1
; COMPUTE_PGM_RSRC2:SCRATCH_EN: 0
; COMPUTE_PGM_RSRC2:USER_SGPR: 6
; COMPUTE_PGM_RSRC2:TRAP_HANDLER: 0
; COMPUTE_PGM_RSRC2:TGID_X_EN: 1
; COMPUTE_PGM_RSRC2:TGID_Y_EN: 0
; COMPUTE_PGM_RSRC2:TGID_Z_EN: 0
; COMPUTE_PGM_RSRC2:TIDIG_COMP_CNT: 0
	.section	.text._ZN7rocprim17ROCPRIM_400000_NS6detail17trampoline_kernelINS0_14default_configENS1_35adjacent_difference_config_selectorILb1EiEEZNS1_24adjacent_difference_implIS3_Lb1ELb0EPiS7_N6thrust23THRUST_200600_302600_NS4plusIiEEEE10hipError_tPvRmT2_T3_mT4_P12ihipStream_tbEUlT_E_NS1_11comp_targetILNS1_3genE9ELNS1_11target_archE1100ELNS1_3gpuE3ELNS1_3repE0EEENS1_30default_config_static_selectorELNS0_4arch9wavefront6targetE1EEEvT1_,"axG",@progbits,_ZN7rocprim17ROCPRIM_400000_NS6detail17trampoline_kernelINS0_14default_configENS1_35adjacent_difference_config_selectorILb1EiEEZNS1_24adjacent_difference_implIS3_Lb1ELb0EPiS7_N6thrust23THRUST_200600_302600_NS4plusIiEEEE10hipError_tPvRmT2_T3_mT4_P12ihipStream_tbEUlT_E_NS1_11comp_targetILNS1_3genE9ELNS1_11target_archE1100ELNS1_3gpuE3ELNS1_3repE0EEENS1_30default_config_static_selectorELNS0_4arch9wavefront6targetE1EEEvT1_,comdat
	.protected	_ZN7rocprim17ROCPRIM_400000_NS6detail17trampoline_kernelINS0_14default_configENS1_35adjacent_difference_config_selectorILb1EiEEZNS1_24adjacent_difference_implIS3_Lb1ELb0EPiS7_N6thrust23THRUST_200600_302600_NS4plusIiEEEE10hipError_tPvRmT2_T3_mT4_P12ihipStream_tbEUlT_E_NS1_11comp_targetILNS1_3genE9ELNS1_11target_archE1100ELNS1_3gpuE3ELNS1_3repE0EEENS1_30default_config_static_selectorELNS0_4arch9wavefront6targetE1EEEvT1_ ; -- Begin function _ZN7rocprim17ROCPRIM_400000_NS6detail17trampoline_kernelINS0_14default_configENS1_35adjacent_difference_config_selectorILb1EiEEZNS1_24adjacent_difference_implIS3_Lb1ELb0EPiS7_N6thrust23THRUST_200600_302600_NS4plusIiEEEE10hipError_tPvRmT2_T3_mT4_P12ihipStream_tbEUlT_E_NS1_11comp_targetILNS1_3genE9ELNS1_11target_archE1100ELNS1_3gpuE3ELNS1_3repE0EEENS1_30default_config_static_selectorELNS0_4arch9wavefront6targetE1EEEvT1_
	.globl	_ZN7rocprim17ROCPRIM_400000_NS6detail17trampoline_kernelINS0_14default_configENS1_35adjacent_difference_config_selectorILb1EiEEZNS1_24adjacent_difference_implIS3_Lb1ELb0EPiS7_N6thrust23THRUST_200600_302600_NS4plusIiEEEE10hipError_tPvRmT2_T3_mT4_P12ihipStream_tbEUlT_E_NS1_11comp_targetILNS1_3genE9ELNS1_11target_archE1100ELNS1_3gpuE3ELNS1_3repE0EEENS1_30default_config_static_selectorELNS0_4arch9wavefront6targetE1EEEvT1_
	.p2align	8
	.type	_ZN7rocprim17ROCPRIM_400000_NS6detail17trampoline_kernelINS0_14default_configENS1_35adjacent_difference_config_selectorILb1EiEEZNS1_24adjacent_difference_implIS3_Lb1ELb0EPiS7_N6thrust23THRUST_200600_302600_NS4plusIiEEEE10hipError_tPvRmT2_T3_mT4_P12ihipStream_tbEUlT_E_NS1_11comp_targetILNS1_3genE9ELNS1_11target_archE1100ELNS1_3gpuE3ELNS1_3repE0EEENS1_30default_config_static_selectorELNS0_4arch9wavefront6targetE1EEEvT1_,@function
_ZN7rocprim17ROCPRIM_400000_NS6detail17trampoline_kernelINS0_14default_configENS1_35adjacent_difference_config_selectorILb1EiEEZNS1_24adjacent_difference_implIS3_Lb1ELb0EPiS7_N6thrust23THRUST_200600_302600_NS4plusIiEEEE10hipError_tPvRmT2_T3_mT4_P12ihipStream_tbEUlT_E_NS1_11comp_targetILNS1_3genE9ELNS1_11target_archE1100ELNS1_3gpuE3ELNS1_3repE0EEENS1_30default_config_static_selectorELNS0_4arch9wavefront6targetE1EEEvT1_: ; @_ZN7rocprim17ROCPRIM_400000_NS6detail17trampoline_kernelINS0_14default_configENS1_35adjacent_difference_config_selectorILb1EiEEZNS1_24adjacent_difference_implIS3_Lb1ELb0EPiS7_N6thrust23THRUST_200600_302600_NS4plusIiEEEE10hipError_tPvRmT2_T3_mT4_P12ihipStream_tbEUlT_E_NS1_11comp_targetILNS1_3genE9ELNS1_11target_archE1100ELNS1_3gpuE3ELNS1_3repE0EEENS1_30default_config_static_selectorELNS0_4arch9wavefront6targetE1EEEvT1_
; %bb.0:
	.section	.rodata,"a",@progbits
	.p2align	6, 0x0
	.amdhsa_kernel _ZN7rocprim17ROCPRIM_400000_NS6detail17trampoline_kernelINS0_14default_configENS1_35adjacent_difference_config_selectorILb1EiEEZNS1_24adjacent_difference_implIS3_Lb1ELb0EPiS7_N6thrust23THRUST_200600_302600_NS4plusIiEEEE10hipError_tPvRmT2_T3_mT4_P12ihipStream_tbEUlT_E_NS1_11comp_targetILNS1_3genE9ELNS1_11target_archE1100ELNS1_3gpuE3ELNS1_3repE0EEENS1_30default_config_static_selectorELNS0_4arch9wavefront6targetE1EEEvT1_
		.amdhsa_group_segment_fixed_size 0
		.amdhsa_private_segment_fixed_size 0
		.amdhsa_kernarg_size 56
		.amdhsa_user_sgpr_count 6
		.amdhsa_user_sgpr_private_segment_buffer 1
		.amdhsa_user_sgpr_dispatch_ptr 0
		.amdhsa_user_sgpr_queue_ptr 0
		.amdhsa_user_sgpr_kernarg_segment_ptr 1
		.amdhsa_user_sgpr_dispatch_id 0
		.amdhsa_user_sgpr_flat_scratch_init 0
		.amdhsa_user_sgpr_private_segment_size 0
		.amdhsa_uses_dynamic_stack 0
		.amdhsa_system_sgpr_private_segment_wavefront_offset 0
		.amdhsa_system_sgpr_workgroup_id_x 1
		.amdhsa_system_sgpr_workgroup_id_y 0
		.amdhsa_system_sgpr_workgroup_id_z 0
		.amdhsa_system_sgpr_workgroup_info 0
		.amdhsa_system_vgpr_workitem_id 0
		.amdhsa_next_free_vgpr 1
		.amdhsa_next_free_sgpr 0
		.amdhsa_reserve_vcc 0
		.amdhsa_reserve_flat_scratch 0
		.amdhsa_float_round_mode_32 0
		.amdhsa_float_round_mode_16_64 0
		.amdhsa_float_denorm_mode_32 3
		.amdhsa_float_denorm_mode_16_64 3
		.amdhsa_dx10_clamp 1
		.amdhsa_ieee_mode 1
		.amdhsa_fp16_overflow 0
		.amdhsa_exception_fp_ieee_invalid_op 0
		.amdhsa_exception_fp_denorm_src 0
		.amdhsa_exception_fp_ieee_div_zero 0
		.amdhsa_exception_fp_ieee_overflow 0
		.amdhsa_exception_fp_ieee_underflow 0
		.amdhsa_exception_fp_ieee_inexact 0
		.amdhsa_exception_int_div_zero 0
	.end_amdhsa_kernel
	.section	.text._ZN7rocprim17ROCPRIM_400000_NS6detail17trampoline_kernelINS0_14default_configENS1_35adjacent_difference_config_selectorILb1EiEEZNS1_24adjacent_difference_implIS3_Lb1ELb0EPiS7_N6thrust23THRUST_200600_302600_NS4plusIiEEEE10hipError_tPvRmT2_T3_mT4_P12ihipStream_tbEUlT_E_NS1_11comp_targetILNS1_3genE9ELNS1_11target_archE1100ELNS1_3gpuE3ELNS1_3repE0EEENS1_30default_config_static_selectorELNS0_4arch9wavefront6targetE1EEEvT1_,"axG",@progbits,_ZN7rocprim17ROCPRIM_400000_NS6detail17trampoline_kernelINS0_14default_configENS1_35adjacent_difference_config_selectorILb1EiEEZNS1_24adjacent_difference_implIS3_Lb1ELb0EPiS7_N6thrust23THRUST_200600_302600_NS4plusIiEEEE10hipError_tPvRmT2_T3_mT4_P12ihipStream_tbEUlT_E_NS1_11comp_targetILNS1_3genE9ELNS1_11target_archE1100ELNS1_3gpuE3ELNS1_3repE0EEENS1_30default_config_static_selectorELNS0_4arch9wavefront6targetE1EEEvT1_,comdat
.Lfunc_end355:
	.size	_ZN7rocprim17ROCPRIM_400000_NS6detail17trampoline_kernelINS0_14default_configENS1_35adjacent_difference_config_selectorILb1EiEEZNS1_24adjacent_difference_implIS3_Lb1ELb0EPiS7_N6thrust23THRUST_200600_302600_NS4plusIiEEEE10hipError_tPvRmT2_T3_mT4_P12ihipStream_tbEUlT_E_NS1_11comp_targetILNS1_3genE9ELNS1_11target_archE1100ELNS1_3gpuE3ELNS1_3repE0EEENS1_30default_config_static_selectorELNS0_4arch9wavefront6targetE1EEEvT1_, .Lfunc_end355-_ZN7rocprim17ROCPRIM_400000_NS6detail17trampoline_kernelINS0_14default_configENS1_35adjacent_difference_config_selectorILb1EiEEZNS1_24adjacent_difference_implIS3_Lb1ELb0EPiS7_N6thrust23THRUST_200600_302600_NS4plusIiEEEE10hipError_tPvRmT2_T3_mT4_P12ihipStream_tbEUlT_E_NS1_11comp_targetILNS1_3genE9ELNS1_11target_archE1100ELNS1_3gpuE3ELNS1_3repE0EEENS1_30default_config_static_selectorELNS0_4arch9wavefront6targetE1EEEvT1_
                                        ; -- End function
	.set _ZN7rocprim17ROCPRIM_400000_NS6detail17trampoline_kernelINS0_14default_configENS1_35adjacent_difference_config_selectorILb1EiEEZNS1_24adjacent_difference_implIS3_Lb1ELb0EPiS7_N6thrust23THRUST_200600_302600_NS4plusIiEEEE10hipError_tPvRmT2_T3_mT4_P12ihipStream_tbEUlT_E_NS1_11comp_targetILNS1_3genE9ELNS1_11target_archE1100ELNS1_3gpuE3ELNS1_3repE0EEENS1_30default_config_static_selectorELNS0_4arch9wavefront6targetE1EEEvT1_.num_vgpr, 0
	.set _ZN7rocprim17ROCPRIM_400000_NS6detail17trampoline_kernelINS0_14default_configENS1_35adjacent_difference_config_selectorILb1EiEEZNS1_24adjacent_difference_implIS3_Lb1ELb0EPiS7_N6thrust23THRUST_200600_302600_NS4plusIiEEEE10hipError_tPvRmT2_T3_mT4_P12ihipStream_tbEUlT_E_NS1_11comp_targetILNS1_3genE9ELNS1_11target_archE1100ELNS1_3gpuE3ELNS1_3repE0EEENS1_30default_config_static_selectorELNS0_4arch9wavefront6targetE1EEEvT1_.num_agpr, 0
	.set _ZN7rocprim17ROCPRIM_400000_NS6detail17trampoline_kernelINS0_14default_configENS1_35adjacent_difference_config_selectorILb1EiEEZNS1_24adjacent_difference_implIS3_Lb1ELb0EPiS7_N6thrust23THRUST_200600_302600_NS4plusIiEEEE10hipError_tPvRmT2_T3_mT4_P12ihipStream_tbEUlT_E_NS1_11comp_targetILNS1_3genE9ELNS1_11target_archE1100ELNS1_3gpuE3ELNS1_3repE0EEENS1_30default_config_static_selectorELNS0_4arch9wavefront6targetE1EEEvT1_.numbered_sgpr, 0
	.set _ZN7rocprim17ROCPRIM_400000_NS6detail17trampoline_kernelINS0_14default_configENS1_35adjacent_difference_config_selectorILb1EiEEZNS1_24adjacent_difference_implIS3_Lb1ELb0EPiS7_N6thrust23THRUST_200600_302600_NS4plusIiEEEE10hipError_tPvRmT2_T3_mT4_P12ihipStream_tbEUlT_E_NS1_11comp_targetILNS1_3genE9ELNS1_11target_archE1100ELNS1_3gpuE3ELNS1_3repE0EEENS1_30default_config_static_selectorELNS0_4arch9wavefront6targetE1EEEvT1_.num_named_barrier, 0
	.set _ZN7rocprim17ROCPRIM_400000_NS6detail17trampoline_kernelINS0_14default_configENS1_35adjacent_difference_config_selectorILb1EiEEZNS1_24adjacent_difference_implIS3_Lb1ELb0EPiS7_N6thrust23THRUST_200600_302600_NS4plusIiEEEE10hipError_tPvRmT2_T3_mT4_P12ihipStream_tbEUlT_E_NS1_11comp_targetILNS1_3genE9ELNS1_11target_archE1100ELNS1_3gpuE3ELNS1_3repE0EEENS1_30default_config_static_selectorELNS0_4arch9wavefront6targetE1EEEvT1_.private_seg_size, 0
	.set _ZN7rocprim17ROCPRIM_400000_NS6detail17trampoline_kernelINS0_14default_configENS1_35adjacent_difference_config_selectorILb1EiEEZNS1_24adjacent_difference_implIS3_Lb1ELb0EPiS7_N6thrust23THRUST_200600_302600_NS4plusIiEEEE10hipError_tPvRmT2_T3_mT4_P12ihipStream_tbEUlT_E_NS1_11comp_targetILNS1_3genE9ELNS1_11target_archE1100ELNS1_3gpuE3ELNS1_3repE0EEENS1_30default_config_static_selectorELNS0_4arch9wavefront6targetE1EEEvT1_.uses_vcc, 0
	.set _ZN7rocprim17ROCPRIM_400000_NS6detail17trampoline_kernelINS0_14default_configENS1_35adjacent_difference_config_selectorILb1EiEEZNS1_24adjacent_difference_implIS3_Lb1ELb0EPiS7_N6thrust23THRUST_200600_302600_NS4plusIiEEEE10hipError_tPvRmT2_T3_mT4_P12ihipStream_tbEUlT_E_NS1_11comp_targetILNS1_3genE9ELNS1_11target_archE1100ELNS1_3gpuE3ELNS1_3repE0EEENS1_30default_config_static_selectorELNS0_4arch9wavefront6targetE1EEEvT1_.uses_flat_scratch, 0
	.set _ZN7rocprim17ROCPRIM_400000_NS6detail17trampoline_kernelINS0_14default_configENS1_35adjacent_difference_config_selectorILb1EiEEZNS1_24adjacent_difference_implIS3_Lb1ELb0EPiS7_N6thrust23THRUST_200600_302600_NS4plusIiEEEE10hipError_tPvRmT2_T3_mT4_P12ihipStream_tbEUlT_E_NS1_11comp_targetILNS1_3genE9ELNS1_11target_archE1100ELNS1_3gpuE3ELNS1_3repE0EEENS1_30default_config_static_selectorELNS0_4arch9wavefront6targetE1EEEvT1_.has_dyn_sized_stack, 0
	.set _ZN7rocprim17ROCPRIM_400000_NS6detail17trampoline_kernelINS0_14default_configENS1_35adjacent_difference_config_selectorILb1EiEEZNS1_24adjacent_difference_implIS3_Lb1ELb0EPiS7_N6thrust23THRUST_200600_302600_NS4plusIiEEEE10hipError_tPvRmT2_T3_mT4_P12ihipStream_tbEUlT_E_NS1_11comp_targetILNS1_3genE9ELNS1_11target_archE1100ELNS1_3gpuE3ELNS1_3repE0EEENS1_30default_config_static_selectorELNS0_4arch9wavefront6targetE1EEEvT1_.has_recursion, 0
	.set _ZN7rocprim17ROCPRIM_400000_NS6detail17trampoline_kernelINS0_14default_configENS1_35adjacent_difference_config_selectorILb1EiEEZNS1_24adjacent_difference_implIS3_Lb1ELb0EPiS7_N6thrust23THRUST_200600_302600_NS4plusIiEEEE10hipError_tPvRmT2_T3_mT4_P12ihipStream_tbEUlT_E_NS1_11comp_targetILNS1_3genE9ELNS1_11target_archE1100ELNS1_3gpuE3ELNS1_3repE0EEENS1_30default_config_static_selectorELNS0_4arch9wavefront6targetE1EEEvT1_.has_indirect_call, 0
	.section	.AMDGPU.csdata,"",@progbits
; Kernel info:
; codeLenInByte = 0
; TotalNumSgprs: 4
; NumVgprs: 0
; ScratchSize: 0
; MemoryBound: 0
; FloatMode: 240
; IeeeMode: 1
; LDSByteSize: 0 bytes/workgroup (compile time only)
; SGPRBlocks: 0
; VGPRBlocks: 0
; NumSGPRsForWavesPerEU: 4
; NumVGPRsForWavesPerEU: 1
; Occupancy: 10
; WaveLimiterHint : 0
; COMPUTE_PGM_RSRC2:SCRATCH_EN: 0
; COMPUTE_PGM_RSRC2:USER_SGPR: 6
; COMPUTE_PGM_RSRC2:TRAP_HANDLER: 0
; COMPUTE_PGM_RSRC2:TGID_X_EN: 1
; COMPUTE_PGM_RSRC2:TGID_Y_EN: 0
; COMPUTE_PGM_RSRC2:TGID_Z_EN: 0
; COMPUTE_PGM_RSRC2:TIDIG_COMP_CNT: 0
	.section	.text._ZN7rocprim17ROCPRIM_400000_NS6detail17trampoline_kernelINS0_14default_configENS1_35adjacent_difference_config_selectorILb1EiEEZNS1_24adjacent_difference_implIS3_Lb1ELb0EPiS7_N6thrust23THRUST_200600_302600_NS4plusIiEEEE10hipError_tPvRmT2_T3_mT4_P12ihipStream_tbEUlT_E_NS1_11comp_targetILNS1_3genE8ELNS1_11target_archE1030ELNS1_3gpuE2ELNS1_3repE0EEENS1_30default_config_static_selectorELNS0_4arch9wavefront6targetE1EEEvT1_,"axG",@progbits,_ZN7rocprim17ROCPRIM_400000_NS6detail17trampoline_kernelINS0_14default_configENS1_35adjacent_difference_config_selectorILb1EiEEZNS1_24adjacent_difference_implIS3_Lb1ELb0EPiS7_N6thrust23THRUST_200600_302600_NS4plusIiEEEE10hipError_tPvRmT2_T3_mT4_P12ihipStream_tbEUlT_E_NS1_11comp_targetILNS1_3genE8ELNS1_11target_archE1030ELNS1_3gpuE2ELNS1_3repE0EEENS1_30default_config_static_selectorELNS0_4arch9wavefront6targetE1EEEvT1_,comdat
	.protected	_ZN7rocprim17ROCPRIM_400000_NS6detail17trampoline_kernelINS0_14default_configENS1_35adjacent_difference_config_selectorILb1EiEEZNS1_24adjacent_difference_implIS3_Lb1ELb0EPiS7_N6thrust23THRUST_200600_302600_NS4plusIiEEEE10hipError_tPvRmT2_T3_mT4_P12ihipStream_tbEUlT_E_NS1_11comp_targetILNS1_3genE8ELNS1_11target_archE1030ELNS1_3gpuE2ELNS1_3repE0EEENS1_30default_config_static_selectorELNS0_4arch9wavefront6targetE1EEEvT1_ ; -- Begin function _ZN7rocprim17ROCPRIM_400000_NS6detail17trampoline_kernelINS0_14default_configENS1_35adjacent_difference_config_selectorILb1EiEEZNS1_24adjacent_difference_implIS3_Lb1ELb0EPiS7_N6thrust23THRUST_200600_302600_NS4plusIiEEEE10hipError_tPvRmT2_T3_mT4_P12ihipStream_tbEUlT_E_NS1_11comp_targetILNS1_3genE8ELNS1_11target_archE1030ELNS1_3gpuE2ELNS1_3repE0EEENS1_30default_config_static_selectorELNS0_4arch9wavefront6targetE1EEEvT1_
	.globl	_ZN7rocprim17ROCPRIM_400000_NS6detail17trampoline_kernelINS0_14default_configENS1_35adjacent_difference_config_selectorILb1EiEEZNS1_24adjacent_difference_implIS3_Lb1ELb0EPiS7_N6thrust23THRUST_200600_302600_NS4plusIiEEEE10hipError_tPvRmT2_T3_mT4_P12ihipStream_tbEUlT_E_NS1_11comp_targetILNS1_3genE8ELNS1_11target_archE1030ELNS1_3gpuE2ELNS1_3repE0EEENS1_30default_config_static_selectorELNS0_4arch9wavefront6targetE1EEEvT1_
	.p2align	8
	.type	_ZN7rocprim17ROCPRIM_400000_NS6detail17trampoline_kernelINS0_14default_configENS1_35adjacent_difference_config_selectorILb1EiEEZNS1_24adjacent_difference_implIS3_Lb1ELb0EPiS7_N6thrust23THRUST_200600_302600_NS4plusIiEEEE10hipError_tPvRmT2_T3_mT4_P12ihipStream_tbEUlT_E_NS1_11comp_targetILNS1_3genE8ELNS1_11target_archE1030ELNS1_3gpuE2ELNS1_3repE0EEENS1_30default_config_static_selectorELNS0_4arch9wavefront6targetE1EEEvT1_,@function
_ZN7rocprim17ROCPRIM_400000_NS6detail17trampoline_kernelINS0_14default_configENS1_35adjacent_difference_config_selectorILb1EiEEZNS1_24adjacent_difference_implIS3_Lb1ELb0EPiS7_N6thrust23THRUST_200600_302600_NS4plusIiEEEE10hipError_tPvRmT2_T3_mT4_P12ihipStream_tbEUlT_E_NS1_11comp_targetILNS1_3genE8ELNS1_11target_archE1030ELNS1_3gpuE2ELNS1_3repE0EEENS1_30default_config_static_selectorELNS0_4arch9wavefront6targetE1EEEvT1_: ; @_ZN7rocprim17ROCPRIM_400000_NS6detail17trampoline_kernelINS0_14default_configENS1_35adjacent_difference_config_selectorILb1EiEEZNS1_24adjacent_difference_implIS3_Lb1ELb0EPiS7_N6thrust23THRUST_200600_302600_NS4plusIiEEEE10hipError_tPvRmT2_T3_mT4_P12ihipStream_tbEUlT_E_NS1_11comp_targetILNS1_3genE8ELNS1_11target_archE1030ELNS1_3gpuE2ELNS1_3repE0EEENS1_30default_config_static_selectorELNS0_4arch9wavefront6targetE1EEEvT1_
; %bb.0:
	.section	.rodata,"a",@progbits
	.p2align	6, 0x0
	.amdhsa_kernel _ZN7rocprim17ROCPRIM_400000_NS6detail17trampoline_kernelINS0_14default_configENS1_35adjacent_difference_config_selectorILb1EiEEZNS1_24adjacent_difference_implIS3_Lb1ELb0EPiS7_N6thrust23THRUST_200600_302600_NS4plusIiEEEE10hipError_tPvRmT2_T3_mT4_P12ihipStream_tbEUlT_E_NS1_11comp_targetILNS1_3genE8ELNS1_11target_archE1030ELNS1_3gpuE2ELNS1_3repE0EEENS1_30default_config_static_selectorELNS0_4arch9wavefront6targetE1EEEvT1_
		.amdhsa_group_segment_fixed_size 0
		.amdhsa_private_segment_fixed_size 0
		.amdhsa_kernarg_size 56
		.amdhsa_user_sgpr_count 6
		.amdhsa_user_sgpr_private_segment_buffer 1
		.amdhsa_user_sgpr_dispatch_ptr 0
		.amdhsa_user_sgpr_queue_ptr 0
		.amdhsa_user_sgpr_kernarg_segment_ptr 1
		.amdhsa_user_sgpr_dispatch_id 0
		.amdhsa_user_sgpr_flat_scratch_init 0
		.amdhsa_user_sgpr_private_segment_size 0
		.amdhsa_uses_dynamic_stack 0
		.amdhsa_system_sgpr_private_segment_wavefront_offset 0
		.amdhsa_system_sgpr_workgroup_id_x 1
		.amdhsa_system_sgpr_workgroup_id_y 0
		.amdhsa_system_sgpr_workgroup_id_z 0
		.amdhsa_system_sgpr_workgroup_info 0
		.amdhsa_system_vgpr_workitem_id 0
		.amdhsa_next_free_vgpr 1
		.amdhsa_next_free_sgpr 0
		.amdhsa_reserve_vcc 0
		.amdhsa_reserve_flat_scratch 0
		.amdhsa_float_round_mode_32 0
		.amdhsa_float_round_mode_16_64 0
		.amdhsa_float_denorm_mode_32 3
		.amdhsa_float_denorm_mode_16_64 3
		.amdhsa_dx10_clamp 1
		.amdhsa_ieee_mode 1
		.amdhsa_fp16_overflow 0
		.amdhsa_exception_fp_ieee_invalid_op 0
		.amdhsa_exception_fp_denorm_src 0
		.amdhsa_exception_fp_ieee_div_zero 0
		.amdhsa_exception_fp_ieee_overflow 0
		.amdhsa_exception_fp_ieee_underflow 0
		.amdhsa_exception_fp_ieee_inexact 0
		.amdhsa_exception_int_div_zero 0
	.end_amdhsa_kernel
	.section	.text._ZN7rocprim17ROCPRIM_400000_NS6detail17trampoline_kernelINS0_14default_configENS1_35adjacent_difference_config_selectorILb1EiEEZNS1_24adjacent_difference_implIS3_Lb1ELb0EPiS7_N6thrust23THRUST_200600_302600_NS4plusIiEEEE10hipError_tPvRmT2_T3_mT4_P12ihipStream_tbEUlT_E_NS1_11comp_targetILNS1_3genE8ELNS1_11target_archE1030ELNS1_3gpuE2ELNS1_3repE0EEENS1_30default_config_static_selectorELNS0_4arch9wavefront6targetE1EEEvT1_,"axG",@progbits,_ZN7rocprim17ROCPRIM_400000_NS6detail17trampoline_kernelINS0_14default_configENS1_35adjacent_difference_config_selectorILb1EiEEZNS1_24adjacent_difference_implIS3_Lb1ELb0EPiS7_N6thrust23THRUST_200600_302600_NS4plusIiEEEE10hipError_tPvRmT2_T3_mT4_P12ihipStream_tbEUlT_E_NS1_11comp_targetILNS1_3genE8ELNS1_11target_archE1030ELNS1_3gpuE2ELNS1_3repE0EEENS1_30default_config_static_selectorELNS0_4arch9wavefront6targetE1EEEvT1_,comdat
.Lfunc_end356:
	.size	_ZN7rocprim17ROCPRIM_400000_NS6detail17trampoline_kernelINS0_14default_configENS1_35adjacent_difference_config_selectorILb1EiEEZNS1_24adjacent_difference_implIS3_Lb1ELb0EPiS7_N6thrust23THRUST_200600_302600_NS4plusIiEEEE10hipError_tPvRmT2_T3_mT4_P12ihipStream_tbEUlT_E_NS1_11comp_targetILNS1_3genE8ELNS1_11target_archE1030ELNS1_3gpuE2ELNS1_3repE0EEENS1_30default_config_static_selectorELNS0_4arch9wavefront6targetE1EEEvT1_, .Lfunc_end356-_ZN7rocprim17ROCPRIM_400000_NS6detail17trampoline_kernelINS0_14default_configENS1_35adjacent_difference_config_selectorILb1EiEEZNS1_24adjacent_difference_implIS3_Lb1ELb0EPiS7_N6thrust23THRUST_200600_302600_NS4plusIiEEEE10hipError_tPvRmT2_T3_mT4_P12ihipStream_tbEUlT_E_NS1_11comp_targetILNS1_3genE8ELNS1_11target_archE1030ELNS1_3gpuE2ELNS1_3repE0EEENS1_30default_config_static_selectorELNS0_4arch9wavefront6targetE1EEEvT1_
                                        ; -- End function
	.set _ZN7rocprim17ROCPRIM_400000_NS6detail17trampoline_kernelINS0_14default_configENS1_35adjacent_difference_config_selectorILb1EiEEZNS1_24adjacent_difference_implIS3_Lb1ELb0EPiS7_N6thrust23THRUST_200600_302600_NS4plusIiEEEE10hipError_tPvRmT2_T3_mT4_P12ihipStream_tbEUlT_E_NS1_11comp_targetILNS1_3genE8ELNS1_11target_archE1030ELNS1_3gpuE2ELNS1_3repE0EEENS1_30default_config_static_selectorELNS0_4arch9wavefront6targetE1EEEvT1_.num_vgpr, 0
	.set _ZN7rocprim17ROCPRIM_400000_NS6detail17trampoline_kernelINS0_14default_configENS1_35adjacent_difference_config_selectorILb1EiEEZNS1_24adjacent_difference_implIS3_Lb1ELb0EPiS7_N6thrust23THRUST_200600_302600_NS4plusIiEEEE10hipError_tPvRmT2_T3_mT4_P12ihipStream_tbEUlT_E_NS1_11comp_targetILNS1_3genE8ELNS1_11target_archE1030ELNS1_3gpuE2ELNS1_3repE0EEENS1_30default_config_static_selectorELNS0_4arch9wavefront6targetE1EEEvT1_.num_agpr, 0
	.set _ZN7rocprim17ROCPRIM_400000_NS6detail17trampoline_kernelINS0_14default_configENS1_35adjacent_difference_config_selectorILb1EiEEZNS1_24adjacent_difference_implIS3_Lb1ELb0EPiS7_N6thrust23THRUST_200600_302600_NS4plusIiEEEE10hipError_tPvRmT2_T3_mT4_P12ihipStream_tbEUlT_E_NS1_11comp_targetILNS1_3genE8ELNS1_11target_archE1030ELNS1_3gpuE2ELNS1_3repE0EEENS1_30default_config_static_selectorELNS0_4arch9wavefront6targetE1EEEvT1_.numbered_sgpr, 0
	.set _ZN7rocprim17ROCPRIM_400000_NS6detail17trampoline_kernelINS0_14default_configENS1_35adjacent_difference_config_selectorILb1EiEEZNS1_24adjacent_difference_implIS3_Lb1ELb0EPiS7_N6thrust23THRUST_200600_302600_NS4plusIiEEEE10hipError_tPvRmT2_T3_mT4_P12ihipStream_tbEUlT_E_NS1_11comp_targetILNS1_3genE8ELNS1_11target_archE1030ELNS1_3gpuE2ELNS1_3repE0EEENS1_30default_config_static_selectorELNS0_4arch9wavefront6targetE1EEEvT1_.num_named_barrier, 0
	.set _ZN7rocprim17ROCPRIM_400000_NS6detail17trampoline_kernelINS0_14default_configENS1_35adjacent_difference_config_selectorILb1EiEEZNS1_24adjacent_difference_implIS3_Lb1ELb0EPiS7_N6thrust23THRUST_200600_302600_NS4plusIiEEEE10hipError_tPvRmT2_T3_mT4_P12ihipStream_tbEUlT_E_NS1_11comp_targetILNS1_3genE8ELNS1_11target_archE1030ELNS1_3gpuE2ELNS1_3repE0EEENS1_30default_config_static_selectorELNS0_4arch9wavefront6targetE1EEEvT1_.private_seg_size, 0
	.set _ZN7rocprim17ROCPRIM_400000_NS6detail17trampoline_kernelINS0_14default_configENS1_35adjacent_difference_config_selectorILb1EiEEZNS1_24adjacent_difference_implIS3_Lb1ELb0EPiS7_N6thrust23THRUST_200600_302600_NS4plusIiEEEE10hipError_tPvRmT2_T3_mT4_P12ihipStream_tbEUlT_E_NS1_11comp_targetILNS1_3genE8ELNS1_11target_archE1030ELNS1_3gpuE2ELNS1_3repE0EEENS1_30default_config_static_selectorELNS0_4arch9wavefront6targetE1EEEvT1_.uses_vcc, 0
	.set _ZN7rocprim17ROCPRIM_400000_NS6detail17trampoline_kernelINS0_14default_configENS1_35adjacent_difference_config_selectorILb1EiEEZNS1_24adjacent_difference_implIS3_Lb1ELb0EPiS7_N6thrust23THRUST_200600_302600_NS4plusIiEEEE10hipError_tPvRmT2_T3_mT4_P12ihipStream_tbEUlT_E_NS1_11comp_targetILNS1_3genE8ELNS1_11target_archE1030ELNS1_3gpuE2ELNS1_3repE0EEENS1_30default_config_static_selectorELNS0_4arch9wavefront6targetE1EEEvT1_.uses_flat_scratch, 0
	.set _ZN7rocprim17ROCPRIM_400000_NS6detail17trampoline_kernelINS0_14default_configENS1_35adjacent_difference_config_selectorILb1EiEEZNS1_24adjacent_difference_implIS3_Lb1ELb0EPiS7_N6thrust23THRUST_200600_302600_NS4plusIiEEEE10hipError_tPvRmT2_T3_mT4_P12ihipStream_tbEUlT_E_NS1_11comp_targetILNS1_3genE8ELNS1_11target_archE1030ELNS1_3gpuE2ELNS1_3repE0EEENS1_30default_config_static_selectorELNS0_4arch9wavefront6targetE1EEEvT1_.has_dyn_sized_stack, 0
	.set _ZN7rocprim17ROCPRIM_400000_NS6detail17trampoline_kernelINS0_14default_configENS1_35adjacent_difference_config_selectorILb1EiEEZNS1_24adjacent_difference_implIS3_Lb1ELb0EPiS7_N6thrust23THRUST_200600_302600_NS4plusIiEEEE10hipError_tPvRmT2_T3_mT4_P12ihipStream_tbEUlT_E_NS1_11comp_targetILNS1_3genE8ELNS1_11target_archE1030ELNS1_3gpuE2ELNS1_3repE0EEENS1_30default_config_static_selectorELNS0_4arch9wavefront6targetE1EEEvT1_.has_recursion, 0
	.set _ZN7rocprim17ROCPRIM_400000_NS6detail17trampoline_kernelINS0_14default_configENS1_35adjacent_difference_config_selectorILb1EiEEZNS1_24adjacent_difference_implIS3_Lb1ELb0EPiS7_N6thrust23THRUST_200600_302600_NS4plusIiEEEE10hipError_tPvRmT2_T3_mT4_P12ihipStream_tbEUlT_E_NS1_11comp_targetILNS1_3genE8ELNS1_11target_archE1030ELNS1_3gpuE2ELNS1_3repE0EEENS1_30default_config_static_selectorELNS0_4arch9wavefront6targetE1EEEvT1_.has_indirect_call, 0
	.section	.AMDGPU.csdata,"",@progbits
; Kernel info:
; codeLenInByte = 0
; TotalNumSgprs: 4
; NumVgprs: 0
; ScratchSize: 0
; MemoryBound: 0
; FloatMode: 240
; IeeeMode: 1
; LDSByteSize: 0 bytes/workgroup (compile time only)
; SGPRBlocks: 0
; VGPRBlocks: 0
; NumSGPRsForWavesPerEU: 4
; NumVGPRsForWavesPerEU: 1
; Occupancy: 10
; WaveLimiterHint : 0
; COMPUTE_PGM_RSRC2:SCRATCH_EN: 0
; COMPUTE_PGM_RSRC2:USER_SGPR: 6
; COMPUTE_PGM_RSRC2:TRAP_HANDLER: 0
; COMPUTE_PGM_RSRC2:TGID_X_EN: 1
; COMPUTE_PGM_RSRC2:TGID_Y_EN: 0
; COMPUTE_PGM_RSRC2:TGID_Z_EN: 0
; COMPUTE_PGM_RSRC2:TIDIG_COMP_CNT: 0
	.section	.text._ZN6thrust23THRUST_200600_302600_NS11hip_rocprim14__parallel_for6kernelILj256ENS1_20__uninitialized_fill7functorINS0_10device_ptrIsEEsEEmLj1EEEvT0_T1_SA_,"axG",@progbits,_ZN6thrust23THRUST_200600_302600_NS11hip_rocprim14__parallel_for6kernelILj256ENS1_20__uninitialized_fill7functorINS0_10device_ptrIsEEsEEmLj1EEEvT0_T1_SA_,comdat
	.protected	_ZN6thrust23THRUST_200600_302600_NS11hip_rocprim14__parallel_for6kernelILj256ENS1_20__uninitialized_fill7functorINS0_10device_ptrIsEEsEEmLj1EEEvT0_T1_SA_ ; -- Begin function _ZN6thrust23THRUST_200600_302600_NS11hip_rocprim14__parallel_for6kernelILj256ENS1_20__uninitialized_fill7functorINS0_10device_ptrIsEEsEEmLj1EEEvT0_T1_SA_
	.globl	_ZN6thrust23THRUST_200600_302600_NS11hip_rocprim14__parallel_for6kernelILj256ENS1_20__uninitialized_fill7functorINS0_10device_ptrIsEEsEEmLj1EEEvT0_T1_SA_
	.p2align	8
	.type	_ZN6thrust23THRUST_200600_302600_NS11hip_rocprim14__parallel_for6kernelILj256ENS1_20__uninitialized_fill7functorINS0_10device_ptrIsEEsEEmLj1EEEvT0_T1_SA_,@function
_ZN6thrust23THRUST_200600_302600_NS11hip_rocprim14__parallel_for6kernelILj256ENS1_20__uninitialized_fill7functorINS0_10device_ptrIsEEsEEmLj1EEEvT0_T1_SA_: ; @_ZN6thrust23THRUST_200600_302600_NS11hip_rocprim14__parallel_for6kernelILj256ENS1_20__uninitialized_fill7functorINS0_10device_ptrIsEEsEEmLj1EEEvT0_T1_SA_
; %bb.0:
	s_load_dwordx4 s[12:15], s[4:5], 0x10
	s_load_dwordx2 s[0:1], s[4:5], 0x0
	s_load_dword s8, s[4:5], 0x8
	s_lshl_b32 s2, s6, 8
	v_mov_b32_e32 v1, 0xff
	s_waitcnt lgkmcnt(0)
	s_add_u32 s2, s14, s2
	s_addc_u32 s3, s15, 0
	s_sub_u32 s4, s12, s2
	v_mov_b32_e32 v2, 0
	s_subb_u32 s5, s13, s3
	v_cmp_gt_u64_e32 vcc, s[4:5], v[1:2]
	s_mov_b64 s[6:7], -1
	s_cbranch_vccz .LBB357_3
; %bb.1:
	s_andn2_b64 vcc, exec, s[6:7]
	s_cbranch_vccz .LBB357_6
.LBB357_2:
	s_endpgm
.LBB357_3:
	v_cmp_gt_u32_e32 vcc, s4, v0
	s_and_saveexec_b64 s[4:5], vcc
	s_cbranch_execz .LBB357_5
; %bb.4:
	s_lshl_b64 s[6:7], s[2:3], 1
	s_add_u32 s6, s0, s6
	s_addc_u32 s7, s1, s7
	v_lshlrev_b32_e32 v1, 1, v0
	v_mov_b32_e32 v2, s7
	v_add_co_u32_e32 v1, vcc, s6, v1
	v_addc_co_u32_e32 v2, vcc, 0, v2, vcc
	v_mov_b32_e32 v3, s8
	flat_store_short v[1:2], v3
.LBB357_5:
	s_or_b64 exec, exec, s[4:5]
	s_cbranch_execnz .LBB357_2
.LBB357_6:
	s_lshl_b64 s[2:3], s[2:3], 1
	s_add_u32 s0, s0, s2
	s_addc_u32 s1, s1, s3
	v_lshlrev_b32_e32 v0, 1, v0
	v_mov_b32_e32 v1, s1
	v_add_co_u32_e32 v0, vcc, s0, v0
	v_addc_co_u32_e32 v1, vcc, 0, v1, vcc
	v_mov_b32_e32 v2, s8
	flat_store_short v[0:1], v2
	s_endpgm
	.section	.rodata,"a",@progbits
	.p2align	6, 0x0
	.amdhsa_kernel _ZN6thrust23THRUST_200600_302600_NS11hip_rocprim14__parallel_for6kernelILj256ENS1_20__uninitialized_fill7functorINS0_10device_ptrIsEEsEEmLj1EEEvT0_T1_SA_
		.amdhsa_group_segment_fixed_size 0
		.amdhsa_private_segment_fixed_size 0
		.amdhsa_kernarg_size 32
		.amdhsa_user_sgpr_count 6
		.amdhsa_user_sgpr_private_segment_buffer 1
		.amdhsa_user_sgpr_dispatch_ptr 0
		.amdhsa_user_sgpr_queue_ptr 0
		.amdhsa_user_sgpr_kernarg_segment_ptr 1
		.amdhsa_user_sgpr_dispatch_id 0
		.amdhsa_user_sgpr_flat_scratch_init 0
		.amdhsa_user_sgpr_private_segment_size 0
		.amdhsa_uses_dynamic_stack 0
		.amdhsa_system_sgpr_private_segment_wavefront_offset 0
		.amdhsa_system_sgpr_workgroup_id_x 1
		.amdhsa_system_sgpr_workgroup_id_y 0
		.amdhsa_system_sgpr_workgroup_id_z 0
		.amdhsa_system_sgpr_workgroup_info 0
		.amdhsa_system_vgpr_workitem_id 0
		.amdhsa_next_free_vgpr 4
		.amdhsa_next_free_sgpr 16
		.amdhsa_reserve_vcc 1
		.amdhsa_reserve_flat_scratch 0
		.amdhsa_float_round_mode_32 0
		.amdhsa_float_round_mode_16_64 0
		.amdhsa_float_denorm_mode_32 3
		.amdhsa_float_denorm_mode_16_64 3
		.amdhsa_dx10_clamp 1
		.amdhsa_ieee_mode 1
		.amdhsa_fp16_overflow 0
		.amdhsa_exception_fp_ieee_invalid_op 0
		.amdhsa_exception_fp_denorm_src 0
		.amdhsa_exception_fp_ieee_div_zero 0
		.amdhsa_exception_fp_ieee_overflow 0
		.amdhsa_exception_fp_ieee_underflow 0
		.amdhsa_exception_fp_ieee_inexact 0
		.amdhsa_exception_int_div_zero 0
	.end_amdhsa_kernel
	.section	.text._ZN6thrust23THRUST_200600_302600_NS11hip_rocprim14__parallel_for6kernelILj256ENS1_20__uninitialized_fill7functorINS0_10device_ptrIsEEsEEmLj1EEEvT0_T1_SA_,"axG",@progbits,_ZN6thrust23THRUST_200600_302600_NS11hip_rocprim14__parallel_for6kernelILj256ENS1_20__uninitialized_fill7functorINS0_10device_ptrIsEEsEEmLj1EEEvT0_T1_SA_,comdat
.Lfunc_end357:
	.size	_ZN6thrust23THRUST_200600_302600_NS11hip_rocprim14__parallel_for6kernelILj256ENS1_20__uninitialized_fill7functorINS0_10device_ptrIsEEsEEmLj1EEEvT0_T1_SA_, .Lfunc_end357-_ZN6thrust23THRUST_200600_302600_NS11hip_rocprim14__parallel_for6kernelILj256ENS1_20__uninitialized_fill7functorINS0_10device_ptrIsEEsEEmLj1EEEvT0_T1_SA_
                                        ; -- End function
	.set _ZN6thrust23THRUST_200600_302600_NS11hip_rocprim14__parallel_for6kernelILj256ENS1_20__uninitialized_fill7functorINS0_10device_ptrIsEEsEEmLj1EEEvT0_T1_SA_.num_vgpr, 4
	.set _ZN6thrust23THRUST_200600_302600_NS11hip_rocprim14__parallel_for6kernelILj256ENS1_20__uninitialized_fill7functorINS0_10device_ptrIsEEsEEmLj1EEEvT0_T1_SA_.num_agpr, 0
	.set _ZN6thrust23THRUST_200600_302600_NS11hip_rocprim14__parallel_for6kernelILj256ENS1_20__uninitialized_fill7functorINS0_10device_ptrIsEEsEEmLj1EEEvT0_T1_SA_.numbered_sgpr, 16
	.set _ZN6thrust23THRUST_200600_302600_NS11hip_rocprim14__parallel_for6kernelILj256ENS1_20__uninitialized_fill7functorINS0_10device_ptrIsEEsEEmLj1EEEvT0_T1_SA_.num_named_barrier, 0
	.set _ZN6thrust23THRUST_200600_302600_NS11hip_rocprim14__parallel_for6kernelILj256ENS1_20__uninitialized_fill7functorINS0_10device_ptrIsEEsEEmLj1EEEvT0_T1_SA_.private_seg_size, 0
	.set _ZN6thrust23THRUST_200600_302600_NS11hip_rocprim14__parallel_for6kernelILj256ENS1_20__uninitialized_fill7functorINS0_10device_ptrIsEEsEEmLj1EEEvT0_T1_SA_.uses_vcc, 1
	.set _ZN6thrust23THRUST_200600_302600_NS11hip_rocprim14__parallel_for6kernelILj256ENS1_20__uninitialized_fill7functorINS0_10device_ptrIsEEsEEmLj1EEEvT0_T1_SA_.uses_flat_scratch, 0
	.set _ZN6thrust23THRUST_200600_302600_NS11hip_rocprim14__parallel_for6kernelILj256ENS1_20__uninitialized_fill7functorINS0_10device_ptrIsEEsEEmLj1EEEvT0_T1_SA_.has_dyn_sized_stack, 0
	.set _ZN6thrust23THRUST_200600_302600_NS11hip_rocprim14__parallel_for6kernelILj256ENS1_20__uninitialized_fill7functorINS0_10device_ptrIsEEsEEmLj1EEEvT0_T1_SA_.has_recursion, 0
	.set _ZN6thrust23THRUST_200600_302600_NS11hip_rocprim14__parallel_for6kernelILj256ENS1_20__uninitialized_fill7functorINS0_10device_ptrIsEEsEEmLj1EEEvT0_T1_SA_.has_indirect_call, 0
	.section	.AMDGPU.csdata,"",@progbits
; Kernel info:
; codeLenInByte = 188
; TotalNumSgprs: 20
; NumVgprs: 4
; ScratchSize: 0
; MemoryBound: 0
; FloatMode: 240
; IeeeMode: 1
; LDSByteSize: 0 bytes/workgroup (compile time only)
; SGPRBlocks: 2
; VGPRBlocks: 0
; NumSGPRsForWavesPerEU: 20
; NumVGPRsForWavesPerEU: 4
; Occupancy: 10
; WaveLimiterHint : 0
; COMPUTE_PGM_RSRC2:SCRATCH_EN: 0
; COMPUTE_PGM_RSRC2:USER_SGPR: 6
; COMPUTE_PGM_RSRC2:TRAP_HANDLER: 0
; COMPUTE_PGM_RSRC2:TGID_X_EN: 1
; COMPUTE_PGM_RSRC2:TGID_Y_EN: 0
; COMPUTE_PGM_RSRC2:TGID_Z_EN: 0
; COMPUTE_PGM_RSRC2:TIDIG_COMP_CNT: 0
	.section	.text._ZN7rocprim17ROCPRIM_400000_NS6detail17trampoline_kernelINS0_14default_configENS1_35adjacent_difference_config_selectorILb0EsEEZNS1_24adjacent_difference_implIS3_Lb0ELb0EPsS7_N6thrust23THRUST_200600_302600_NS5minusIsEEEE10hipError_tPvRmT2_T3_mT4_P12ihipStream_tbEUlT_E_NS1_11comp_targetILNS1_3genE0ELNS1_11target_archE4294967295ELNS1_3gpuE0ELNS1_3repE0EEENS1_30default_config_static_selectorELNS0_4arch9wavefront6targetE1EEEvT1_,"axG",@progbits,_ZN7rocprim17ROCPRIM_400000_NS6detail17trampoline_kernelINS0_14default_configENS1_35adjacent_difference_config_selectorILb0EsEEZNS1_24adjacent_difference_implIS3_Lb0ELb0EPsS7_N6thrust23THRUST_200600_302600_NS5minusIsEEEE10hipError_tPvRmT2_T3_mT4_P12ihipStream_tbEUlT_E_NS1_11comp_targetILNS1_3genE0ELNS1_11target_archE4294967295ELNS1_3gpuE0ELNS1_3repE0EEENS1_30default_config_static_selectorELNS0_4arch9wavefront6targetE1EEEvT1_,comdat
	.protected	_ZN7rocprim17ROCPRIM_400000_NS6detail17trampoline_kernelINS0_14default_configENS1_35adjacent_difference_config_selectorILb0EsEEZNS1_24adjacent_difference_implIS3_Lb0ELb0EPsS7_N6thrust23THRUST_200600_302600_NS5minusIsEEEE10hipError_tPvRmT2_T3_mT4_P12ihipStream_tbEUlT_E_NS1_11comp_targetILNS1_3genE0ELNS1_11target_archE4294967295ELNS1_3gpuE0ELNS1_3repE0EEENS1_30default_config_static_selectorELNS0_4arch9wavefront6targetE1EEEvT1_ ; -- Begin function _ZN7rocprim17ROCPRIM_400000_NS6detail17trampoline_kernelINS0_14default_configENS1_35adjacent_difference_config_selectorILb0EsEEZNS1_24adjacent_difference_implIS3_Lb0ELb0EPsS7_N6thrust23THRUST_200600_302600_NS5minusIsEEEE10hipError_tPvRmT2_T3_mT4_P12ihipStream_tbEUlT_E_NS1_11comp_targetILNS1_3genE0ELNS1_11target_archE4294967295ELNS1_3gpuE0ELNS1_3repE0EEENS1_30default_config_static_selectorELNS0_4arch9wavefront6targetE1EEEvT1_
	.globl	_ZN7rocprim17ROCPRIM_400000_NS6detail17trampoline_kernelINS0_14default_configENS1_35adjacent_difference_config_selectorILb0EsEEZNS1_24adjacent_difference_implIS3_Lb0ELb0EPsS7_N6thrust23THRUST_200600_302600_NS5minusIsEEEE10hipError_tPvRmT2_T3_mT4_P12ihipStream_tbEUlT_E_NS1_11comp_targetILNS1_3genE0ELNS1_11target_archE4294967295ELNS1_3gpuE0ELNS1_3repE0EEENS1_30default_config_static_selectorELNS0_4arch9wavefront6targetE1EEEvT1_
	.p2align	8
	.type	_ZN7rocprim17ROCPRIM_400000_NS6detail17trampoline_kernelINS0_14default_configENS1_35adjacent_difference_config_selectorILb0EsEEZNS1_24adjacent_difference_implIS3_Lb0ELb0EPsS7_N6thrust23THRUST_200600_302600_NS5minusIsEEEE10hipError_tPvRmT2_T3_mT4_P12ihipStream_tbEUlT_E_NS1_11comp_targetILNS1_3genE0ELNS1_11target_archE4294967295ELNS1_3gpuE0ELNS1_3repE0EEENS1_30default_config_static_selectorELNS0_4arch9wavefront6targetE1EEEvT1_,@function
_ZN7rocprim17ROCPRIM_400000_NS6detail17trampoline_kernelINS0_14default_configENS1_35adjacent_difference_config_selectorILb0EsEEZNS1_24adjacent_difference_implIS3_Lb0ELb0EPsS7_N6thrust23THRUST_200600_302600_NS5minusIsEEEE10hipError_tPvRmT2_T3_mT4_P12ihipStream_tbEUlT_E_NS1_11comp_targetILNS1_3genE0ELNS1_11target_archE4294967295ELNS1_3gpuE0ELNS1_3repE0EEENS1_30default_config_static_selectorELNS0_4arch9wavefront6targetE1EEEvT1_: ; @_ZN7rocprim17ROCPRIM_400000_NS6detail17trampoline_kernelINS0_14default_configENS1_35adjacent_difference_config_selectorILb0EsEEZNS1_24adjacent_difference_implIS3_Lb0ELb0EPsS7_N6thrust23THRUST_200600_302600_NS5minusIsEEEE10hipError_tPvRmT2_T3_mT4_P12ihipStream_tbEUlT_E_NS1_11comp_targetILNS1_3genE0ELNS1_11target_archE4294967295ELNS1_3gpuE0ELNS1_3repE0EEENS1_30default_config_static_selectorELNS0_4arch9wavefront6targetE1EEEvT1_
; %bb.0:
	.section	.rodata,"a",@progbits
	.p2align	6, 0x0
	.amdhsa_kernel _ZN7rocprim17ROCPRIM_400000_NS6detail17trampoline_kernelINS0_14default_configENS1_35adjacent_difference_config_selectorILb0EsEEZNS1_24adjacent_difference_implIS3_Lb0ELb0EPsS7_N6thrust23THRUST_200600_302600_NS5minusIsEEEE10hipError_tPvRmT2_T3_mT4_P12ihipStream_tbEUlT_E_NS1_11comp_targetILNS1_3genE0ELNS1_11target_archE4294967295ELNS1_3gpuE0ELNS1_3repE0EEENS1_30default_config_static_selectorELNS0_4arch9wavefront6targetE1EEEvT1_
		.amdhsa_group_segment_fixed_size 0
		.amdhsa_private_segment_fixed_size 0
		.amdhsa_kernarg_size 56
		.amdhsa_user_sgpr_count 6
		.amdhsa_user_sgpr_private_segment_buffer 1
		.amdhsa_user_sgpr_dispatch_ptr 0
		.amdhsa_user_sgpr_queue_ptr 0
		.amdhsa_user_sgpr_kernarg_segment_ptr 1
		.amdhsa_user_sgpr_dispatch_id 0
		.amdhsa_user_sgpr_flat_scratch_init 0
		.amdhsa_user_sgpr_private_segment_size 0
		.amdhsa_uses_dynamic_stack 0
		.amdhsa_system_sgpr_private_segment_wavefront_offset 0
		.amdhsa_system_sgpr_workgroup_id_x 1
		.amdhsa_system_sgpr_workgroup_id_y 0
		.amdhsa_system_sgpr_workgroup_id_z 0
		.amdhsa_system_sgpr_workgroup_info 0
		.amdhsa_system_vgpr_workitem_id 0
		.amdhsa_next_free_vgpr 1
		.amdhsa_next_free_sgpr 0
		.amdhsa_reserve_vcc 0
		.amdhsa_reserve_flat_scratch 0
		.amdhsa_float_round_mode_32 0
		.amdhsa_float_round_mode_16_64 0
		.amdhsa_float_denorm_mode_32 3
		.amdhsa_float_denorm_mode_16_64 3
		.amdhsa_dx10_clamp 1
		.amdhsa_ieee_mode 1
		.amdhsa_fp16_overflow 0
		.amdhsa_exception_fp_ieee_invalid_op 0
		.amdhsa_exception_fp_denorm_src 0
		.amdhsa_exception_fp_ieee_div_zero 0
		.amdhsa_exception_fp_ieee_overflow 0
		.amdhsa_exception_fp_ieee_underflow 0
		.amdhsa_exception_fp_ieee_inexact 0
		.amdhsa_exception_int_div_zero 0
	.end_amdhsa_kernel
	.section	.text._ZN7rocprim17ROCPRIM_400000_NS6detail17trampoline_kernelINS0_14default_configENS1_35adjacent_difference_config_selectorILb0EsEEZNS1_24adjacent_difference_implIS3_Lb0ELb0EPsS7_N6thrust23THRUST_200600_302600_NS5minusIsEEEE10hipError_tPvRmT2_T3_mT4_P12ihipStream_tbEUlT_E_NS1_11comp_targetILNS1_3genE0ELNS1_11target_archE4294967295ELNS1_3gpuE0ELNS1_3repE0EEENS1_30default_config_static_selectorELNS0_4arch9wavefront6targetE1EEEvT1_,"axG",@progbits,_ZN7rocprim17ROCPRIM_400000_NS6detail17trampoline_kernelINS0_14default_configENS1_35adjacent_difference_config_selectorILb0EsEEZNS1_24adjacent_difference_implIS3_Lb0ELb0EPsS7_N6thrust23THRUST_200600_302600_NS5minusIsEEEE10hipError_tPvRmT2_T3_mT4_P12ihipStream_tbEUlT_E_NS1_11comp_targetILNS1_3genE0ELNS1_11target_archE4294967295ELNS1_3gpuE0ELNS1_3repE0EEENS1_30default_config_static_selectorELNS0_4arch9wavefront6targetE1EEEvT1_,comdat
.Lfunc_end358:
	.size	_ZN7rocprim17ROCPRIM_400000_NS6detail17trampoline_kernelINS0_14default_configENS1_35adjacent_difference_config_selectorILb0EsEEZNS1_24adjacent_difference_implIS3_Lb0ELb0EPsS7_N6thrust23THRUST_200600_302600_NS5minusIsEEEE10hipError_tPvRmT2_T3_mT4_P12ihipStream_tbEUlT_E_NS1_11comp_targetILNS1_3genE0ELNS1_11target_archE4294967295ELNS1_3gpuE0ELNS1_3repE0EEENS1_30default_config_static_selectorELNS0_4arch9wavefront6targetE1EEEvT1_, .Lfunc_end358-_ZN7rocprim17ROCPRIM_400000_NS6detail17trampoline_kernelINS0_14default_configENS1_35adjacent_difference_config_selectorILb0EsEEZNS1_24adjacent_difference_implIS3_Lb0ELb0EPsS7_N6thrust23THRUST_200600_302600_NS5minusIsEEEE10hipError_tPvRmT2_T3_mT4_P12ihipStream_tbEUlT_E_NS1_11comp_targetILNS1_3genE0ELNS1_11target_archE4294967295ELNS1_3gpuE0ELNS1_3repE0EEENS1_30default_config_static_selectorELNS0_4arch9wavefront6targetE1EEEvT1_
                                        ; -- End function
	.set _ZN7rocprim17ROCPRIM_400000_NS6detail17trampoline_kernelINS0_14default_configENS1_35adjacent_difference_config_selectorILb0EsEEZNS1_24adjacent_difference_implIS3_Lb0ELb0EPsS7_N6thrust23THRUST_200600_302600_NS5minusIsEEEE10hipError_tPvRmT2_T3_mT4_P12ihipStream_tbEUlT_E_NS1_11comp_targetILNS1_3genE0ELNS1_11target_archE4294967295ELNS1_3gpuE0ELNS1_3repE0EEENS1_30default_config_static_selectorELNS0_4arch9wavefront6targetE1EEEvT1_.num_vgpr, 0
	.set _ZN7rocprim17ROCPRIM_400000_NS6detail17trampoline_kernelINS0_14default_configENS1_35adjacent_difference_config_selectorILb0EsEEZNS1_24adjacent_difference_implIS3_Lb0ELb0EPsS7_N6thrust23THRUST_200600_302600_NS5minusIsEEEE10hipError_tPvRmT2_T3_mT4_P12ihipStream_tbEUlT_E_NS1_11comp_targetILNS1_3genE0ELNS1_11target_archE4294967295ELNS1_3gpuE0ELNS1_3repE0EEENS1_30default_config_static_selectorELNS0_4arch9wavefront6targetE1EEEvT1_.num_agpr, 0
	.set _ZN7rocprim17ROCPRIM_400000_NS6detail17trampoline_kernelINS0_14default_configENS1_35adjacent_difference_config_selectorILb0EsEEZNS1_24adjacent_difference_implIS3_Lb0ELb0EPsS7_N6thrust23THRUST_200600_302600_NS5minusIsEEEE10hipError_tPvRmT2_T3_mT4_P12ihipStream_tbEUlT_E_NS1_11comp_targetILNS1_3genE0ELNS1_11target_archE4294967295ELNS1_3gpuE0ELNS1_3repE0EEENS1_30default_config_static_selectorELNS0_4arch9wavefront6targetE1EEEvT1_.numbered_sgpr, 0
	.set _ZN7rocprim17ROCPRIM_400000_NS6detail17trampoline_kernelINS0_14default_configENS1_35adjacent_difference_config_selectorILb0EsEEZNS1_24adjacent_difference_implIS3_Lb0ELb0EPsS7_N6thrust23THRUST_200600_302600_NS5minusIsEEEE10hipError_tPvRmT2_T3_mT4_P12ihipStream_tbEUlT_E_NS1_11comp_targetILNS1_3genE0ELNS1_11target_archE4294967295ELNS1_3gpuE0ELNS1_3repE0EEENS1_30default_config_static_selectorELNS0_4arch9wavefront6targetE1EEEvT1_.num_named_barrier, 0
	.set _ZN7rocprim17ROCPRIM_400000_NS6detail17trampoline_kernelINS0_14default_configENS1_35adjacent_difference_config_selectorILb0EsEEZNS1_24adjacent_difference_implIS3_Lb0ELb0EPsS7_N6thrust23THRUST_200600_302600_NS5minusIsEEEE10hipError_tPvRmT2_T3_mT4_P12ihipStream_tbEUlT_E_NS1_11comp_targetILNS1_3genE0ELNS1_11target_archE4294967295ELNS1_3gpuE0ELNS1_3repE0EEENS1_30default_config_static_selectorELNS0_4arch9wavefront6targetE1EEEvT1_.private_seg_size, 0
	.set _ZN7rocprim17ROCPRIM_400000_NS6detail17trampoline_kernelINS0_14default_configENS1_35adjacent_difference_config_selectorILb0EsEEZNS1_24adjacent_difference_implIS3_Lb0ELb0EPsS7_N6thrust23THRUST_200600_302600_NS5minusIsEEEE10hipError_tPvRmT2_T3_mT4_P12ihipStream_tbEUlT_E_NS1_11comp_targetILNS1_3genE0ELNS1_11target_archE4294967295ELNS1_3gpuE0ELNS1_3repE0EEENS1_30default_config_static_selectorELNS0_4arch9wavefront6targetE1EEEvT1_.uses_vcc, 0
	.set _ZN7rocprim17ROCPRIM_400000_NS6detail17trampoline_kernelINS0_14default_configENS1_35adjacent_difference_config_selectorILb0EsEEZNS1_24adjacent_difference_implIS3_Lb0ELb0EPsS7_N6thrust23THRUST_200600_302600_NS5minusIsEEEE10hipError_tPvRmT2_T3_mT4_P12ihipStream_tbEUlT_E_NS1_11comp_targetILNS1_3genE0ELNS1_11target_archE4294967295ELNS1_3gpuE0ELNS1_3repE0EEENS1_30default_config_static_selectorELNS0_4arch9wavefront6targetE1EEEvT1_.uses_flat_scratch, 0
	.set _ZN7rocprim17ROCPRIM_400000_NS6detail17trampoline_kernelINS0_14default_configENS1_35adjacent_difference_config_selectorILb0EsEEZNS1_24adjacent_difference_implIS3_Lb0ELb0EPsS7_N6thrust23THRUST_200600_302600_NS5minusIsEEEE10hipError_tPvRmT2_T3_mT4_P12ihipStream_tbEUlT_E_NS1_11comp_targetILNS1_3genE0ELNS1_11target_archE4294967295ELNS1_3gpuE0ELNS1_3repE0EEENS1_30default_config_static_selectorELNS0_4arch9wavefront6targetE1EEEvT1_.has_dyn_sized_stack, 0
	.set _ZN7rocprim17ROCPRIM_400000_NS6detail17trampoline_kernelINS0_14default_configENS1_35adjacent_difference_config_selectorILb0EsEEZNS1_24adjacent_difference_implIS3_Lb0ELb0EPsS7_N6thrust23THRUST_200600_302600_NS5minusIsEEEE10hipError_tPvRmT2_T3_mT4_P12ihipStream_tbEUlT_E_NS1_11comp_targetILNS1_3genE0ELNS1_11target_archE4294967295ELNS1_3gpuE0ELNS1_3repE0EEENS1_30default_config_static_selectorELNS0_4arch9wavefront6targetE1EEEvT1_.has_recursion, 0
	.set _ZN7rocprim17ROCPRIM_400000_NS6detail17trampoline_kernelINS0_14default_configENS1_35adjacent_difference_config_selectorILb0EsEEZNS1_24adjacent_difference_implIS3_Lb0ELb0EPsS7_N6thrust23THRUST_200600_302600_NS5minusIsEEEE10hipError_tPvRmT2_T3_mT4_P12ihipStream_tbEUlT_E_NS1_11comp_targetILNS1_3genE0ELNS1_11target_archE4294967295ELNS1_3gpuE0ELNS1_3repE0EEENS1_30default_config_static_selectorELNS0_4arch9wavefront6targetE1EEEvT1_.has_indirect_call, 0
	.section	.AMDGPU.csdata,"",@progbits
; Kernel info:
; codeLenInByte = 0
; TotalNumSgprs: 4
; NumVgprs: 0
; ScratchSize: 0
; MemoryBound: 0
; FloatMode: 240
; IeeeMode: 1
; LDSByteSize: 0 bytes/workgroup (compile time only)
; SGPRBlocks: 0
; VGPRBlocks: 0
; NumSGPRsForWavesPerEU: 4
; NumVGPRsForWavesPerEU: 1
; Occupancy: 10
; WaveLimiterHint : 0
; COMPUTE_PGM_RSRC2:SCRATCH_EN: 0
; COMPUTE_PGM_RSRC2:USER_SGPR: 6
; COMPUTE_PGM_RSRC2:TRAP_HANDLER: 0
; COMPUTE_PGM_RSRC2:TGID_X_EN: 1
; COMPUTE_PGM_RSRC2:TGID_Y_EN: 0
; COMPUTE_PGM_RSRC2:TGID_Z_EN: 0
; COMPUTE_PGM_RSRC2:TIDIG_COMP_CNT: 0
	.section	.text._ZN7rocprim17ROCPRIM_400000_NS6detail17trampoline_kernelINS0_14default_configENS1_35adjacent_difference_config_selectorILb0EsEEZNS1_24adjacent_difference_implIS3_Lb0ELb0EPsS7_N6thrust23THRUST_200600_302600_NS5minusIsEEEE10hipError_tPvRmT2_T3_mT4_P12ihipStream_tbEUlT_E_NS1_11comp_targetILNS1_3genE10ELNS1_11target_archE1201ELNS1_3gpuE5ELNS1_3repE0EEENS1_30default_config_static_selectorELNS0_4arch9wavefront6targetE1EEEvT1_,"axG",@progbits,_ZN7rocprim17ROCPRIM_400000_NS6detail17trampoline_kernelINS0_14default_configENS1_35adjacent_difference_config_selectorILb0EsEEZNS1_24adjacent_difference_implIS3_Lb0ELb0EPsS7_N6thrust23THRUST_200600_302600_NS5minusIsEEEE10hipError_tPvRmT2_T3_mT4_P12ihipStream_tbEUlT_E_NS1_11comp_targetILNS1_3genE10ELNS1_11target_archE1201ELNS1_3gpuE5ELNS1_3repE0EEENS1_30default_config_static_selectorELNS0_4arch9wavefront6targetE1EEEvT1_,comdat
	.protected	_ZN7rocprim17ROCPRIM_400000_NS6detail17trampoline_kernelINS0_14default_configENS1_35adjacent_difference_config_selectorILb0EsEEZNS1_24adjacent_difference_implIS3_Lb0ELb0EPsS7_N6thrust23THRUST_200600_302600_NS5minusIsEEEE10hipError_tPvRmT2_T3_mT4_P12ihipStream_tbEUlT_E_NS1_11comp_targetILNS1_3genE10ELNS1_11target_archE1201ELNS1_3gpuE5ELNS1_3repE0EEENS1_30default_config_static_selectorELNS0_4arch9wavefront6targetE1EEEvT1_ ; -- Begin function _ZN7rocprim17ROCPRIM_400000_NS6detail17trampoline_kernelINS0_14default_configENS1_35adjacent_difference_config_selectorILb0EsEEZNS1_24adjacent_difference_implIS3_Lb0ELb0EPsS7_N6thrust23THRUST_200600_302600_NS5minusIsEEEE10hipError_tPvRmT2_T3_mT4_P12ihipStream_tbEUlT_E_NS1_11comp_targetILNS1_3genE10ELNS1_11target_archE1201ELNS1_3gpuE5ELNS1_3repE0EEENS1_30default_config_static_selectorELNS0_4arch9wavefront6targetE1EEEvT1_
	.globl	_ZN7rocprim17ROCPRIM_400000_NS6detail17trampoline_kernelINS0_14default_configENS1_35adjacent_difference_config_selectorILb0EsEEZNS1_24adjacent_difference_implIS3_Lb0ELb0EPsS7_N6thrust23THRUST_200600_302600_NS5minusIsEEEE10hipError_tPvRmT2_T3_mT4_P12ihipStream_tbEUlT_E_NS1_11comp_targetILNS1_3genE10ELNS1_11target_archE1201ELNS1_3gpuE5ELNS1_3repE0EEENS1_30default_config_static_selectorELNS0_4arch9wavefront6targetE1EEEvT1_
	.p2align	8
	.type	_ZN7rocprim17ROCPRIM_400000_NS6detail17trampoline_kernelINS0_14default_configENS1_35adjacent_difference_config_selectorILb0EsEEZNS1_24adjacent_difference_implIS3_Lb0ELb0EPsS7_N6thrust23THRUST_200600_302600_NS5minusIsEEEE10hipError_tPvRmT2_T3_mT4_P12ihipStream_tbEUlT_E_NS1_11comp_targetILNS1_3genE10ELNS1_11target_archE1201ELNS1_3gpuE5ELNS1_3repE0EEENS1_30default_config_static_selectorELNS0_4arch9wavefront6targetE1EEEvT1_,@function
_ZN7rocprim17ROCPRIM_400000_NS6detail17trampoline_kernelINS0_14default_configENS1_35adjacent_difference_config_selectorILb0EsEEZNS1_24adjacent_difference_implIS3_Lb0ELb0EPsS7_N6thrust23THRUST_200600_302600_NS5minusIsEEEE10hipError_tPvRmT2_T3_mT4_P12ihipStream_tbEUlT_E_NS1_11comp_targetILNS1_3genE10ELNS1_11target_archE1201ELNS1_3gpuE5ELNS1_3repE0EEENS1_30default_config_static_selectorELNS0_4arch9wavefront6targetE1EEEvT1_: ; @_ZN7rocprim17ROCPRIM_400000_NS6detail17trampoline_kernelINS0_14default_configENS1_35adjacent_difference_config_selectorILb0EsEEZNS1_24adjacent_difference_implIS3_Lb0ELb0EPsS7_N6thrust23THRUST_200600_302600_NS5minusIsEEEE10hipError_tPvRmT2_T3_mT4_P12ihipStream_tbEUlT_E_NS1_11comp_targetILNS1_3genE10ELNS1_11target_archE1201ELNS1_3gpuE5ELNS1_3repE0EEENS1_30default_config_static_selectorELNS0_4arch9wavefront6targetE1EEEvT1_
; %bb.0:
	.section	.rodata,"a",@progbits
	.p2align	6, 0x0
	.amdhsa_kernel _ZN7rocprim17ROCPRIM_400000_NS6detail17trampoline_kernelINS0_14default_configENS1_35adjacent_difference_config_selectorILb0EsEEZNS1_24adjacent_difference_implIS3_Lb0ELb0EPsS7_N6thrust23THRUST_200600_302600_NS5minusIsEEEE10hipError_tPvRmT2_T3_mT4_P12ihipStream_tbEUlT_E_NS1_11comp_targetILNS1_3genE10ELNS1_11target_archE1201ELNS1_3gpuE5ELNS1_3repE0EEENS1_30default_config_static_selectorELNS0_4arch9wavefront6targetE1EEEvT1_
		.amdhsa_group_segment_fixed_size 0
		.amdhsa_private_segment_fixed_size 0
		.amdhsa_kernarg_size 56
		.amdhsa_user_sgpr_count 6
		.amdhsa_user_sgpr_private_segment_buffer 1
		.amdhsa_user_sgpr_dispatch_ptr 0
		.amdhsa_user_sgpr_queue_ptr 0
		.amdhsa_user_sgpr_kernarg_segment_ptr 1
		.amdhsa_user_sgpr_dispatch_id 0
		.amdhsa_user_sgpr_flat_scratch_init 0
		.amdhsa_user_sgpr_private_segment_size 0
		.amdhsa_uses_dynamic_stack 0
		.amdhsa_system_sgpr_private_segment_wavefront_offset 0
		.amdhsa_system_sgpr_workgroup_id_x 1
		.amdhsa_system_sgpr_workgroup_id_y 0
		.amdhsa_system_sgpr_workgroup_id_z 0
		.amdhsa_system_sgpr_workgroup_info 0
		.amdhsa_system_vgpr_workitem_id 0
		.amdhsa_next_free_vgpr 1
		.amdhsa_next_free_sgpr 0
		.amdhsa_reserve_vcc 0
		.amdhsa_reserve_flat_scratch 0
		.amdhsa_float_round_mode_32 0
		.amdhsa_float_round_mode_16_64 0
		.amdhsa_float_denorm_mode_32 3
		.amdhsa_float_denorm_mode_16_64 3
		.amdhsa_dx10_clamp 1
		.amdhsa_ieee_mode 1
		.amdhsa_fp16_overflow 0
		.amdhsa_exception_fp_ieee_invalid_op 0
		.amdhsa_exception_fp_denorm_src 0
		.amdhsa_exception_fp_ieee_div_zero 0
		.amdhsa_exception_fp_ieee_overflow 0
		.amdhsa_exception_fp_ieee_underflow 0
		.amdhsa_exception_fp_ieee_inexact 0
		.amdhsa_exception_int_div_zero 0
	.end_amdhsa_kernel
	.section	.text._ZN7rocprim17ROCPRIM_400000_NS6detail17trampoline_kernelINS0_14default_configENS1_35adjacent_difference_config_selectorILb0EsEEZNS1_24adjacent_difference_implIS3_Lb0ELb0EPsS7_N6thrust23THRUST_200600_302600_NS5minusIsEEEE10hipError_tPvRmT2_T3_mT4_P12ihipStream_tbEUlT_E_NS1_11comp_targetILNS1_3genE10ELNS1_11target_archE1201ELNS1_3gpuE5ELNS1_3repE0EEENS1_30default_config_static_selectorELNS0_4arch9wavefront6targetE1EEEvT1_,"axG",@progbits,_ZN7rocprim17ROCPRIM_400000_NS6detail17trampoline_kernelINS0_14default_configENS1_35adjacent_difference_config_selectorILb0EsEEZNS1_24adjacent_difference_implIS3_Lb0ELb0EPsS7_N6thrust23THRUST_200600_302600_NS5minusIsEEEE10hipError_tPvRmT2_T3_mT4_P12ihipStream_tbEUlT_E_NS1_11comp_targetILNS1_3genE10ELNS1_11target_archE1201ELNS1_3gpuE5ELNS1_3repE0EEENS1_30default_config_static_selectorELNS0_4arch9wavefront6targetE1EEEvT1_,comdat
.Lfunc_end359:
	.size	_ZN7rocprim17ROCPRIM_400000_NS6detail17trampoline_kernelINS0_14default_configENS1_35adjacent_difference_config_selectorILb0EsEEZNS1_24adjacent_difference_implIS3_Lb0ELb0EPsS7_N6thrust23THRUST_200600_302600_NS5minusIsEEEE10hipError_tPvRmT2_T3_mT4_P12ihipStream_tbEUlT_E_NS1_11comp_targetILNS1_3genE10ELNS1_11target_archE1201ELNS1_3gpuE5ELNS1_3repE0EEENS1_30default_config_static_selectorELNS0_4arch9wavefront6targetE1EEEvT1_, .Lfunc_end359-_ZN7rocprim17ROCPRIM_400000_NS6detail17trampoline_kernelINS0_14default_configENS1_35adjacent_difference_config_selectorILb0EsEEZNS1_24adjacent_difference_implIS3_Lb0ELb0EPsS7_N6thrust23THRUST_200600_302600_NS5minusIsEEEE10hipError_tPvRmT2_T3_mT4_P12ihipStream_tbEUlT_E_NS1_11comp_targetILNS1_3genE10ELNS1_11target_archE1201ELNS1_3gpuE5ELNS1_3repE0EEENS1_30default_config_static_selectorELNS0_4arch9wavefront6targetE1EEEvT1_
                                        ; -- End function
	.set _ZN7rocprim17ROCPRIM_400000_NS6detail17trampoline_kernelINS0_14default_configENS1_35adjacent_difference_config_selectorILb0EsEEZNS1_24adjacent_difference_implIS3_Lb0ELb0EPsS7_N6thrust23THRUST_200600_302600_NS5minusIsEEEE10hipError_tPvRmT2_T3_mT4_P12ihipStream_tbEUlT_E_NS1_11comp_targetILNS1_3genE10ELNS1_11target_archE1201ELNS1_3gpuE5ELNS1_3repE0EEENS1_30default_config_static_selectorELNS0_4arch9wavefront6targetE1EEEvT1_.num_vgpr, 0
	.set _ZN7rocprim17ROCPRIM_400000_NS6detail17trampoline_kernelINS0_14default_configENS1_35adjacent_difference_config_selectorILb0EsEEZNS1_24adjacent_difference_implIS3_Lb0ELb0EPsS7_N6thrust23THRUST_200600_302600_NS5minusIsEEEE10hipError_tPvRmT2_T3_mT4_P12ihipStream_tbEUlT_E_NS1_11comp_targetILNS1_3genE10ELNS1_11target_archE1201ELNS1_3gpuE5ELNS1_3repE0EEENS1_30default_config_static_selectorELNS0_4arch9wavefront6targetE1EEEvT1_.num_agpr, 0
	.set _ZN7rocprim17ROCPRIM_400000_NS6detail17trampoline_kernelINS0_14default_configENS1_35adjacent_difference_config_selectorILb0EsEEZNS1_24adjacent_difference_implIS3_Lb0ELb0EPsS7_N6thrust23THRUST_200600_302600_NS5minusIsEEEE10hipError_tPvRmT2_T3_mT4_P12ihipStream_tbEUlT_E_NS1_11comp_targetILNS1_3genE10ELNS1_11target_archE1201ELNS1_3gpuE5ELNS1_3repE0EEENS1_30default_config_static_selectorELNS0_4arch9wavefront6targetE1EEEvT1_.numbered_sgpr, 0
	.set _ZN7rocprim17ROCPRIM_400000_NS6detail17trampoline_kernelINS0_14default_configENS1_35adjacent_difference_config_selectorILb0EsEEZNS1_24adjacent_difference_implIS3_Lb0ELb0EPsS7_N6thrust23THRUST_200600_302600_NS5minusIsEEEE10hipError_tPvRmT2_T3_mT4_P12ihipStream_tbEUlT_E_NS1_11comp_targetILNS1_3genE10ELNS1_11target_archE1201ELNS1_3gpuE5ELNS1_3repE0EEENS1_30default_config_static_selectorELNS0_4arch9wavefront6targetE1EEEvT1_.num_named_barrier, 0
	.set _ZN7rocprim17ROCPRIM_400000_NS6detail17trampoline_kernelINS0_14default_configENS1_35adjacent_difference_config_selectorILb0EsEEZNS1_24adjacent_difference_implIS3_Lb0ELb0EPsS7_N6thrust23THRUST_200600_302600_NS5minusIsEEEE10hipError_tPvRmT2_T3_mT4_P12ihipStream_tbEUlT_E_NS1_11comp_targetILNS1_3genE10ELNS1_11target_archE1201ELNS1_3gpuE5ELNS1_3repE0EEENS1_30default_config_static_selectorELNS0_4arch9wavefront6targetE1EEEvT1_.private_seg_size, 0
	.set _ZN7rocprim17ROCPRIM_400000_NS6detail17trampoline_kernelINS0_14default_configENS1_35adjacent_difference_config_selectorILb0EsEEZNS1_24adjacent_difference_implIS3_Lb0ELb0EPsS7_N6thrust23THRUST_200600_302600_NS5minusIsEEEE10hipError_tPvRmT2_T3_mT4_P12ihipStream_tbEUlT_E_NS1_11comp_targetILNS1_3genE10ELNS1_11target_archE1201ELNS1_3gpuE5ELNS1_3repE0EEENS1_30default_config_static_selectorELNS0_4arch9wavefront6targetE1EEEvT1_.uses_vcc, 0
	.set _ZN7rocprim17ROCPRIM_400000_NS6detail17trampoline_kernelINS0_14default_configENS1_35adjacent_difference_config_selectorILb0EsEEZNS1_24adjacent_difference_implIS3_Lb0ELb0EPsS7_N6thrust23THRUST_200600_302600_NS5minusIsEEEE10hipError_tPvRmT2_T3_mT4_P12ihipStream_tbEUlT_E_NS1_11comp_targetILNS1_3genE10ELNS1_11target_archE1201ELNS1_3gpuE5ELNS1_3repE0EEENS1_30default_config_static_selectorELNS0_4arch9wavefront6targetE1EEEvT1_.uses_flat_scratch, 0
	.set _ZN7rocprim17ROCPRIM_400000_NS6detail17trampoline_kernelINS0_14default_configENS1_35adjacent_difference_config_selectorILb0EsEEZNS1_24adjacent_difference_implIS3_Lb0ELb0EPsS7_N6thrust23THRUST_200600_302600_NS5minusIsEEEE10hipError_tPvRmT2_T3_mT4_P12ihipStream_tbEUlT_E_NS1_11comp_targetILNS1_3genE10ELNS1_11target_archE1201ELNS1_3gpuE5ELNS1_3repE0EEENS1_30default_config_static_selectorELNS0_4arch9wavefront6targetE1EEEvT1_.has_dyn_sized_stack, 0
	.set _ZN7rocprim17ROCPRIM_400000_NS6detail17trampoline_kernelINS0_14default_configENS1_35adjacent_difference_config_selectorILb0EsEEZNS1_24adjacent_difference_implIS3_Lb0ELb0EPsS7_N6thrust23THRUST_200600_302600_NS5minusIsEEEE10hipError_tPvRmT2_T3_mT4_P12ihipStream_tbEUlT_E_NS1_11comp_targetILNS1_3genE10ELNS1_11target_archE1201ELNS1_3gpuE5ELNS1_3repE0EEENS1_30default_config_static_selectorELNS0_4arch9wavefront6targetE1EEEvT1_.has_recursion, 0
	.set _ZN7rocprim17ROCPRIM_400000_NS6detail17trampoline_kernelINS0_14default_configENS1_35adjacent_difference_config_selectorILb0EsEEZNS1_24adjacent_difference_implIS3_Lb0ELb0EPsS7_N6thrust23THRUST_200600_302600_NS5minusIsEEEE10hipError_tPvRmT2_T3_mT4_P12ihipStream_tbEUlT_E_NS1_11comp_targetILNS1_3genE10ELNS1_11target_archE1201ELNS1_3gpuE5ELNS1_3repE0EEENS1_30default_config_static_selectorELNS0_4arch9wavefront6targetE1EEEvT1_.has_indirect_call, 0
	.section	.AMDGPU.csdata,"",@progbits
; Kernel info:
; codeLenInByte = 0
; TotalNumSgprs: 4
; NumVgprs: 0
; ScratchSize: 0
; MemoryBound: 0
; FloatMode: 240
; IeeeMode: 1
; LDSByteSize: 0 bytes/workgroup (compile time only)
; SGPRBlocks: 0
; VGPRBlocks: 0
; NumSGPRsForWavesPerEU: 4
; NumVGPRsForWavesPerEU: 1
; Occupancy: 10
; WaveLimiterHint : 0
; COMPUTE_PGM_RSRC2:SCRATCH_EN: 0
; COMPUTE_PGM_RSRC2:USER_SGPR: 6
; COMPUTE_PGM_RSRC2:TRAP_HANDLER: 0
; COMPUTE_PGM_RSRC2:TGID_X_EN: 1
; COMPUTE_PGM_RSRC2:TGID_Y_EN: 0
; COMPUTE_PGM_RSRC2:TGID_Z_EN: 0
; COMPUTE_PGM_RSRC2:TIDIG_COMP_CNT: 0
	.section	.text._ZN7rocprim17ROCPRIM_400000_NS6detail17trampoline_kernelINS0_14default_configENS1_35adjacent_difference_config_selectorILb0EsEEZNS1_24adjacent_difference_implIS3_Lb0ELb0EPsS7_N6thrust23THRUST_200600_302600_NS5minusIsEEEE10hipError_tPvRmT2_T3_mT4_P12ihipStream_tbEUlT_E_NS1_11comp_targetILNS1_3genE5ELNS1_11target_archE942ELNS1_3gpuE9ELNS1_3repE0EEENS1_30default_config_static_selectorELNS0_4arch9wavefront6targetE1EEEvT1_,"axG",@progbits,_ZN7rocprim17ROCPRIM_400000_NS6detail17trampoline_kernelINS0_14default_configENS1_35adjacent_difference_config_selectorILb0EsEEZNS1_24adjacent_difference_implIS3_Lb0ELb0EPsS7_N6thrust23THRUST_200600_302600_NS5minusIsEEEE10hipError_tPvRmT2_T3_mT4_P12ihipStream_tbEUlT_E_NS1_11comp_targetILNS1_3genE5ELNS1_11target_archE942ELNS1_3gpuE9ELNS1_3repE0EEENS1_30default_config_static_selectorELNS0_4arch9wavefront6targetE1EEEvT1_,comdat
	.protected	_ZN7rocprim17ROCPRIM_400000_NS6detail17trampoline_kernelINS0_14default_configENS1_35adjacent_difference_config_selectorILb0EsEEZNS1_24adjacent_difference_implIS3_Lb0ELb0EPsS7_N6thrust23THRUST_200600_302600_NS5minusIsEEEE10hipError_tPvRmT2_T3_mT4_P12ihipStream_tbEUlT_E_NS1_11comp_targetILNS1_3genE5ELNS1_11target_archE942ELNS1_3gpuE9ELNS1_3repE0EEENS1_30default_config_static_selectorELNS0_4arch9wavefront6targetE1EEEvT1_ ; -- Begin function _ZN7rocprim17ROCPRIM_400000_NS6detail17trampoline_kernelINS0_14default_configENS1_35adjacent_difference_config_selectorILb0EsEEZNS1_24adjacent_difference_implIS3_Lb0ELb0EPsS7_N6thrust23THRUST_200600_302600_NS5minusIsEEEE10hipError_tPvRmT2_T3_mT4_P12ihipStream_tbEUlT_E_NS1_11comp_targetILNS1_3genE5ELNS1_11target_archE942ELNS1_3gpuE9ELNS1_3repE0EEENS1_30default_config_static_selectorELNS0_4arch9wavefront6targetE1EEEvT1_
	.globl	_ZN7rocprim17ROCPRIM_400000_NS6detail17trampoline_kernelINS0_14default_configENS1_35adjacent_difference_config_selectorILb0EsEEZNS1_24adjacent_difference_implIS3_Lb0ELb0EPsS7_N6thrust23THRUST_200600_302600_NS5minusIsEEEE10hipError_tPvRmT2_T3_mT4_P12ihipStream_tbEUlT_E_NS1_11comp_targetILNS1_3genE5ELNS1_11target_archE942ELNS1_3gpuE9ELNS1_3repE0EEENS1_30default_config_static_selectorELNS0_4arch9wavefront6targetE1EEEvT1_
	.p2align	8
	.type	_ZN7rocprim17ROCPRIM_400000_NS6detail17trampoline_kernelINS0_14default_configENS1_35adjacent_difference_config_selectorILb0EsEEZNS1_24adjacent_difference_implIS3_Lb0ELb0EPsS7_N6thrust23THRUST_200600_302600_NS5minusIsEEEE10hipError_tPvRmT2_T3_mT4_P12ihipStream_tbEUlT_E_NS1_11comp_targetILNS1_3genE5ELNS1_11target_archE942ELNS1_3gpuE9ELNS1_3repE0EEENS1_30default_config_static_selectorELNS0_4arch9wavefront6targetE1EEEvT1_,@function
_ZN7rocprim17ROCPRIM_400000_NS6detail17trampoline_kernelINS0_14default_configENS1_35adjacent_difference_config_selectorILb0EsEEZNS1_24adjacent_difference_implIS3_Lb0ELb0EPsS7_N6thrust23THRUST_200600_302600_NS5minusIsEEEE10hipError_tPvRmT2_T3_mT4_P12ihipStream_tbEUlT_E_NS1_11comp_targetILNS1_3genE5ELNS1_11target_archE942ELNS1_3gpuE9ELNS1_3repE0EEENS1_30default_config_static_selectorELNS0_4arch9wavefront6targetE1EEEvT1_: ; @_ZN7rocprim17ROCPRIM_400000_NS6detail17trampoline_kernelINS0_14default_configENS1_35adjacent_difference_config_selectorILb0EsEEZNS1_24adjacent_difference_implIS3_Lb0ELb0EPsS7_N6thrust23THRUST_200600_302600_NS5minusIsEEEE10hipError_tPvRmT2_T3_mT4_P12ihipStream_tbEUlT_E_NS1_11comp_targetILNS1_3genE5ELNS1_11target_archE942ELNS1_3gpuE9ELNS1_3repE0EEENS1_30default_config_static_selectorELNS0_4arch9wavefront6targetE1EEEvT1_
; %bb.0:
	.section	.rodata,"a",@progbits
	.p2align	6, 0x0
	.amdhsa_kernel _ZN7rocprim17ROCPRIM_400000_NS6detail17trampoline_kernelINS0_14default_configENS1_35adjacent_difference_config_selectorILb0EsEEZNS1_24adjacent_difference_implIS3_Lb0ELb0EPsS7_N6thrust23THRUST_200600_302600_NS5minusIsEEEE10hipError_tPvRmT2_T3_mT4_P12ihipStream_tbEUlT_E_NS1_11comp_targetILNS1_3genE5ELNS1_11target_archE942ELNS1_3gpuE9ELNS1_3repE0EEENS1_30default_config_static_selectorELNS0_4arch9wavefront6targetE1EEEvT1_
		.amdhsa_group_segment_fixed_size 0
		.amdhsa_private_segment_fixed_size 0
		.amdhsa_kernarg_size 56
		.amdhsa_user_sgpr_count 6
		.amdhsa_user_sgpr_private_segment_buffer 1
		.amdhsa_user_sgpr_dispatch_ptr 0
		.amdhsa_user_sgpr_queue_ptr 0
		.amdhsa_user_sgpr_kernarg_segment_ptr 1
		.amdhsa_user_sgpr_dispatch_id 0
		.amdhsa_user_sgpr_flat_scratch_init 0
		.amdhsa_user_sgpr_private_segment_size 0
		.amdhsa_uses_dynamic_stack 0
		.amdhsa_system_sgpr_private_segment_wavefront_offset 0
		.amdhsa_system_sgpr_workgroup_id_x 1
		.amdhsa_system_sgpr_workgroup_id_y 0
		.amdhsa_system_sgpr_workgroup_id_z 0
		.amdhsa_system_sgpr_workgroup_info 0
		.amdhsa_system_vgpr_workitem_id 0
		.amdhsa_next_free_vgpr 1
		.amdhsa_next_free_sgpr 0
		.amdhsa_reserve_vcc 0
		.amdhsa_reserve_flat_scratch 0
		.amdhsa_float_round_mode_32 0
		.amdhsa_float_round_mode_16_64 0
		.amdhsa_float_denorm_mode_32 3
		.amdhsa_float_denorm_mode_16_64 3
		.amdhsa_dx10_clamp 1
		.amdhsa_ieee_mode 1
		.amdhsa_fp16_overflow 0
		.amdhsa_exception_fp_ieee_invalid_op 0
		.amdhsa_exception_fp_denorm_src 0
		.amdhsa_exception_fp_ieee_div_zero 0
		.amdhsa_exception_fp_ieee_overflow 0
		.amdhsa_exception_fp_ieee_underflow 0
		.amdhsa_exception_fp_ieee_inexact 0
		.amdhsa_exception_int_div_zero 0
	.end_amdhsa_kernel
	.section	.text._ZN7rocprim17ROCPRIM_400000_NS6detail17trampoline_kernelINS0_14default_configENS1_35adjacent_difference_config_selectorILb0EsEEZNS1_24adjacent_difference_implIS3_Lb0ELb0EPsS7_N6thrust23THRUST_200600_302600_NS5minusIsEEEE10hipError_tPvRmT2_T3_mT4_P12ihipStream_tbEUlT_E_NS1_11comp_targetILNS1_3genE5ELNS1_11target_archE942ELNS1_3gpuE9ELNS1_3repE0EEENS1_30default_config_static_selectorELNS0_4arch9wavefront6targetE1EEEvT1_,"axG",@progbits,_ZN7rocprim17ROCPRIM_400000_NS6detail17trampoline_kernelINS0_14default_configENS1_35adjacent_difference_config_selectorILb0EsEEZNS1_24adjacent_difference_implIS3_Lb0ELb0EPsS7_N6thrust23THRUST_200600_302600_NS5minusIsEEEE10hipError_tPvRmT2_T3_mT4_P12ihipStream_tbEUlT_E_NS1_11comp_targetILNS1_3genE5ELNS1_11target_archE942ELNS1_3gpuE9ELNS1_3repE0EEENS1_30default_config_static_selectorELNS0_4arch9wavefront6targetE1EEEvT1_,comdat
.Lfunc_end360:
	.size	_ZN7rocprim17ROCPRIM_400000_NS6detail17trampoline_kernelINS0_14default_configENS1_35adjacent_difference_config_selectorILb0EsEEZNS1_24adjacent_difference_implIS3_Lb0ELb0EPsS7_N6thrust23THRUST_200600_302600_NS5minusIsEEEE10hipError_tPvRmT2_T3_mT4_P12ihipStream_tbEUlT_E_NS1_11comp_targetILNS1_3genE5ELNS1_11target_archE942ELNS1_3gpuE9ELNS1_3repE0EEENS1_30default_config_static_selectorELNS0_4arch9wavefront6targetE1EEEvT1_, .Lfunc_end360-_ZN7rocprim17ROCPRIM_400000_NS6detail17trampoline_kernelINS0_14default_configENS1_35adjacent_difference_config_selectorILb0EsEEZNS1_24adjacent_difference_implIS3_Lb0ELb0EPsS7_N6thrust23THRUST_200600_302600_NS5minusIsEEEE10hipError_tPvRmT2_T3_mT4_P12ihipStream_tbEUlT_E_NS1_11comp_targetILNS1_3genE5ELNS1_11target_archE942ELNS1_3gpuE9ELNS1_3repE0EEENS1_30default_config_static_selectorELNS0_4arch9wavefront6targetE1EEEvT1_
                                        ; -- End function
	.set _ZN7rocprim17ROCPRIM_400000_NS6detail17trampoline_kernelINS0_14default_configENS1_35adjacent_difference_config_selectorILb0EsEEZNS1_24adjacent_difference_implIS3_Lb0ELb0EPsS7_N6thrust23THRUST_200600_302600_NS5minusIsEEEE10hipError_tPvRmT2_T3_mT4_P12ihipStream_tbEUlT_E_NS1_11comp_targetILNS1_3genE5ELNS1_11target_archE942ELNS1_3gpuE9ELNS1_3repE0EEENS1_30default_config_static_selectorELNS0_4arch9wavefront6targetE1EEEvT1_.num_vgpr, 0
	.set _ZN7rocprim17ROCPRIM_400000_NS6detail17trampoline_kernelINS0_14default_configENS1_35adjacent_difference_config_selectorILb0EsEEZNS1_24adjacent_difference_implIS3_Lb0ELb0EPsS7_N6thrust23THRUST_200600_302600_NS5minusIsEEEE10hipError_tPvRmT2_T3_mT4_P12ihipStream_tbEUlT_E_NS1_11comp_targetILNS1_3genE5ELNS1_11target_archE942ELNS1_3gpuE9ELNS1_3repE0EEENS1_30default_config_static_selectorELNS0_4arch9wavefront6targetE1EEEvT1_.num_agpr, 0
	.set _ZN7rocprim17ROCPRIM_400000_NS6detail17trampoline_kernelINS0_14default_configENS1_35adjacent_difference_config_selectorILb0EsEEZNS1_24adjacent_difference_implIS3_Lb0ELb0EPsS7_N6thrust23THRUST_200600_302600_NS5minusIsEEEE10hipError_tPvRmT2_T3_mT4_P12ihipStream_tbEUlT_E_NS1_11comp_targetILNS1_3genE5ELNS1_11target_archE942ELNS1_3gpuE9ELNS1_3repE0EEENS1_30default_config_static_selectorELNS0_4arch9wavefront6targetE1EEEvT1_.numbered_sgpr, 0
	.set _ZN7rocprim17ROCPRIM_400000_NS6detail17trampoline_kernelINS0_14default_configENS1_35adjacent_difference_config_selectorILb0EsEEZNS1_24adjacent_difference_implIS3_Lb0ELb0EPsS7_N6thrust23THRUST_200600_302600_NS5minusIsEEEE10hipError_tPvRmT2_T3_mT4_P12ihipStream_tbEUlT_E_NS1_11comp_targetILNS1_3genE5ELNS1_11target_archE942ELNS1_3gpuE9ELNS1_3repE0EEENS1_30default_config_static_selectorELNS0_4arch9wavefront6targetE1EEEvT1_.num_named_barrier, 0
	.set _ZN7rocprim17ROCPRIM_400000_NS6detail17trampoline_kernelINS0_14default_configENS1_35adjacent_difference_config_selectorILb0EsEEZNS1_24adjacent_difference_implIS3_Lb0ELb0EPsS7_N6thrust23THRUST_200600_302600_NS5minusIsEEEE10hipError_tPvRmT2_T3_mT4_P12ihipStream_tbEUlT_E_NS1_11comp_targetILNS1_3genE5ELNS1_11target_archE942ELNS1_3gpuE9ELNS1_3repE0EEENS1_30default_config_static_selectorELNS0_4arch9wavefront6targetE1EEEvT1_.private_seg_size, 0
	.set _ZN7rocprim17ROCPRIM_400000_NS6detail17trampoline_kernelINS0_14default_configENS1_35adjacent_difference_config_selectorILb0EsEEZNS1_24adjacent_difference_implIS3_Lb0ELb0EPsS7_N6thrust23THRUST_200600_302600_NS5minusIsEEEE10hipError_tPvRmT2_T3_mT4_P12ihipStream_tbEUlT_E_NS1_11comp_targetILNS1_3genE5ELNS1_11target_archE942ELNS1_3gpuE9ELNS1_3repE0EEENS1_30default_config_static_selectorELNS0_4arch9wavefront6targetE1EEEvT1_.uses_vcc, 0
	.set _ZN7rocprim17ROCPRIM_400000_NS6detail17trampoline_kernelINS0_14default_configENS1_35adjacent_difference_config_selectorILb0EsEEZNS1_24adjacent_difference_implIS3_Lb0ELb0EPsS7_N6thrust23THRUST_200600_302600_NS5minusIsEEEE10hipError_tPvRmT2_T3_mT4_P12ihipStream_tbEUlT_E_NS1_11comp_targetILNS1_3genE5ELNS1_11target_archE942ELNS1_3gpuE9ELNS1_3repE0EEENS1_30default_config_static_selectorELNS0_4arch9wavefront6targetE1EEEvT1_.uses_flat_scratch, 0
	.set _ZN7rocprim17ROCPRIM_400000_NS6detail17trampoline_kernelINS0_14default_configENS1_35adjacent_difference_config_selectorILb0EsEEZNS1_24adjacent_difference_implIS3_Lb0ELb0EPsS7_N6thrust23THRUST_200600_302600_NS5minusIsEEEE10hipError_tPvRmT2_T3_mT4_P12ihipStream_tbEUlT_E_NS1_11comp_targetILNS1_3genE5ELNS1_11target_archE942ELNS1_3gpuE9ELNS1_3repE0EEENS1_30default_config_static_selectorELNS0_4arch9wavefront6targetE1EEEvT1_.has_dyn_sized_stack, 0
	.set _ZN7rocprim17ROCPRIM_400000_NS6detail17trampoline_kernelINS0_14default_configENS1_35adjacent_difference_config_selectorILb0EsEEZNS1_24adjacent_difference_implIS3_Lb0ELb0EPsS7_N6thrust23THRUST_200600_302600_NS5minusIsEEEE10hipError_tPvRmT2_T3_mT4_P12ihipStream_tbEUlT_E_NS1_11comp_targetILNS1_3genE5ELNS1_11target_archE942ELNS1_3gpuE9ELNS1_3repE0EEENS1_30default_config_static_selectorELNS0_4arch9wavefront6targetE1EEEvT1_.has_recursion, 0
	.set _ZN7rocprim17ROCPRIM_400000_NS6detail17trampoline_kernelINS0_14default_configENS1_35adjacent_difference_config_selectorILb0EsEEZNS1_24adjacent_difference_implIS3_Lb0ELb0EPsS7_N6thrust23THRUST_200600_302600_NS5minusIsEEEE10hipError_tPvRmT2_T3_mT4_P12ihipStream_tbEUlT_E_NS1_11comp_targetILNS1_3genE5ELNS1_11target_archE942ELNS1_3gpuE9ELNS1_3repE0EEENS1_30default_config_static_selectorELNS0_4arch9wavefront6targetE1EEEvT1_.has_indirect_call, 0
	.section	.AMDGPU.csdata,"",@progbits
; Kernel info:
; codeLenInByte = 0
; TotalNumSgprs: 4
; NumVgprs: 0
; ScratchSize: 0
; MemoryBound: 0
; FloatMode: 240
; IeeeMode: 1
; LDSByteSize: 0 bytes/workgroup (compile time only)
; SGPRBlocks: 0
; VGPRBlocks: 0
; NumSGPRsForWavesPerEU: 4
; NumVGPRsForWavesPerEU: 1
; Occupancy: 10
; WaveLimiterHint : 0
; COMPUTE_PGM_RSRC2:SCRATCH_EN: 0
; COMPUTE_PGM_RSRC2:USER_SGPR: 6
; COMPUTE_PGM_RSRC2:TRAP_HANDLER: 0
; COMPUTE_PGM_RSRC2:TGID_X_EN: 1
; COMPUTE_PGM_RSRC2:TGID_Y_EN: 0
; COMPUTE_PGM_RSRC2:TGID_Z_EN: 0
; COMPUTE_PGM_RSRC2:TIDIG_COMP_CNT: 0
	.section	.text._ZN7rocprim17ROCPRIM_400000_NS6detail17trampoline_kernelINS0_14default_configENS1_35adjacent_difference_config_selectorILb0EsEEZNS1_24adjacent_difference_implIS3_Lb0ELb0EPsS7_N6thrust23THRUST_200600_302600_NS5minusIsEEEE10hipError_tPvRmT2_T3_mT4_P12ihipStream_tbEUlT_E_NS1_11comp_targetILNS1_3genE4ELNS1_11target_archE910ELNS1_3gpuE8ELNS1_3repE0EEENS1_30default_config_static_selectorELNS0_4arch9wavefront6targetE1EEEvT1_,"axG",@progbits,_ZN7rocprim17ROCPRIM_400000_NS6detail17trampoline_kernelINS0_14default_configENS1_35adjacent_difference_config_selectorILb0EsEEZNS1_24adjacent_difference_implIS3_Lb0ELb0EPsS7_N6thrust23THRUST_200600_302600_NS5minusIsEEEE10hipError_tPvRmT2_T3_mT4_P12ihipStream_tbEUlT_E_NS1_11comp_targetILNS1_3genE4ELNS1_11target_archE910ELNS1_3gpuE8ELNS1_3repE0EEENS1_30default_config_static_selectorELNS0_4arch9wavefront6targetE1EEEvT1_,comdat
	.protected	_ZN7rocprim17ROCPRIM_400000_NS6detail17trampoline_kernelINS0_14default_configENS1_35adjacent_difference_config_selectorILb0EsEEZNS1_24adjacent_difference_implIS3_Lb0ELb0EPsS7_N6thrust23THRUST_200600_302600_NS5minusIsEEEE10hipError_tPvRmT2_T3_mT4_P12ihipStream_tbEUlT_E_NS1_11comp_targetILNS1_3genE4ELNS1_11target_archE910ELNS1_3gpuE8ELNS1_3repE0EEENS1_30default_config_static_selectorELNS0_4arch9wavefront6targetE1EEEvT1_ ; -- Begin function _ZN7rocprim17ROCPRIM_400000_NS6detail17trampoline_kernelINS0_14default_configENS1_35adjacent_difference_config_selectorILb0EsEEZNS1_24adjacent_difference_implIS3_Lb0ELb0EPsS7_N6thrust23THRUST_200600_302600_NS5minusIsEEEE10hipError_tPvRmT2_T3_mT4_P12ihipStream_tbEUlT_E_NS1_11comp_targetILNS1_3genE4ELNS1_11target_archE910ELNS1_3gpuE8ELNS1_3repE0EEENS1_30default_config_static_selectorELNS0_4arch9wavefront6targetE1EEEvT1_
	.globl	_ZN7rocprim17ROCPRIM_400000_NS6detail17trampoline_kernelINS0_14default_configENS1_35adjacent_difference_config_selectorILb0EsEEZNS1_24adjacent_difference_implIS3_Lb0ELb0EPsS7_N6thrust23THRUST_200600_302600_NS5minusIsEEEE10hipError_tPvRmT2_T3_mT4_P12ihipStream_tbEUlT_E_NS1_11comp_targetILNS1_3genE4ELNS1_11target_archE910ELNS1_3gpuE8ELNS1_3repE0EEENS1_30default_config_static_selectorELNS0_4arch9wavefront6targetE1EEEvT1_
	.p2align	8
	.type	_ZN7rocprim17ROCPRIM_400000_NS6detail17trampoline_kernelINS0_14default_configENS1_35adjacent_difference_config_selectorILb0EsEEZNS1_24adjacent_difference_implIS3_Lb0ELb0EPsS7_N6thrust23THRUST_200600_302600_NS5minusIsEEEE10hipError_tPvRmT2_T3_mT4_P12ihipStream_tbEUlT_E_NS1_11comp_targetILNS1_3genE4ELNS1_11target_archE910ELNS1_3gpuE8ELNS1_3repE0EEENS1_30default_config_static_selectorELNS0_4arch9wavefront6targetE1EEEvT1_,@function
_ZN7rocprim17ROCPRIM_400000_NS6detail17trampoline_kernelINS0_14default_configENS1_35adjacent_difference_config_selectorILb0EsEEZNS1_24adjacent_difference_implIS3_Lb0ELb0EPsS7_N6thrust23THRUST_200600_302600_NS5minusIsEEEE10hipError_tPvRmT2_T3_mT4_P12ihipStream_tbEUlT_E_NS1_11comp_targetILNS1_3genE4ELNS1_11target_archE910ELNS1_3gpuE8ELNS1_3repE0EEENS1_30default_config_static_selectorELNS0_4arch9wavefront6targetE1EEEvT1_: ; @_ZN7rocprim17ROCPRIM_400000_NS6detail17trampoline_kernelINS0_14default_configENS1_35adjacent_difference_config_selectorILb0EsEEZNS1_24adjacent_difference_implIS3_Lb0ELb0EPsS7_N6thrust23THRUST_200600_302600_NS5minusIsEEEE10hipError_tPvRmT2_T3_mT4_P12ihipStream_tbEUlT_E_NS1_11comp_targetILNS1_3genE4ELNS1_11target_archE910ELNS1_3gpuE8ELNS1_3repE0EEENS1_30default_config_static_selectorELNS0_4arch9wavefront6targetE1EEEvT1_
; %bb.0:
	.section	.rodata,"a",@progbits
	.p2align	6, 0x0
	.amdhsa_kernel _ZN7rocprim17ROCPRIM_400000_NS6detail17trampoline_kernelINS0_14default_configENS1_35adjacent_difference_config_selectorILb0EsEEZNS1_24adjacent_difference_implIS3_Lb0ELb0EPsS7_N6thrust23THRUST_200600_302600_NS5minusIsEEEE10hipError_tPvRmT2_T3_mT4_P12ihipStream_tbEUlT_E_NS1_11comp_targetILNS1_3genE4ELNS1_11target_archE910ELNS1_3gpuE8ELNS1_3repE0EEENS1_30default_config_static_selectorELNS0_4arch9wavefront6targetE1EEEvT1_
		.amdhsa_group_segment_fixed_size 0
		.amdhsa_private_segment_fixed_size 0
		.amdhsa_kernarg_size 56
		.amdhsa_user_sgpr_count 6
		.amdhsa_user_sgpr_private_segment_buffer 1
		.amdhsa_user_sgpr_dispatch_ptr 0
		.amdhsa_user_sgpr_queue_ptr 0
		.amdhsa_user_sgpr_kernarg_segment_ptr 1
		.amdhsa_user_sgpr_dispatch_id 0
		.amdhsa_user_sgpr_flat_scratch_init 0
		.amdhsa_user_sgpr_private_segment_size 0
		.amdhsa_uses_dynamic_stack 0
		.amdhsa_system_sgpr_private_segment_wavefront_offset 0
		.amdhsa_system_sgpr_workgroup_id_x 1
		.amdhsa_system_sgpr_workgroup_id_y 0
		.amdhsa_system_sgpr_workgroup_id_z 0
		.amdhsa_system_sgpr_workgroup_info 0
		.amdhsa_system_vgpr_workitem_id 0
		.amdhsa_next_free_vgpr 1
		.amdhsa_next_free_sgpr 0
		.amdhsa_reserve_vcc 0
		.amdhsa_reserve_flat_scratch 0
		.amdhsa_float_round_mode_32 0
		.amdhsa_float_round_mode_16_64 0
		.amdhsa_float_denorm_mode_32 3
		.amdhsa_float_denorm_mode_16_64 3
		.amdhsa_dx10_clamp 1
		.amdhsa_ieee_mode 1
		.amdhsa_fp16_overflow 0
		.amdhsa_exception_fp_ieee_invalid_op 0
		.amdhsa_exception_fp_denorm_src 0
		.amdhsa_exception_fp_ieee_div_zero 0
		.amdhsa_exception_fp_ieee_overflow 0
		.amdhsa_exception_fp_ieee_underflow 0
		.amdhsa_exception_fp_ieee_inexact 0
		.amdhsa_exception_int_div_zero 0
	.end_amdhsa_kernel
	.section	.text._ZN7rocprim17ROCPRIM_400000_NS6detail17trampoline_kernelINS0_14default_configENS1_35adjacent_difference_config_selectorILb0EsEEZNS1_24adjacent_difference_implIS3_Lb0ELb0EPsS7_N6thrust23THRUST_200600_302600_NS5minusIsEEEE10hipError_tPvRmT2_T3_mT4_P12ihipStream_tbEUlT_E_NS1_11comp_targetILNS1_3genE4ELNS1_11target_archE910ELNS1_3gpuE8ELNS1_3repE0EEENS1_30default_config_static_selectorELNS0_4arch9wavefront6targetE1EEEvT1_,"axG",@progbits,_ZN7rocprim17ROCPRIM_400000_NS6detail17trampoline_kernelINS0_14default_configENS1_35adjacent_difference_config_selectorILb0EsEEZNS1_24adjacent_difference_implIS3_Lb0ELb0EPsS7_N6thrust23THRUST_200600_302600_NS5minusIsEEEE10hipError_tPvRmT2_T3_mT4_P12ihipStream_tbEUlT_E_NS1_11comp_targetILNS1_3genE4ELNS1_11target_archE910ELNS1_3gpuE8ELNS1_3repE0EEENS1_30default_config_static_selectorELNS0_4arch9wavefront6targetE1EEEvT1_,comdat
.Lfunc_end361:
	.size	_ZN7rocprim17ROCPRIM_400000_NS6detail17trampoline_kernelINS0_14default_configENS1_35adjacent_difference_config_selectorILb0EsEEZNS1_24adjacent_difference_implIS3_Lb0ELb0EPsS7_N6thrust23THRUST_200600_302600_NS5minusIsEEEE10hipError_tPvRmT2_T3_mT4_P12ihipStream_tbEUlT_E_NS1_11comp_targetILNS1_3genE4ELNS1_11target_archE910ELNS1_3gpuE8ELNS1_3repE0EEENS1_30default_config_static_selectorELNS0_4arch9wavefront6targetE1EEEvT1_, .Lfunc_end361-_ZN7rocprim17ROCPRIM_400000_NS6detail17trampoline_kernelINS0_14default_configENS1_35adjacent_difference_config_selectorILb0EsEEZNS1_24adjacent_difference_implIS3_Lb0ELb0EPsS7_N6thrust23THRUST_200600_302600_NS5minusIsEEEE10hipError_tPvRmT2_T3_mT4_P12ihipStream_tbEUlT_E_NS1_11comp_targetILNS1_3genE4ELNS1_11target_archE910ELNS1_3gpuE8ELNS1_3repE0EEENS1_30default_config_static_selectorELNS0_4arch9wavefront6targetE1EEEvT1_
                                        ; -- End function
	.set _ZN7rocprim17ROCPRIM_400000_NS6detail17trampoline_kernelINS0_14default_configENS1_35adjacent_difference_config_selectorILb0EsEEZNS1_24adjacent_difference_implIS3_Lb0ELb0EPsS7_N6thrust23THRUST_200600_302600_NS5minusIsEEEE10hipError_tPvRmT2_T3_mT4_P12ihipStream_tbEUlT_E_NS1_11comp_targetILNS1_3genE4ELNS1_11target_archE910ELNS1_3gpuE8ELNS1_3repE0EEENS1_30default_config_static_selectorELNS0_4arch9wavefront6targetE1EEEvT1_.num_vgpr, 0
	.set _ZN7rocprim17ROCPRIM_400000_NS6detail17trampoline_kernelINS0_14default_configENS1_35adjacent_difference_config_selectorILb0EsEEZNS1_24adjacent_difference_implIS3_Lb0ELb0EPsS7_N6thrust23THRUST_200600_302600_NS5minusIsEEEE10hipError_tPvRmT2_T3_mT4_P12ihipStream_tbEUlT_E_NS1_11comp_targetILNS1_3genE4ELNS1_11target_archE910ELNS1_3gpuE8ELNS1_3repE0EEENS1_30default_config_static_selectorELNS0_4arch9wavefront6targetE1EEEvT1_.num_agpr, 0
	.set _ZN7rocprim17ROCPRIM_400000_NS6detail17trampoline_kernelINS0_14default_configENS1_35adjacent_difference_config_selectorILb0EsEEZNS1_24adjacent_difference_implIS3_Lb0ELb0EPsS7_N6thrust23THRUST_200600_302600_NS5minusIsEEEE10hipError_tPvRmT2_T3_mT4_P12ihipStream_tbEUlT_E_NS1_11comp_targetILNS1_3genE4ELNS1_11target_archE910ELNS1_3gpuE8ELNS1_3repE0EEENS1_30default_config_static_selectorELNS0_4arch9wavefront6targetE1EEEvT1_.numbered_sgpr, 0
	.set _ZN7rocprim17ROCPRIM_400000_NS6detail17trampoline_kernelINS0_14default_configENS1_35adjacent_difference_config_selectorILb0EsEEZNS1_24adjacent_difference_implIS3_Lb0ELb0EPsS7_N6thrust23THRUST_200600_302600_NS5minusIsEEEE10hipError_tPvRmT2_T3_mT4_P12ihipStream_tbEUlT_E_NS1_11comp_targetILNS1_3genE4ELNS1_11target_archE910ELNS1_3gpuE8ELNS1_3repE0EEENS1_30default_config_static_selectorELNS0_4arch9wavefront6targetE1EEEvT1_.num_named_barrier, 0
	.set _ZN7rocprim17ROCPRIM_400000_NS6detail17trampoline_kernelINS0_14default_configENS1_35adjacent_difference_config_selectorILb0EsEEZNS1_24adjacent_difference_implIS3_Lb0ELb0EPsS7_N6thrust23THRUST_200600_302600_NS5minusIsEEEE10hipError_tPvRmT2_T3_mT4_P12ihipStream_tbEUlT_E_NS1_11comp_targetILNS1_3genE4ELNS1_11target_archE910ELNS1_3gpuE8ELNS1_3repE0EEENS1_30default_config_static_selectorELNS0_4arch9wavefront6targetE1EEEvT1_.private_seg_size, 0
	.set _ZN7rocprim17ROCPRIM_400000_NS6detail17trampoline_kernelINS0_14default_configENS1_35adjacent_difference_config_selectorILb0EsEEZNS1_24adjacent_difference_implIS3_Lb0ELb0EPsS7_N6thrust23THRUST_200600_302600_NS5minusIsEEEE10hipError_tPvRmT2_T3_mT4_P12ihipStream_tbEUlT_E_NS1_11comp_targetILNS1_3genE4ELNS1_11target_archE910ELNS1_3gpuE8ELNS1_3repE0EEENS1_30default_config_static_selectorELNS0_4arch9wavefront6targetE1EEEvT1_.uses_vcc, 0
	.set _ZN7rocprim17ROCPRIM_400000_NS6detail17trampoline_kernelINS0_14default_configENS1_35adjacent_difference_config_selectorILb0EsEEZNS1_24adjacent_difference_implIS3_Lb0ELb0EPsS7_N6thrust23THRUST_200600_302600_NS5minusIsEEEE10hipError_tPvRmT2_T3_mT4_P12ihipStream_tbEUlT_E_NS1_11comp_targetILNS1_3genE4ELNS1_11target_archE910ELNS1_3gpuE8ELNS1_3repE0EEENS1_30default_config_static_selectorELNS0_4arch9wavefront6targetE1EEEvT1_.uses_flat_scratch, 0
	.set _ZN7rocprim17ROCPRIM_400000_NS6detail17trampoline_kernelINS0_14default_configENS1_35adjacent_difference_config_selectorILb0EsEEZNS1_24adjacent_difference_implIS3_Lb0ELb0EPsS7_N6thrust23THRUST_200600_302600_NS5minusIsEEEE10hipError_tPvRmT2_T3_mT4_P12ihipStream_tbEUlT_E_NS1_11comp_targetILNS1_3genE4ELNS1_11target_archE910ELNS1_3gpuE8ELNS1_3repE0EEENS1_30default_config_static_selectorELNS0_4arch9wavefront6targetE1EEEvT1_.has_dyn_sized_stack, 0
	.set _ZN7rocprim17ROCPRIM_400000_NS6detail17trampoline_kernelINS0_14default_configENS1_35adjacent_difference_config_selectorILb0EsEEZNS1_24adjacent_difference_implIS3_Lb0ELb0EPsS7_N6thrust23THRUST_200600_302600_NS5minusIsEEEE10hipError_tPvRmT2_T3_mT4_P12ihipStream_tbEUlT_E_NS1_11comp_targetILNS1_3genE4ELNS1_11target_archE910ELNS1_3gpuE8ELNS1_3repE0EEENS1_30default_config_static_selectorELNS0_4arch9wavefront6targetE1EEEvT1_.has_recursion, 0
	.set _ZN7rocprim17ROCPRIM_400000_NS6detail17trampoline_kernelINS0_14default_configENS1_35adjacent_difference_config_selectorILb0EsEEZNS1_24adjacent_difference_implIS3_Lb0ELb0EPsS7_N6thrust23THRUST_200600_302600_NS5minusIsEEEE10hipError_tPvRmT2_T3_mT4_P12ihipStream_tbEUlT_E_NS1_11comp_targetILNS1_3genE4ELNS1_11target_archE910ELNS1_3gpuE8ELNS1_3repE0EEENS1_30default_config_static_selectorELNS0_4arch9wavefront6targetE1EEEvT1_.has_indirect_call, 0
	.section	.AMDGPU.csdata,"",@progbits
; Kernel info:
; codeLenInByte = 0
; TotalNumSgprs: 4
; NumVgprs: 0
; ScratchSize: 0
; MemoryBound: 0
; FloatMode: 240
; IeeeMode: 1
; LDSByteSize: 0 bytes/workgroup (compile time only)
; SGPRBlocks: 0
; VGPRBlocks: 0
; NumSGPRsForWavesPerEU: 4
; NumVGPRsForWavesPerEU: 1
; Occupancy: 10
; WaveLimiterHint : 0
; COMPUTE_PGM_RSRC2:SCRATCH_EN: 0
; COMPUTE_PGM_RSRC2:USER_SGPR: 6
; COMPUTE_PGM_RSRC2:TRAP_HANDLER: 0
; COMPUTE_PGM_RSRC2:TGID_X_EN: 1
; COMPUTE_PGM_RSRC2:TGID_Y_EN: 0
; COMPUTE_PGM_RSRC2:TGID_Z_EN: 0
; COMPUTE_PGM_RSRC2:TIDIG_COMP_CNT: 0
	.section	.text._ZN7rocprim17ROCPRIM_400000_NS6detail17trampoline_kernelINS0_14default_configENS1_35adjacent_difference_config_selectorILb0EsEEZNS1_24adjacent_difference_implIS3_Lb0ELb0EPsS7_N6thrust23THRUST_200600_302600_NS5minusIsEEEE10hipError_tPvRmT2_T3_mT4_P12ihipStream_tbEUlT_E_NS1_11comp_targetILNS1_3genE3ELNS1_11target_archE908ELNS1_3gpuE7ELNS1_3repE0EEENS1_30default_config_static_selectorELNS0_4arch9wavefront6targetE1EEEvT1_,"axG",@progbits,_ZN7rocprim17ROCPRIM_400000_NS6detail17trampoline_kernelINS0_14default_configENS1_35adjacent_difference_config_selectorILb0EsEEZNS1_24adjacent_difference_implIS3_Lb0ELb0EPsS7_N6thrust23THRUST_200600_302600_NS5minusIsEEEE10hipError_tPvRmT2_T3_mT4_P12ihipStream_tbEUlT_E_NS1_11comp_targetILNS1_3genE3ELNS1_11target_archE908ELNS1_3gpuE7ELNS1_3repE0EEENS1_30default_config_static_selectorELNS0_4arch9wavefront6targetE1EEEvT1_,comdat
	.protected	_ZN7rocprim17ROCPRIM_400000_NS6detail17trampoline_kernelINS0_14default_configENS1_35adjacent_difference_config_selectorILb0EsEEZNS1_24adjacent_difference_implIS3_Lb0ELb0EPsS7_N6thrust23THRUST_200600_302600_NS5minusIsEEEE10hipError_tPvRmT2_T3_mT4_P12ihipStream_tbEUlT_E_NS1_11comp_targetILNS1_3genE3ELNS1_11target_archE908ELNS1_3gpuE7ELNS1_3repE0EEENS1_30default_config_static_selectorELNS0_4arch9wavefront6targetE1EEEvT1_ ; -- Begin function _ZN7rocprim17ROCPRIM_400000_NS6detail17trampoline_kernelINS0_14default_configENS1_35adjacent_difference_config_selectorILb0EsEEZNS1_24adjacent_difference_implIS3_Lb0ELb0EPsS7_N6thrust23THRUST_200600_302600_NS5minusIsEEEE10hipError_tPvRmT2_T3_mT4_P12ihipStream_tbEUlT_E_NS1_11comp_targetILNS1_3genE3ELNS1_11target_archE908ELNS1_3gpuE7ELNS1_3repE0EEENS1_30default_config_static_selectorELNS0_4arch9wavefront6targetE1EEEvT1_
	.globl	_ZN7rocprim17ROCPRIM_400000_NS6detail17trampoline_kernelINS0_14default_configENS1_35adjacent_difference_config_selectorILb0EsEEZNS1_24adjacent_difference_implIS3_Lb0ELb0EPsS7_N6thrust23THRUST_200600_302600_NS5minusIsEEEE10hipError_tPvRmT2_T3_mT4_P12ihipStream_tbEUlT_E_NS1_11comp_targetILNS1_3genE3ELNS1_11target_archE908ELNS1_3gpuE7ELNS1_3repE0EEENS1_30default_config_static_selectorELNS0_4arch9wavefront6targetE1EEEvT1_
	.p2align	8
	.type	_ZN7rocprim17ROCPRIM_400000_NS6detail17trampoline_kernelINS0_14default_configENS1_35adjacent_difference_config_selectorILb0EsEEZNS1_24adjacent_difference_implIS3_Lb0ELb0EPsS7_N6thrust23THRUST_200600_302600_NS5minusIsEEEE10hipError_tPvRmT2_T3_mT4_P12ihipStream_tbEUlT_E_NS1_11comp_targetILNS1_3genE3ELNS1_11target_archE908ELNS1_3gpuE7ELNS1_3repE0EEENS1_30default_config_static_selectorELNS0_4arch9wavefront6targetE1EEEvT1_,@function
_ZN7rocprim17ROCPRIM_400000_NS6detail17trampoline_kernelINS0_14default_configENS1_35adjacent_difference_config_selectorILb0EsEEZNS1_24adjacent_difference_implIS3_Lb0ELb0EPsS7_N6thrust23THRUST_200600_302600_NS5minusIsEEEE10hipError_tPvRmT2_T3_mT4_P12ihipStream_tbEUlT_E_NS1_11comp_targetILNS1_3genE3ELNS1_11target_archE908ELNS1_3gpuE7ELNS1_3repE0EEENS1_30default_config_static_selectorELNS0_4arch9wavefront6targetE1EEEvT1_: ; @_ZN7rocprim17ROCPRIM_400000_NS6detail17trampoline_kernelINS0_14default_configENS1_35adjacent_difference_config_selectorILb0EsEEZNS1_24adjacent_difference_implIS3_Lb0ELb0EPsS7_N6thrust23THRUST_200600_302600_NS5minusIsEEEE10hipError_tPvRmT2_T3_mT4_P12ihipStream_tbEUlT_E_NS1_11comp_targetILNS1_3genE3ELNS1_11target_archE908ELNS1_3gpuE7ELNS1_3repE0EEENS1_30default_config_static_selectorELNS0_4arch9wavefront6targetE1EEEvT1_
; %bb.0:
	.section	.rodata,"a",@progbits
	.p2align	6, 0x0
	.amdhsa_kernel _ZN7rocprim17ROCPRIM_400000_NS6detail17trampoline_kernelINS0_14default_configENS1_35adjacent_difference_config_selectorILb0EsEEZNS1_24adjacent_difference_implIS3_Lb0ELb0EPsS7_N6thrust23THRUST_200600_302600_NS5minusIsEEEE10hipError_tPvRmT2_T3_mT4_P12ihipStream_tbEUlT_E_NS1_11comp_targetILNS1_3genE3ELNS1_11target_archE908ELNS1_3gpuE7ELNS1_3repE0EEENS1_30default_config_static_selectorELNS0_4arch9wavefront6targetE1EEEvT1_
		.amdhsa_group_segment_fixed_size 0
		.amdhsa_private_segment_fixed_size 0
		.amdhsa_kernarg_size 56
		.amdhsa_user_sgpr_count 6
		.amdhsa_user_sgpr_private_segment_buffer 1
		.amdhsa_user_sgpr_dispatch_ptr 0
		.amdhsa_user_sgpr_queue_ptr 0
		.amdhsa_user_sgpr_kernarg_segment_ptr 1
		.amdhsa_user_sgpr_dispatch_id 0
		.amdhsa_user_sgpr_flat_scratch_init 0
		.amdhsa_user_sgpr_private_segment_size 0
		.amdhsa_uses_dynamic_stack 0
		.amdhsa_system_sgpr_private_segment_wavefront_offset 0
		.amdhsa_system_sgpr_workgroup_id_x 1
		.amdhsa_system_sgpr_workgroup_id_y 0
		.amdhsa_system_sgpr_workgroup_id_z 0
		.amdhsa_system_sgpr_workgroup_info 0
		.amdhsa_system_vgpr_workitem_id 0
		.amdhsa_next_free_vgpr 1
		.amdhsa_next_free_sgpr 0
		.amdhsa_reserve_vcc 0
		.amdhsa_reserve_flat_scratch 0
		.amdhsa_float_round_mode_32 0
		.amdhsa_float_round_mode_16_64 0
		.amdhsa_float_denorm_mode_32 3
		.amdhsa_float_denorm_mode_16_64 3
		.amdhsa_dx10_clamp 1
		.amdhsa_ieee_mode 1
		.amdhsa_fp16_overflow 0
		.amdhsa_exception_fp_ieee_invalid_op 0
		.amdhsa_exception_fp_denorm_src 0
		.amdhsa_exception_fp_ieee_div_zero 0
		.amdhsa_exception_fp_ieee_overflow 0
		.amdhsa_exception_fp_ieee_underflow 0
		.amdhsa_exception_fp_ieee_inexact 0
		.amdhsa_exception_int_div_zero 0
	.end_amdhsa_kernel
	.section	.text._ZN7rocprim17ROCPRIM_400000_NS6detail17trampoline_kernelINS0_14default_configENS1_35adjacent_difference_config_selectorILb0EsEEZNS1_24adjacent_difference_implIS3_Lb0ELb0EPsS7_N6thrust23THRUST_200600_302600_NS5minusIsEEEE10hipError_tPvRmT2_T3_mT4_P12ihipStream_tbEUlT_E_NS1_11comp_targetILNS1_3genE3ELNS1_11target_archE908ELNS1_3gpuE7ELNS1_3repE0EEENS1_30default_config_static_selectorELNS0_4arch9wavefront6targetE1EEEvT1_,"axG",@progbits,_ZN7rocprim17ROCPRIM_400000_NS6detail17trampoline_kernelINS0_14default_configENS1_35adjacent_difference_config_selectorILb0EsEEZNS1_24adjacent_difference_implIS3_Lb0ELb0EPsS7_N6thrust23THRUST_200600_302600_NS5minusIsEEEE10hipError_tPvRmT2_T3_mT4_P12ihipStream_tbEUlT_E_NS1_11comp_targetILNS1_3genE3ELNS1_11target_archE908ELNS1_3gpuE7ELNS1_3repE0EEENS1_30default_config_static_selectorELNS0_4arch9wavefront6targetE1EEEvT1_,comdat
.Lfunc_end362:
	.size	_ZN7rocprim17ROCPRIM_400000_NS6detail17trampoline_kernelINS0_14default_configENS1_35adjacent_difference_config_selectorILb0EsEEZNS1_24adjacent_difference_implIS3_Lb0ELb0EPsS7_N6thrust23THRUST_200600_302600_NS5minusIsEEEE10hipError_tPvRmT2_T3_mT4_P12ihipStream_tbEUlT_E_NS1_11comp_targetILNS1_3genE3ELNS1_11target_archE908ELNS1_3gpuE7ELNS1_3repE0EEENS1_30default_config_static_selectorELNS0_4arch9wavefront6targetE1EEEvT1_, .Lfunc_end362-_ZN7rocprim17ROCPRIM_400000_NS6detail17trampoline_kernelINS0_14default_configENS1_35adjacent_difference_config_selectorILb0EsEEZNS1_24adjacent_difference_implIS3_Lb0ELb0EPsS7_N6thrust23THRUST_200600_302600_NS5minusIsEEEE10hipError_tPvRmT2_T3_mT4_P12ihipStream_tbEUlT_E_NS1_11comp_targetILNS1_3genE3ELNS1_11target_archE908ELNS1_3gpuE7ELNS1_3repE0EEENS1_30default_config_static_selectorELNS0_4arch9wavefront6targetE1EEEvT1_
                                        ; -- End function
	.set _ZN7rocprim17ROCPRIM_400000_NS6detail17trampoline_kernelINS0_14default_configENS1_35adjacent_difference_config_selectorILb0EsEEZNS1_24adjacent_difference_implIS3_Lb0ELb0EPsS7_N6thrust23THRUST_200600_302600_NS5minusIsEEEE10hipError_tPvRmT2_T3_mT4_P12ihipStream_tbEUlT_E_NS1_11comp_targetILNS1_3genE3ELNS1_11target_archE908ELNS1_3gpuE7ELNS1_3repE0EEENS1_30default_config_static_selectorELNS0_4arch9wavefront6targetE1EEEvT1_.num_vgpr, 0
	.set _ZN7rocprim17ROCPRIM_400000_NS6detail17trampoline_kernelINS0_14default_configENS1_35adjacent_difference_config_selectorILb0EsEEZNS1_24adjacent_difference_implIS3_Lb0ELb0EPsS7_N6thrust23THRUST_200600_302600_NS5minusIsEEEE10hipError_tPvRmT2_T3_mT4_P12ihipStream_tbEUlT_E_NS1_11comp_targetILNS1_3genE3ELNS1_11target_archE908ELNS1_3gpuE7ELNS1_3repE0EEENS1_30default_config_static_selectorELNS0_4arch9wavefront6targetE1EEEvT1_.num_agpr, 0
	.set _ZN7rocprim17ROCPRIM_400000_NS6detail17trampoline_kernelINS0_14default_configENS1_35adjacent_difference_config_selectorILb0EsEEZNS1_24adjacent_difference_implIS3_Lb0ELb0EPsS7_N6thrust23THRUST_200600_302600_NS5minusIsEEEE10hipError_tPvRmT2_T3_mT4_P12ihipStream_tbEUlT_E_NS1_11comp_targetILNS1_3genE3ELNS1_11target_archE908ELNS1_3gpuE7ELNS1_3repE0EEENS1_30default_config_static_selectorELNS0_4arch9wavefront6targetE1EEEvT1_.numbered_sgpr, 0
	.set _ZN7rocprim17ROCPRIM_400000_NS6detail17trampoline_kernelINS0_14default_configENS1_35adjacent_difference_config_selectorILb0EsEEZNS1_24adjacent_difference_implIS3_Lb0ELb0EPsS7_N6thrust23THRUST_200600_302600_NS5minusIsEEEE10hipError_tPvRmT2_T3_mT4_P12ihipStream_tbEUlT_E_NS1_11comp_targetILNS1_3genE3ELNS1_11target_archE908ELNS1_3gpuE7ELNS1_3repE0EEENS1_30default_config_static_selectorELNS0_4arch9wavefront6targetE1EEEvT1_.num_named_barrier, 0
	.set _ZN7rocprim17ROCPRIM_400000_NS6detail17trampoline_kernelINS0_14default_configENS1_35adjacent_difference_config_selectorILb0EsEEZNS1_24adjacent_difference_implIS3_Lb0ELb0EPsS7_N6thrust23THRUST_200600_302600_NS5minusIsEEEE10hipError_tPvRmT2_T3_mT4_P12ihipStream_tbEUlT_E_NS1_11comp_targetILNS1_3genE3ELNS1_11target_archE908ELNS1_3gpuE7ELNS1_3repE0EEENS1_30default_config_static_selectorELNS0_4arch9wavefront6targetE1EEEvT1_.private_seg_size, 0
	.set _ZN7rocprim17ROCPRIM_400000_NS6detail17trampoline_kernelINS0_14default_configENS1_35adjacent_difference_config_selectorILb0EsEEZNS1_24adjacent_difference_implIS3_Lb0ELb0EPsS7_N6thrust23THRUST_200600_302600_NS5minusIsEEEE10hipError_tPvRmT2_T3_mT4_P12ihipStream_tbEUlT_E_NS1_11comp_targetILNS1_3genE3ELNS1_11target_archE908ELNS1_3gpuE7ELNS1_3repE0EEENS1_30default_config_static_selectorELNS0_4arch9wavefront6targetE1EEEvT1_.uses_vcc, 0
	.set _ZN7rocprim17ROCPRIM_400000_NS6detail17trampoline_kernelINS0_14default_configENS1_35adjacent_difference_config_selectorILb0EsEEZNS1_24adjacent_difference_implIS3_Lb0ELb0EPsS7_N6thrust23THRUST_200600_302600_NS5minusIsEEEE10hipError_tPvRmT2_T3_mT4_P12ihipStream_tbEUlT_E_NS1_11comp_targetILNS1_3genE3ELNS1_11target_archE908ELNS1_3gpuE7ELNS1_3repE0EEENS1_30default_config_static_selectorELNS0_4arch9wavefront6targetE1EEEvT1_.uses_flat_scratch, 0
	.set _ZN7rocprim17ROCPRIM_400000_NS6detail17trampoline_kernelINS0_14default_configENS1_35adjacent_difference_config_selectorILb0EsEEZNS1_24adjacent_difference_implIS3_Lb0ELb0EPsS7_N6thrust23THRUST_200600_302600_NS5minusIsEEEE10hipError_tPvRmT2_T3_mT4_P12ihipStream_tbEUlT_E_NS1_11comp_targetILNS1_3genE3ELNS1_11target_archE908ELNS1_3gpuE7ELNS1_3repE0EEENS1_30default_config_static_selectorELNS0_4arch9wavefront6targetE1EEEvT1_.has_dyn_sized_stack, 0
	.set _ZN7rocprim17ROCPRIM_400000_NS6detail17trampoline_kernelINS0_14default_configENS1_35adjacent_difference_config_selectorILb0EsEEZNS1_24adjacent_difference_implIS3_Lb0ELb0EPsS7_N6thrust23THRUST_200600_302600_NS5minusIsEEEE10hipError_tPvRmT2_T3_mT4_P12ihipStream_tbEUlT_E_NS1_11comp_targetILNS1_3genE3ELNS1_11target_archE908ELNS1_3gpuE7ELNS1_3repE0EEENS1_30default_config_static_selectorELNS0_4arch9wavefront6targetE1EEEvT1_.has_recursion, 0
	.set _ZN7rocprim17ROCPRIM_400000_NS6detail17trampoline_kernelINS0_14default_configENS1_35adjacent_difference_config_selectorILb0EsEEZNS1_24adjacent_difference_implIS3_Lb0ELb0EPsS7_N6thrust23THRUST_200600_302600_NS5minusIsEEEE10hipError_tPvRmT2_T3_mT4_P12ihipStream_tbEUlT_E_NS1_11comp_targetILNS1_3genE3ELNS1_11target_archE908ELNS1_3gpuE7ELNS1_3repE0EEENS1_30default_config_static_selectorELNS0_4arch9wavefront6targetE1EEEvT1_.has_indirect_call, 0
	.section	.AMDGPU.csdata,"",@progbits
; Kernel info:
; codeLenInByte = 0
; TotalNumSgprs: 4
; NumVgprs: 0
; ScratchSize: 0
; MemoryBound: 0
; FloatMode: 240
; IeeeMode: 1
; LDSByteSize: 0 bytes/workgroup (compile time only)
; SGPRBlocks: 0
; VGPRBlocks: 0
; NumSGPRsForWavesPerEU: 4
; NumVGPRsForWavesPerEU: 1
; Occupancy: 10
; WaveLimiterHint : 0
; COMPUTE_PGM_RSRC2:SCRATCH_EN: 0
; COMPUTE_PGM_RSRC2:USER_SGPR: 6
; COMPUTE_PGM_RSRC2:TRAP_HANDLER: 0
; COMPUTE_PGM_RSRC2:TGID_X_EN: 1
; COMPUTE_PGM_RSRC2:TGID_Y_EN: 0
; COMPUTE_PGM_RSRC2:TGID_Z_EN: 0
; COMPUTE_PGM_RSRC2:TIDIG_COMP_CNT: 0
	.section	.text._ZN7rocprim17ROCPRIM_400000_NS6detail17trampoline_kernelINS0_14default_configENS1_35adjacent_difference_config_selectorILb0EsEEZNS1_24adjacent_difference_implIS3_Lb0ELb0EPsS7_N6thrust23THRUST_200600_302600_NS5minusIsEEEE10hipError_tPvRmT2_T3_mT4_P12ihipStream_tbEUlT_E_NS1_11comp_targetILNS1_3genE2ELNS1_11target_archE906ELNS1_3gpuE6ELNS1_3repE0EEENS1_30default_config_static_selectorELNS0_4arch9wavefront6targetE1EEEvT1_,"axG",@progbits,_ZN7rocprim17ROCPRIM_400000_NS6detail17trampoline_kernelINS0_14default_configENS1_35adjacent_difference_config_selectorILb0EsEEZNS1_24adjacent_difference_implIS3_Lb0ELb0EPsS7_N6thrust23THRUST_200600_302600_NS5minusIsEEEE10hipError_tPvRmT2_T3_mT4_P12ihipStream_tbEUlT_E_NS1_11comp_targetILNS1_3genE2ELNS1_11target_archE906ELNS1_3gpuE6ELNS1_3repE0EEENS1_30default_config_static_selectorELNS0_4arch9wavefront6targetE1EEEvT1_,comdat
	.protected	_ZN7rocprim17ROCPRIM_400000_NS6detail17trampoline_kernelINS0_14default_configENS1_35adjacent_difference_config_selectorILb0EsEEZNS1_24adjacent_difference_implIS3_Lb0ELb0EPsS7_N6thrust23THRUST_200600_302600_NS5minusIsEEEE10hipError_tPvRmT2_T3_mT4_P12ihipStream_tbEUlT_E_NS1_11comp_targetILNS1_3genE2ELNS1_11target_archE906ELNS1_3gpuE6ELNS1_3repE0EEENS1_30default_config_static_selectorELNS0_4arch9wavefront6targetE1EEEvT1_ ; -- Begin function _ZN7rocprim17ROCPRIM_400000_NS6detail17trampoline_kernelINS0_14default_configENS1_35adjacent_difference_config_selectorILb0EsEEZNS1_24adjacent_difference_implIS3_Lb0ELb0EPsS7_N6thrust23THRUST_200600_302600_NS5minusIsEEEE10hipError_tPvRmT2_T3_mT4_P12ihipStream_tbEUlT_E_NS1_11comp_targetILNS1_3genE2ELNS1_11target_archE906ELNS1_3gpuE6ELNS1_3repE0EEENS1_30default_config_static_selectorELNS0_4arch9wavefront6targetE1EEEvT1_
	.globl	_ZN7rocprim17ROCPRIM_400000_NS6detail17trampoline_kernelINS0_14default_configENS1_35adjacent_difference_config_selectorILb0EsEEZNS1_24adjacent_difference_implIS3_Lb0ELb0EPsS7_N6thrust23THRUST_200600_302600_NS5minusIsEEEE10hipError_tPvRmT2_T3_mT4_P12ihipStream_tbEUlT_E_NS1_11comp_targetILNS1_3genE2ELNS1_11target_archE906ELNS1_3gpuE6ELNS1_3repE0EEENS1_30default_config_static_selectorELNS0_4arch9wavefront6targetE1EEEvT1_
	.p2align	8
	.type	_ZN7rocprim17ROCPRIM_400000_NS6detail17trampoline_kernelINS0_14default_configENS1_35adjacent_difference_config_selectorILb0EsEEZNS1_24adjacent_difference_implIS3_Lb0ELb0EPsS7_N6thrust23THRUST_200600_302600_NS5minusIsEEEE10hipError_tPvRmT2_T3_mT4_P12ihipStream_tbEUlT_E_NS1_11comp_targetILNS1_3genE2ELNS1_11target_archE906ELNS1_3gpuE6ELNS1_3repE0EEENS1_30default_config_static_selectorELNS0_4arch9wavefront6targetE1EEEvT1_,@function
_ZN7rocprim17ROCPRIM_400000_NS6detail17trampoline_kernelINS0_14default_configENS1_35adjacent_difference_config_selectorILb0EsEEZNS1_24adjacent_difference_implIS3_Lb0ELb0EPsS7_N6thrust23THRUST_200600_302600_NS5minusIsEEEE10hipError_tPvRmT2_T3_mT4_P12ihipStream_tbEUlT_E_NS1_11comp_targetILNS1_3genE2ELNS1_11target_archE906ELNS1_3gpuE6ELNS1_3repE0EEENS1_30default_config_static_selectorELNS0_4arch9wavefront6targetE1EEEvT1_: ; @_ZN7rocprim17ROCPRIM_400000_NS6detail17trampoline_kernelINS0_14default_configENS1_35adjacent_difference_config_selectorILb0EsEEZNS1_24adjacent_difference_implIS3_Lb0ELb0EPsS7_N6thrust23THRUST_200600_302600_NS5minusIsEEEE10hipError_tPvRmT2_T3_mT4_P12ihipStream_tbEUlT_E_NS1_11comp_targetILNS1_3genE2ELNS1_11target_archE906ELNS1_3gpuE6ELNS1_3repE0EEENS1_30default_config_static_selectorELNS0_4arch9wavefront6targetE1EEEvT1_
; %bb.0:
	s_load_dwordx8 s[8:15], s[4:5], 0x0
	s_load_dwordx2 s[0:1], s[4:5], 0x30
	s_mul_i32 s16, s6, 0x1c0
	s_mov_b32 s17, 0
	s_waitcnt lgkmcnt(0)
	s_lshl_b64 s[10:11], s[10:11], 1
	s_add_u32 s20, s8, s10
	s_addc_u32 s21, s9, s11
	s_lshr_b64 s[2:3], s[14:15], 6
	s_lshr_b32 s5, s15, 6
	s_mul_hi_u32 s3, s2, 0x24924924
	s_mul_i32 s4, s2, 0x24924924
	s_mul_i32 s8, s5, 0x92492493
	s_mul_hi_u32 s2, s2, 0x92492493
	s_mul_hi_u32 s7, s5, 0x92492493
	s_add_u32 s2, s8, s2
	s_addc_u32 s7, s7, 0
	s_add_u32 s2, s4, s2
	s_addc_u32 s2, s3, 0
	;; [unrolled: 2-line block ×3, first 2 shown]
	s_mul_hi_u32 s4, s5, 0x24924924
	s_mul_i32 s5, s5, 0x24924924
	s_add_u32 s5, s5, s2
	s_addc_u32 s4, s4, s3
	s_mul_i32 s2, s4, 0x1c0
	s_mul_hi_u32 s3, s5, 0x1c0
	s_add_i32 s3, s3, s2
	s_mul_i32 s2, s5, 0x1c0
	s_sub_u32 s2, s14, s2
	s_subb_u32 s3, s15, s3
	s_cmp_lg_u64 s[2:3], 0
	s_cselect_b64 s[2:3], -1, 0
	v_cndmask_b32_e64 v1, 0, 1, s[2:3]
	v_readfirstlane_b32 s2, v1
	s_add_u32 s2, s5, s2
	s_addc_u32 s3, s4, 0
	s_add_u32 s4, s0, s6
	s_addc_u32 s5, s1, 0
	s_add_u32 s6, s2, -1
	s_addc_u32 s7, s3, -1
	v_mov_b32_e32 v1, s6
	v_mov_b32_e32 v2, s7
	v_cmp_ge_u64_e64 s[0:1], s[4:5], v[1:2]
	s_mov_b64 s[8:9], -1
	s_and_b64 vcc, exec, s[0:1]
	s_mul_i32 s15, s6, 0xfffffe40
	s_cbranch_vccz .LBB363_16
; %bb.1:
	s_add_i32 s22, s15, s14
	s_lshl_b64 s[8:9], s[16:17], 1
	s_add_u32 s8, s20, s8
	v_mov_b32_e32 v1, 0
	s_addc_u32 s9, s21, s9
	v_cmp_gt_u32_e32 vcc, s22, v0
	v_mov_b32_e32 v2, v1
	v_mov_b32_e32 v3, v1
	;; [unrolled: 1-line block ×3, first 2 shown]
	s_and_saveexec_b64 s[18:19], vcc
	s_cbranch_execz .LBB363_3
; %bb.2:
	v_lshlrev_b32_e32 v2, 1, v0
	global_load_ushort v2, v2, s[8:9]
	v_mov_b32_e32 v3, v1
	v_mov_b32_e32 v4, v1
	;; [unrolled: 1-line block ×3, first 2 shown]
	s_waitcnt vmcnt(0)
	v_and_b32_e32 v2, 0xffff, v2
	v_mov_b32_e32 v1, v2
	v_mov_b32_e32 v2, v3
	;; [unrolled: 1-line block ×4, first 2 shown]
.LBB363_3:
	s_or_b64 exec, exec, s[18:19]
	v_or_b32_e32 v5, 64, v0
	v_cmp_gt_u32_e32 vcc, s22, v5
	s_and_saveexec_b64 s[18:19], vcc
	s_cbranch_execz .LBB363_5
; %bb.4:
	v_lshlrev_b32_e32 v5, 1, v0
	global_load_ushort v5, v5, s[8:9] offset:128
	s_mov_b32 s17, 0x5040100
	s_waitcnt vmcnt(0)
	v_perm_b32 v1, v5, v1, s17
.LBB363_5:
	s_or_b64 exec, exec, s[18:19]
	v_or_b32_e32 v5, 0x80, v0
	v_cmp_gt_u32_e32 vcc, s22, v5
	s_and_saveexec_b64 s[18:19], vcc
	s_cbranch_execz .LBB363_7
; %bb.6:
	v_lshlrev_b32_e32 v5, 1, v0
	global_load_ushort v5, v5, s[8:9] offset:256
	s_mov_b32 s17, 0xffff
	s_waitcnt vmcnt(0)
	v_bfi_b32 v2, s17, v5, v2
.LBB363_7:
	s_or_b64 exec, exec, s[18:19]
	v_or_b32_e32 v5, 0xc0, v0
	v_cmp_gt_u32_e32 vcc, s22, v5
	s_and_saveexec_b64 s[18:19], vcc
	s_cbranch_execz .LBB363_9
; %bb.8:
	v_lshlrev_b32_e32 v5, 1, v0
	global_load_ushort v5, v5, s[8:9] offset:384
	s_mov_b32 s17, 0x5040100
	s_waitcnt vmcnt(0)
	v_perm_b32 v2, v5, v2, s17
.LBB363_9:
	s_or_b64 exec, exec, s[18:19]
	v_or_b32_e32 v5, 0x100, v0
	v_cmp_gt_u32_e32 vcc, s22, v5
	s_and_saveexec_b64 s[18:19], vcc
	s_cbranch_execz .LBB363_11
; %bb.10:
	v_lshlrev_b32_e32 v5, 1, v0
	global_load_ushort v5, v5, s[8:9] offset:512
	s_mov_b32 s17, 0xffff
	s_waitcnt vmcnt(0)
	v_bfi_b32 v3, s17, v5, v3
.LBB363_11:
	s_or_b64 exec, exec, s[18:19]
	v_or_b32_e32 v5, 0x140, v0
	v_cmp_gt_u32_e32 vcc, s22, v5
	s_and_saveexec_b64 s[18:19], vcc
	s_cbranch_execz .LBB363_13
; %bb.12:
	v_lshlrev_b32_e32 v5, 1, v0
	global_load_ushort v5, v5, s[8:9] offset:640
	s_mov_b32 s17, 0x5040100
	s_waitcnt vmcnt(0)
	v_perm_b32 v3, v5, v3, s17
.LBB363_13:
	s_or_b64 exec, exec, s[18:19]
	v_or_b32_e32 v5, 0x180, v0
	v_cmp_gt_u32_e32 vcc, s22, v5
	s_and_saveexec_b64 s[18:19], vcc
	s_cbranch_execz .LBB363_15
; %bb.14:
	v_lshlrev_b32_e32 v4, 1, v0
	global_load_ushort v4, v4, s[8:9] offset:768
.LBB363_15:
	s_or_b64 exec, exec, s[18:19]
	v_lshlrev_b32_e32 v5, 1, v0
	s_mov_b64 s[8:9], 0
	ds_write_b16 v5, v1
	ds_write_b16_d16_hi v5, v1 offset:128
	ds_write_b16 v5, v2 offset:256
	ds_write_b16_d16_hi v5, v2 offset:384
	ds_write_b16 v5, v3 offset:512
	ds_write_b16_d16_hi v5, v3 offset:640
	s_waitcnt vmcnt(0)
	ds_write_b16 v5, v4 offset:768
	s_waitcnt lgkmcnt(0)
	; wave barrier
.LBB363_16:
	s_and_b64 vcc, exec, s[8:9]
	v_lshlrev_b32_e32 v7, 1, v0
	s_cbranch_vccz .LBB363_18
; %bb.17:
	s_mov_b32 s17, 0
	s_lshl_b64 s[8:9], s[16:17], 1
	s_add_u32 s8, s20, s8
	s_addc_u32 s9, s21, s9
	global_load_ushort v1, v7, s[8:9]
	global_load_ushort v2, v7, s[8:9] offset:128
	global_load_ushort v3, v7, s[8:9] offset:256
	;; [unrolled: 1-line block ×6, first 2 shown]
	s_waitcnt vmcnt(6)
	ds_write_b16 v7, v1
	s_waitcnt vmcnt(5)
	ds_write_b16 v7, v2 offset:128
	s_waitcnt vmcnt(4)
	ds_write_b16 v7, v3 offset:256
	;; [unrolled: 2-line block ×6, first 2 shown]
	s_waitcnt lgkmcnt(0)
	; wave barrier
.LBB363_18:
	v_mul_u32_u24_e32 v8, 14, v0
	ds_read_b96 v[4:6], v8 offset:2
	ds_read_b32 v9, v8
	s_cmp_eq_u64 s[4:5], 0
	s_waitcnt lgkmcnt(0)
	; wave barrier
	v_lshrrev_b32_e32 v11, 16, v4
	v_lshrrev_b32_e32 v12, 16, v5
	;; [unrolled: 1-line block ×3, first 2 shown]
	s_cbranch_scc1 .LBB363_23
; %bb.19:
	s_mov_b32 s17, 0
	s_lshl_b64 s[8:9], s[16:17], 1
	s_add_u32 s8, s20, s8
	s_addc_u32 s9, s21, s9
	v_mov_b32_e32 v1, 0
	global_load_ushort v15, v1, s[8:9] offset:-2
	s_cmp_eq_u64 s[4:5], s[6:7]
	s_cbranch_scc1 .LBB363_24
; %bb.20:
	v_alignbit_b32 v1, v6, v5, 16
	v_pk_sub_i16 v10, v6, v1
	v_alignbit_b32 v1, v5, v4, 16
	s_mov_b32 s5, 0x5040100
	v_pk_sub_i16 v3, v5, v1
	v_perm_b32 v1, v4, v9, s5
	v_pk_sub_i16 v2, v4, v1
	v_cmp_ne_u32_e32 vcc, 0, v0
	s_waitcnt vmcnt(0)
	v_mov_b32_e32 v14, v15
	ds_write_b16 v7, v13
	s_waitcnt lgkmcnt(0)
	; wave barrier
	s_and_saveexec_b64 s[6:7], vcc
; %bb.21:
	v_add_u32_e32 v1, -2, v7
	ds_read_u16 v14, v1
; %bb.22:
	s_or_b64 exec, exec, s[6:7]
	v_lshlrev_b32_e32 v1, 16, v2
	v_alignbit_b32 v2, v3, v2, 16
	v_alignbit_b32 v3, v10, v3, 16
	v_lshrrev_b32_e32 v10, 16, v10
	s_cbranch_execz .LBB363_25
	s_branch .LBB363_28
.LBB363_23:
	s_mov_b64 s[18:19], 0
                                        ; implicit-def: $vgpr3
                                        ; implicit-def: $vgpr14
                                        ; implicit-def: $vgpr10
	s_branch .LBB363_29
.LBB363_24:
                                        ; implicit-def: $vgpr10
                                        ; implicit-def: $vgpr3
                                        ; implicit-def: $vgpr14
.LBB363_25:
	s_waitcnt lgkmcnt(0)
	v_mul_u32_u24_e32 v14, 7, v0
	v_cmp_ne_u32_e32 vcc, 0, v0
	ds_write_b16 v7, v13
	s_waitcnt lgkmcnt(0)
	; wave barrier
	s_and_saveexec_b64 s[6:7], vcc
	s_cbranch_execz .LBB363_27
; %bb.26:
	v_add_u32_e32 v1, -2, v7
	s_waitcnt vmcnt(0)
	ds_read_u16 v15, v1
.LBB363_27:
	s_or_b64 exec, exec, s[6:7]
	s_mulk_i32 s4, 0xfe40
	s_add_i32 s4, s4, s14
	v_add_u32_e32 v1, 6, v14
	v_alignbit_b32 v3, s0, v6, 16
	v_alignbit_b32 v2, s0, v6, 16
	v_pk_sub_i16 v3, v3, v6
	v_cmp_gt_u32_e32 vcc, s4, v1
	v_cndmask_b32_e32 v10, v2, v3, vcc
	v_alignbit_b32 v3, s0, v5, 16
	v_add_u32_e32 v1, 5, v14
	v_pk_sub_i16 v16, v6, v3
	v_lshlrev_b32_e32 v2, 16, v6
	v_lshlrev_b32_e32 v16, 16, v16
	v_cmp_gt_u32_e32 vcc, s4, v1
	v_cndmask_b32_e32 v1, v2, v16, vcc
	v_add_u32_e32 v2, 4, v14
	s_mov_b32 s5, 0xffff
	v_pk_sub_i16 v3, v3, v5
	v_bfi_b32 v16, s5, v12, v1
	v_bfi_b32 v1, s5, v3, v1
	v_cmp_gt_u32_e32 vcc, s4, v2
	v_cndmask_b32_e32 v3, v16, v1, vcc
	v_alignbit_b32 v16, s0, v4, 16
	v_add_u32_e32 v1, 3, v14
	v_pk_sub_i16 v17, v5, v16
	v_lshlrev_b32_e32 v2, 16, v5
	v_lshlrev_b32_e32 v17, 16, v17
	v_cmp_gt_u32_e32 vcc, s4, v1
	v_cndmask_b32_e32 v1, v2, v17, vcc
	v_add_u32_e32 v2, 2, v14
	v_pk_sub_i16 v16, v16, v4
	v_bfi_b32 v17, s5, v11, v1
	v_bfi_b32 v1, s5, v16, v1
	v_cmp_gt_u32_e32 vcc, s4, v2
	v_cndmask_b32_e32 v2, v17, v1, vcc
	v_add_u32_e32 v1, 1, v14
	s_mov_b32 s5, 0x5040100
	v_pk_sub_i16 v17, v4, v9
	v_perm_b32 v16, v4, 0, s5
	v_perm_b32 v17, v17, 0, s5
	v_cmp_gt_u32_e32 vcc, s4, v1
	v_cndmask_b32_e32 v1, v16, v17, vcc
	v_cmp_gt_u32_e32 vcc, s4, v14
	s_waitcnt vmcnt(0) lgkmcnt(0)
	v_cndmask_b32_e32 v14, 0, v15, vcc
.LBB363_28:
	s_mov_b64 s[18:19], -1
	s_cbranch_execnz .LBB363_37
.LBB363_29:
	s_cmp_lg_u64 s[2:3], 1
	s_waitcnt vmcnt(0)
	v_pk_sub_i16 v15, v4, v9
	v_cmp_ne_u32_e32 vcc, 0, v0
	s_cbranch_scc0 .LBB363_33
; %bb.30:
	v_alignbit_b32 v1, v6, v5, 16
	v_pk_sub_i16 v10, v6, v1
	v_alignbit_b32 v1, v5, v4, 16
	v_pk_sub_i16 v3, v5, v1
	s_mov_b32 s4, 0x5040100
	ds_write_b16 v7, v13
	s_waitcnt lgkmcnt(0)
	; wave barrier
                                        ; implicit-def: $vgpr14
	s_and_saveexec_b64 s[2:3], vcc
; %bb.31:
	v_add_u32_e32 v1, -2, v7
	ds_read_u16 v14, v1
	s_or_b64 s[18:19], s[18:19], exec
; %bb.32:
	s_or_b64 exec, exec, s[2:3]
	v_perm_b32 v1, v15, v9, s4
	v_alignbit_b32 v2, v3, v15, 16
	v_alignbit_b32 v3, v10, v3, 16
	v_lshrrev_b32_e32 v10, 16, v10
	s_branch .LBB363_37
.LBB363_33:
                                        ; implicit-def: $vgpr10
                                        ; implicit-def: $vgpr3
                                        ; implicit-def: $vgpr14
	s_cbranch_execz .LBB363_37
; %bb.34:
	v_mul_u32_u24_e32 v10, 7, v0
	v_add_u32_e32 v2, 6, v10
	v_cmp_gt_u32_e32 vcc, s14, v2
	v_alignbit_b32 v2, s0, v6, 16
	s_waitcnt lgkmcnt(0)
	v_alignbit_b32 v14, s0, v5, 16
	ds_write_b16 v7, v13
	v_alignbit_b32 v1, s0, v6, 16
	v_pk_sub_i16 v2, v2, v6
	v_add_u32_e32 v3, 5, v10
	v_lshlrev_b32_e32 v13, 16, v6
	v_pk_sub_i16 v6, v6, v14
	v_lshlrev_b32_e32 v6, 16, v6
	v_cmp_gt_u32_e64 s[2:3], s14, v3
	v_cndmask_b32_e64 v6, v13, v6, s[2:3]
	s_mov_b32 s17, 0xffff
	v_add_u32_e32 v13, 4, v10
	v_bfi_b32 v3, s17, v12, v6
	v_pk_sub_i16 v12, v14, v5
	v_alignbit_b32 v14, s0, v4, 16
	v_cmp_gt_u32_e64 s[2:3], s14, v13
	v_bfi_b32 v6, s17, v12, v6
	v_add_u32_e32 v12, 3, v10
	v_lshlrev_b32_e32 v13, 16, v5
	v_pk_sub_i16 v5, v5, v14
	v_lshlrev_b32_e32 v5, 16, v5
	v_cmp_gt_u32_e64 s[4:5], s14, v12
	v_cndmask_b32_e64 v12, v13, v5, s[4:5]
	v_bfi_b32 v5, s17, v11, v12
	v_pk_sub_i16 v11, v14, v4
	v_add_u32_e32 v13, 2, v10
	v_bfi_b32 v11, s17, v11, v12
	v_add_u32_e32 v12, 1, v10
	s_mov_b32 s6, 0x5040100
	v_cmp_gt_u32_e64 s[4:5], s14, v13
	v_perm_b32 v4, v4, 0, s6
	v_lshlrev_b32_e32 v13, 16, v15
	v_cmp_gt_u32_e64 s[6:7], s14, v12
	v_cndmask_b32_e64 v4, v4, v13, s[6:7]
	v_cmp_ne_u32_e64 s[6:7], 0, v0
	v_cmp_gt_u32_e64 s[8:9], s14, v10
	s_and_b64 s[8:9], s[6:7], s[8:9]
	s_waitcnt lgkmcnt(0)
	; wave barrier
                                        ; implicit-def: $vgpr14
	s_and_saveexec_b64 s[6:7], s[8:9]
; %bb.35:
	v_add_u32_e32 v10, -2, v7
	ds_read_u16 v14, v10
	s_or_b64 s[18:19], s[18:19], exec
; %bb.36:
	s_or_b64 exec, exec, s[6:7]
	v_cndmask_b32_e32 v10, v1, v2, vcc
	v_cndmask_b32_e64 v3, v3, v6, s[2:3]
	v_cndmask_b32_e64 v2, v5, v11, s[4:5]
	v_bfi_b32 v1, s17, v9, v4
.LBB363_37:
	s_and_saveexec_b64 s[2:3], s[18:19]
	s_cbranch_execz .LBB363_39
; %bb.38:
	s_waitcnt lgkmcnt(0)
	v_sub_u16_e32 v4, v9, v14
	s_mov_b32 s4, 0xffff
	v_bfi_b32 v1, s4, v4, v1
.LBB363_39:
	s_or_b64 exec, exec, s[2:3]
	s_add_u32 s4, s12, s10
	s_addc_u32 s5, s13, s11
	s_and_b64 vcc, exec, s[0:1]
	v_mul_i32_i24_e32 v6, -12, v0
	s_waitcnt lgkmcnt(0)
	; wave barrier
	s_cbranch_vccz .LBB363_53
; %bb.40:
	v_mad_u32_u24 v4, v0, 14, v6
	ds_write_b96 v8, v[1:3]
	ds_write_b16 v8, v10 offset:12
	s_waitcnt vmcnt(0) lgkmcnt(0)
	; wave barrier
	ds_read_u16 v15, v4 offset:128
	ds_read_u16 v14, v4 offset:256
	;; [unrolled: 1-line block ×6, first 2 shown]
	s_mov_b32 s17, 0
	s_add_i32 s15, s15, s14
	s_lshl_b64 s[0:1], s[16:17], 1
	s_add_u32 s0, s4, s0
	s_addc_u32 s1, s5, s1
	v_mov_b32_e32 v5, s1
	v_add_co_u32_e32 v4, vcc, s0, v7
	v_addc_co_u32_e32 v5, vcc, 0, v5, vcc
	v_cmp_gt_u32_e32 vcc, s15, v0
	s_and_saveexec_b64 s[0:1], vcc
	s_cbranch_execz .LBB363_42
; %bb.41:
	v_add_u32_e32 v16, v8, v6
	ds_read_u16 v16, v16
	s_waitcnt lgkmcnt(0)
	global_store_short v[4:5], v16, off
.LBB363_42:
	s_or_b64 exec, exec, s[0:1]
	v_or_b32_e32 v16, 64, v0
	v_cmp_gt_u32_e32 vcc, s15, v16
	s_and_saveexec_b64 s[0:1], vcc
	s_cbranch_execz .LBB363_44
; %bb.43:
	s_waitcnt lgkmcnt(5)
	global_store_short v[4:5], v15, off offset:128
.LBB363_44:
	s_or_b64 exec, exec, s[0:1]
	s_waitcnt lgkmcnt(5)
	v_or_b32_e32 v15, 0x80, v0
	v_cmp_gt_u32_e32 vcc, s15, v15
	s_and_saveexec_b64 s[0:1], vcc
	s_cbranch_execz .LBB363_46
; %bb.45:
	s_waitcnt lgkmcnt(4)
	global_store_short v[4:5], v14, off offset:256
.LBB363_46:
	s_or_b64 exec, exec, s[0:1]
	s_waitcnt lgkmcnt(4)
	;; [unrolled: 10-line block ×5, first 2 shown]
	v_or_b32_e32 v11, 0x180, v0
	v_cmp_gt_u32_e64 s[0:1], s15, v11
	s_branch .LBB363_55
.LBB363_53:
	s_mov_b64 s[0:1], 0
                                        ; implicit-def: $vgpr9
                                        ; implicit-def: $vgpr4_vgpr5
	s_cbranch_execz .LBB363_55
; %bb.54:
	s_mov_b32 s17, 0
	s_lshl_b64 s[2:3], s[16:17], 1
	v_mad_u32_u24 v0, v0, 14, v6
	s_add_u32 s2, s4, s2
	ds_write_b96 v8, v[1:3]
	ds_write_b16 v8, v10 offset:12
	s_waitcnt lgkmcnt(0)
	; wave barrier
	ds_read_u16 v1, v0
	ds_read_u16 v2, v0 offset:128
	ds_read_u16 v3, v0 offset:256
	;; [unrolled: 1-line block ×6, first 2 shown]
	s_addc_u32 s3, s5, s3
	v_mov_b32_e32 v0, s3
	v_add_co_u32_e32 v4, vcc, s2, v7
	v_addc_co_u32_e32 v5, vcc, 0, v0, vcc
	s_or_b64 s[0:1], s[0:1], exec
	s_waitcnt lgkmcnt(6)
	global_store_short v7, v1, s[2:3]
	s_waitcnt lgkmcnt(5)
	global_store_short v7, v2, s[2:3] offset:128
	s_waitcnt lgkmcnt(4)
	global_store_short v7, v3, s[2:3] offset:256
	;; [unrolled: 2-line block ×5, first 2 shown]
.LBB363_55:
	s_and_saveexec_b64 s[2:3], s[0:1]
	s_cbranch_execnz .LBB363_57
; %bb.56:
	s_endpgm
.LBB363_57:
	s_waitcnt lgkmcnt(0)
	global_store_short v[4:5], v9, off offset:768
	s_endpgm
	.section	.rodata,"a",@progbits
	.p2align	6, 0x0
	.amdhsa_kernel _ZN7rocprim17ROCPRIM_400000_NS6detail17trampoline_kernelINS0_14default_configENS1_35adjacent_difference_config_selectorILb0EsEEZNS1_24adjacent_difference_implIS3_Lb0ELb0EPsS7_N6thrust23THRUST_200600_302600_NS5minusIsEEEE10hipError_tPvRmT2_T3_mT4_P12ihipStream_tbEUlT_E_NS1_11comp_targetILNS1_3genE2ELNS1_11target_archE906ELNS1_3gpuE6ELNS1_3repE0EEENS1_30default_config_static_selectorELNS0_4arch9wavefront6targetE1EEEvT1_
		.amdhsa_group_segment_fixed_size 896
		.amdhsa_private_segment_fixed_size 0
		.amdhsa_kernarg_size 56
		.amdhsa_user_sgpr_count 6
		.amdhsa_user_sgpr_private_segment_buffer 1
		.amdhsa_user_sgpr_dispatch_ptr 0
		.amdhsa_user_sgpr_queue_ptr 0
		.amdhsa_user_sgpr_kernarg_segment_ptr 1
		.amdhsa_user_sgpr_dispatch_id 0
		.amdhsa_user_sgpr_flat_scratch_init 0
		.amdhsa_user_sgpr_private_segment_size 0
		.amdhsa_uses_dynamic_stack 0
		.amdhsa_system_sgpr_private_segment_wavefront_offset 0
		.amdhsa_system_sgpr_workgroup_id_x 1
		.amdhsa_system_sgpr_workgroup_id_y 0
		.amdhsa_system_sgpr_workgroup_id_z 0
		.amdhsa_system_sgpr_workgroup_info 0
		.amdhsa_system_vgpr_workitem_id 0
		.amdhsa_next_free_vgpr 18
		.amdhsa_next_free_sgpr 23
		.amdhsa_reserve_vcc 1
		.amdhsa_reserve_flat_scratch 0
		.amdhsa_float_round_mode_32 0
		.amdhsa_float_round_mode_16_64 0
		.amdhsa_float_denorm_mode_32 3
		.amdhsa_float_denorm_mode_16_64 3
		.amdhsa_dx10_clamp 1
		.amdhsa_ieee_mode 1
		.amdhsa_fp16_overflow 0
		.amdhsa_exception_fp_ieee_invalid_op 0
		.amdhsa_exception_fp_denorm_src 0
		.amdhsa_exception_fp_ieee_div_zero 0
		.amdhsa_exception_fp_ieee_overflow 0
		.amdhsa_exception_fp_ieee_underflow 0
		.amdhsa_exception_fp_ieee_inexact 0
		.amdhsa_exception_int_div_zero 0
	.end_amdhsa_kernel
	.section	.text._ZN7rocprim17ROCPRIM_400000_NS6detail17trampoline_kernelINS0_14default_configENS1_35adjacent_difference_config_selectorILb0EsEEZNS1_24adjacent_difference_implIS3_Lb0ELb0EPsS7_N6thrust23THRUST_200600_302600_NS5minusIsEEEE10hipError_tPvRmT2_T3_mT4_P12ihipStream_tbEUlT_E_NS1_11comp_targetILNS1_3genE2ELNS1_11target_archE906ELNS1_3gpuE6ELNS1_3repE0EEENS1_30default_config_static_selectorELNS0_4arch9wavefront6targetE1EEEvT1_,"axG",@progbits,_ZN7rocprim17ROCPRIM_400000_NS6detail17trampoline_kernelINS0_14default_configENS1_35adjacent_difference_config_selectorILb0EsEEZNS1_24adjacent_difference_implIS3_Lb0ELb0EPsS7_N6thrust23THRUST_200600_302600_NS5minusIsEEEE10hipError_tPvRmT2_T3_mT4_P12ihipStream_tbEUlT_E_NS1_11comp_targetILNS1_3genE2ELNS1_11target_archE906ELNS1_3gpuE6ELNS1_3repE0EEENS1_30default_config_static_selectorELNS0_4arch9wavefront6targetE1EEEvT1_,comdat
.Lfunc_end363:
	.size	_ZN7rocprim17ROCPRIM_400000_NS6detail17trampoline_kernelINS0_14default_configENS1_35adjacent_difference_config_selectorILb0EsEEZNS1_24adjacent_difference_implIS3_Lb0ELb0EPsS7_N6thrust23THRUST_200600_302600_NS5minusIsEEEE10hipError_tPvRmT2_T3_mT4_P12ihipStream_tbEUlT_E_NS1_11comp_targetILNS1_3genE2ELNS1_11target_archE906ELNS1_3gpuE6ELNS1_3repE0EEENS1_30default_config_static_selectorELNS0_4arch9wavefront6targetE1EEEvT1_, .Lfunc_end363-_ZN7rocprim17ROCPRIM_400000_NS6detail17trampoline_kernelINS0_14default_configENS1_35adjacent_difference_config_selectorILb0EsEEZNS1_24adjacent_difference_implIS3_Lb0ELb0EPsS7_N6thrust23THRUST_200600_302600_NS5minusIsEEEE10hipError_tPvRmT2_T3_mT4_P12ihipStream_tbEUlT_E_NS1_11comp_targetILNS1_3genE2ELNS1_11target_archE906ELNS1_3gpuE6ELNS1_3repE0EEENS1_30default_config_static_selectorELNS0_4arch9wavefront6targetE1EEEvT1_
                                        ; -- End function
	.set _ZN7rocprim17ROCPRIM_400000_NS6detail17trampoline_kernelINS0_14default_configENS1_35adjacent_difference_config_selectorILb0EsEEZNS1_24adjacent_difference_implIS3_Lb0ELb0EPsS7_N6thrust23THRUST_200600_302600_NS5minusIsEEEE10hipError_tPvRmT2_T3_mT4_P12ihipStream_tbEUlT_E_NS1_11comp_targetILNS1_3genE2ELNS1_11target_archE906ELNS1_3gpuE6ELNS1_3repE0EEENS1_30default_config_static_selectorELNS0_4arch9wavefront6targetE1EEEvT1_.num_vgpr, 18
	.set _ZN7rocprim17ROCPRIM_400000_NS6detail17trampoline_kernelINS0_14default_configENS1_35adjacent_difference_config_selectorILb0EsEEZNS1_24adjacent_difference_implIS3_Lb0ELb0EPsS7_N6thrust23THRUST_200600_302600_NS5minusIsEEEE10hipError_tPvRmT2_T3_mT4_P12ihipStream_tbEUlT_E_NS1_11comp_targetILNS1_3genE2ELNS1_11target_archE906ELNS1_3gpuE6ELNS1_3repE0EEENS1_30default_config_static_selectorELNS0_4arch9wavefront6targetE1EEEvT1_.num_agpr, 0
	.set _ZN7rocprim17ROCPRIM_400000_NS6detail17trampoline_kernelINS0_14default_configENS1_35adjacent_difference_config_selectorILb0EsEEZNS1_24adjacent_difference_implIS3_Lb0ELb0EPsS7_N6thrust23THRUST_200600_302600_NS5minusIsEEEE10hipError_tPvRmT2_T3_mT4_P12ihipStream_tbEUlT_E_NS1_11comp_targetILNS1_3genE2ELNS1_11target_archE906ELNS1_3gpuE6ELNS1_3repE0EEENS1_30default_config_static_selectorELNS0_4arch9wavefront6targetE1EEEvT1_.numbered_sgpr, 23
	.set _ZN7rocprim17ROCPRIM_400000_NS6detail17trampoline_kernelINS0_14default_configENS1_35adjacent_difference_config_selectorILb0EsEEZNS1_24adjacent_difference_implIS3_Lb0ELb0EPsS7_N6thrust23THRUST_200600_302600_NS5minusIsEEEE10hipError_tPvRmT2_T3_mT4_P12ihipStream_tbEUlT_E_NS1_11comp_targetILNS1_3genE2ELNS1_11target_archE906ELNS1_3gpuE6ELNS1_3repE0EEENS1_30default_config_static_selectorELNS0_4arch9wavefront6targetE1EEEvT1_.num_named_barrier, 0
	.set _ZN7rocprim17ROCPRIM_400000_NS6detail17trampoline_kernelINS0_14default_configENS1_35adjacent_difference_config_selectorILb0EsEEZNS1_24adjacent_difference_implIS3_Lb0ELb0EPsS7_N6thrust23THRUST_200600_302600_NS5minusIsEEEE10hipError_tPvRmT2_T3_mT4_P12ihipStream_tbEUlT_E_NS1_11comp_targetILNS1_3genE2ELNS1_11target_archE906ELNS1_3gpuE6ELNS1_3repE0EEENS1_30default_config_static_selectorELNS0_4arch9wavefront6targetE1EEEvT1_.private_seg_size, 0
	.set _ZN7rocprim17ROCPRIM_400000_NS6detail17trampoline_kernelINS0_14default_configENS1_35adjacent_difference_config_selectorILb0EsEEZNS1_24adjacent_difference_implIS3_Lb0ELb0EPsS7_N6thrust23THRUST_200600_302600_NS5minusIsEEEE10hipError_tPvRmT2_T3_mT4_P12ihipStream_tbEUlT_E_NS1_11comp_targetILNS1_3genE2ELNS1_11target_archE906ELNS1_3gpuE6ELNS1_3repE0EEENS1_30default_config_static_selectorELNS0_4arch9wavefront6targetE1EEEvT1_.uses_vcc, 1
	.set _ZN7rocprim17ROCPRIM_400000_NS6detail17trampoline_kernelINS0_14default_configENS1_35adjacent_difference_config_selectorILb0EsEEZNS1_24adjacent_difference_implIS3_Lb0ELb0EPsS7_N6thrust23THRUST_200600_302600_NS5minusIsEEEE10hipError_tPvRmT2_T3_mT4_P12ihipStream_tbEUlT_E_NS1_11comp_targetILNS1_3genE2ELNS1_11target_archE906ELNS1_3gpuE6ELNS1_3repE0EEENS1_30default_config_static_selectorELNS0_4arch9wavefront6targetE1EEEvT1_.uses_flat_scratch, 0
	.set _ZN7rocprim17ROCPRIM_400000_NS6detail17trampoline_kernelINS0_14default_configENS1_35adjacent_difference_config_selectorILb0EsEEZNS1_24adjacent_difference_implIS3_Lb0ELb0EPsS7_N6thrust23THRUST_200600_302600_NS5minusIsEEEE10hipError_tPvRmT2_T3_mT4_P12ihipStream_tbEUlT_E_NS1_11comp_targetILNS1_3genE2ELNS1_11target_archE906ELNS1_3gpuE6ELNS1_3repE0EEENS1_30default_config_static_selectorELNS0_4arch9wavefront6targetE1EEEvT1_.has_dyn_sized_stack, 0
	.set _ZN7rocprim17ROCPRIM_400000_NS6detail17trampoline_kernelINS0_14default_configENS1_35adjacent_difference_config_selectorILb0EsEEZNS1_24adjacent_difference_implIS3_Lb0ELb0EPsS7_N6thrust23THRUST_200600_302600_NS5minusIsEEEE10hipError_tPvRmT2_T3_mT4_P12ihipStream_tbEUlT_E_NS1_11comp_targetILNS1_3genE2ELNS1_11target_archE906ELNS1_3gpuE6ELNS1_3repE0EEENS1_30default_config_static_selectorELNS0_4arch9wavefront6targetE1EEEvT1_.has_recursion, 0
	.set _ZN7rocprim17ROCPRIM_400000_NS6detail17trampoline_kernelINS0_14default_configENS1_35adjacent_difference_config_selectorILb0EsEEZNS1_24adjacent_difference_implIS3_Lb0ELb0EPsS7_N6thrust23THRUST_200600_302600_NS5minusIsEEEE10hipError_tPvRmT2_T3_mT4_P12ihipStream_tbEUlT_E_NS1_11comp_targetILNS1_3genE2ELNS1_11target_archE906ELNS1_3gpuE6ELNS1_3repE0EEENS1_30default_config_static_selectorELNS0_4arch9wavefront6targetE1EEEvT1_.has_indirect_call, 0
	.section	.AMDGPU.csdata,"",@progbits
; Kernel info:
; codeLenInByte = 2560
; TotalNumSgprs: 27
; NumVgprs: 18
; ScratchSize: 0
; MemoryBound: 0
; FloatMode: 240
; IeeeMode: 1
; LDSByteSize: 896 bytes/workgroup (compile time only)
; SGPRBlocks: 3
; VGPRBlocks: 4
; NumSGPRsForWavesPerEU: 27
; NumVGPRsForWavesPerEU: 18
; Occupancy: 10
; WaveLimiterHint : 1
; COMPUTE_PGM_RSRC2:SCRATCH_EN: 0
; COMPUTE_PGM_RSRC2:USER_SGPR: 6
; COMPUTE_PGM_RSRC2:TRAP_HANDLER: 0
; COMPUTE_PGM_RSRC2:TGID_X_EN: 1
; COMPUTE_PGM_RSRC2:TGID_Y_EN: 0
; COMPUTE_PGM_RSRC2:TGID_Z_EN: 0
; COMPUTE_PGM_RSRC2:TIDIG_COMP_CNT: 0
	.section	.text._ZN7rocprim17ROCPRIM_400000_NS6detail17trampoline_kernelINS0_14default_configENS1_35adjacent_difference_config_selectorILb0EsEEZNS1_24adjacent_difference_implIS3_Lb0ELb0EPsS7_N6thrust23THRUST_200600_302600_NS5minusIsEEEE10hipError_tPvRmT2_T3_mT4_P12ihipStream_tbEUlT_E_NS1_11comp_targetILNS1_3genE9ELNS1_11target_archE1100ELNS1_3gpuE3ELNS1_3repE0EEENS1_30default_config_static_selectorELNS0_4arch9wavefront6targetE1EEEvT1_,"axG",@progbits,_ZN7rocprim17ROCPRIM_400000_NS6detail17trampoline_kernelINS0_14default_configENS1_35adjacent_difference_config_selectorILb0EsEEZNS1_24adjacent_difference_implIS3_Lb0ELb0EPsS7_N6thrust23THRUST_200600_302600_NS5minusIsEEEE10hipError_tPvRmT2_T3_mT4_P12ihipStream_tbEUlT_E_NS1_11comp_targetILNS1_3genE9ELNS1_11target_archE1100ELNS1_3gpuE3ELNS1_3repE0EEENS1_30default_config_static_selectorELNS0_4arch9wavefront6targetE1EEEvT1_,comdat
	.protected	_ZN7rocprim17ROCPRIM_400000_NS6detail17trampoline_kernelINS0_14default_configENS1_35adjacent_difference_config_selectorILb0EsEEZNS1_24adjacent_difference_implIS3_Lb0ELb0EPsS7_N6thrust23THRUST_200600_302600_NS5minusIsEEEE10hipError_tPvRmT2_T3_mT4_P12ihipStream_tbEUlT_E_NS1_11comp_targetILNS1_3genE9ELNS1_11target_archE1100ELNS1_3gpuE3ELNS1_3repE0EEENS1_30default_config_static_selectorELNS0_4arch9wavefront6targetE1EEEvT1_ ; -- Begin function _ZN7rocprim17ROCPRIM_400000_NS6detail17trampoline_kernelINS0_14default_configENS1_35adjacent_difference_config_selectorILb0EsEEZNS1_24adjacent_difference_implIS3_Lb0ELb0EPsS7_N6thrust23THRUST_200600_302600_NS5minusIsEEEE10hipError_tPvRmT2_T3_mT4_P12ihipStream_tbEUlT_E_NS1_11comp_targetILNS1_3genE9ELNS1_11target_archE1100ELNS1_3gpuE3ELNS1_3repE0EEENS1_30default_config_static_selectorELNS0_4arch9wavefront6targetE1EEEvT1_
	.globl	_ZN7rocprim17ROCPRIM_400000_NS6detail17trampoline_kernelINS0_14default_configENS1_35adjacent_difference_config_selectorILb0EsEEZNS1_24adjacent_difference_implIS3_Lb0ELb0EPsS7_N6thrust23THRUST_200600_302600_NS5minusIsEEEE10hipError_tPvRmT2_T3_mT4_P12ihipStream_tbEUlT_E_NS1_11comp_targetILNS1_3genE9ELNS1_11target_archE1100ELNS1_3gpuE3ELNS1_3repE0EEENS1_30default_config_static_selectorELNS0_4arch9wavefront6targetE1EEEvT1_
	.p2align	8
	.type	_ZN7rocprim17ROCPRIM_400000_NS6detail17trampoline_kernelINS0_14default_configENS1_35adjacent_difference_config_selectorILb0EsEEZNS1_24adjacent_difference_implIS3_Lb0ELb0EPsS7_N6thrust23THRUST_200600_302600_NS5minusIsEEEE10hipError_tPvRmT2_T3_mT4_P12ihipStream_tbEUlT_E_NS1_11comp_targetILNS1_3genE9ELNS1_11target_archE1100ELNS1_3gpuE3ELNS1_3repE0EEENS1_30default_config_static_selectorELNS0_4arch9wavefront6targetE1EEEvT1_,@function
_ZN7rocprim17ROCPRIM_400000_NS6detail17trampoline_kernelINS0_14default_configENS1_35adjacent_difference_config_selectorILb0EsEEZNS1_24adjacent_difference_implIS3_Lb0ELb0EPsS7_N6thrust23THRUST_200600_302600_NS5minusIsEEEE10hipError_tPvRmT2_T3_mT4_P12ihipStream_tbEUlT_E_NS1_11comp_targetILNS1_3genE9ELNS1_11target_archE1100ELNS1_3gpuE3ELNS1_3repE0EEENS1_30default_config_static_selectorELNS0_4arch9wavefront6targetE1EEEvT1_: ; @_ZN7rocprim17ROCPRIM_400000_NS6detail17trampoline_kernelINS0_14default_configENS1_35adjacent_difference_config_selectorILb0EsEEZNS1_24adjacent_difference_implIS3_Lb0ELb0EPsS7_N6thrust23THRUST_200600_302600_NS5minusIsEEEE10hipError_tPvRmT2_T3_mT4_P12ihipStream_tbEUlT_E_NS1_11comp_targetILNS1_3genE9ELNS1_11target_archE1100ELNS1_3gpuE3ELNS1_3repE0EEENS1_30default_config_static_selectorELNS0_4arch9wavefront6targetE1EEEvT1_
; %bb.0:
	.section	.rodata,"a",@progbits
	.p2align	6, 0x0
	.amdhsa_kernel _ZN7rocprim17ROCPRIM_400000_NS6detail17trampoline_kernelINS0_14default_configENS1_35adjacent_difference_config_selectorILb0EsEEZNS1_24adjacent_difference_implIS3_Lb0ELb0EPsS7_N6thrust23THRUST_200600_302600_NS5minusIsEEEE10hipError_tPvRmT2_T3_mT4_P12ihipStream_tbEUlT_E_NS1_11comp_targetILNS1_3genE9ELNS1_11target_archE1100ELNS1_3gpuE3ELNS1_3repE0EEENS1_30default_config_static_selectorELNS0_4arch9wavefront6targetE1EEEvT1_
		.amdhsa_group_segment_fixed_size 0
		.amdhsa_private_segment_fixed_size 0
		.amdhsa_kernarg_size 56
		.amdhsa_user_sgpr_count 6
		.amdhsa_user_sgpr_private_segment_buffer 1
		.amdhsa_user_sgpr_dispatch_ptr 0
		.amdhsa_user_sgpr_queue_ptr 0
		.amdhsa_user_sgpr_kernarg_segment_ptr 1
		.amdhsa_user_sgpr_dispatch_id 0
		.amdhsa_user_sgpr_flat_scratch_init 0
		.amdhsa_user_sgpr_private_segment_size 0
		.amdhsa_uses_dynamic_stack 0
		.amdhsa_system_sgpr_private_segment_wavefront_offset 0
		.amdhsa_system_sgpr_workgroup_id_x 1
		.amdhsa_system_sgpr_workgroup_id_y 0
		.amdhsa_system_sgpr_workgroup_id_z 0
		.amdhsa_system_sgpr_workgroup_info 0
		.amdhsa_system_vgpr_workitem_id 0
		.amdhsa_next_free_vgpr 1
		.amdhsa_next_free_sgpr 0
		.amdhsa_reserve_vcc 0
		.amdhsa_reserve_flat_scratch 0
		.amdhsa_float_round_mode_32 0
		.amdhsa_float_round_mode_16_64 0
		.amdhsa_float_denorm_mode_32 3
		.amdhsa_float_denorm_mode_16_64 3
		.amdhsa_dx10_clamp 1
		.amdhsa_ieee_mode 1
		.amdhsa_fp16_overflow 0
		.amdhsa_exception_fp_ieee_invalid_op 0
		.amdhsa_exception_fp_denorm_src 0
		.amdhsa_exception_fp_ieee_div_zero 0
		.amdhsa_exception_fp_ieee_overflow 0
		.amdhsa_exception_fp_ieee_underflow 0
		.amdhsa_exception_fp_ieee_inexact 0
		.amdhsa_exception_int_div_zero 0
	.end_amdhsa_kernel
	.section	.text._ZN7rocprim17ROCPRIM_400000_NS6detail17trampoline_kernelINS0_14default_configENS1_35adjacent_difference_config_selectorILb0EsEEZNS1_24adjacent_difference_implIS3_Lb0ELb0EPsS7_N6thrust23THRUST_200600_302600_NS5minusIsEEEE10hipError_tPvRmT2_T3_mT4_P12ihipStream_tbEUlT_E_NS1_11comp_targetILNS1_3genE9ELNS1_11target_archE1100ELNS1_3gpuE3ELNS1_3repE0EEENS1_30default_config_static_selectorELNS0_4arch9wavefront6targetE1EEEvT1_,"axG",@progbits,_ZN7rocprim17ROCPRIM_400000_NS6detail17trampoline_kernelINS0_14default_configENS1_35adjacent_difference_config_selectorILb0EsEEZNS1_24adjacent_difference_implIS3_Lb0ELb0EPsS7_N6thrust23THRUST_200600_302600_NS5minusIsEEEE10hipError_tPvRmT2_T3_mT4_P12ihipStream_tbEUlT_E_NS1_11comp_targetILNS1_3genE9ELNS1_11target_archE1100ELNS1_3gpuE3ELNS1_3repE0EEENS1_30default_config_static_selectorELNS0_4arch9wavefront6targetE1EEEvT1_,comdat
.Lfunc_end364:
	.size	_ZN7rocprim17ROCPRIM_400000_NS6detail17trampoline_kernelINS0_14default_configENS1_35adjacent_difference_config_selectorILb0EsEEZNS1_24adjacent_difference_implIS3_Lb0ELb0EPsS7_N6thrust23THRUST_200600_302600_NS5minusIsEEEE10hipError_tPvRmT2_T3_mT4_P12ihipStream_tbEUlT_E_NS1_11comp_targetILNS1_3genE9ELNS1_11target_archE1100ELNS1_3gpuE3ELNS1_3repE0EEENS1_30default_config_static_selectorELNS0_4arch9wavefront6targetE1EEEvT1_, .Lfunc_end364-_ZN7rocprim17ROCPRIM_400000_NS6detail17trampoline_kernelINS0_14default_configENS1_35adjacent_difference_config_selectorILb0EsEEZNS1_24adjacent_difference_implIS3_Lb0ELb0EPsS7_N6thrust23THRUST_200600_302600_NS5minusIsEEEE10hipError_tPvRmT2_T3_mT4_P12ihipStream_tbEUlT_E_NS1_11comp_targetILNS1_3genE9ELNS1_11target_archE1100ELNS1_3gpuE3ELNS1_3repE0EEENS1_30default_config_static_selectorELNS0_4arch9wavefront6targetE1EEEvT1_
                                        ; -- End function
	.set _ZN7rocprim17ROCPRIM_400000_NS6detail17trampoline_kernelINS0_14default_configENS1_35adjacent_difference_config_selectorILb0EsEEZNS1_24adjacent_difference_implIS3_Lb0ELb0EPsS7_N6thrust23THRUST_200600_302600_NS5minusIsEEEE10hipError_tPvRmT2_T3_mT4_P12ihipStream_tbEUlT_E_NS1_11comp_targetILNS1_3genE9ELNS1_11target_archE1100ELNS1_3gpuE3ELNS1_3repE0EEENS1_30default_config_static_selectorELNS0_4arch9wavefront6targetE1EEEvT1_.num_vgpr, 0
	.set _ZN7rocprim17ROCPRIM_400000_NS6detail17trampoline_kernelINS0_14default_configENS1_35adjacent_difference_config_selectorILb0EsEEZNS1_24adjacent_difference_implIS3_Lb0ELb0EPsS7_N6thrust23THRUST_200600_302600_NS5minusIsEEEE10hipError_tPvRmT2_T3_mT4_P12ihipStream_tbEUlT_E_NS1_11comp_targetILNS1_3genE9ELNS1_11target_archE1100ELNS1_3gpuE3ELNS1_3repE0EEENS1_30default_config_static_selectorELNS0_4arch9wavefront6targetE1EEEvT1_.num_agpr, 0
	.set _ZN7rocprim17ROCPRIM_400000_NS6detail17trampoline_kernelINS0_14default_configENS1_35adjacent_difference_config_selectorILb0EsEEZNS1_24adjacent_difference_implIS3_Lb0ELb0EPsS7_N6thrust23THRUST_200600_302600_NS5minusIsEEEE10hipError_tPvRmT2_T3_mT4_P12ihipStream_tbEUlT_E_NS1_11comp_targetILNS1_3genE9ELNS1_11target_archE1100ELNS1_3gpuE3ELNS1_3repE0EEENS1_30default_config_static_selectorELNS0_4arch9wavefront6targetE1EEEvT1_.numbered_sgpr, 0
	.set _ZN7rocprim17ROCPRIM_400000_NS6detail17trampoline_kernelINS0_14default_configENS1_35adjacent_difference_config_selectorILb0EsEEZNS1_24adjacent_difference_implIS3_Lb0ELb0EPsS7_N6thrust23THRUST_200600_302600_NS5minusIsEEEE10hipError_tPvRmT2_T3_mT4_P12ihipStream_tbEUlT_E_NS1_11comp_targetILNS1_3genE9ELNS1_11target_archE1100ELNS1_3gpuE3ELNS1_3repE0EEENS1_30default_config_static_selectorELNS0_4arch9wavefront6targetE1EEEvT1_.num_named_barrier, 0
	.set _ZN7rocprim17ROCPRIM_400000_NS6detail17trampoline_kernelINS0_14default_configENS1_35adjacent_difference_config_selectorILb0EsEEZNS1_24adjacent_difference_implIS3_Lb0ELb0EPsS7_N6thrust23THRUST_200600_302600_NS5minusIsEEEE10hipError_tPvRmT2_T3_mT4_P12ihipStream_tbEUlT_E_NS1_11comp_targetILNS1_3genE9ELNS1_11target_archE1100ELNS1_3gpuE3ELNS1_3repE0EEENS1_30default_config_static_selectorELNS0_4arch9wavefront6targetE1EEEvT1_.private_seg_size, 0
	.set _ZN7rocprim17ROCPRIM_400000_NS6detail17trampoline_kernelINS0_14default_configENS1_35adjacent_difference_config_selectorILb0EsEEZNS1_24adjacent_difference_implIS3_Lb0ELb0EPsS7_N6thrust23THRUST_200600_302600_NS5minusIsEEEE10hipError_tPvRmT2_T3_mT4_P12ihipStream_tbEUlT_E_NS1_11comp_targetILNS1_3genE9ELNS1_11target_archE1100ELNS1_3gpuE3ELNS1_3repE0EEENS1_30default_config_static_selectorELNS0_4arch9wavefront6targetE1EEEvT1_.uses_vcc, 0
	.set _ZN7rocprim17ROCPRIM_400000_NS6detail17trampoline_kernelINS0_14default_configENS1_35adjacent_difference_config_selectorILb0EsEEZNS1_24adjacent_difference_implIS3_Lb0ELb0EPsS7_N6thrust23THRUST_200600_302600_NS5minusIsEEEE10hipError_tPvRmT2_T3_mT4_P12ihipStream_tbEUlT_E_NS1_11comp_targetILNS1_3genE9ELNS1_11target_archE1100ELNS1_3gpuE3ELNS1_3repE0EEENS1_30default_config_static_selectorELNS0_4arch9wavefront6targetE1EEEvT1_.uses_flat_scratch, 0
	.set _ZN7rocprim17ROCPRIM_400000_NS6detail17trampoline_kernelINS0_14default_configENS1_35adjacent_difference_config_selectorILb0EsEEZNS1_24adjacent_difference_implIS3_Lb0ELb0EPsS7_N6thrust23THRUST_200600_302600_NS5minusIsEEEE10hipError_tPvRmT2_T3_mT4_P12ihipStream_tbEUlT_E_NS1_11comp_targetILNS1_3genE9ELNS1_11target_archE1100ELNS1_3gpuE3ELNS1_3repE0EEENS1_30default_config_static_selectorELNS0_4arch9wavefront6targetE1EEEvT1_.has_dyn_sized_stack, 0
	.set _ZN7rocprim17ROCPRIM_400000_NS6detail17trampoline_kernelINS0_14default_configENS1_35adjacent_difference_config_selectorILb0EsEEZNS1_24adjacent_difference_implIS3_Lb0ELb0EPsS7_N6thrust23THRUST_200600_302600_NS5minusIsEEEE10hipError_tPvRmT2_T3_mT4_P12ihipStream_tbEUlT_E_NS1_11comp_targetILNS1_3genE9ELNS1_11target_archE1100ELNS1_3gpuE3ELNS1_3repE0EEENS1_30default_config_static_selectorELNS0_4arch9wavefront6targetE1EEEvT1_.has_recursion, 0
	.set _ZN7rocprim17ROCPRIM_400000_NS6detail17trampoline_kernelINS0_14default_configENS1_35adjacent_difference_config_selectorILb0EsEEZNS1_24adjacent_difference_implIS3_Lb0ELb0EPsS7_N6thrust23THRUST_200600_302600_NS5minusIsEEEE10hipError_tPvRmT2_T3_mT4_P12ihipStream_tbEUlT_E_NS1_11comp_targetILNS1_3genE9ELNS1_11target_archE1100ELNS1_3gpuE3ELNS1_3repE0EEENS1_30default_config_static_selectorELNS0_4arch9wavefront6targetE1EEEvT1_.has_indirect_call, 0
	.section	.AMDGPU.csdata,"",@progbits
; Kernel info:
; codeLenInByte = 0
; TotalNumSgprs: 4
; NumVgprs: 0
; ScratchSize: 0
; MemoryBound: 0
; FloatMode: 240
; IeeeMode: 1
; LDSByteSize: 0 bytes/workgroup (compile time only)
; SGPRBlocks: 0
; VGPRBlocks: 0
; NumSGPRsForWavesPerEU: 4
; NumVGPRsForWavesPerEU: 1
; Occupancy: 10
; WaveLimiterHint : 0
; COMPUTE_PGM_RSRC2:SCRATCH_EN: 0
; COMPUTE_PGM_RSRC2:USER_SGPR: 6
; COMPUTE_PGM_RSRC2:TRAP_HANDLER: 0
; COMPUTE_PGM_RSRC2:TGID_X_EN: 1
; COMPUTE_PGM_RSRC2:TGID_Y_EN: 0
; COMPUTE_PGM_RSRC2:TGID_Z_EN: 0
; COMPUTE_PGM_RSRC2:TIDIG_COMP_CNT: 0
	.section	.text._ZN7rocprim17ROCPRIM_400000_NS6detail17trampoline_kernelINS0_14default_configENS1_35adjacent_difference_config_selectorILb0EsEEZNS1_24adjacent_difference_implIS3_Lb0ELb0EPsS7_N6thrust23THRUST_200600_302600_NS5minusIsEEEE10hipError_tPvRmT2_T3_mT4_P12ihipStream_tbEUlT_E_NS1_11comp_targetILNS1_3genE8ELNS1_11target_archE1030ELNS1_3gpuE2ELNS1_3repE0EEENS1_30default_config_static_selectorELNS0_4arch9wavefront6targetE1EEEvT1_,"axG",@progbits,_ZN7rocprim17ROCPRIM_400000_NS6detail17trampoline_kernelINS0_14default_configENS1_35adjacent_difference_config_selectorILb0EsEEZNS1_24adjacent_difference_implIS3_Lb0ELb0EPsS7_N6thrust23THRUST_200600_302600_NS5minusIsEEEE10hipError_tPvRmT2_T3_mT4_P12ihipStream_tbEUlT_E_NS1_11comp_targetILNS1_3genE8ELNS1_11target_archE1030ELNS1_3gpuE2ELNS1_3repE0EEENS1_30default_config_static_selectorELNS0_4arch9wavefront6targetE1EEEvT1_,comdat
	.protected	_ZN7rocprim17ROCPRIM_400000_NS6detail17trampoline_kernelINS0_14default_configENS1_35adjacent_difference_config_selectorILb0EsEEZNS1_24adjacent_difference_implIS3_Lb0ELb0EPsS7_N6thrust23THRUST_200600_302600_NS5minusIsEEEE10hipError_tPvRmT2_T3_mT4_P12ihipStream_tbEUlT_E_NS1_11comp_targetILNS1_3genE8ELNS1_11target_archE1030ELNS1_3gpuE2ELNS1_3repE0EEENS1_30default_config_static_selectorELNS0_4arch9wavefront6targetE1EEEvT1_ ; -- Begin function _ZN7rocprim17ROCPRIM_400000_NS6detail17trampoline_kernelINS0_14default_configENS1_35adjacent_difference_config_selectorILb0EsEEZNS1_24adjacent_difference_implIS3_Lb0ELb0EPsS7_N6thrust23THRUST_200600_302600_NS5minusIsEEEE10hipError_tPvRmT2_T3_mT4_P12ihipStream_tbEUlT_E_NS1_11comp_targetILNS1_3genE8ELNS1_11target_archE1030ELNS1_3gpuE2ELNS1_3repE0EEENS1_30default_config_static_selectorELNS0_4arch9wavefront6targetE1EEEvT1_
	.globl	_ZN7rocprim17ROCPRIM_400000_NS6detail17trampoline_kernelINS0_14default_configENS1_35adjacent_difference_config_selectorILb0EsEEZNS1_24adjacent_difference_implIS3_Lb0ELb0EPsS7_N6thrust23THRUST_200600_302600_NS5minusIsEEEE10hipError_tPvRmT2_T3_mT4_P12ihipStream_tbEUlT_E_NS1_11comp_targetILNS1_3genE8ELNS1_11target_archE1030ELNS1_3gpuE2ELNS1_3repE0EEENS1_30default_config_static_selectorELNS0_4arch9wavefront6targetE1EEEvT1_
	.p2align	8
	.type	_ZN7rocprim17ROCPRIM_400000_NS6detail17trampoline_kernelINS0_14default_configENS1_35adjacent_difference_config_selectorILb0EsEEZNS1_24adjacent_difference_implIS3_Lb0ELb0EPsS7_N6thrust23THRUST_200600_302600_NS5minusIsEEEE10hipError_tPvRmT2_T3_mT4_P12ihipStream_tbEUlT_E_NS1_11comp_targetILNS1_3genE8ELNS1_11target_archE1030ELNS1_3gpuE2ELNS1_3repE0EEENS1_30default_config_static_selectorELNS0_4arch9wavefront6targetE1EEEvT1_,@function
_ZN7rocprim17ROCPRIM_400000_NS6detail17trampoline_kernelINS0_14default_configENS1_35adjacent_difference_config_selectorILb0EsEEZNS1_24adjacent_difference_implIS3_Lb0ELb0EPsS7_N6thrust23THRUST_200600_302600_NS5minusIsEEEE10hipError_tPvRmT2_T3_mT4_P12ihipStream_tbEUlT_E_NS1_11comp_targetILNS1_3genE8ELNS1_11target_archE1030ELNS1_3gpuE2ELNS1_3repE0EEENS1_30default_config_static_selectorELNS0_4arch9wavefront6targetE1EEEvT1_: ; @_ZN7rocprim17ROCPRIM_400000_NS6detail17trampoline_kernelINS0_14default_configENS1_35adjacent_difference_config_selectorILb0EsEEZNS1_24adjacent_difference_implIS3_Lb0ELb0EPsS7_N6thrust23THRUST_200600_302600_NS5minusIsEEEE10hipError_tPvRmT2_T3_mT4_P12ihipStream_tbEUlT_E_NS1_11comp_targetILNS1_3genE8ELNS1_11target_archE1030ELNS1_3gpuE2ELNS1_3repE0EEENS1_30default_config_static_selectorELNS0_4arch9wavefront6targetE1EEEvT1_
; %bb.0:
	.section	.rodata,"a",@progbits
	.p2align	6, 0x0
	.amdhsa_kernel _ZN7rocprim17ROCPRIM_400000_NS6detail17trampoline_kernelINS0_14default_configENS1_35adjacent_difference_config_selectorILb0EsEEZNS1_24adjacent_difference_implIS3_Lb0ELb0EPsS7_N6thrust23THRUST_200600_302600_NS5minusIsEEEE10hipError_tPvRmT2_T3_mT4_P12ihipStream_tbEUlT_E_NS1_11comp_targetILNS1_3genE8ELNS1_11target_archE1030ELNS1_3gpuE2ELNS1_3repE0EEENS1_30default_config_static_selectorELNS0_4arch9wavefront6targetE1EEEvT1_
		.amdhsa_group_segment_fixed_size 0
		.amdhsa_private_segment_fixed_size 0
		.amdhsa_kernarg_size 56
		.amdhsa_user_sgpr_count 6
		.amdhsa_user_sgpr_private_segment_buffer 1
		.amdhsa_user_sgpr_dispatch_ptr 0
		.amdhsa_user_sgpr_queue_ptr 0
		.amdhsa_user_sgpr_kernarg_segment_ptr 1
		.amdhsa_user_sgpr_dispatch_id 0
		.amdhsa_user_sgpr_flat_scratch_init 0
		.amdhsa_user_sgpr_private_segment_size 0
		.amdhsa_uses_dynamic_stack 0
		.amdhsa_system_sgpr_private_segment_wavefront_offset 0
		.amdhsa_system_sgpr_workgroup_id_x 1
		.amdhsa_system_sgpr_workgroup_id_y 0
		.amdhsa_system_sgpr_workgroup_id_z 0
		.amdhsa_system_sgpr_workgroup_info 0
		.amdhsa_system_vgpr_workitem_id 0
		.amdhsa_next_free_vgpr 1
		.amdhsa_next_free_sgpr 0
		.amdhsa_reserve_vcc 0
		.amdhsa_reserve_flat_scratch 0
		.amdhsa_float_round_mode_32 0
		.amdhsa_float_round_mode_16_64 0
		.amdhsa_float_denorm_mode_32 3
		.amdhsa_float_denorm_mode_16_64 3
		.amdhsa_dx10_clamp 1
		.amdhsa_ieee_mode 1
		.amdhsa_fp16_overflow 0
		.amdhsa_exception_fp_ieee_invalid_op 0
		.amdhsa_exception_fp_denorm_src 0
		.amdhsa_exception_fp_ieee_div_zero 0
		.amdhsa_exception_fp_ieee_overflow 0
		.amdhsa_exception_fp_ieee_underflow 0
		.amdhsa_exception_fp_ieee_inexact 0
		.amdhsa_exception_int_div_zero 0
	.end_amdhsa_kernel
	.section	.text._ZN7rocprim17ROCPRIM_400000_NS6detail17trampoline_kernelINS0_14default_configENS1_35adjacent_difference_config_selectorILb0EsEEZNS1_24adjacent_difference_implIS3_Lb0ELb0EPsS7_N6thrust23THRUST_200600_302600_NS5minusIsEEEE10hipError_tPvRmT2_T3_mT4_P12ihipStream_tbEUlT_E_NS1_11comp_targetILNS1_3genE8ELNS1_11target_archE1030ELNS1_3gpuE2ELNS1_3repE0EEENS1_30default_config_static_selectorELNS0_4arch9wavefront6targetE1EEEvT1_,"axG",@progbits,_ZN7rocprim17ROCPRIM_400000_NS6detail17trampoline_kernelINS0_14default_configENS1_35adjacent_difference_config_selectorILb0EsEEZNS1_24adjacent_difference_implIS3_Lb0ELb0EPsS7_N6thrust23THRUST_200600_302600_NS5minusIsEEEE10hipError_tPvRmT2_T3_mT4_P12ihipStream_tbEUlT_E_NS1_11comp_targetILNS1_3genE8ELNS1_11target_archE1030ELNS1_3gpuE2ELNS1_3repE0EEENS1_30default_config_static_selectorELNS0_4arch9wavefront6targetE1EEEvT1_,comdat
.Lfunc_end365:
	.size	_ZN7rocprim17ROCPRIM_400000_NS6detail17trampoline_kernelINS0_14default_configENS1_35adjacent_difference_config_selectorILb0EsEEZNS1_24adjacent_difference_implIS3_Lb0ELb0EPsS7_N6thrust23THRUST_200600_302600_NS5minusIsEEEE10hipError_tPvRmT2_T3_mT4_P12ihipStream_tbEUlT_E_NS1_11comp_targetILNS1_3genE8ELNS1_11target_archE1030ELNS1_3gpuE2ELNS1_3repE0EEENS1_30default_config_static_selectorELNS0_4arch9wavefront6targetE1EEEvT1_, .Lfunc_end365-_ZN7rocprim17ROCPRIM_400000_NS6detail17trampoline_kernelINS0_14default_configENS1_35adjacent_difference_config_selectorILb0EsEEZNS1_24adjacent_difference_implIS3_Lb0ELb0EPsS7_N6thrust23THRUST_200600_302600_NS5minusIsEEEE10hipError_tPvRmT2_T3_mT4_P12ihipStream_tbEUlT_E_NS1_11comp_targetILNS1_3genE8ELNS1_11target_archE1030ELNS1_3gpuE2ELNS1_3repE0EEENS1_30default_config_static_selectorELNS0_4arch9wavefront6targetE1EEEvT1_
                                        ; -- End function
	.set _ZN7rocprim17ROCPRIM_400000_NS6detail17trampoline_kernelINS0_14default_configENS1_35adjacent_difference_config_selectorILb0EsEEZNS1_24adjacent_difference_implIS3_Lb0ELb0EPsS7_N6thrust23THRUST_200600_302600_NS5minusIsEEEE10hipError_tPvRmT2_T3_mT4_P12ihipStream_tbEUlT_E_NS1_11comp_targetILNS1_3genE8ELNS1_11target_archE1030ELNS1_3gpuE2ELNS1_3repE0EEENS1_30default_config_static_selectorELNS0_4arch9wavefront6targetE1EEEvT1_.num_vgpr, 0
	.set _ZN7rocprim17ROCPRIM_400000_NS6detail17trampoline_kernelINS0_14default_configENS1_35adjacent_difference_config_selectorILb0EsEEZNS1_24adjacent_difference_implIS3_Lb0ELb0EPsS7_N6thrust23THRUST_200600_302600_NS5minusIsEEEE10hipError_tPvRmT2_T3_mT4_P12ihipStream_tbEUlT_E_NS1_11comp_targetILNS1_3genE8ELNS1_11target_archE1030ELNS1_3gpuE2ELNS1_3repE0EEENS1_30default_config_static_selectorELNS0_4arch9wavefront6targetE1EEEvT1_.num_agpr, 0
	.set _ZN7rocprim17ROCPRIM_400000_NS6detail17trampoline_kernelINS0_14default_configENS1_35adjacent_difference_config_selectorILb0EsEEZNS1_24adjacent_difference_implIS3_Lb0ELb0EPsS7_N6thrust23THRUST_200600_302600_NS5minusIsEEEE10hipError_tPvRmT2_T3_mT4_P12ihipStream_tbEUlT_E_NS1_11comp_targetILNS1_3genE8ELNS1_11target_archE1030ELNS1_3gpuE2ELNS1_3repE0EEENS1_30default_config_static_selectorELNS0_4arch9wavefront6targetE1EEEvT1_.numbered_sgpr, 0
	.set _ZN7rocprim17ROCPRIM_400000_NS6detail17trampoline_kernelINS0_14default_configENS1_35adjacent_difference_config_selectorILb0EsEEZNS1_24adjacent_difference_implIS3_Lb0ELb0EPsS7_N6thrust23THRUST_200600_302600_NS5minusIsEEEE10hipError_tPvRmT2_T3_mT4_P12ihipStream_tbEUlT_E_NS1_11comp_targetILNS1_3genE8ELNS1_11target_archE1030ELNS1_3gpuE2ELNS1_3repE0EEENS1_30default_config_static_selectorELNS0_4arch9wavefront6targetE1EEEvT1_.num_named_barrier, 0
	.set _ZN7rocprim17ROCPRIM_400000_NS6detail17trampoline_kernelINS0_14default_configENS1_35adjacent_difference_config_selectorILb0EsEEZNS1_24adjacent_difference_implIS3_Lb0ELb0EPsS7_N6thrust23THRUST_200600_302600_NS5minusIsEEEE10hipError_tPvRmT2_T3_mT4_P12ihipStream_tbEUlT_E_NS1_11comp_targetILNS1_3genE8ELNS1_11target_archE1030ELNS1_3gpuE2ELNS1_3repE0EEENS1_30default_config_static_selectorELNS0_4arch9wavefront6targetE1EEEvT1_.private_seg_size, 0
	.set _ZN7rocprim17ROCPRIM_400000_NS6detail17trampoline_kernelINS0_14default_configENS1_35adjacent_difference_config_selectorILb0EsEEZNS1_24adjacent_difference_implIS3_Lb0ELb0EPsS7_N6thrust23THRUST_200600_302600_NS5minusIsEEEE10hipError_tPvRmT2_T3_mT4_P12ihipStream_tbEUlT_E_NS1_11comp_targetILNS1_3genE8ELNS1_11target_archE1030ELNS1_3gpuE2ELNS1_3repE0EEENS1_30default_config_static_selectorELNS0_4arch9wavefront6targetE1EEEvT1_.uses_vcc, 0
	.set _ZN7rocprim17ROCPRIM_400000_NS6detail17trampoline_kernelINS0_14default_configENS1_35adjacent_difference_config_selectorILb0EsEEZNS1_24adjacent_difference_implIS3_Lb0ELb0EPsS7_N6thrust23THRUST_200600_302600_NS5minusIsEEEE10hipError_tPvRmT2_T3_mT4_P12ihipStream_tbEUlT_E_NS1_11comp_targetILNS1_3genE8ELNS1_11target_archE1030ELNS1_3gpuE2ELNS1_3repE0EEENS1_30default_config_static_selectorELNS0_4arch9wavefront6targetE1EEEvT1_.uses_flat_scratch, 0
	.set _ZN7rocprim17ROCPRIM_400000_NS6detail17trampoline_kernelINS0_14default_configENS1_35adjacent_difference_config_selectorILb0EsEEZNS1_24adjacent_difference_implIS3_Lb0ELb0EPsS7_N6thrust23THRUST_200600_302600_NS5minusIsEEEE10hipError_tPvRmT2_T3_mT4_P12ihipStream_tbEUlT_E_NS1_11comp_targetILNS1_3genE8ELNS1_11target_archE1030ELNS1_3gpuE2ELNS1_3repE0EEENS1_30default_config_static_selectorELNS0_4arch9wavefront6targetE1EEEvT1_.has_dyn_sized_stack, 0
	.set _ZN7rocprim17ROCPRIM_400000_NS6detail17trampoline_kernelINS0_14default_configENS1_35adjacent_difference_config_selectorILb0EsEEZNS1_24adjacent_difference_implIS3_Lb0ELb0EPsS7_N6thrust23THRUST_200600_302600_NS5minusIsEEEE10hipError_tPvRmT2_T3_mT4_P12ihipStream_tbEUlT_E_NS1_11comp_targetILNS1_3genE8ELNS1_11target_archE1030ELNS1_3gpuE2ELNS1_3repE0EEENS1_30default_config_static_selectorELNS0_4arch9wavefront6targetE1EEEvT1_.has_recursion, 0
	.set _ZN7rocprim17ROCPRIM_400000_NS6detail17trampoline_kernelINS0_14default_configENS1_35adjacent_difference_config_selectorILb0EsEEZNS1_24adjacent_difference_implIS3_Lb0ELb0EPsS7_N6thrust23THRUST_200600_302600_NS5minusIsEEEE10hipError_tPvRmT2_T3_mT4_P12ihipStream_tbEUlT_E_NS1_11comp_targetILNS1_3genE8ELNS1_11target_archE1030ELNS1_3gpuE2ELNS1_3repE0EEENS1_30default_config_static_selectorELNS0_4arch9wavefront6targetE1EEEvT1_.has_indirect_call, 0
	.section	.AMDGPU.csdata,"",@progbits
; Kernel info:
; codeLenInByte = 0
; TotalNumSgprs: 4
; NumVgprs: 0
; ScratchSize: 0
; MemoryBound: 0
; FloatMode: 240
; IeeeMode: 1
; LDSByteSize: 0 bytes/workgroup (compile time only)
; SGPRBlocks: 0
; VGPRBlocks: 0
; NumSGPRsForWavesPerEU: 4
; NumVGPRsForWavesPerEU: 1
; Occupancy: 10
; WaveLimiterHint : 0
; COMPUTE_PGM_RSRC2:SCRATCH_EN: 0
; COMPUTE_PGM_RSRC2:USER_SGPR: 6
; COMPUTE_PGM_RSRC2:TRAP_HANDLER: 0
; COMPUTE_PGM_RSRC2:TGID_X_EN: 1
; COMPUTE_PGM_RSRC2:TGID_Y_EN: 0
; COMPUTE_PGM_RSRC2:TGID_Z_EN: 0
; COMPUTE_PGM_RSRC2:TIDIG_COMP_CNT: 0
	.section	.text._ZN7rocprim17ROCPRIM_400000_NS6detail17trampoline_kernelINS0_14default_configENS1_25transform_config_selectorIsLb0EEEZNS1_14transform_implILb0ES3_S5_NS0_18transform_iteratorINS0_17counting_iteratorImlEEZNS1_24adjacent_difference_implIS3_Lb1ELb0EPsSB_N6thrust23THRUST_200600_302600_NS5minusIsEEEE10hipError_tPvRmT2_T3_mT4_P12ihipStream_tbEUlmE_sEESB_NS0_8identityIvEEEESG_SJ_SK_mSL_SN_bEUlT_E_NS1_11comp_targetILNS1_3genE0ELNS1_11target_archE4294967295ELNS1_3gpuE0ELNS1_3repE0EEENS1_30default_config_static_selectorELNS0_4arch9wavefront6targetE1EEEvT1_,"axG",@progbits,_ZN7rocprim17ROCPRIM_400000_NS6detail17trampoline_kernelINS0_14default_configENS1_25transform_config_selectorIsLb0EEEZNS1_14transform_implILb0ES3_S5_NS0_18transform_iteratorINS0_17counting_iteratorImlEEZNS1_24adjacent_difference_implIS3_Lb1ELb0EPsSB_N6thrust23THRUST_200600_302600_NS5minusIsEEEE10hipError_tPvRmT2_T3_mT4_P12ihipStream_tbEUlmE_sEESB_NS0_8identityIvEEEESG_SJ_SK_mSL_SN_bEUlT_E_NS1_11comp_targetILNS1_3genE0ELNS1_11target_archE4294967295ELNS1_3gpuE0ELNS1_3repE0EEENS1_30default_config_static_selectorELNS0_4arch9wavefront6targetE1EEEvT1_,comdat
	.protected	_ZN7rocprim17ROCPRIM_400000_NS6detail17trampoline_kernelINS0_14default_configENS1_25transform_config_selectorIsLb0EEEZNS1_14transform_implILb0ES3_S5_NS0_18transform_iteratorINS0_17counting_iteratorImlEEZNS1_24adjacent_difference_implIS3_Lb1ELb0EPsSB_N6thrust23THRUST_200600_302600_NS5minusIsEEEE10hipError_tPvRmT2_T3_mT4_P12ihipStream_tbEUlmE_sEESB_NS0_8identityIvEEEESG_SJ_SK_mSL_SN_bEUlT_E_NS1_11comp_targetILNS1_3genE0ELNS1_11target_archE4294967295ELNS1_3gpuE0ELNS1_3repE0EEENS1_30default_config_static_selectorELNS0_4arch9wavefront6targetE1EEEvT1_ ; -- Begin function _ZN7rocprim17ROCPRIM_400000_NS6detail17trampoline_kernelINS0_14default_configENS1_25transform_config_selectorIsLb0EEEZNS1_14transform_implILb0ES3_S5_NS0_18transform_iteratorINS0_17counting_iteratorImlEEZNS1_24adjacent_difference_implIS3_Lb1ELb0EPsSB_N6thrust23THRUST_200600_302600_NS5minusIsEEEE10hipError_tPvRmT2_T3_mT4_P12ihipStream_tbEUlmE_sEESB_NS0_8identityIvEEEESG_SJ_SK_mSL_SN_bEUlT_E_NS1_11comp_targetILNS1_3genE0ELNS1_11target_archE4294967295ELNS1_3gpuE0ELNS1_3repE0EEENS1_30default_config_static_selectorELNS0_4arch9wavefront6targetE1EEEvT1_
	.globl	_ZN7rocprim17ROCPRIM_400000_NS6detail17trampoline_kernelINS0_14default_configENS1_25transform_config_selectorIsLb0EEEZNS1_14transform_implILb0ES3_S5_NS0_18transform_iteratorINS0_17counting_iteratorImlEEZNS1_24adjacent_difference_implIS3_Lb1ELb0EPsSB_N6thrust23THRUST_200600_302600_NS5minusIsEEEE10hipError_tPvRmT2_T3_mT4_P12ihipStream_tbEUlmE_sEESB_NS0_8identityIvEEEESG_SJ_SK_mSL_SN_bEUlT_E_NS1_11comp_targetILNS1_3genE0ELNS1_11target_archE4294967295ELNS1_3gpuE0ELNS1_3repE0EEENS1_30default_config_static_selectorELNS0_4arch9wavefront6targetE1EEEvT1_
	.p2align	8
	.type	_ZN7rocprim17ROCPRIM_400000_NS6detail17trampoline_kernelINS0_14default_configENS1_25transform_config_selectorIsLb0EEEZNS1_14transform_implILb0ES3_S5_NS0_18transform_iteratorINS0_17counting_iteratorImlEEZNS1_24adjacent_difference_implIS3_Lb1ELb0EPsSB_N6thrust23THRUST_200600_302600_NS5minusIsEEEE10hipError_tPvRmT2_T3_mT4_P12ihipStream_tbEUlmE_sEESB_NS0_8identityIvEEEESG_SJ_SK_mSL_SN_bEUlT_E_NS1_11comp_targetILNS1_3genE0ELNS1_11target_archE4294967295ELNS1_3gpuE0ELNS1_3repE0EEENS1_30default_config_static_selectorELNS0_4arch9wavefront6targetE1EEEvT1_,@function
_ZN7rocprim17ROCPRIM_400000_NS6detail17trampoline_kernelINS0_14default_configENS1_25transform_config_selectorIsLb0EEEZNS1_14transform_implILb0ES3_S5_NS0_18transform_iteratorINS0_17counting_iteratorImlEEZNS1_24adjacent_difference_implIS3_Lb1ELb0EPsSB_N6thrust23THRUST_200600_302600_NS5minusIsEEEE10hipError_tPvRmT2_T3_mT4_P12ihipStream_tbEUlmE_sEESB_NS0_8identityIvEEEESG_SJ_SK_mSL_SN_bEUlT_E_NS1_11comp_targetILNS1_3genE0ELNS1_11target_archE4294967295ELNS1_3gpuE0ELNS1_3repE0EEENS1_30default_config_static_selectorELNS0_4arch9wavefront6targetE1EEEvT1_: ; @_ZN7rocprim17ROCPRIM_400000_NS6detail17trampoline_kernelINS0_14default_configENS1_25transform_config_selectorIsLb0EEEZNS1_14transform_implILb0ES3_S5_NS0_18transform_iteratorINS0_17counting_iteratorImlEEZNS1_24adjacent_difference_implIS3_Lb1ELb0EPsSB_N6thrust23THRUST_200600_302600_NS5minusIsEEEE10hipError_tPvRmT2_T3_mT4_P12ihipStream_tbEUlmE_sEESB_NS0_8identityIvEEEESG_SJ_SK_mSL_SN_bEUlT_E_NS1_11comp_targetILNS1_3genE0ELNS1_11target_archE4294967295ELNS1_3gpuE0ELNS1_3repE0EEENS1_30default_config_static_selectorELNS0_4arch9wavefront6targetE1EEEvT1_
; %bb.0:
	.section	.rodata,"a",@progbits
	.p2align	6, 0x0
	.amdhsa_kernel _ZN7rocprim17ROCPRIM_400000_NS6detail17trampoline_kernelINS0_14default_configENS1_25transform_config_selectorIsLb0EEEZNS1_14transform_implILb0ES3_S5_NS0_18transform_iteratorINS0_17counting_iteratorImlEEZNS1_24adjacent_difference_implIS3_Lb1ELb0EPsSB_N6thrust23THRUST_200600_302600_NS5minusIsEEEE10hipError_tPvRmT2_T3_mT4_P12ihipStream_tbEUlmE_sEESB_NS0_8identityIvEEEESG_SJ_SK_mSL_SN_bEUlT_E_NS1_11comp_targetILNS1_3genE0ELNS1_11target_archE4294967295ELNS1_3gpuE0ELNS1_3repE0EEENS1_30default_config_static_selectorELNS0_4arch9wavefront6targetE1EEEvT1_
		.amdhsa_group_segment_fixed_size 0
		.amdhsa_private_segment_fixed_size 0
		.amdhsa_kernarg_size 56
		.amdhsa_user_sgpr_count 6
		.amdhsa_user_sgpr_private_segment_buffer 1
		.amdhsa_user_sgpr_dispatch_ptr 0
		.amdhsa_user_sgpr_queue_ptr 0
		.amdhsa_user_sgpr_kernarg_segment_ptr 1
		.amdhsa_user_sgpr_dispatch_id 0
		.amdhsa_user_sgpr_flat_scratch_init 0
		.amdhsa_user_sgpr_private_segment_size 0
		.amdhsa_uses_dynamic_stack 0
		.amdhsa_system_sgpr_private_segment_wavefront_offset 0
		.amdhsa_system_sgpr_workgroup_id_x 1
		.amdhsa_system_sgpr_workgroup_id_y 0
		.amdhsa_system_sgpr_workgroup_id_z 0
		.amdhsa_system_sgpr_workgroup_info 0
		.amdhsa_system_vgpr_workitem_id 0
		.amdhsa_next_free_vgpr 1
		.amdhsa_next_free_sgpr 0
		.amdhsa_reserve_vcc 0
		.amdhsa_reserve_flat_scratch 0
		.amdhsa_float_round_mode_32 0
		.amdhsa_float_round_mode_16_64 0
		.amdhsa_float_denorm_mode_32 3
		.amdhsa_float_denorm_mode_16_64 3
		.amdhsa_dx10_clamp 1
		.amdhsa_ieee_mode 1
		.amdhsa_fp16_overflow 0
		.amdhsa_exception_fp_ieee_invalid_op 0
		.amdhsa_exception_fp_denorm_src 0
		.amdhsa_exception_fp_ieee_div_zero 0
		.amdhsa_exception_fp_ieee_overflow 0
		.amdhsa_exception_fp_ieee_underflow 0
		.amdhsa_exception_fp_ieee_inexact 0
		.amdhsa_exception_int_div_zero 0
	.end_amdhsa_kernel
	.section	.text._ZN7rocprim17ROCPRIM_400000_NS6detail17trampoline_kernelINS0_14default_configENS1_25transform_config_selectorIsLb0EEEZNS1_14transform_implILb0ES3_S5_NS0_18transform_iteratorINS0_17counting_iteratorImlEEZNS1_24adjacent_difference_implIS3_Lb1ELb0EPsSB_N6thrust23THRUST_200600_302600_NS5minusIsEEEE10hipError_tPvRmT2_T3_mT4_P12ihipStream_tbEUlmE_sEESB_NS0_8identityIvEEEESG_SJ_SK_mSL_SN_bEUlT_E_NS1_11comp_targetILNS1_3genE0ELNS1_11target_archE4294967295ELNS1_3gpuE0ELNS1_3repE0EEENS1_30default_config_static_selectorELNS0_4arch9wavefront6targetE1EEEvT1_,"axG",@progbits,_ZN7rocprim17ROCPRIM_400000_NS6detail17trampoline_kernelINS0_14default_configENS1_25transform_config_selectorIsLb0EEEZNS1_14transform_implILb0ES3_S5_NS0_18transform_iteratorINS0_17counting_iteratorImlEEZNS1_24adjacent_difference_implIS3_Lb1ELb0EPsSB_N6thrust23THRUST_200600_302600_NS5minusIsEEEE10hipError_tPvRmT2_T3_mT4_P12ihipStream_tbEUlmE_sEESB_NS0_8identityIvEEEESG_SJ_SK_mSL_SN_bEUlT_E_NS1_11comp_targetILNS1_3genE0ELNS1_11target_archE4294967295ELNS1_3gpuE0ELNS1_3repE0EEENS1_30default_config_static_selectorELNS0_4arch9wavefront6targetE1EEEvT1_,comdat
.Lfunc_end366:
	.size	_ZN7rocprim17ROCPRIM_400000_NS6detail17trampoline_kernelINS0_14default_configENS1_25transform_config_selectorIsLb0EEEZNS1_14transform_implILb0ES3_S5_NS0_18transform_iteratorINS0_17counting_iteratorImlEEZNS1_24adjacent_difference_implIS3_Lb1ELb0EPsSB_N6thrust23THRUST_200600_302600_NS5minusIsEEEE10hipError_tPvRmT2_T3_mT4_P12ihipStream_tbEUlmE_sEESB_NS0_8identityIvEEEESG_SJ_SK_mSL_SN_bEUlT_E_NS1_11comp_targetILNS1_3genE0ELNS1_11target_archE4294967295ELNS1_3gpuE0ELNS1_3repE0EEENS1_30default_config_static_selectorELNS0_4arch9wavefront6targetE1EEEvT1_, .Lfunc_end366-_ZN7rocprim17ROCPRIM_400000_NS6detail17trampoline_kernelINS0_14default_configENS1_25transform_config_selectorIsLb0EEEZNS1_14transform_implILb0ES3_S5_NS0_18transform_iteratorINS0_17counting_iteratorImlEEZNS1_24adjacent_difference_implIS3_Lb1ELb0EPsSB_N6thrust23THRUST_200600_302600_NS5minusIsEEEE10hipError_tPvRmT2_T3_mT4_P12ihipStream_tbEUlmE_sEESB_NS0_8identityIvEEEESG_SJ_SK_mSL_SN_bEUlT_E_NS1_11comp_targetILNS1_3genE0ELNS1_11target_archE4294967295ELNS1_3gpuE0ELNS1_3repE0EEENS1_30default_config_static_selectorELNS0_4arch9wavefront6targetE1EEEvT1_
                                        ; -- End function
	.set _ZN7rocprim17ROCPRIM_400000_NS6detail17trampoline_kernelINS0_14default_configENS1_25transform_config_selectorIsLb0EEEZNS1_14transform_implILb0ES3_S5_NS0_18transform_iteratorINS0_17counting_iteratorImlEEZNS1_24adjacent_difference_implIS3_Lb1ELb0EPsSB_N6thrust23THRUST_200600_302600_NS5minusIsEEEE10hipError_tPvRmT2_T3_mT4_P12ihipStream_tbEUlmE_sEESB_NS0_8identityIvEEEESG_SJ_SK_mSL_SN_bEUlT_E_NS1_11comp_targetILNS1_3genE0ELNS1_11target_archE4294967295ELNS1_3gpuE0ELNS1_3repE0EEENS1_30default_config_static_selectorELNS0_4arch9wavefront6targetE1EEEvT1_.num_vgpr, 0
	.set _ZN7rocprim17ROCPRIM_400000_NS6detail17trampoline_kernelINS0_14default_configENS1_25transform_config_selectorIsLb0EEEZNS1_14transform_implILb0ES3_S5_NS0_18transform_iteratorINS0_17counting_iteratorImlEEZNS1_24adjacent_difference_implIS3_Lb1ELb0EPsSB_N6thrust23THRUST_200600_302600_NS5minusIsEEEE10hipError_tPvRmT2_T3_mT4_P12ihipStream_tbEUlmE_sEESB_NS0_8identityIvEEEESG_SJ_SK_mSL_SN_bEUlT_E_NS1_11comp_targetILNS1_3genE0ELNS1_11target_archE4294967295ELNS1_3gpuE0ELNS1_3repE0EEENS1_30default_config_static_selectorELNS0_4arch9wavefront6targetE1EEEvT1_.num_agpr, 0
	.set _ZN7rocprim17ROCPRIM_400000_NS6detail17trampoline_kernelINS0_14default_configENS1_25transform_config_selectorIsLb0EEEZNS1_14transform_implILb0ES3_S5_NS0_18transform_iteratorINS0_17counting_iteratorImlEEZNS1_24adjacent_difference_implIS3_Lb1ELb0EPsSB_N6thrust23THRUST_200600_302600_NS5minusIsEEEE10hipError_tPvRmT2_T3_mT4_P12ihipStream_tbEUlmE_sEESB_NS0_8identityIvEEEESG_SJ_SK_mSL_SN_bEUlT_E_NS1_11comp_targetILNS1_3genE0ELNS1_11target_archE4294967295ELNS1_3gpuE0ELNS1_3repE0EEENS1_30default_config_static_selectorELNS0_4arch9wavefront6targetE1EEEvT1_.numbered_sgpr, 0
	.set _ZN7rocprim17ROCPRIM_400000_NS6detail17trampoline_kernelINS0_14default_configENS1_25transform_config_selectorIsLb0EEEZNS1_14transform_implILb0ES3_S5_NS0_18transform_iteratorINS0_17counting_iteratorImlEEZNS1_24adjacent_difference_implIS3_Lb1ELb0EPsSB_N6thrust23THRUST_200600_302600_NS5minusIsEEEE10hipError_tPvRmT2_T3_mT4_P12ihipStream_tbEUlmE_sEESB_NS0_8identityIvEEEESG_SJ_SK_mSL_SN_bEUlT_E_NS1_11comp_targetILNS1_3genE0ELNS1_11target_archE4294967295ELNS1_3gpuE0ELNS1_3repE0EEENS1_30default_config_static_selectorELNS0_4arch9wavefront6targetE1EEEvT1_.num_named_barrier, 0
	.set _ZN7rocprim17ROCPRIM_400000_NS6detail17trampoline_kernelINS0_14default_configENS1_25transform_config_selectorIsLb0EEEZNS1_14transform_implILb0ES3_S5_NS0_18transform_iteratorINS0_17counting_iteratorImlEEZNS1_24adjacent_difference_implIS3_Lb1ELb0EPsSB_N6thrust23THRUST_200600_302600_NS5minusIsEEEE10hipError_tPvRmT2_T3_mT4_P12ihipStream_tbEUlmE_sEESB_NS0_8identityIvEEEESG_SJ_SK_mSL_SN_bEUlT_E_NS1_11comp_targetILNS1_3genE0ELNS1_11target_archE4294967295ELNS1_3gpuE0ELNS1_3repE0EEENS1_30default_config_static_selectorELNS0_4arch9wavefront6targetE1EEEvT1_.private_seg_size, 0
	.set _ZN7rocprim17ROCPRIM_400000_NS6detail17trampoline_kernelINS0_14default_configENS1_25transform_config_selectorIsLb0EEEZNS1_14transform_implILb0ES3_S5_NS0_18transform_iteratorINS0_17counting_iteratorImlEEZNS1_24adjacent_difference_implIS3_Lb1ELb0EPsSB_N6thrust23THRUST_200600_302600_NS5minusIsEEEE10hipError_tPvRmT2_T3_mT4_P12ihipStream_tbEUlmE_sEESB_NS0_8identityIvEEEESG_SJ_SK_mSL_SN_bEUlT_E_NS1_11comp_targetILNS1_3genE0ELNS1_11target_archE4294967295ELNS1_3gpuE0ELNS1_3repE0EEENS1_30default_config_static_selectorELNS0_4arch9wavefront6targetE1EEEvT1_.uses_vcc, 0
	.set _ZN7rocprim17ROCPRIM_400000_NS6detail17trampoline_kernelINS0_14default_configENS1_25transform_config_selectorIsLb0EEEZNS1_14transform_implILb0ES3_S5_NS0_18transform_iteratorINS0_17counting_iteratorImlEEZNS1_24adjacent_difference_implIS3_Lb1ELb0EPsSB_N6thrust23THRUST_200600_302600_NS5minusIsEEEE10hipError_tPvRmT2_T3_mT4_P12ihipStream_tbEUlmE_sEESB_NS0_8identityIvEEEESG_SJ_SK_mSL_SN_bEUlT_E_NS1_11comp_targetILNS1_3genE0ELNS1_11target_archE4294967295ELNS1_3gpuE0ELNS1_3repE0EEENS1_30default_config_static_selectorELNS0_4arch9wavefront6targetE1EEEvT1_.uses_flat_scratch, 0
	.set _ZN7rocprim17ROCPRIM_400000_NS6detail17trampoline_kernelINS0_14default_configENS1_25transform_config_selectorIsLb0EEEZNS1_14transform_implILb0ES3_S5_NS0_18transform_iteratorINS0_17counting_iteratorImlEEZNS1_24adjacent_difference_implIS3_Lb1ELb0EPsSB_N6thrust23THRUST_200600_302600_NS5minusIsEEEE10hipError_tPvRmT2_T3_mT4_P12ihipStream_tbEUlmE_sEESB_NS0_8identityIvEEEESG_SJ_SK_mSL_SN_bEUlT_E_NS1_11comp_targetILNS1_3genE0ELNS1_11target_archE4294967295ELNS1_3gpuE0ELNS1_3repE0EEENS1_30default_config_static_selectorELNS0_4arch9wavefront6targetE1EEEvT1_.has_dyn_sized_stack, 0
	.set _ZN7rocprim17ROCPRIM_400000_NS6detail17trampoline_kernelINS0_14default_configENS1_25transform_config_selectorIsLb0EEEZNS1_14transform_implILb0ES3_S5_NS0_18transform_iteratorINS0_17counting_iteratorImlEEZNS1_24adjacent_difference_implIS3_Lb1ELb0EPsSB_N6thrust23THRUST_200600_302600_NS5minusIsEEEE10hipError_tPvRmT2_T3_mT4_P12ihipStream_tbEUlmE_sEESB_NS0_8identityIvEEEESG_SJ_SK_mSL_SN_bEUlT_E_NS1_11comp_targetILNS1_3genE0ELNS1_11target_archE4294967295ELNS1_3gpuE0ELNS1_3repE0EEENS1_30default_config_static_selectorELNS0_4arch9wavefront6targetE1EEEvT1_.has_recursion, 0
	.set _ZN7rocprim17ROCPRIM_400000_NS6detail17trampoline_kernelINS0_14default_configENS1_25transform_config_selectorIsLb0EEEZNS1_14transform_implILb0ES3_S5_NS0_18transform_iteratorINS0_17counting_iteratorImlEEZNS1_24adjacent_difference_implIS3_Lb1ELb0EPsSB_N6thrust23THRUST_200600_302600_NS5minusIsEEEE10hipError_tPvRmT2_T3_mT4_P12ihipStream_tbEUlmE_sEESB_NS0_8identityIvEEEESG_SJ_SK_mSL_SN_bEUlT_E_NS1_11comp_targetILNS1_3genE0ELNS1_11target_archE4294967295ELNS1_3gpuE0ELNS1_3repE0EEENS1_30default_config_static_selectorELNS0_4arch9wavefront6targetE1EEEvT1_.has_indirect_call, 0
	.section	.AMDGPU.csdata,"",@progbits
; Kernel info:
; codeLenInByte = 0
; TotalNumSgprs: 4
; NumVgprs: 0
; ScratchSize: 0
; MemoryBound: 0
; FloatMode: 240
; IeeeMode: 1
; LDSByteSize: 0 bytes/workgroup (compile time only)
; SGPRBlocks: 0
; VGPRBlocks: 0
; NumSGPRsForWavesPerEU: 4
; NumVGPRsForWavesPerEU: 1
; Occupancy: 10
; WaveLimiterHint : 0
; COMPUTE_PGM_RSRC2:SCRATCH_EN: 0
; COMPUTE_PGM_RSRC2:USER_SGPR: 6
; COMPUTE_PGM_RSRC2:TRAP_HANDLER: 0
; COMPUTE_PGM_RSRC2:TGID_X_EN: 1
; COMPUTE_PGM_RSRC2:TGID_Y_EN: 0
; COMPUTE_PGM_RSRC2:TGID_Z_EN: 0
; COMPUTE_PGM_RSRC2:TIDIG_COMP_CNT: 0
	.section	.text._ZN7rocprim17ROCPRIM_400000_NS6detail17trampoline_kernelINS0_14default_configENS1_25transform_config_selectorIsLb0EEEZNS1_14transform_implILb0ES3_S5_NS0_18transform_iteratorINS0_17counting_iteratorImlEEZNS1_24adjacent_difference_implIS3_Lb1ELb0EPsSB_N6thrust23THRUST_200600_302600_NS5minusIsEEEE10hipError_tPvRmT2_T3_mT4_P12ihipStream_tbEUlmE_sEESB_NS0_8identityIvEEEESG_SJ_SK_mSL_SN_bEUlT_E_NS1_11comp_targetILNS1_3genE5ELNS1_11target_archE942ELNS1_3gpuE9ELNS1_3repE0EEENS1_30default_config_static_selectorELNS0_4arch9wavefront6targetE1EEEvT1_,"axG",@progbits,_ZN7rocprim17ROCPRIM_400000_NS6detail17trampoline_kernelINS0_14default_configENS1_25transform_config_selectorIsLb0EEEZNS1_14transform_implILb0ES3_S5_NS0_18transform_iteratorINS0_17counting_iteratorImlEEZNS1_24adjacent_difference_implIS3_Lb1ELb0EPsSB_N6thrust23THRUST_200600_302600_NS5minusIsEEEE10hipError_tPvRmT2_T3_mT4_P12ihipStream_tbEUlmE_sEESB_NS0_8identityIvEEEESG_SJ_SK_mSL_SN_bEUlT_E_NS1_11comp_targetILNS1_3genE5ELNS1_11target_archE942ELNS1_3gpuE9ELNS1_3repE0EEENS1_30default_config_static_selectorELNS0_4arch9wavefront6targetE1EEEvT1_,comdat
	.protected	_ZN7rocprim17ROCPRIM_400000_NS6detail17trampoline_kernelINS0_14default_configENS1_25transform_config_selectorIsLb0EEEZNS1_14transform_implILb0ES3_S5_NS0_18transform_iteratorINS0_17counting_iteratorImlEEZNS1_24adjacent_difference_implIS3_Lb1ELb0EPsSB_N6thrust23THRUST_200600_302600_NS5minusIsEEEE10hipError_tPvRmT2_T3_mT4_P12ihipStream_tbEUlmE_sEESB_NS0_8identityIvEEEESG_SJ_SK_mSL_SN_bEUlT_E_NS1_11comp_targetILNS1_3genE5ELNS1_11target_archE942ELNS1_3gpuE9ELNS1_3repE0EEENS1_30default_config_static_selectorELNS0_4arch9wavefront6targetE1EEEvT1_ ; -- Begin function _ZN7rocprim17ROCPRIM_400000_NS6detail17trampoline_kernelINS0_14default_configENS1_25transform_config_selectorIsLb0EEEZNS1_14transform_implILb0ES3_S5_NS0_18transform_iteratorINS0_17counting_iteratorImlEEZNS1_24adjacent_difference_implIS3_Lb1ELb0EPsSB_N6thrust23THRUST_200600_302600_NS5minusIsEEEE10hipError_tPvRmT2_T3_mT4_P12ihipStream_tbEUlmE_sEESB_NS0_8identityIvEEEESG_SJ_SK_mSL_SN_bEUlT_E_NS1_11comp_targetILNS1_3genE5ELNS1_11target_archE942ELNS1_3gpuE9ELNS1_3repE0EEENS1_30default_config_static_selectorELNS0_4arch9wavefront6targetE1EEEvT1_
	.globl	_ZN7rocprim17ROCPRIM_400000_NS6detail17trampoline_kernelINS0_14default_configENS1_25transform_config_selectorIsLb0EEEZNS1_14transform_implILb0ES3_S5_NS0_18transform_iteratorINS0_17counting_iteratorImlEEZNS1_24adjacent_difference_implIS3_Lb1ELb0EPsSB_N6thrust23THRUST_200600_302600_NS5minusIsEEEE10hipError_tPvRmT2_T3_mT4_P12ihipStream_tbEUlmE_sEESB_NS0_8identityIvEEEESG_SJ_SK_mSL_SN_bEUlT_E_NS1_11comp_targetILNS1_3genE5ELNS1_11target_archE942ELNS1_3gpuE9ELNS1_3repE0EEENS1_30default_config_static_selectorELNS0_4arch9wavefront6targetE1EEEvT1_
	.p2align	8
	.type	_ZN7rocprim17ROCPRIM_400000_NS6detail17trampoline_kernelINS0_14default_configENS1_25transform_config_selectorIsLb0EEEZNS1_14transform_implILb0ES3_S5_NS0_18transform_iteratorINS0_17counting_iteratorImlEEZNS1_24adjacent_difference_implIS3_Lb1ELb0EPsSB_N6thrust23THRUST_200600_302600_NS5minusIsEEEE10hipError_tPvRmT2_T3_mT4_P12ihipStream_tbEUlmE_sEESB_NS0_8identityIvEEEESG_SJ_SK_mSL_SN_bEUlT_E_NS1_11comp_targetILNS1_3genE5ELNS1_11target_archE942ELNS1_3gpuE9ELNS1_3repE0EEENS1_30default_config_static_selectorELNS0_4arch9wavefront6targetE1EEEvT1_,@function
_ZN7rocprim17ROCPRIM_400000_NS6detail17trampoline_kernelINS0_14default_configENS1_25transform_config_selectorIsLb0EEEZNS1_14transform_implILb0ES3_S5_NS0_18transform_iteratorINS0_17counting_iteratorImlEEZNS1_24adjacent_difference_implIS3_Lb1ELb0EPsSB_N6thrust23THRUST_200600_302600_NS5minusIsEEEE10hipError_tPvRmT2_T3_mT4_P12ihipStream_tbEUlmE_sEESB_NS0_8identityIvEEEESG_SJ_SK_mSL_SN_bEUlT_E_NS1_11comp_targetILNS1_3genE5ELNS1_11target_archE942ELNS1_3gpuE9ELNS1_3repE0EEENS1_30default_config_static_selectorELNS0_4arch9wavefront6targetE1EEEvT1_: ; @_ZN7rocprim17ROCPRIM_400000_NS6detail17trampoline_kernelINS0_14default_configENS1_25transform_config_selectorIsLb0EEEZNS1_14transform_implILb0ES3_S5_NS0_18transform_iteratorINS0_17counting_iteratorImlEEZNS1_24adjacent_difference_implIS3_Lb1ELb0EPsSB_N6thrust23THRUST_200600_302600_NS5minusIsEEEE10hipError_tPvRmT2_T3_mT4_P12ihipStream_tbEUlmE_sEESB_NS0_8identityIvEEEESG_SJ_SK_mSL_SN_bEUlT_E_NS1_11comp_targetILNS1_3genE5ELNS1_11target_archE942ELNS1_3gpuE9ELNS1_3repE0EEENS1_30default_config_static_selectorELNS0_4arch9wavefront6targetE1EEEvT1_
; %bb.0:
	.section	.rodata,"a",@progbits
	.p2align	6, 0x0
	.amdhsa_kernel _ZN7rocprim17ROCPRIM_400000_NS6detail17trampoline_kernelINS0_14default_configENS1_25transform_config_selectorIsLb0EEEZNS1_14transform_implILb0ES3_S5_NS0_18transform_iteratorINS0_17counting_iteratorImlEEZNS1_24adjacent_difference_implIS3_Lb1ELb0EPsSB_N6thrust23THRUST_200600_302600_NS5minusIsEEEE10hipError_tPvRmT2_T3_mT4_P12ihipStream_tbEUlmE_sEESB_NS0_8identityIvEEEESG_SJ_SK_mSL_SN_bEUlT_E_NS1_11comp_targetILNS1_3genE5ELNS1_11target_archE942ELNS1_3gpuE9ELNS1_3repE0EEENS1_30default_config_static_selectorELNS0_4arch9wavefront6targetE1EEEvT1_
		.amdhsa_group_segment_fixed_size 0
		.amdhsa_private_segment_fixed_size 0
		.amdhsa_kernarg_size 56
		.amdhsa_user_sgpr_count 6
		.amdhsa_user_sgpr_private_segment_buffer 1
		.amdhsa_user_sgpr_dispatch_ptr 0
		.amdhsa_user_sgpr_queue_ptr 0
		.amdhsa_user_sgpr_kernarg_segment_ptr 1
		.amdhsa_user_sgpr_dispatch_id 0
		.amdhsa_user_sgpr_flat_scratch_init 0
		.amdhsa_user_sgpr_private_segment_size 0
		.amdhsa_uses_dynamic_stack 0
		.amdhsa_system_sgpr_private_segment_wavefront_offset 0
		.amdhsa_system_sgpr_workgroup_id_x 1
		.amdhsa_system_sgpr_workgroup_id_y 0
		.amdhsa_system_sgpr_workgroup_id_z 0
		.amdhsa_system_sgpr_workgroup_info 0
		.amdhsa_system_vgpr_workitem_id 0
		.amdhsa_next_free_vgpr 1
		.amdhsa_next_free_sgpr 0
		.amdhsa_reserve_vcc 0
		.amdhsa_reserve_flat_scratch 0
		.amdhsa_float_round_mode_32 0
		.amdhsa_float_round_mode_16_64 0
		.amdhsa_float_denorm_mode_32 3
		.amdhsa_float_denorm_mode_16_64 3
		.amdhsa_dx10_clamp 1
		.amdhsa_ieee_mode 1
		.amdhsa_fp16_overflow 0
		.amdhsa_exception_fp_ieee_invalid_op 0
		.amdhsa_exception_fp_denorm_src 0
		.amdhsa_exception_fp_ieee_div_zero 0
		.amdhsa_exception_fp_ieee_overflow 0
		.amdhsa_exception_fp_ieee_underflow 0
		.amdhsa_exception_fp_ieee_inexact 0
		.amdhsa_exception_int_div_zero 0
	.end_amdhsa_kernel
	.section	.text._ZN7rocprim17ROCPRIM_400000_NS6detail17trampoline_kernelINS0_14default_configENS1_25transform_config_selectorIsLb0EEEZNS1_14transform_implILb0ES3_S5_NS0_18transform_iteratorINS0_17counting_iteratorImlEEZNS1_24adjacent_difference_implIS3_Lb1ELb0EPsSB_N6thrust23THRUST_200600_302600_NS5minusIsEEEE10hipError_tPvRmT2_T3_mT4_P12ihipStream_tbEUlmE_sEESB_NS0_8identityIvEEEESG_SJ_SK_mSL_SN_bEUlT_E_NS1_11comp_targetILNS1_3genE5ELNS1_11target_archE942ELNS1_3gpuE9ELNS1_3repE0EEENS1_30default_config_static_selectorELNS0_4arch9wavefront6targetE1EEEvT1_,"axG",@progbits,_ZN7rocprim17ROCPRIM_400000_NS6detail17trampoline_kernelINS0_14default_configENS1_25transform_config_selectorIsLb0EEEZNS1_14transform_implILb0ES3_S5_NS0_18transform_iteratorINS0_17counting_iteratorImlEEZNS1_24adjacent_difference_implIS3_Lb1ELb0EPsSB_N6thrust23THRUST_200600_302600_NS5minusIsEEEE10hipError_tPvRmT2_T3_mT4_P12ihipStream_tbEUlmE_sEESB_NS0_8identityIvEEEESG_SJ_SK_mSL_SN_bEUlT_E_NS1_11comp_targetILNS1_3genE5ELNS1_11target_archE942ELNS1_3gpuE9ELNS1_3repE0EEENS1_30default_config_static_selectorELNS0_4arch9wavefront6targetE1EEEvT1_,comdat
.Lfunc_end367:
	.size	_ZN7rocprim17ROCPRIM_400000_NS6detail17trampoline_kernelINS0_14default_configENS1_25transform_config_selectorIsLb0EEEZNS1_14transform_implILb0ES3_S5_NS0_18transform_iteratorINS0_17counting_iteratorImlEEZNS1_24adjacent_difference_implIS3_Lb1ELb0EPsSB_N6thrust23THRUST_200600_302600_NS5minusIsEEEE10hipError_tPvRmT2_T3_mT4_P12ihipStream_tbEUlmE_sEESB_NS0_8identityIvEEEESG_SJ_SK_mSL_SN_bEUlT_E_NS1_11comp_targetILNS1_3genE5ELNS1_11target_archE942ELNS1_3gpuE9ELNS1_3repE0EEENS1_30default_config_static_selectorELNS0_4arch9wavefront6targetE1EEEvT1_, .Lfunc_end367-_ZN7rocprim17ROCPRIM_400000_NS6detail17trampoline_kernelINS0_14default_configENS1_25transform_config_selectorIsLb0EEEZNS1_14transform_implILb0ES3_S5_NS0_18transform_iteratorINS0_17counting_iteratorImlEEZNS1_24adjacent_difference_implIS3_Lb1ELb0EPsSB_N6thrust23THRUST_200600_302600_NS5minusIsEEEE10hipError_tPvRmT2_T3_mT4_P12ihipStream_tbEUlmE_sEESB_NS0_8identityIvEEEESG_SJ_SK_mSL_SN_bEUlT_E_NS1_11comp_targetILNS1_3genE5ELNS1_11target_archE942ELNS1_3gpuE9ELNS1_3repE0EEENS1_30default_config_static_selectorELNS0_4arch9wavefront6targetE1EEEvT1_
                                        ; -- End function
	.set _ZN7rocprim17ROCPRIM_400000_NS6detail17trampoline_kernelINS0_14default_configENS1_25transform_config_selectorIsLb0EEEZNS1_14transform_implILb0ES3_S5_NS0_18transform_iteratorINS0_17counting_iteratorImlEEZNS1_24adjacent_difference_implIS3_Lb1ELb0EPsSB_N6thrust23THRUST_200600_302600_NS5minusIsEEEE10hipError_tPvRmT2_T3_mT4_P12ihipStream_tbEUlmE_sEESB_NS0_8identityIvEEEESG_SJ_SK_mSL_SN_bEUlT_E_NS1_11comp_targetILNS1_3genE5ELNS1_11target_archE942ELNS1_3gpuE9ELNS1_3repE0EEENS1_30default_config_static_selectorELNS0_4arch9wavefront6targetE1EEEvT1_.num_vgpr, 0
	.set _ZN7rocprim17ROCPRIM_400000_NS6detail17trampoline_kernelINS0_14default_configENS1_25transform_config_selectorIsLb0EEEZNS1_14transform_implILb0ES3_S5_NS0_18transform_iteratorINS0_17counting_iteratorImlEEZNS1_24adjacent_difference_implIS3_Lb1ELb0EPsSB_N6thrust23THRUST_200600_302600_NS5minusIsEEEE10hipError_tPvRmT2_T3_mT4_P12ihipStream_tbEUlmE_sEESB_NS0_8identityIvEEEESG_SJ_SK_mSL_SN_bEUlT_E_NS1_11comp_targetILNS1_3genE5ELNS1_11target_archE942ELNS1_3gpuE9ELNS1_3repE0EEENS1_30default_config_static_selectorELNS0_4arch9wavefront6targetE1EEEvT1_.num_agpr, 0
	.set _ZN7rocprim17ROCPRIM_400000_NS6detail17trampoline_kernelINS0_14default_configENS1_25transform_config_selectorIsLb0EEEZNS1_14transform_implILb0ES3_S5_NS0_18transform_iteratorINS0_17counting_iteratorImlEEZNS1_24adjacent_difference_implIS3_Lb1ELb0EPsSB_N6thrust23THRUST_200600_302600_NS5minusIsEEEE10hipError_tPvRmT2_T3_mT4_P12ihipStream_tbEUlmE_sEESB_NS0_8identityIvEEEESG_SJ_SK_mSL_SN_bEUlT_E_NS1_11comp_targetILNS1_3genE5ELNS1_11target_archE942ELNS1_3gpuE9ELNS1_3repE0EEENS1_30default_config_static_selectorELNS0_4arch9wavefront6targetE1EEEvT1_.numbered_sgpr, 0
	.set _ZN7rocprim17ROCPRIM_400000_NS6detail17trampoline_kernelINS0_14default_configENS1_25transform_config_selectorIsLb0EEEZNS1_14transform_implILb0ES3_S5_NS0_18transform_iteratorINS0_17counting_iteratorImlEEZNS1_24adjacent_difference_implIS3_Lb1ELb0EPsSB_N6thrust23THRUST_200600_302600_NS5minusIsEEEE10hipError_tPvRmT2_T3_mT4_P12ihipStream_tbEUlmE_sEESB_NS0_8identityIvEEEESG_SJ_SK_mSL_SN_bEUlT_E_NS1_11comp_targetILNS1_3genE5ELNS1_11target_archE942ELNS1_3gpuE9ELNS1_3repE0EEENS1_30default_config_static_selectorELNS0_4arch9wavefront6targetE1EEEvT1_.num_named_barrier, 0
	.set _ZN7rocprim17ROCPRIM_400000_NS6detail17trampoline_kernelINS0_14default_configENS1_25transform_config_selectorIsLb0EEEZNS1_14transform_implILb0ES3_S5_NS0_18transform_iteratorINS0_17counting_iteratorImlEEZNS1_24adjacent_difference_implIS3_Lb1ELb0EPsSB_N6thrust23THRUST_200600_302600_NS5minusIsEEEE10hipError_tPvRmT2_T3_mT4_P12ihipStream_tbEUlmE_sEESB_NS0_8identityIvEEEESG_SJ_SK_mSL_SN_bEUlT_E_NS1_11comp_targetILNS1_3genE5ELNS1_11target_archE942ELNS1_3gpuE9ELNS1_3repE0EEENS1_30default_config_static_selectorELNS0_4arch9wavefront6targetE1EEEvT1_.private_seg_size, 0
	.set _ZN7rocprim17ROCPRIM_400000_NS6detail17trampoline_kernelINS0_14default_configENS1_25transform_config_selectorIsLb0EEEZNS1_14transform_implILb0ES3_S5_NS0_18transform_iteratorINS0_17counting_iteratorImlEEZNS1_24adjacent_difference_implIS3_Lb1ELb0EPsSB_N6thrust23THRUST_200600_302600_NS5minusIsEEEE10hipError_tPvRmT2_T3_mT4_P12ihipStream_tbEUlmE_sEESB_NS0_8identityIvEEEESG_SJ_SK_mSL_SN_bEUlT_E_NS1_11comp_targetILNS1_3genE5ELNS1_11target_archE942ELNS1_3gpuE9ELNS1_3repE0EEENS1_30default_config_static_selectorELNS0_4arch9wavefront6targetE1EEEvT1_.uses_vcc, 0
	.set _ZN7rocprim17ROCPRIM_400000_NS6detail17trampoline_kernelINS0_14default_configENS1_25transform_config_selectorIsLb0EEEZNS1_14transform_implILb0ES3_S5_NS0_18transform_iteratorINS0_17counting_iteratorImlEEZNS1_24adjacent_difference_implIS3_Lb1ELb0EPsSB_N6thrust23THRUST_200600_302600_NS5minusIsEEEE10hipError_tPvRmT2_T3_mT4_P12ihipStream_tbEUlmE_sEESB_NS0_8identityIvEEEESG_SJ_SK_mSL_SN_bEUlT_E_NS1_11comp_targetILNS1_3genE5ELNS1_11target_archE942ELNS1_3gpuE9ELNS1_3repE0EEENS1_30default_config_static_selectorELNS0_4arch9wavefront6targetE1EEEvT1_.uses_flat_scratch, 0
	.set _ZN7rocprim17ROCPRIM_400000_NS6detail17trampoline_kernelINS0_14default_configENS1_25transform_config_selectorIsLb0EEEZNS1_14transform_implILb0ES3_S5_NS0_18transform_iteratorINS0_17counting_iteratorImlEEZNS1_24adjacent_difference_implIS3_Lb1ELb0EPsSB_N6thrust23THRUST_200600_302600_NS5minusIsEEEE10hipError_tPvRmT2_T3_mT4_P12ihipStream_tbEUlmE_sEESB_NS0_8identityIvEEEESG_SJ_SK_mSL_SN_bEUlT_E_NS1_11comp_targetILNS1_3genE5ELNS1_11target_archE942ELNS1_3gpuE9ELNS1_3repE0EEENS1_30default_config_static_selectorELNS0_4arch9wavefront6targetE1EEEvT1_.has_dyn_sized_stack, 0
	.set _ZN7rocprim17ROCPRIM_400000_NS6detail17trampoline_kernelINS0_14default_configENS1_25transform_config_selectorIsLb0EEEZNS1_14transform_implILb0ES3_S5_NS0_18transform_iteratorINS0_17counting_iteratorImlEEZNS1_24adjacent_difference_implIS3_Lb1ELb0EPsSB_N6thrust23THRUST_200600_302600_NS5minusIsEEEE10hipError_tPvRmT2_T3_mT4_P12ihipStream_tbEUlmE_sEESB_NS0_8identityIvEEEESG_SJ_SK_mSL_SN_bEUlT_E_NS1_11comp_targetILNS1_3genE5ELNS1_11target_archE942ELNS1_3gpuE9ELNS1_3repE0EEENS1_30default_config_static_selectorELNS0_4arch9wavefront6targetE1EEEvT1_.has_recursion, 0
	.set _ZN7rocprim17ROCPRIM_400000_NS6detail17trampoline_kernelINS0_14default_configENS1_25transform_config_selectorIsLb0EEEZNS1_14transform_implILb0ES3_S5_NS0_18transform_iteratorINS0_17counting_iteratorImlEEZNS1_24adjacent_difference_implIS3_Lb1ELb0EPsSB_N6thrust23THRUST_200600_302600_NS5minusIsEEEE10hipError_tPvRmT2_T3_mT4_P12ihipStream_tbEUlmE_sEESB_NS0_8identityIvEEEESG_SJ_SK_mSL_SN_bEUlT_E_NS1_11comp_targetILNS1_3genE5ELNS1_11target_archE942ELNS1_3gpuE9ELNS1_3repE0EEENS1_30default_config_static_selectorELNS0_4arch9wavefront6targetE1EEEvT1_.has_indirect_call, 0
	.section	.AMDGPU.csdata,"",@progbits
; Kernel info:
; codeLenInByte = 0
; TotalNumSgprs: 4
; NumVgprs: 0
; ScratchSize: 0
; MemoryBound: 0
; FloatMode: 240
; IeeeMode: 1
; LDSByteSize: 0 bytes/workgroup (compile time only)
; SGPRBlocks: 0
; VGPRBlocks: 0
; NumSGPRsForWavesPerEU: 4
; NumVGPRsForWavesPerEU: 1
; Occupancy: 10
; WaveLimiterHint : 0
; COMPUTE_PGM_RSRC2:SCRATCH_EN: 0
; COMPUTE_PGM_RSRC2:USER_SGPR: 6
; COMPUTE_PGM_RSRC2:TRAP_HANDLER: 0
; COMPUTE_PGM_RSRC2:TGID_X_EN: 1
; COMPUTE_PGM_RSRC2:TGID_Y_EN: 0
; COMPUTE_PGM_RSRC2:TGID_Z_EN: 0
; COMPUTE_PGM_RSRC2:TIDIG_COMP_CNT: 0
	.section	.text._ZN7rocprim17ROCPRIM_400000_NS6detail17trampoline_kernelINS0_14default_configENS1_25transform_config_selectorIsLb0EEEZNS1_14transform_implILb0ES3_S5_NS0_18transform_iteratorINS0_17counting_iteratorImlEEZNS1_24adjacent_difference_implIS3_Lb1ELb0EPsSB_N6thrust23THRUST_200600_302600_NS5minusIsEEEE10hipError_tPvRmT2_T3_mT4_P12ihipStream_tbEUlmE_sEESB_NS0_8identityIvEEEESG_SJ_SK_mSL_SN_bEUlT_E_NS1_11comp_targetILNS1_3genE4ELNS1_11target_archE910ELNS1_3gpuE8ELNS1_3repE0EEENS1_30default_config_static_selectorELNS0_4arch9wavefront6targetE1EEEvT1_,"axG",@progbits,_ZN7rocprim17ROCPRIM_400000_NS6detail17trampoline_kernelINS0_14default_configENS1_25transform_config_selectorIsLb0EEEZNS1_14transform_implILb0ES3_S5_NS0_18transform_iteratorINS0_17counting_iteratorImlEEZNS1_24adjacent_difference_implIS3_Lb1ELb0EPsSB_N6thrust23THRUST_200600_302600_NS5minusIsEEEE10hipError_tPvRmT2_T3_mT4_P12ihipStream_tbEUlmE_sEESB_NS0_8identityIvEEEESG_SJ_SK_mSL_SN_bEUlT_E_NS1_11comp_targetILNS1_3genE4ELNS1_11target_archE910ELNS1_3gpuE8ELNS1_3repE0EEENS1_30default_config_static_selectorELNS0_4arch9wavefront6targetE1EEEvT1_,comdat
	.protected	_ZN7rocprim17ROCPRIM_400000_NS6detail17trampoline_kernelINS0_14default_configENS1_25transform_config_selectorIsLb0EEEZNS1_14transform_implILb0ES3_S5_NS0_18transform_iteratorINS0_17counting_iteratorImlEEZNS1_24adjacent_difference_implIS3_Lb1ELb0EPsSB_N6thrust23THRUST_200600_302600_NS5minusIsEEEE10hipError_tPvRmT2_T3_mT4_P12ihipStream_tbEUlmE_sEESB_NS0_8identityIvEEEESG_SJ_SK_mSL_SN_bEUlT_E_NS1_11comp_targetILNS1_3genE4ELNS1_11target_archE910ELNS1_3gpuE8ELNS1_3repE0EEENS1_30default_config_static_selectorELNS0_4arch9wavefront6targetE1EEEvT1_ ; -- Begin function _ZN7rocprim17ROCPRIM_400000_NS6detail17trampoline_kernelINS0_14default_configENS1_25transform_config_selectorIsLb0EEEZNS1_14transform_implILb0ES3_S5_NS0_18transform_iteratorINS0_17counting_iteratorImlEEZNS1_24adjacent_difference_implIS3_Lb1ELb0EPsSB_N6thrust23THRUST_200600_302600_NS5minusIsEEEE10hipError_tPvRmT2_T3_mT4_P12ihipStream_tbEUlmE_sEESB_NS0_8identityIvEEEESG_SJ_SK_mSL_SN_bEUlT_E_NS1_11comp_targetILNS1_3genE4ELNS1_11target_archE910ELNS1_3gpuE8ELNS1_3repE0EEENS1_30default_config_static_selectorELNS0_4arch9wavefront6targetE1EEEvT1_
	.globl	_ZN7rocprim17ROCPRIM_400000_NS6detail17trampoline_kernelINS0_14default_configENS1_25transform_config_selectorIsLb0EEEZNS1_14transform_implILb0ES3_S5_NS0_18transform_iteratorINS0_17counting_iteratorImlEEZNS1_24adjacent_difference_implIS3_Lb1ELb0EPsSB_N6thrust23THRUST_200600_302600_NS5minusIsEEEE10hipError_tPvRmT2_T3_mT4_P12ihipStream_tbEUlmE_sEESB_NS0_8identityIvEEEESG_SJ_SK_mSL_SN_bEUlT_E_NS1_11comp_targetILNS1_3genE4ELNS1_11target_archE910ELNS1_3gpuE8ELNS1_3repE0EEENS1_30default_config_static_selectorELNS0_4arch9wavefront6targetE1EEEvT1_
	.p2align	8
	.type	_ZN7rocprim17ROCPRIM_400000_NS6detail17trampoline_kernelINS0_14default_configENS1_25transform_config_selectorIsLb0EEEZNS1_14transform_implILb0ES3_S5_NS0_18transform_iteratorINS0_17counting_iteratorImlEEZNS1_24adjacent_difference_implIS3_Lb1ELb0EPsSB_N6thrust23THRUST_200600_302600_NS5minusIsEEEE10hipError_tPvRmT2_T3_mT4_P12ihipStream_tbEUlmE_sEESB_NS0_8identityIvEEEESG_SJ_SK_mSL_SN_bEUlT_E_NS1_11comp_targetILNS1_3genE4ELNS1_11target_archE910ELNS1_3gpuE8ELNS1_3repE0EEENS1_30default_config_static_selectorELNS0_4arch9wavefront6targetE1EEEvT1_,@function
_ZN7rocprim17ROCPRIM_400000_NS6detail17trampoline_kernelINS0_14default_configENS1_25transform_config_selectorIsLb0EEEZNS1_14transform_implILb0ES3_S5_NS0_18transform_iteratorINS0_17counting_iteratorImlEEZNS1_24adjacent_difference_implIS3_Lb1ELb0EPsSB_N6thrust23THRUST_200600_302600_NS5minusIsEEEE10hipError_tPvRmT2_T3_mT4_P12ihipStream_tbEUlmE_sEESB_NS0_8identityIvEEEESG_SJ_SK_mSL_SN_bEUlT_E_NS1_11comp_targetILNS1_3genE4ELNS1_11target_archE910ELNS1_3gpuE8ELNS1_3repE0EEENS1_30default_config_static_selectorELNS0_4arch9wavefront6targetE1EEEvT1_: ; @_ZN7rocprim17ROCPRIM_400000_NS6detail17trampoline_kernelINS0_14default_configENS1_25transform_config_selectorIsLb0EEEZNS1_14transform_implILb0ES3_S5_NS0_18transform_iteratorINS0_17counting_iteratorImlEEZNS1_24adjacent_difference_implIS3_Lb1ELb0EPsSB_N6thrust23THRUST_200600_302600_NS5minusIsEEEE10hipError_tPvRmT2_T3_mT4_P12ihipStream_tbEUlmE_sEESB_NS0_8identityIvEEEESG_SJ_SK_mSL_SN_bEUlT_E_NS1_11comp_targetILNS1_3genE4ELNS1_11target_archE910ELNS1_3gpuE8ELNS1_3repE0EEENS1_30default_config_static_selectorELNS0_4arch9wavefront6targetE1EEEvT1_
; %bb.0:
	.section	.rodata,"a",@progbits
	.p2align	6, 0x0
	.amdhsa_kernel _ZN7rocprim17ROCPRIM_400000_NS6detail17trampoline_kernelINS0_14default_configENS1_25transform_config_selectorIsLb0EEEZNS1_14transform_implILb0ES3_S5_NS0_18transform_iteratorINS0_17counting_iteratorImlEEZNS1_24adjacent_difference_implIS3_Lb1ELb0EPsSB_N6thrust23THRUST_200600_302600_NS5minusIsEEEE10hipError_tPvRmT2_T3_mT4_P12ihipStream_tbEUlmE_sEESB_NS0_8identityIvEEEESG_SJ_SK_mSL_SN_bEUlT_E_NS1_11comp_targetILNS1_3genE4ELNS1_11target_archE910ELNS1_3gpuE8ELNS1_3repE0EEENS1_30default_config_static_selectorELNS0_4arch9wavefront6targetE1EEEvT1_
		.amdhsa_group_segment_fixed_size 0
		.amdhsa_private_segment_fixed_size 0
		.amdhsa_kernarg_size 56
		.amdhsa_user_sgpr_count 6
		.amdhsa_user_sgpr_private_segment_buffer 1
		.amdhsa_user_sgpr_dispatch_ptr 0
		.amdhsa_user_sgpr_queue_ptr 0
		.amdhsa_user_sgpr_kernarg_segment_ptr 1
		.amdhsa_user_sgpr_dispatch_id 0
		.amdhsa_user_sgpr_flat_scratch_init 0
		.amdhsa_user_sgpr_private_segment_size 0
		.amdhsa_uses_dynamic_stack 0
		.amdhsa_system_sgpr_private_segment_wavefront_offset 0
		.amdhsa_system_sgpr_workgroup_id_x 1
		.amdhsa_system_sgpr_workgroup_id_y 0
		.amdhsa_system_sgpr_workgroup_id_z 0
		.amdhsa_system_sgpr_workgroup_info 0
		.amdhsa_system_vgpr_workitem_id 0
		.amdhsa_next_free_vgpr 1
		.amdhsa_next_free_sgpr 0
		.amdhsa_reserve_vcc 0
		.amdhsa_reserve_flat_scratch 0
		.amdhsa_float_round_mode_32 0
		.amdhsa_float_round_mode_16_64 0
		.amdhsa_float_denorm_mode_32 3
		.amdhsa_float_denorm_mode_16_64 3
		.amdhsa_dx10_clamp 1
		.amdhsa_ieee_mode 1
		.amdhsa_fp16_overflow 0
		.amdhsa_exception_fp_ieee_invalid_op 0
		.amdhsa_exception_fp_denorm_src 0
		.amdhsa_exception_fp_ieee_div_zero 0
		.amdhsa_exception_fp_ieee_overflow 0
		.amdhsa_exception_fp_ieee_underflow 0
		.amdhsa_exception_fp_ieee_inexact 0
		.amdhsa_exception_int_div_zero 0
	.end_amdhsa_kernel
	.section	.text._ZN7rocprim17ROCPRIM_400000_NS6detail17trampoline_kernelINS0_14default_configENS1_25transform_config_selectorIsLb0EEEZNS1_14transform_implILb0ES3_S5_NS0_18transform_iteratorINS0_17counting_iteratorImlEEZNS1_24adjacent_difference_implIS3_Lb1ELb0EPsSB_N6thrust23THRUST_200600_302600_NS5minusIsEEEE10hipError_tPvRmT2_T3_mT4_P12ihipStream_tbEUlmE_sEESB_NS0_8identityIvEEEESG_SJ_SK_mSL_SN_bEUlT_E_NS1_11comp_targetILNS1_3genE4ELNS1_11target_archE910ELNS1_3gpuE8ELNS1_3repE0EEENS1_30default_config_static_selectorELNS0_4arch9wavefront6targetE1EEEvT1_,"axG",@progbits,_ZN7rocprim17ROCPRIM_400000_NS6detail17trampoline_kernelINS0_14default_configENS1_25transform_config_selectorIsLb0EEEZNS1_14transform_implILb0ES3_S5_NS0_18transform_iteratorINS0_17counting_iteratorImlEEZNS1_24adjacent_difference_implIS3_Lb1ELb0EPsSB_N6thrust23THRUST_200600_302600_NS5minusIsEEEE10hipError_tPvRmT2_T3_mT4_P12ihipStream_tbEUlmE_sEESB_NS0_8identityIvEEEESG_SJ_SK_mSL_SN_bEUlT_E_NS1_11comp_targetILNS1_3genE4ELNS1_11target_archE910ELNS1_3gpuE8ELNS1_3repE0EEENS1_30default_config_static_selectorELNS0_4arch9wavefront6targetE1EEEvT1_,comdat
.Lfunc_end368:
	.size	_ZN7rocprim17ROCPRIM_400000_NS6detail17trampoline_kernelINS0_14default_configENS1_25transform_config_selectorIsLb0EEEZNS1_14transform_implILb0ES3_S5_NS0_18transform_iteratorINS0_17counting_iteratorImlEEZNS1_24adjacent_difference_implIS3_Lb1ELb0EPsSB_N6thrust23THRUST_200600_302600_NS5minusIsEEEE10hipError_tPvRmT2_T3_mT4_P12ihipStream_tbEUlmE_sEESB_NS0_8identityIvEEEESG_SJ_SK_mSL_SN_bEUlT_E_NS1_11comp_targetILNS1_3genE4ELNS1_11target_archE910ELNS1_3gpuE8ELNS1_3repE0EEENS1_30default_config_static_selectorELNS0_4arch9wavefront6targetE1EEEvT1_, .Lfunc_end368-_ZN7rocprim17ROCPRIM_400000_NS6detail17trampoline_kernelINS0_14default_configENS1_25transform_config_selectorIsLb0EEEZNS1_14transform_implILb0ES3_S5_NS0_18transform_iteratorINS0_17counting_iteratorImlEEZNS1_24adjacent_difference_implIS3_Lb1ELb0EPsSB_N6thrust23THRUST_200600_302600_NS5minusIsEEEE10hipError_tPvRmT2_T3_mT4_P12ihipStream_tbEUlmE_sEESB_NS0_8identityIvEEEESG_SJ_SK_mSL_SN_bEUlT_E_NS1_11comp_targetILNS1_3genE4ELNS1_11target_archE910ELNS1_3gpuE8ELNS1_3repE0EEENS1_30default_config_static_selectorELNS0_4arch9wavefront6targetE1EEEvT1_
                                        ; -- End function
	.set _ZN7rocprim17ROCPRIM_400000_NS6detail17trampoline_kernelINS0_14default_configENS1_25transform_config_selectorIsLb0EEEZNS1_14transform_implILb0ES3_S5_NS0_18transform_iteratorINS0_17counting_iteratorImlEEZNS1_24adjacent_difference_implIS3_Lb1ELb0EPsSB_N6thrust23THRUST_200600_302600_NS5minusIsEEEE10hipError_tPvRmT2_T3_mT4_P12ihipStream_tbEUlmE_sEESB_NS0_8identityIvEEEESG_SJ_SK_mSL_SN_bEUlT_E_NS1_11comp_targetILNS1_3genE4ELNS1_11target_archE910ELNS1_3gpuE8ELNS1_3repE0EEENS1_30default_config_static_selectorELNS0_4arch9wavefront6targetE1EEEvT1_.num_vgpr, 0
	.set _ZN7rocprim17ROCPRIM_400000_NS6detail17trampoline_kernelINS0_14default_configENS1_25transform_config_selectorIsLb0EEEZNS1_14transform_implILb0ES3_S5_NS0_18transform_iteratorINS0_17counting_iteratorImlEEZNS1_24adjacent_difference_implIS3_Lb1ELb0EPsSB_N6thrust23THRUST_200600_302600_NS5minusIsEEEE10hipError_tPvRmT2_T3_mT4_P12ihipStream_tbEUlmE_sEESB_NS0_8identityIvEEEESG_SJ_SK_mSL_SN_bEUlT_E_NS1_11comp_targetILNS1_3genE4ELNS1_11target_archE910ELNS1_3gpuE8ELNS1_3repE0EEENS1_30default_config_static_selectorELNS0_4arch9wavefront6targetE1EEEvT1_.num_agpr, 0
	.set _ZN7rocprim17ROCPRIM_400000_NS6detail17trampoline_kernelINS0_14default_configENS1_25transform_config_selectorIsLb0EEEZNS1_14transform_implILb0ES3_S5_NS0_18transform_iteratorINS0_17counting_iteratorImlEEZNS1_24adjacent_difference_implIS3_Lb1ELb0EPsSB_N6thrust23THRUST_200600_302600_NS5minusIsEEEE10hipError_tPvRmT2_T3_mT4_P12ihipStream_tbEUlmE_sEESB_NS0_8identityIvEEEESG_SJ_SK_mSL_SN_bEUlT_E_NS1_11comp_targetILNS1_3genE4ELNS1_11target_archE910ELNS1_3gpuE8ELNS1_3repE0EEENS1_30default_config_static_selectorELNS0_4arch9wavefront6targetE1EEEvT1_.numbered_sgpr, 0
	.set _ZN7rocprim17ROCPRIM_400000_NS6detail17trampoline_kernelINS0_14default_configENS1_25transform_config_selectorIsLb0EEEZNS1_14transform_implILb0ES3_S5_NS0_18transform_iteratorINS0_17counting_iteratorImlEEZNS1_24adjacent_difference_implIS3_Lb1ELb0EPsSB_N6thrust23THRUST_200600_302600_NS5minusIsEEEE10hipError_tPvRmT2_T3_mT4_P12ihipStream_tbEUlmE_sEESB_NS0_8identityIvEEEESG_SJ_SK_mSL_SN_bEUlT_E_NS1_11comp_targetILNS1_3genE4ELNS1_11target_archE910ELNS1_3gpuE8ELNS1_3repE0EEENS1_30default_config_static_selectorELNS0_4arch9wavefront6targetE1EEEvT1_.num_named_barrier, 0
	.set _ZN7rocprim17ROCPRIM_400000_NS6detail17trampoline_kernelINS0_14default_configENS1_25transform_config_selectorIsLb0EEEZNS1_14transform_implILb0ES3_S5_NS0_18transform_iteratorINS0_17counting_iteratorImlEEZNS1_24adjacent_difference_implIS3_Lb1ELb0EPsSB_N6thrust23THRUST_200600_302600_NS5minusIsEEEE10hipError_tPvRmT2_T3_mT4_P12ihipStream_tbEUlmE_sEESB_NS0_8identityIvEEEESG_SJ_SK_mSL_SN_bEUlT_E_NS1_11comp_targetILNS1_3genE4ELNS1_11target_archE910ELNS1_3gpuE8ELNS1_3repE0EEENS1_30default_config_static_selectorELNS0_4arch9wavefront6targetE1EEEvT1_.private_seg_size, 0
	.set _ZN7rocprim17ROCPRIM_400000_NS6detail17trampoline_kernelINS0_14default_configENS1_25transform_config_selectorIsLb0EEEZNS1_14transform_implILb0ES3_S5_NS0_18transform_iteratorINS0_17counting_iteratorImlEEZNS1_24adjacent_difference_implIS3_Lb1ELb0EPsSB_N6thrust23THRUST_200600_302600_NS5minusIsEEEE10hipError_tPvRmT2_T3_mT4_P12ihipStream_tbEUlmE_sEESB_NS0_8identityIvEEEESG_SJ_SK_mSL_SN_bEUlT_E_NS1_11comp_targetILNS1_3genE4ELNS1_11target_archE910ELNS1_3gpuE8ELNS1_3repE0EEENS1_30default_config_static_selectorELNS0_4arch9wavefront6targetE1EEEvT1_.uses_vcc, 0
	.set _ZN7rocprim17ROCPRIM_400000_NS6detail17trampoline_kernelINS0_14default_configENS1_25transform_config_selectorIsLb0EEEZNS1_14transform_implILb0ES3_S5_NS0_18transform_iteratorINS0_17counting_iteratorImlEEZNS1_24adjacent_difference_implIS3_Lb1ELb0EPsSB_N6thrust23THRUST_200600_302600_NS5minusIsEEEE10hipError_tPvRmT2_T3_mT4_P12ihipStream_tbEUlmE_sEESB_NS0_8identityIvEEEESG_SJ_SK_mSL_SN_bEUlT_E_NS1_11comp_targetILNS1_3genE4ELNS1_11target_archE910ELNS1_3gpuE8ELNS1_3repE0EEENS1_30default_config_static_selectorELNS0_4arch9wavefront6targetE1EEEvT1_.uses_flat_scratch, 0
	.set _ZN7rocprim17ROCPRIM_400000_NS6detail17trampoline_kernelINS0_14default_configENS1_25transform_config_selectorIsLb0EEEZNS1_14transform_implILb0ES3_S5_NS0_18transform_iteratorINS0_17counting_iteratorImlEEZNS1_24adjacent_difference_implIS3_Lb1ELb0EPsSB_N6thrust23THRUST_200600_302600_NS5minusIsEEEE10hipError_tPvRmT2_T3_mT4_P12ihipStream_tbEUlmE_sEESB_NS0_8identityIvEEEESG_SJ_SK_mSL_SN_bEUlT_E_NS1_11comp_targetILNS1_3genE4ELNS1_11target_archE910ELNS1_3gpuE8ELNS1_3repE0EEENS1_30default_config_static_selectorELNS0_4arch9wavefront6targetE1EEEvT1_.has_dyn_sized_stack, 0
	.set _ZN7rocprim17ROCPRIM_400000_NS6detail17trampoline_kernelINS0_14default_configENS1_25transform_config_selectorIsLb0EEEZNS1_14transform_implILb0ES3_S5_NS0_18transform_iteratorINS0_17counting_iteratorImlEEZNS1_24adjacent_difference_implIS3_Lb1ELb0EPsSB_N6thrust23THRUST_200600_302600_NS5minusIsEEEE10hipError_tPvRmT2_T3_mT4_P12ihipStream_tbEUlmE_sEESB_NS0_8identityIvEEEESG_SJ_SK_mSL_SN_bEUlT_E_NS1_11comp_targetILNS1_3genE4ELNS1_11target_archE910ELNS1_3gpuE8ELNS1_3repE0EEENS1_30default_config_static_selectorELNS0_4arch9wavefront6targetE1EEEvT1_.has_recursion, 0
	.set _ZN7rocprim17ROCPRIM_400000_NS6detail17trampoline_kernelINS0_14default_configENS1_25transform_config_selectorIsLb0EEEZNS1_14transform_implILb0ES3_S5_NS0_18transform_iteratorINS0_17counting_iteratorImlEEZNS1_24adjacent_difference_implIS3_Lb1ELb0EPsSB_N6thrust23THRUST_200600_302600_NS5minusIsEEEE10hipError_tPvRmT2_T3_mT4_P12ihipStream_tbEUlmE_sEESB_NS0_8identityIvEEEESG_SJ_SK_mSL_SN_bEUlT_E_NS1_11comp_targetILNS1_3genE4ELNS1_11target_archE910ELNS1_3gpuE8ELNS1_3repE0EEENS1_30default_config_static_selectorELNS0_4arch9wavefront6targetE1EEEvT1_.has_indirect_call, 0
	.section	.AMDGPU.csdata,"",@progbits
; Kernel info:
; codeLenInByte = 0
; TotalNumSgprs: 4
; NumVgprs: 0
; ScratchSize: 0
; MemoryBound: 0
; FloatMode: 240
; IeeeMode: 1
; LDSByteSize: 0 bytes/workgroup (compile time only)
; SGPRBlocks: 0
; VGPRBlocks: 0
; NumSGPRsForWavesPerEU: 4
; NumVGPRsForWavesPerEU: 1
; Occupancy: 10
; WaveLimiterHint : 0
; COMPUTE_PGM_RSRC2:SCRATCH_EN: 0
; COMPUTE_PGM_RSRC2:USER_SGPR: 6
; COMPUTE_PGM_RSRC2:TRAP_HANDLER: 0
; COMPUTE_PGM_RSRC2:TGID_X_EN: 1
; COMPUTE_PGM_RSRC2:TGID_Y_EN: 0
; COMPUTE_PGM_RSRC2:TGID_Z_EN: 0
; COMPUTE_PGM_RSRC2:TIDIG_COMP_CNT: 0
	.section	.text._ZN7rocprim17ROCPRIM_400000_NS6detail17trampoline_kernelINS0_14default_configENS1_25transform_config_selectorIsLb0EEEZNS1_14transform_implILb0ES3_S5_NS0_18transform_iteratorINS0_17counting_iteratorImlEEZNS1_24adjacent_difference_implIS3_Lb1ELb0EPsSB_N6thrust23THRUST_200600_302600_NS5minusIsEEEE10hipError_tPvRmT2_T3_mT4_P12ihipStream_tbEUlmE_sEESB_NS0_8identityIvEEEESG_SJ_SK_mSL_SN_bEUlT_E_NS1_11comp_targetILNS1_3genE3ELNS1_11target_archE908ELNS1_3gpuE7ELNS1_3repE0EEENS1_30default_config_static_selectorELNS0_4arch9wavefront6targetE1EEEvT1_,"axG",@progbits,_ZN7rocprim17ROCPRIM_400000_NS6detail17trampoline_kernelINS0_14default_configENS1_25transform_config_selectorIsLb0EEEZNS1_14transform_implILb0ES3_S5_NS0_18transform_iteratorINS0_17counting_iteratorImlEEZNS1_24adjacent_difference_implIS3_Lb1ELb0EPsSB_N6thrust23THRUST_200600_302600_NS5minusIsEEEE10hipError_tPvRmT2_T3_mT4_P12ihipStream_tbEUlmE_sEESB_NS0_8identityIvEEEESG_SJ_SK_mSL_SN_bEUlT_E_NS1_11comp_targetILNS1_3genE3ELNS1_11target_archE908ELNS1_3gpuE7ELNS1_3repE0EEENS1_30default_config_static_selectorELNS0_4arch9wavefront6targetE1EEEvT1_,comdat
	.protected	_ZN7rocprim17ROCPRIM_400000_NS6detail17trampoline_kernelINS0_14default_configENS1_25transform_config_selectorIsLb0EEEZNS1_14transform_implILb0ES3_S5_NS0_18transform_iteratorINS0_17counting_iteratorImlEEZNS1_24adjacent_difference_implIS3_Lb1ELb0EPsSB_N6thrust23THRUST_200600_302600_NS5minusIsEEEE10hipError_tPvRmT2_T3_mT4_P12ihipStream_tbEUlmE_sEESB_NS0_8identityIvEEEESG_SJ_SK_mSL_SN_bEUlT_E_NS1_11comp_targetILNS1_3genE3ELNS1_11target_archE908ELNS1_3gpuE7ELNS1_3repE0EEENS1_30default_config_static_selectorELNS0_4arch9wavefront6targetE1EEEvT1_ ; -- Begin function _ZN7rocprim17ROCPRIM_400000_NS6detail17trampoline_kernelINS0_14default_configENS1_25transform_config_selectorIsLb0EEEZNS1_14transform_implILb0ES3_S5_NS0_18transform_iteratorINS0_17counting_iteratorImlEEZNS1_24adjacent_difference_implIS3_Lb1ELb0EPsSB_N6thrust23THRUST_200600_302600_NS5minusIsEEEE10hipError_tPvRmT2_T3_mT4_P12ihipStream_tbEUlmE_sEESB_NS0_8identityIvEEEESG_SJ_SK_mSL_SN_bEUlT_E_NS1_11comp_targetILNS1_3genE3ELNS1_11target_archE908ELNS1_3gpuE7ELNS1_3repE0EEENS1_30default_config_static_selectorELNS0_4arch9wavefront6targetE1EEEvT1_
	.globl	_ZN7rocprim17ROCPRIM_400000_NS6detail17trampoline_kernelINS0_14default_configENS1_25transform_config_selectorIsLb0EEEZNS1_14transform_implILb0ES3_S5_NS0_18transform_iteratorINS0_17counting_iteratorImlEEZNS1_24adjacent_difference_implIS3_Lb1ELb0EPsSB_N6thrust23THRUST_200600_302600_NS5minusIsEEEE10hipError_tPvRmT2_T3_mT4_P12ihipStream_tbEUlmE_sEESB_NS0_8identityIvEEEESG_SJ_SK_mSL_SN_bEUlT_E_NS1_11comp_targetILNS1_3genE3ELNS1_11target_archE908ELNS1_3gpuE7ELNS1_3repE0EEENS1_30default_config_static_selectorELNS0_4arch9wavefront6targetE1EEEvT1_
	.p2align	8
	.type	_ZN7rocprim17ROCPRIM_400000_NS6detail17trampoline_kernelINS0_14default_configENS1_25transform_config_selectorIsLb0EEEZNS1_14transform_implILb0ES3_S5_NS0_18transform_iteratorINS0_17counting_iteratorImlEEZNS1_24adjacent_difference_implIS3_Lb1ELb0EPsSB_N6thrust23THRUST_200600_302600_NS5minusIsEEEE10hipError_tPvRmT2_T3_mT4_P12ihipStream_tbEUlmE_sEESB_NS0_8identityIvEEEESG_SJ_SK_mSL_SN_bEUlT_E_NS1_11comp_targetILNS1_3genE3ELNS1_11target_archE908ELNS1_3gpuE7ELNS1_3repE0EEENS1_30default_config_static_selectorELNS0_4arch9wavefront6targetE1EEEvT1_,@function
_ZN7rocprim17ROCPRIM_400000_NS6detail17trampoline_kernelINS0_14default_configENS1_25transform_config_selectorIsLb0EEEZNS1_14transform_implILb0ES3_S5_NS0_18transform_iteratorINS0_17counting_iteratorImlEEZNS1_24adjacent_difference_implIS3_Lb1ELb0EPsSB_N6thrust23THRUST_200600_302600_NS5minusIsEEEE10hipError_tPvRmT2_T3_mT4_P12ihipStream_tbEUlmE_sEESB_NS0_8identityIvEEEESG_SJ_SK_mSL_SN_bEUlT_E_NS1_11comp_targetILNS1_3genE3ELNS1_11target_archE908ELNS1_3gpuE7ELNS1_3repE0EEENS1_30default_config_static_selectorELNS0_4arch9wavefront6targetE1EEEvT1_: ; @_ZN7rocprim17ROCPRIM_400000_NS6detail17trampoline_kernelINS0_14default_configENS1_25transform_config_selectorIsLb0EEEZNS1_14transform_implILb0ES3_S5_NS0_18transform_iteratorINS0_17counting_iteratorImlEEZNS1_24adjacent_difference_implIS3_Lb1ELb0EPsSB_N6thrust23THRUST_200600_302600_NS5minusIsEEEE10hipError_tPvRmT2_T3_mT4_P12ihipStream_tbEUlmE_sEESB_NS0_8identityIvEEEESG_SJ_SK_mSL_SN_bEUlT_E_NS1_11comp_targetILNS1_3genE3ELNS1_11target_archE908ELNS1_3gpuE7ELNS1_3repE0EEENS1_30default_config_static_selectorELNS0_4arch9wavefront6targetE1EEEvT1_
; %bb.0:
	.section	.rodata,"a",@progbits
	.p2align	6, 0x0
	.amdhsa_kernel _ZN7rocprim17ROCPRIM_400000_NS6detail17trampoline_kernelINS0_14default_configENS1_25transform_config_selectorIsLb0EEEZNS1_14transform_implILb0ES3_S5_NS0_18transform_iteratorINS0_17counting_iteratorImlEEZNS1_24adjacent_difference_implIS3_Lb1ELb0EPsSB_N6thrust23THRUST_200600_302600_NS5minusIsEEEE10hipError_tPvRmT2_T3_mT4_P12ihipStream_tbEUlmE_sEESB_NS0_8identityIvEEEESG_SJ_SK_mSL_SN_bEUlT_E_NS1_11comp_targetILNS1_3genE3ELNS1_11target_archE908ELNS1_3gpuE7ELNS1_3repE0EEENS1_30default_config_static_selectorELNS0_4arch9wavefront6targetE1EEEvT1_
		.amdhsa_group_segment_fixed_size 0
		.amdhsa_private_segment_fixed_size 0
		.amdhsa_kernarg_size 56
		.amdhsa_user_sgpr_count 6
		.amdhsa_user_sgpr_private_segment_buffer 1
		.amdhsa_user_sgpr_dispatch_ptr 0
		.amdhsa_user_sgpr_queue_ptr 0
		.amdhsa_user_sgpr_kernarg_segment_ptr 1
		.amdhsa_user_sgpr_dispatch_id 0
		.amdhsa_user_sgpr_flat_scratch_init 0
		.amdhsa_user_sgpr_private_segment_size 0
		.amdhsa_uses_dynamic_stack 0
		.amdhsa_system_sgpr_private_segment_wavefront_offset 0
		.amdhsa_system_sgpr_workgroup_id_x 1
		.amdhsa_system_sgpr_workgroup_id_y 0
		.amdhsa_system_sgpr_workgroup_id_z 0
		.amdhsa_system_sgpr_workgroup_info 0
		.amdhsa_system_vgpr_workitem_id 0
		.amdhsa_next_free_vgpr 1
		.amdhsa_next_free_sgpr 0
		.amdhsa_reserve_vcc 0
		.amdhsa_reserve_flat_scratch 0
		.amdhsa_float_round_mode_32 0
		.amdhsa_float_round_mode_16_64 0
		.amdhsa_float_denorm_mode_32 3
		.amdhsa_float_denorm_mode_16_64 3
		.amdhsa_dx10_clamp 1
		.amdhsa_ieee_mode 1
		.amdhsa_fp16_overflow 0
		.amdhsa_exception_fp_ieee_invalid_op 0
		.amdhsa_exception_fp_denorm_src 0
		.amdhsa_exception_fp_ieee_div_zero 0
		.amdhsa_exception_fp_ieee_overflow 0
		.amdhsa_exception_fp_ieee_underflow 0
		.amdhsa_exception_fp_ieee_inexact 0
		.amdhsa_exception_int_div_zero 0
	.end_amdhsa_kernel
	.section	.text._ZN7rocprim17ROCPRIM_400000_NS6detail17trampoline_kernelINS0_14default_configENS1_25transform_config_selectorIsLb0EEEZNS1_14transform_implILb0ES3_S5_NS0_18transform_iteratorINS0_17counting_iteratorImlEEZNS1_24adjacent_difference_implIS3_Lb1ELb0EPsSB_N6thrust23THRUST_200600_302600_NS5minusIsEEEE10hipError_tPvRmT2_T3_mT4_P12ihipStream_tbEUlmE_sEESB_NS0_8identityIvEEEESG_SJ_SK_mSL_SN_bEUlT_E_NS1_11comp_targetILNS1_3genE3ELNS1_11target_archE908ELNS1_3gpuE7ELNS1_3repE0EEENS1_30default_config_static_selectorELNS0_4arch9wavefront6targetE1EEEvT1_,"axG",@progbits,_ZN7rocprim17ROCPRIM_400000_NS6detail17trampoline_kernelINS0_14default_configENS1_25transform_config_selectorIsLb0EEEZNS1_14transform_implILb0ES3_S5_NS0_18transform_iteratorINS0_17counting_iteratorImlEEZNS1_24adjacent_difference_implIS3_Lb1ELb0EPsSB_N6thrust23THRUST_200600_302600_NS5minusIsEEEE10hipError_tPvRmT2_T3_mT4_P12ihipStream_tbEUlmE_sEESB_NS0_8identityIvEEEESG_SJ_SK_mSL_SN_bEUlT_E_NS1_11comp_targetILNS1_3genE3ELNS1_11target_archE908ELNS1_3gpuE7ELNS1_3repE0EEENS1_30default_config_static_selectorELNS0_4arch9wavefront6targetE1EEEvT1_,comdat
.Lfunc_end369:
	.size	_ZN7rocprim17ROCPRIM_400000_NS6detail17trampoline_kernelINS0_14default_configENS1_25transform_config_selectorIsLb0EEEZNS1_14transform_implILb0ES3_S5_NS0_18transform_iteratorINS0_17counting_iteratorImlEEZNS1_24adjacent_difference_implIS3_Lb1ELb0EPsSB_N6thrust23THRUST_200600_302600_NS5minusIsEEEE10hipError_tPvRmT2_T3_mT4_P12ihipStream_tbEUlmE_sEESB_NS0_8identityIvEEEESG_SJ_SK_mSL_SN_bEUlT_E_NS1_11comp_targetILNS1_3genE3ELNS1_11target_archE908ELNS1_3gpuE7ELNS1_3repE0EEENS1_30default_config_static_selectorELNS0_4arch9wavefront6targetE1EEEvT1_, .Lfunc_end369-_ZN7rocprim17ROCPRIM_400000_NS6detail17trampoline_kernelINS0_14default_configENS1_25transform_config_selectorIsLb0EEEZNS1_14transform_implILb0ES3_S5_NS0_18transform_iteratorINS0_17counting_iteratorImlEEZNS1_24adjacent_difference_implIS3_Lb1ELb0EPsSB_N6thrust23THRUST_200600_302600_NS5minusIsEEEE10hipError_tPvRmT2_T3_mT4_P12ihipStream_tbEUlmE_sEESB_NS0_8identityIvEEEESG_SJ_SK_mSL_SN_bEUlT_E_NS1_11comp_targetILNS1_3genE3ELNS1_11target_archE908ELNS1_3gpuE7ELNS1_3repE0EEENS1_30default_config_static_selectorELNS0_4arch9wavefront6targetE1EEEvT1_
                                        ; -- End function
	.set _ZN7rocprim17ROCPRIM_400000_NS6detail17trampoline_kernelINS0_14default_configENS1_25transform_config_selectorIsLb0EEEZNS1_14transform_implILb0ES3_S5_NS0_18transform_iteratorINS0_17counting_iteratorImlEEZNS1_24adjacent_difference_implIS3_Lb1ELb0EPsSB_N6thrust23THRUST_200600_302600_NS5minusIsEEEE10hipError_tPvRmT2_T3_mT4_P12ihipStream_tbEUlmE_sEESB_NS0_8identityIvEEEESG_SJ_SK_mSL_SN_bEUlT_E_NS1_11comp_targetILNS1_3genE3ELNS1_11target_archE908ELNS1_3gpuE7ELNS1_3repE0EEENS1_30default_config_static_selectorELNS0_4arch9wavefront6targetE1EEEvT1_.num_vgpr, 0
	.set _ZN7rocprim17ROCPRIM_400000_NS6detail17trampoline_kernelINS0_14default_configENS1_25transform_config_selectorIsLb0EEEZNS1_14transform_implILb0ES3_S5_NS0_18transform_iteratorINS0_17counting_iteratorImlEEZNS1_24adjacent_difference_implIS3_Lb1ELb0EPsSB_N6thrust23THRUST_200600_302600_NS5minusIsEEEE10hipError_tPvRmT2_T3_mT4_P12ihipStream_tbEUlmE_sEESB_NS0_8identityIvEEEESG_SJ_SK_mSL_SN_bEUlT_E_NS1_11comp_targetILNS1_3genE3ELNS1_11target_archE908ELNS1_3gpuE7ELNS1_3repE0EEENS1_30default_config_static_selectorELNS0_4arch9wavefront6targetE1EEEvT1_.num_agpr, 0
	.set _ZN7rocprim17ROCPRIM_400000_NS6detail17trampoline_kernelINS0_14default_configENS1_25transform_config_selectorIsLb0EEEZNS1_14transform_implILb0ES3_S5_NS0_18transform_iteratorINS0_17counting_iteratorImlEEZNS1_24adjacent_difference_implIS3_Lb1ELb0EPsSB_N6thrust23THRUST_200600_302600_NS5minusIsEEEE10hipError_tPvRmT2_T3_mT4_P12ihipStream_tbEUlmE_sEESB_NS0_8identityIvEEEESG_SJ_SK_mSL_SN_bEUlT_E_NS1_11comp_targetILNS1_3genE3ELNS1_11target_archE908ELNS1_3gpuE7ELNS1_3repE0EEENS1_30default_config_static_selectorELNS0_4arch9wavefront6targetE1EEEvT1_.numbered_sgpr, 0
	.set _ZN7rocprim17ROCPRIM_400000_NS6detail17trampoline_kernelINS0_14default_configENS1_25transform_config_selectorIsLb0EEEZNS1_14transform_implILb0ES3_S5_NS0_18transform_iteratorINS0_17counting_iteratorImlEEZNS1_24adjacent_difference_implIS3_Lb1ELb0EPsSB_N6thrust23THRUST_200600_302600_NS5minusIsEEEE10hipError_tPvRmT2_T3_mT4_P12ihipStream_tbEUlmE_sEESB_NS0_8identityIvEEEESG_SJ_SK_mSL_SN_bEUlT_E_NS1_11comp_targetILNS1_3genE3ELNS1_11target_archE908ELNS1_3gpuE7ELNS1_3repE0EEENS1_30default_config_static_selectorELNS0_4arch9wavefront6targetE1EEEvT1_.num_named_barrier, 0
	.set _ZN7rocprim17ROCPRIM_400000_NS6detail17trampoline_kernelINS0_14default_configENS1_25transform_config_selectorIsLb0EEEZNS1_14transform_implILb0ES3_S5_NS0_18transform_iteratorINS0_17counting_iteratorImlEEZNS1_24adjacent_difference_implIS3_Lb1ELb0EPsSB_N6thrust23THRUST_200600_302600_NS5minusIsEEEE10hipError_tPvRmT2_T3_mT4_P12ihipStream_tbEUlmE_sEESB_NS0_8identityIvEEEESG_SJ_SK_mSL_SN_bEUlT_E_NS1_11comp_targetILNS1_3genE3ELNS1_11target_archE908ELNS1_3gpuE7ELNS1_3repE0EEENS1_30default_config_static_selectorELNS0_4arch9wavefront6targetE1EEEvT1_.private_seg_size, 0
	.set _ZN7rocprim17ROCPRIM_400000_NS6detail17trampoline_kernelINS0_14default_configENS1_25transform_config_selectorIsLb0EEEZNS1_14transform_implILb0ES3_S5_NS0_18transform_iteratorINS0_17counting_iteratorImlEEZNS1_24adjacent_difference_implIS3_Lb1ELb0EPsSB_N6thrust23THRUST_200600_302600_NS5minusIsEEEE10hipError_tPvRmT2_T3_mT4_P12ihipStream_tbEUlmE_sEESB_NS0_8identityIvEEEESG_SJ_SK_mSL_SN_bEUlT_E_NS1_11comp_targetILNS1_3genE3ELNS1_11target_archE908ELNS1_3gpuE7ELNS1_3repE0EEENS1_30default_config_static_selectorELNS0_4arch9wavefront6targetE1EEEvT1_.uses_vcc, 0
	.set _ZN7rocprim17ROCPRIM_400000_NS6detail17trampoline_kernelINS0_14default_configENS1_25transform_config_selectorIsLb0EEEZNS1_14transform_implILb0ES3_S5_NS0_18transform_iteratorINS0_17counting_iteratorImlEEZNS1_24adjacent_difference_implIS3_Lb1ELb0EPsSB_N6thrust23THRUST_200600_302600_NS5minusIsEEEE10hipError_tPvRmT2_T3_mT4_P12ihipStream_tbEUlmE_sEESB_NS0_8identityIvEEEESG_SJ_SK_mSL_SN_bEUlT_E_NS1_11comp_targetILNS1_3genE3ELNS1_11target_archE908ELNS1_3gpuE7ELNS1_3repE0EEENS1_30default_config_static_selectorELNS0_4arch9wavefront6targetE1EEEvT1_.uses_flat_scratch, 0
	.set _ZN7rocprim17ROCPRIM_400000_NS6detail17trampoline_kernelINS0_14default_configENS1_25transform_config_selectorIsLb0EEEZNS1_14transform_implILb0ES3_S5_NS0_18transform_iteratorINS0_17counting_iteratorImlEEZNS1_24adjacent_difference_implIS3_Lb1ELb0EPsSB_N6thrust23THRUST_200600_302600_NS5minusIsEEEE10hipError_tPvRmT2_T3_mT4_P12ihipStream_tbEUlmE_sEESB_NS0_8identityIvEEEESG_SJ_SK_mSL_SN_bEUlT_E_NS1_11comp_targetILNS1_3genE3ELNS1_11target_archE908ELNS1_3gpuE7ELNS1_3repE0EEENS1_30default_config_static_selectorELNS0_4arch9wavefront6targetE1EEEvT1_.has_dyn_sized_stack, 0
	.set _ZN7rocprim17ROCPRIM_400000_NS6detail17trampoline_kernelINS0_14default_configENS1_25transform_config_selectorIsLb0EEEZNS1_14transform_implILb0ES3_S5_NS0_18transform_iteratorINS0_17counting_iteratorImlEEZNS1_24adjacent_difference_implIS3_Lb1ELb0EPsSB_N6thrust23THRUST_200600_302600_NS5minusIsEEEE10hipError_tPvRmT2_T3_mT4_P12ihipStream_tbEUlmE_sEESB_NS0_8identityIvEEEESG_SJ_SK_mSL_SN_bEUlT_E_NS1_11comp_targetILNS1_3genE3ELNS1_11target_archE908ELNS1_3gpuE7ELNS1_3repE0EEENS1_30default_config_static_selectorELNS0_4arch9wavefront6targetE1EEEvT1_.has_recursion, 0
	.set _ZN7rocprim17ROCPRIM_400000_NS6detail17trampoline_kernelINS0_14default_configENS1_25transform_config_selectorIsLb0EEEZNS1_14transform_implILb0ES3_S5_NS0_18transform_iteratorINS0_17counting_iteratorImlEEZNS1_24adjacent_difference_implIS3_Lb1ELb0EPsSB_N6thrust23THRUST_200600_302600_NS5minusIsEEEE10hipError_tPvRmT2_T3_mT4_P12ihipStream_tbEUlmE_sEESB_NS0_8identityIvEEEESG_SJ_SK_mSL_SN_bEUlT_E_NS1_11comp_targetILNS1_3genE3ELNS1_11target_archE908ELNS1_3gpuE7ELNS1_3repE0EEENS1_30default_config_static_selectorELNS0_4arch9wavefront6targetE1EEEvT1_.has_indirect_call, 0
	.section	.AMDGPU.csdata,"",@progbits
; Kernel info:
; codeLenInByte = 0
; TotalNumSgprs: 4
; NumVgprs: 0
; ScratchSize: 0
; MemoryBound: 0
; FloatMode: 240
; IeeeMode: 1
; LDSByteSize: 0 bytes/workgroup (compile time only)
; SGPRBlocks: 0
; VGPRBlocks: 0
; NumSGPRsForWavesPerEU: 4
; NumVGPRsForWavesPerEU: 1
; Occupancy: 10
; WaveLimiterHint : 0
; COMPUTE_PGM_RSRC2:SCRATCH_EN: 0
; COMPUTE_PGM_RSRC2:USER_SGPR: 6
; COMPUTE_PGM_RSRC2:TRAP_HANDLER: 0
; COMPUTE_PGM_RSRC2:TGID_X_EN: 1
; COMPUTE_PGM_RSRC2:TGID_Y_EN: 0
; COMPUTE_PGM_RSRC2:TGID_Z_EN: 0
; COMPUTE_PGM_RSRC2:TIDIG_COMP_CNT: 0
	.section	.text._ZN7rocprim17ROCPRIM_400000_NS6detail17trampoline_kernelINS0_14default_configENS1_25transform_config_selectorIsLb0EEEZNS1_14transform_implILb0ES3_S5_NS0_18transform_iteratorINS0_17counting_iteratorImlEEZNS1_24adjacent_difference_implIS3_Lb1ELb0EPsSB_N6thrust23THRUST_200600_302600_NS5minusIsEEEE10hipError_tPvRmT2_T3_mT4_P12ihipStream_tbEUlmE_sEESB_NS0_8identityIvEEEESG_SJ_SK_mSL_SN_bEUlT_E_NS1_11comp_targetILNS1_3genE2ELNS1_11target_archE906ELNS1_3gpuE6ELNS1_3repE0EEENS1_30default_config_static_selectorELNS0_4arch9wavefront6targetE1EEEvT1_,"axG",@progbits,_ZN7rocprim17ROCPRIM_400000_NS6detail17trampoline_kernelINS0_14default_configENS1_25transform_config_selectorIsLb0EEEZNS1_14transform_implILb0ES3_S5_NS0_18transform_iteratorINS0_17counting_iteratorImlEEZNS1_24adjacent_difference_implIS3_Lb1ELb0EPsSB_N6thrust23THRUST_200600_302600_NS5minusIsEEEE10hipError_tPvRmT2_T3_mT4_P12ihipStream_tbEUlmE_sEESB_NS0_8identityIvEEEESG_SJ_SK_mSL_SN_bEUlT_E_NS1_11comp_targetILNS1_3genE2ELNS1_11target_archE906ELNS1_3gpuE6ELNS1_3repE0EEENS1_30default_config_static_selectorELNS0_4arch9wavefront6targetE1EEEvT1_,comdat
	.protected	_ZN7rocprim17ROCPRIM_400000_NS6detail17trampoline_kernelINS0_14default_configENS1_25transform_config_selectorIsLb0EEEZNS1_14transform_implILb0ES3_S5_NS0_18transform_iteratorINS0_17counting_iteratorImlEEZNS1_24adjacent_difference_implIS3_Lb1ELb0EPsSB_N6thrust23THRUST_200600_302600_NS5minusIsEEEE10hipError_tPvRmT2_T3_mT4_P12ihipStream_tbEUlmE_sEESB_NS0_8identityIvEEEESG_SJ_SK_mSL_SN_bEUlT_E_NS1_11comp_targetILNS1_3genE2ELNS1_11target_archE906ELNS1_3gpuE6ELNS1_3repE0EEENS1_30default_config_static_selectorELNS0_4arch9wavefront6targetE1EEEvT1_ ; -- Begin function _ZN7rocprim17ROCPRIM_400000_NS6detail17trampoline_kernelINS0_14default_configENS1_25transform_config_selectorIsLb0EEEZNS1_14transform_implILb0ES3_S5_NS0_18transform_iteratorINS0_17counting_iteratorImlEEZNS1_24adjacent_difference_implIS3_Lb1ELb0EPsSB_N6thrust23THRUST_200600_302600_NS5minusIsEEEE10hipError_tPvRmT2_T3_mT4_P12ihipStream_tbEUlmE_sEESB_NS0_8identityIvEEEESG_SJ_SK_mSL_SN_bEUlT_E_NS1_11comp_targetILNS1_3genE2ELNS1_11target_archE906ELNS1_3gpuE6ELNS1_3repE0EEENS1_30default_config_static_selectorELNS0_4arch9wavefront6targetE1EEEvT1_
	.globl	_ZN7rocprim17ROCPRIM_400000_NS6detail17trampoline_kernelINS0_14default_configENS1_25transform_config_selectorIsLb0EEEZNS1_14transform_implILb0ES3_S5_NS0_18transform_iteratorINS0_17counting_iteratorImlEEZNS1_24adjacent_difference_implIS3_Lb1ELb0EPsSB_N6thrust23THRUST_200600_302600_NS5minusIsEEEE10hipError_tPvRmT2_T3_mT4_P12ihipStream_tbEUlmE_sEESB_NS0_8identityIvEEEESG_SJ_SK_mSL_SN_bEUlT_E_NS1_11comp_targetILNS1_3genE2ELNS1_11target_archE906ELNS1_3gpuE6ELNS1_3repE0EEENS1_30default_config_static_selectorELNS0_4arch9wavefront6targetE1EEEvT1_
	.p2align	8
	.type	_ZN7rocprim17ROCPRIM_400000_NS6detail17trampoline_kernelINS0_14default_configENS1_25transform_config_selectorIsLb0EEEZNS1_14transform_implILb0ES3_S5_NS0_18transform_iteratorINS0_17counting_iteratorImlEEZNS1_24adjacent_difference_implIS3_Lb1ELb0EPsSB_N6thrust23THRUST_200600_302600_NS5minusIsEEEE10hipError_tPvRmT2_T3_mT4_P12ihipStream_tbEUlmE_sEESB_NS0_8identityIvEEEESG_SJ_SK_mSL_SN_bEUlT_E_NS1_11comp_targetILNS1_3genE2ELNS1_11target_archE906ELNS1_3gpuE6ELNS1_3repE0EEENS1_30default_config_static_selectorELNS0_4arch9wavefront6targetE1EEEvT1_,@function
_ZN7rocprim17ROCPRIM_400000_NS6detail17trampoline_kernelINS0_14default_configENS1_25transform_config_selectorIsLb0EEEZNS1_14transform_implILb0ES3_S5_NS0_18transform_iteratorINS0_17counting_iteratorImlEEZNS1_24adjacent_difference_implIS3_Lb1ELb0EPsSB_N6thrust23THRUST_200600_302600_NS5minusIsEEEE10hipError_tPvRmT2_T3_mT4_P12ihipStream_tbEUlmE_sEESB_NS0_8identityIvEEEESG_SJ_SK_mSL_SN_bEUlT_E_NS1_11comp_targetILNS1_3genE2ELNS1_11target_archE906ELNS1_3gpuE6ELNS1_3repE0EEENS1_30default_config_static_selectorELNS0_4arch9wavefront6targetE1EEEvT1_: ; @_ZN7rocprim17ROCPRIM_400000_NS6detail17trampoline_kernelINS0_14default_configENS1_25transform_config_selectorIsLb0EEEZNS1_14transform_implILb0ES3_S5_NS0_18transform_iteratorINS0_17counting_iteratorImlEEZNS1_24adjacent_difference_implIS3_Lb1ELb0EPsSB_N6thrust23THRUST_200600_302600_NS5minusIsEEEE10hipError_tPvRmT2_T3_mT4_P12ihipStream_tbEUlmE_sEESB_NS0_8identityIvEEEESG_SJ_SK_mSL_SN_bEUlT_E_NS1_11comp_targetILNS1_3genE2ELNS1_11target_archE906ELNS1_3gpuE6ELNS1_3repE0EEENS1_30default_config_static_selectorELNS0_4arch9wavefront6targetE1EEEvT1_
; %bb.0:
	s_load_dwordx4 s[0:3], s[4:5], 0x18
	s_load_dwordx2 s[12:13], s[4:5], 0x28
	s_load_dwordx4 s[8:11], s[4:5], 0x0
	s_load_dword s14, s[4:5], 0x10
	s_waitcnt lgkmcnt(0)
	s_load_dword s3, s[4:5], 0x38
                                        ; kill: killed $sgpr4_sgpr5
	s_lshl_b64 s[4:5], s[0:1], 1
	s_add_u32 s18, s12, s4
	s_addc_u32 s19, s13, s5
	s_lshl_b32 s12, s6, 11
	s_waitcnt lgkmcnt(0)
	s_add_i32 s3, s3, -1
	s_add_u32 s4, s8, s12
	s_addc_u32 s5, s9, 0
	s_add_u32 s20, s4, s0
	s_addc_u32 s21, s5, s1
	s_mov_b32 s13, 0
	s_cmp_lg_u32 s6, s3
	v_lshlrev_b32_e32 v5, 1, v0
	s_cbranch_scc0 .LBB370_2
; %bb.1:
	v_mov_b32_e32 v1, s21
	v_add_co_u32_e32 v2, vcc, s20, v0
	v_addc_co_u32_e32 v3, vcc, 0, v1, vcc
	v_mad_u64_u32 v[1:2], s[0:1], v2, s14, 0
	s_mov_b32 s15, s13
	s_lshl_b64 s[4:5], s[12:13], 1
	v_mad_u64_u32 v[2:3], s[0:1], v3, s14, v[2:3]
	v_mov_b32_e32 v3, s11
	s_lshl_b64 s[0:1], s[14:15], 10
	v_lshlrev_b64 v[1:2], 1, v[1:2]
	v_mov_b32_e32 v8, s1
	v_add_co_u32_e32 v1, vcc, s10, v1
	v_addc_co_u32_e32 v2, vcc, v3, v2, vcc
	v_add_co_u32_e32 v3, vcc, s0, v1
	v_addc_co_u32_e32 v4, vcc, v2, v8, vcc
	;; [unrolled: 2-line block ×3, first 2 shown]
	global_load_ushort v9, v[1:2], off
	global_load_ushort v10, v[3:4], off
	;; [unrolled: 1-line block ×3, first 2 shown]
	v_add_co_u32_e32 v1, vcc, s0, v6
	v_addc_co_u32_e32 v2, vcc, v7, v8, vcc
	global_load_ushort v1, v[1:2], off
	s_add_u32 s4, s18, s4
	s_addc_u32 s5, s19, s5
	v_mov_b32_e32 v2, s5
	v_add_co_u32_e32 v3, vcc, s4, v5
	v_addc_co_u32_e32 v4, vcc, 0, v2, vcc
	s_mov_b64 s[8:9], -1
	s_waitcnt vmcnt(3)
	global_store_short v5, v9, s[4:5]
	s_waitcnt vmcnt(3)
	global_store_short v5, v10, s[4:5] offset:1024
	s_waitcnt vmcnt(3)
	global_store_short v5, v11, s[4:5] offset:2048
	s_cbranch_execz .LBB370_3
	s_branch .LBB370_17
.LBB370_2:
	s_mov_b64 s[8:9], 0
                                        ; implicit-def: $vgpr1
                                        ; implicit-def: $vgpr3_vgpr4
.LBB370_3:
	s_sub_i32 s15, s2, s12
	s_waitcnt vmcnt(3)
	v_mov_b32_e32 v1, 0
	v_cmp_gt_u32_e32 vcc, s15, v0
	v_mov_b32_e32 v2, v1
	s_and_saveexec_b64 s[2:3], vcc
	s_cbranch_execz .LBB370_5
; %bb.4:
	v_mov_b32_e32 v2, s21
	v_add_co_u32_e64 v3, s[0:1], s20, v0
	v_addc_co_u32_e64 v4, s[0:1], 0, v2, s[0:1]
	v_mad_u64_u32 v[2:3], s[0:1], v3, s14, 0
	v_mad_u64_u32 v[3:4], s[0:1], v4, s14, v[3:4]
	v_mov_b32_e32 v4, s11
	v_lshlrev_b64 v[2:3], 1, v[2:3]
	v_add_co_u32_e64 v2, s[0:1], s10, v2
	v_addc_co_u32_e64 v3, s[0:1], v4, v3, s[0:1]
	global_load_ushort v2, v[2:3], off
	v_mov_b32_e32 v3, v1
	s_waitcnt vmcnt(0)
	v_and_b32_e32 v2, 0xffff, v2
	v_mov_b32_e32 v1, v2
	v_mov_b32_e32 v2, v3
.LBB370_5:
	s_or_b64 exec, exec, s[2:3]
	v_or_b32_e32 v3, 0x200, v0
	v_cmp_gt_u32_e64 s[0:1], s15, v3
	s_and_saveexec_b64 s[4:5], s[0:1]
	s_cbranch_execz .LBB370_7
; %bb.6:
	v_mov_b32_e32 v4, s21
	v_add_co_u32_e64 v3, s[2:3], s20, v3
	v_addc_co_u32_e64 v6, s[2:3], 0, v4, s[2:3]
	v_mad_u64_u32 v[3:4], s[2:3], v3, s14, 0
	v_mad_u64_u32 v[6:7], s[2:3], v6, s14, v[4:5]
	v_mov_b32_e32 v4, v6
	v_lshlrev_b64 v[3:4], 1, v[3:4]
	v_mov_b32_e32 v6, s11
	v_add_co_u32_e64 v3, s[2:3], s10, v3
	v_addc_co_u32_e64 v4, s[2:3], v6, v4, s[2:3]
	global_load_ushort v3, v[3:4], off
	s_mov_b32 s2, 0x5040100
	s_waitcnt vmcnt(0)
	v_perm_b32 v1, v3, v1, s2
.LBB370_7:
	s_or_b64 exec, exec, s[4:5]
	v_or_b32_e32 v3, 0x400, v0
	v_cmp_gt_u32_e64 s[2:3], s15, v3
	s_and_saveexec_b64 s[6:7], s[2:3]
	s_cbranch_execz .LBB370_9
; %bb.8:
	v_mov_b32_e32 v4, s21
	v_add_co_u32_e64 v3, s[4:5], s20, v3
	v_addc_co_u32_e64 v6, s[4:5], 0, v4, s[4:5]
	v_mad_u64_u32 v[3:4], s[4:5], v3, s14, 0
	v_mad_u64_u32 v[6:7], s[4:5], v6, s14, v[4:5]
	v_mov_b32_e32 v4, v6
	v_lshlrev_b64 v[3:4], 1, v[3:4]
	v_mov_b32_e32 v6, s11
	v_add_co_u32_e64 v3, s[4:5], s10, v3
	v_addc_co_u32_e64 v4, s[4:5], v6, v4, s[4:5]
	global_load_ushort v3, v[3:4], off
	s_mov_b32 s4, 0xffff
	s_waitcnt vmcnt(0)
	v_bfi_b32 v2, s4, v3, v2
.LBB370_9:
	s_or_b64 exec, exec, s[6:7]
	v_or_b32_e32 v0, 0x600, v0
	v_cmp_gt_u32_e64 s[4:5], s15, v0
	s_and_saveexec_b64 s[16:17], s[4:5]
	s_cbranch_execz .LBB370_11
; %bb.10:
	v_mov_b32_e32 v3, s21
	v_add_co_u32_e64 v0, s[6:7], s20, v0
	v_addc_co_u32_e64 v6, s[6:7], 0, v3, s[6:7]
	v_mad_u64_u32 v[3:4], s[6:7], v0, s14, 0
	v_mov_b32_e32 v0, v4
	v_mad_u64_u32 v[6:7], s[6:7], v6, s14, v[0:1]
	v_mov_b32_e32 v0, s11
	v_mov_b32_e32 v4, v6
	v_lshlrev_b64 v[3:4], 1, v[3:4]
	v_add_co_u32_e64 v3, s[6:7], s10, v3
	v_addc_co_u32_e64 v4, s[6:7], v0, v4, s[6:7]
	global_load_ushort v0, v[3:4], off
	s_mov_b32 s6, 0x5040100
	s_waitcnt vmcnt(0)
	v_perm_b32 v2, v0, v2, s6
.LBB370_11:
	s_or_b64 exec, exec, s[16:17]
	s_lshl_b64 s[6:7], s[12:13], 1
	s_add_u32 s6, s18, s6
	s_addc_u32 s7, s19, s7
	v_mov_b32_e32 v0, 0
	v_mov_b32_e32 v4, s7
	v_add_co_u32_e64 v3, s[6:7], s6, v5
	v_cndmask_b32_sdwa v0, v0, v1, vcc dst_sel:DWORD dst_unused:UNUSED_PAD src0_sel:DWORD src1_sel:WORD_0
	v_addc_co_u32_e64 v4, s[6:7], 0, v4, s[6:7]
	s_and_saveexec_b64 s[6:7], vcc
	s_cbranch_execnz .LBB370_20
; %bb.12:
	s_or_b64 exec, exec, s[6:7]
	v_cndmask_b32_e64 v0, v0, v1, s[0:1]
	s_and_saveexec_b64 s[6:7], s[0:1]
	s_cbranch_execnz .LBB370_21
.LBB370_13:
	s_or_b64 exec, exec, s[6:7]
	s_and_saveexec_b64 s[0:1], s[2:3]
	s_cbranch_execnz .LBB370_22
.LBB370_14:
	s_or_b64 exec, exec, s[0:1]
                                        ; implicit-def: $vgpr1
	s_and_saveexec_b64 s[0:1], s[4:5]
.LBB370_15:
	v_cndmask_b32_e64 v0, 0, v2, s[4:5]
	v_lshrrev_b32_e32 v1, 16, v0
	s_or_b64 s[8:9], s[8:9], exec
.LBB370_16:
	s_or_b64 exec, exec, s[0:1]
.LBB370_17:
	s_and_saveexec_b64 s[0:1], s[8:9]
	s_cbranch_execnz .LBB370_19
; %bb.18:
	s_endpgm
.LBB370_19:
	s_waitcnt vmcnt(3)
	global_store_short v[3:4], v1, off offset:3072
	s_endpgm
.LBB370_20:
	global_store_short v[3:4], v0, off
	s_or_b64 exec, exec, s[6:7]
	v_cndmask_b32_e64 v0, v0, v1, s[0:1]
	s_and_saveexec_b64 s[6:7], s[0:1]
	s_cbranch_execz .LBB370_13
.LBB370_21:
	global_store_short_d16_hi v[3:4], v0, off offset:1024
	s_or_b64 exec, exec, s[6:7]
	s_and_saveexec_b64 s[0:1], s[2:3]
	s_cbranch_execz .LBB370_14
.LBB370_22:
	v_cndmask_b32_e64 v0, 0, v2, s[2:3]
	global_store_short v[3:4], v0, off offset:2048
	s_or_b64 exec, exec, s[0:1]
                                        ; implicit-def: $vgpr1
	s_and_saveexec_b64 s[0:1], s[4:5]
	s_cbranch_execnz .LBB370_15
	s_branch .LBB370_16
	.section	.rodata,"a",@progbits
	.p2align	6, 0x0
	.amdhsa_kernel _ZN7rocprim17ROCPRIM_400000_NS6detail17trampoline_kernelINS0_14default_configENS1_25transform_config_selectorIsLb0EEEZNS1_14transform_implILb0ES3_S5_NS0_18transform_iteratorINS0_17counting_iteratorImlEEZNS1_24adjacent_difference_implIS3_Lb1ELb0EPsSB_N6thrust23THRUST_200600_302600_NS5minusIsEEEE10hipError_tPvRmT2_T3_mT4_P12ihipStream_tbEUlmE_sEESB_NS0_8identityIvEEEESG_SJ_SK_mSL_SN_bEUlT_E_NS1_11comp_targetILNS1_3genE2ELNS1_11target_archE906ELNS1_3gpuE6ELNS1_3repE0EEENS1_30default_config_static_selectorELNS0_4arch9wavefront6targetE1EEEvT1_
		.amdhsa_group_segment_fixed_size 0
		.amdhsa_private_segment_fixed_size 0
		.amdhsa_kernarg_size 312
		.amdhsa_user_sgpr_count 6
		.amdhsa_user_sgpr_private_segment_buffer 1
		.amdhsa_user_sgpr_dispatch_ptr 0
		.amdhsa_user_sgpr_queue_ptr 0
		.amdhsa_user_sgpr_kernarg_segment_ptr 1
		.amdhsa_user_sgpr_dispatch_id 0
		.amdhsa_user_sgpr_flat_scratch_init 0
		.amdhsa_user_sgpr_private_segment_size 0
		.amdhsa_uses_dynamic_stack 0
		.amdhsa_system_sgpr_private_segment_wavefront_offset 0
		.amdhsa_system_sgpr_workgroup_id_x 1
		.amdhsa_system_sgpr_workgroup_id_y 0
		.amdhsa_system_sgpr_workgroup_id_z 0
		.amdhsa_system_sgpr_workgroup_info 0
		.amdhsa_system_vgpr_workitem_id 0
		.amdhsa_next_free_vgpr 12
		.amdhsa_next_free_sgpr 22
		.amdhsa_reserve_vcc 1
		.amdhsa_reserve_flat_scratch 0
		.amdhsa_float_round_mode_32 0
		.amdhsa_float_round_mode_16_64 0
		.amdhsa_float_denorm_mode_32 3
		.amdhsa_float_denorm_mode_16_64 3
		.amdhsa_dx10_clamp 1
		.amdhsa_ieee_mode 1
		.amdhsa_fp16_overflow 0
		.amdhsa_exception_fp_ieee_invalid_op 0
		.amdhsa_exception_fp_denorm_src 0
		.amdhsa_exception_fp_ieee_div_zero 0
		.amdhsa_exception_fp_ieee_overflow 0
		.amdhsa_exception_fp_ieee_underflow 0
		.amdhsa_exception_fp_ieee_inexact 0
		.amdhsa_exception_int_div_zero 0
	.end_amdhsa_kernel
	.section	.text._ZN7rocprim17ROCPRIM_400000_NS6detail17trampoline_kernelINS0_14default_configENS1_25transform_config_selectorIsLb0EEEZNS1_14transform_implILb0ES3_S5_NS0_18transform_iteratorINS0_17counting_iteratorImlEEZNS1_24adjacent_difference_implIS3_Lb1ELb0EPsSB_N6thrust23THRUST_200600_302600_NS5minusIsEEEE10hipError_tPvRmT2_T3_mT4_P12ihipStream_tbEUlmE_sEESB_NS0_8identityIvEEEESG_SJ_SK_mSL_SN_bEUlT_E_NS1_11comp_targetILNS1_3genE2ELNS1_11target_archE906ELNS1_3gpuE6ELNS1_3repE0EEENS1_30default_config_static_selectorELNS0_4arch9wavefront6targetE1EEEvT1_,"axG",@progbits,_ZN7rocprim17ROCPRIM_400000_NS6detail17trampoline_kernelINS0_14default_configENS1_25transform_config_selectorIsLb0EEEZNS1_14transform_implILb0ES3_S5_NS0_18transform_iteratorINS0_17counting_iteratorImlEEZNS1_24adjacent_difference_implIS3_Lb1ELb0EPsSB_N6thrust23THRUST_200600_302600_NS5minusIsEEEE10hipError_tPvRmT2_T3_mT4_P12ihipStream_tbEUlmE_sEESB_NS0_8identityIvEEEESG_SJ_SK_mSL_SN_bEUlT_E_NS1_11comp_targetILNS1_3genE2ELNS1_11target_archE906ELNS1_3gpuE6ELNS1_3repE0EEENS1_30default_config_static_selectorELNS0_4arch9wavefront6targetE1EEEvT1_,comdat
.Lfunc_end370:
	.size	_ZN7rocprim17ROCPRIM_400000_NS6detail17trampoline_kernelINS0_14default_configENS1_25transform_config_selectorIsLb0EEEZNS1_14transform_implILb0ES3_S5_NS0_18transform_iteratorINS0_17counting_iteratorImlEEZNS1_24adjacent_difference_implIS3_Lb1ELb0EPsSB_N6thrust23THRUST_200600_302600_NS5minusIsEEEE10hipError_tPvRmT2_T3_mT4_P12ihipStream_tbEUlmE_sEESB_NS0_8identityIvEEEESG_SJ_SK_mSL_SN_bEUlT_E_NS1_11comp_targetILNS1_3genE2ELNS1_11target_archE906ELNS1_3gpuE6ELNS1_3repE0EEENS1_30default_config_static_selectorELNS0_4arch9wavefront6targetE1EEEvT1_, .Lfunc_end370-_ZN7rocprim17ROCPRIM_400000_NS6detail17trampoline_kernelINS0_14default_configENS1_25transform_config_selectorIsLb0EEEZNS1_14transform_implILb0ES3_S5_NS0_18transform_iteratorINS0_17counting_iteratorImlEEZNS1_24adjacent_difference_implIS3_Lb1ELb0EPsSB_N6thrust23THRUST_200600_302600_NS5minusIsEEEE10hipError_tPvRmT2_T3_mT4_P12ihipStream_tbEUlmE_sEESB_NS0_8identityIvEEEESG_SJ_SK_mSL_SN_bEUlT_E_NS1_11comp_targetILNS1_3genE2ELNS1_11target_archE906ELNS1_3gpuE6ELNS1_3repE0EEENS1_30default_config_static_selectorELNS0_4arch9wavefront6targetE1EEEvT1_
                                        ; -- End function
	.set _ZN7rocprim17ROCPRIM_400000_NS6detail17trampoline_kernelINS0_14default_configENS1_25transform_config_selectorIsLb0EEEZNS1_14transform_implILb0ES3_S5_NS0_18transform_iteratorINS0_17counting_iteratorImlEEZNS1_24adjacent_difference_implIS3_Lb1ELb0EPsSB_N6thrust23THRUST_200600_302600_NS5minusIsEEEE10hipError_tPvRmT2_T3_mT4_P12ihipStream_tbEUlmE_sEESB_NS0_8identityIvEEEESG_SJ_SK_mSL_SN_bEUlT_E_NS1_11comp_targetILNS1_3genE2ELNS1_11target_archE906ELNS1_3gpuE6ELNS1_3repE0EEENS1_30default_config_static_selectorELNS0_4arch9wavefront6targetE1EEEvT1_.num_vgpr, 12
	.set _ZN7rocprim17ROCPRIM_400000_NS6detail17trampoline_kernelINS0_14default_configENS1_25transform_config_selectorIsLb0EEEZNS1_14transform_implILb0ES3_S5_NS0_18transform_iteratorINS0_17counting_iteratorImlEEZNS1_24adjacent_difference_implIS3_Lb1ELb0EPsSB_N6thrust23THRUST_200600_302600_NS5minusIsEEEE10hipError_tPvRmT2_T3_mT4_P12ihipStream_tbEUlmE_sEESB_NS0_8identityIvEEEESG_SJ_SK_mSL_SN_bEUlT_E_NS1_11comp_targetILNS1_3genE2ELNS1_11target_archE906ELNS1_3gpuE6ELNS1_3repE0EEENS1_30default_config_static_selectorELNS0_4arch9wavefront6targetE1EEEvT1_.num_agpr, 0
	.set _ZN7rocprim17ROCPRIM_400000_NS6detail17trampoline_kernelINS0_14default_configENS1_25transform_config_selectorIsLb0EEEZNS1_14transform_implILb0ES3_S5_NS0_18transform_iteratorINS0_17counting_iteratorImlEEZNS1_24adjacent_difference_implIS3_Lb1ELb0EPsSB_N6thrust23THRUST_200600_302600_NS5minusIsEEEE10hipError_tPvRmT2_T3_mT4_P12ihipStream_tbEUlmE_sEESB_NS0_8identityIvEEEESG_SJ_SK_mSL_SN_bEUlT_E_NS1_11comp_targetILNS1_3genE2ELNS1_11target_archE906ELNS1_3gpuE6ELNS1_3repE0EEENS1_30default_config_static_selectorELNS0_4arch9wavefront6targetE1EEEvT1_.numbered_sgpr, 22
	.set _ZN7rocprim17ROCPRIM_400000_NS6detail17trampoline_kernelINS0_14default_configENS1_25transform_config_selectorIsLb0EEEZNS1_14transform_implILb0ES3_S5_NS0_18transform_iteratorINS0_17counting_iteratorImlEEZNS1_24adjacent_difference_implIS3_Lb1ELb0EPsSB_N6thrust23THRUST_200600_302600_NS5minusIsEEEE10hipError_tPvRmT2_T3_mT4_P12ihipStream_tbEUlmE_sEESB_NS0_8identityIvEEEESG_SJ_SK_mSL_SN_bEUlT_E_NS1_11comp_targetILNS1_3genE2ELNS1_11target_archE906ELNS1_3gpuE6ELNS1_3repE0EEENS1_30default_config_static_selectorELNS0_4arch9wavefront6targetE1EEEvT1_.num_named_barrier, 0
	.set _ZN7rocprim17ROCPRIM_400000_NS6detail17trampoline_kernelINS0_14default_configENS1_25transform_config_selectorIsLb0EEEZNS1_14transform_implILb0ES3_S5_NS0_18transform_iteratorINS0_17counting_iteratorImlEEZNS1_24adjacent_difference_implIS3_Lb1ELb0EPsSB_N6thrust23THRUST_200600_302600_NS5minusIsEEEE10hipError_tPvRmT2_T3_mT4_P12ihipStream_tbEUlmE_sEESB_NS0_8identityIvEEEESG_SJ_SK_mSL_SN_bEUlT_E_NS1_11comp_targetILNS1_3genE2ELNS1_11target_archE906ELNS1_3gpuE6ELNS1_3repE0EEENS1_30default_config_static_selectorELNS0_4arch9wavefront6targetE1EEEvT1_.private_seg_size, 0
	.set _ZN7rocprim17ROCPRIM_400000_NS6detail17trampoline_kernelINS0_14default_configENS1_25transform_config_selectorIsLb0EEEZNS1_14transform_implILb0ES3_S5_NS0_18transform_iteratorINS0_17counting_iteratorImlEEZNS1_24adjacent_difference_implIS3_Lb1ELb0EPsSB_N6thrust23THRUST_200600_302600_NS5minusIsEEEE10hipError_tPvRmT2_T3_mT4_P12ihipStream_tbEUlmE_sEESB_NS0_8identityIvEEEESG_SJ_SK_mSL_SN_bEUlT_E_NS1_11comp_targetILNS1_3genE2ELNS1_11target_archE906ELNS1_3gpuE6ELNS1_3repE0EEENS1_30default_config_static_selectorELNS0_4arch9wavefront6targetE1EEEvT1_.uses_vcc, 1
	.set _ZN7rocprim17ROCPRIM_400000_NS6detail17trampoline_kernelINS0_14default_configENS1_25transform_config_selectorIsLb0EEEZNS1_14transform_implILb0ES3_S5_NS0_18transform_iteratorINS0_17counting_iteratorImlEEZNS1_24adjacent_difference_implIS3_Lb1ELb0EPsSB_N6thrust23THRUST_200600_302600_NS5minusIsEEEE10hipError_tPvRmT2_T3_mT4_P12ihipStream_tbEUlmE_sEESB_NS0_8identityIvEEEESG_SJ_SK_mSL_SN_bEUlT_E_NS1_11comp_targetILNS1_3genE2ELNS1_11target_archE906ELNS1_3gpuE6ELNS1_3repE0EEENS1_30default_config_static_selectorELNS0_4arch9wavefront6targetE1EEEvT1_.uses_flat_scratch, 0
	.set _ZN7rocprim17ROCPRIM_400000_NS6detail17trampoline_kernelINS0_14default_configENS1_25transform_config_selectorIsLb0EEEZNS1_14transform_implILb0ES3_S5_NS0_18transform_iteratorINS0_17counting_iteratorImlEEZNS1_24adjacent_difference_implIS3_Lb1ELb0EPsSB_N6thrust23THRUST_200600_302600_NS5minusIsEEEE10hipError_tPvRmT2_T3_mT4_P12ihipStream_tbEUlmE_sEESB_NS0_8identityIvEEEESG_SJ_SK_mSL_SN_bEUlT_E_NS1_11comp_targetILNS1_3genE2ELNS1_11target_archE906ELNS1_3gpuE6ELNS1_3repE0EEENS1_30default_config_static_selectorELNS0_4arch9wavefront6targetE1EEEvT1_.has_dyn_sized_stack, 0
	.set _ZN7rocprim17ROCPRIM_400000_NS6detail17trampoline_kernelINS0_14default_configENS1_25transform_config_selectorIsLb0EEEZNS1_14transform_implILb0ES3_S5_NS0_18transform_iteratorINS0_17counting_iteratorImlEEZNS1_24adjacent_difference_implIS3_Lb1ELb0EPsSB_N6thrust23THRUST_200600_302600_NS5minusIsEEEE10hipError_tPvRmT2_T3_mT4_P12ihipStream_tbEUlmE_sEESB_NS0_8identityIvEEEESG_SJ_SK_mSL_SN_bEUlT_E_NS1_11comp_targetILNS1_3genE2ELNS1_11target_archE906ELNS1_3gpuE6ELNS1_3repE0EEENS1_30default_config_static_selectorELNS0_4arch9wavefront6targetE1EEEvT1_.has_recursion, 0
	.set _ZN7rocprim17ROCPRIM_400000_NS6detail17trampoline_kernelINS0_14default_configENS1_25transform_config_selectorIsLb0EEEZNS1_14transform_implILb0ES3_S5_NS0_18transform_iteratorINS0_17counting_iteratorImlEEZNS1_24adjacent_difference_implIS3_Lb1ELb0EPsSB_N6thrust23THRUST_200600_302600_NS5minusIsEEEE10hipError_tPvRmT2_T3_mT4_P12ihipStream_tbEUlmE_sEESB_NS0_8identityIvEEEESG_SJ_SK_mSL_SN_bEUlT_E_NS1_11comp_targetILNS1_3genE2ELNS1_11target_archE906ELNS1_3gpuE6ELNS1_3repE0EEENS1_30default_config_static_selectorELNS0_4arch9wavefront6targetE1EEEvT1_.has_indirect_call, 0
	.section	.AMDGPU.csdata,"",@progbits
; Kernel info:
; codeLenInByte = 1016
; TotalNumSgprs: 26
; NumVgprs: 12
; ScratchSize: 0
; MemoryBound: 0
; FloatMode: 240
; IeeeMode: 1
; LDSByteSize: 0 bytes/workgroup (compile time only)
; SGPRBlocks: 3
; VGPRBlocks: 2
; NumSGPRsForWavesPerEU: 26
; NumVGPRsForWavesPerEU: 12
; Occupancy: 10
; WaveLimiterHint : 1
; COMPUTE_PGM_RSRC2:SCRATCH_EN: 0
; COMPUTE_PGM_RSRC2:USER_SGPR: 6
; COMPUTE_PGM_RSRC2:TRAP_HANDLER: 0
; COMPUTE_PGM_RSRC2:TGID_X_EN: 1
; COMPUTE_PGM_RSRC2:TGID_Y_EN: 0
; COMPUTE_PGM_RSRC2:TGID_Z_EN: 0
; COMPUTE_PGM_RSRC2:TIDIG_COMP_CNT: 0
	.section	.text._ZN7rocprim17ROCPRIM_400000_NS6detail17trampoline_kernelINS0_14default_configENS1_25transform_config_selectorIsLb0EEEZNS1_14transform_implILb0ES3_S5_NS0_18transform_iteratorINS0_17counting_iteratorImlEEZNS1_24adjacent_difference_implIS3_Lb1ELb0EPsSB_N6thrust23THRUST_200600_302600_NS5minusIsEEEE10hipError_tPvRmT2_T3_mT4_P12ihipStream_tbEUlmE_sEESB_NS0_8identityIvEEEESG_SJ_SK_mSL_SN_bEUlT_E_NS1_11comp_targetILNS1_3genE10ELNS1_11target_archE1201ELNS1_3gpuE5ELNS1_3repE0EEENS1_30default_config_static_selectorELNS0_4arch9wavefront6targetE1EEEvT1_,"axG",@progbits,_ZN7rocprim17ROCPRIM_400000_NS6detail17trampoline_kernelINS0_14default_configENS1_25transform_config_selectorIsLb0EEEZNS1_14transform_implILb0ES3_S5_NS0_18transform_iteratorINS0_17counting_iteratorImlEEZNS1_24adjacent_difference_implIS3_Lb1ELb0EPsSB_N6thrust23THRUST_200600_302600_NS5minusIsEEEE10hipError_tPvRmT2_T3_mT4_P12ihipStream_tbEUlmE_sEESB_NS0_8identityIvEEEESG_SJ_SK_mSL_SN_bEUlT_E_NS1_11comp_targetILNS1_3genE10ELNS1_11target_archE1201ELNS1_3gpuE5ELNS1_3repE0EEENS1_30default_config_static_selectorELNS0_4arch9wavefront6targetE1EEEvT1_,comdat
	.protected	_ZN7rocprim17ROCPRIM_400000_NS6detail17trampoline_kernelINS0_14default_configENS1_25transform_config_selectorIsLb0EEEZNS1_14transform_implILb0ES3_S5_NS0_18transform_iteratorINS0_17counting_iteratorImlEEZNS1_24adjacent_difference_implIS3_Lb1ELb0EPsSB_N6thrust23THRUST_200600_302600_NS5minusIsEEEE10hipError_tPvRmT2_T3_mT4_P12ihipStream_tbEUlmE_sEESB_NS0_8identityIvEEEESG_SJ_SK_mSL_SN_bEUlT_E_NS1_11comp_targetILNS1_3genE10ELNS1_11target_archE1201ELNS1_3gpuE5ELNS1_3repE0EEENS1_30default_config_static_selectorELNS0_4arch9wavefront6targetE1EEEvT1_ ; -- Begin function _ZN7rocprim17ROCPRIM_400000_NS6detail17trampoline_kernelINS0_14default_configENS1_25transform_config_selectorIsLb0EEEZNS1_14transform_implILb0ES3_S5_NS0_18transform_iteratorINS0_17counting_iteratorImlEEZNS1_24adjacent_difference_implIS3_Lb1ELb0EPsSB_N6thrust23THRUST_200600_302600_NS5minusIsEEEE10hipError_tPvRmT2_T3_mT4_P12ihipStream_tbEUlmE_sEESB_NS0_8identityIvEEEESG_SJ_SK_mSL_SN_bEUlT_E_NS1_11comp_targetILNS1_3genE10ELNS1_11target_archE1201ELNS1_3gpuE5ELNS1_3repE0EEENS1_30default_config_static_selectorELNS0_4arch9wavefront6targetE1EEEvT1_
	.globl	_ZN7rocprim17ROCPRIM_400000_NS6detail17trampoline_kernelINS0_14default_configENS1_25transform_config_selectorIsLb0EEEZNS1_14transform_implILb0ES3_S5_NS0_18transform_iteratorINS0_17counting_iteratorImlEEZNS1_24adjacent_difference_implIS3_Lb1ELb0EPsSB_N6thrust23THRUST_200600_302600_NS5minusIsEEEE10hipError_tPvRmT2_T3_mT4_P12ihipStream_tbEUlmE_sEESB_NS0_8identityIvEEEESG_SJ_SK_mSL_SN_bEUlT_E_NS1_11comp_targetILNS1_3genE10ELNS1_11target_archE1201ELNS1_3gpuE5ELNS1_3repE0EEENS1_30default_config_static_selectorELNS0_4arch9wavefront6targetE1EEEvT1_
	.p2align	8
	.type	_ZN7rocprim17ROCPRIM_400000_NS6detail17trampoline_kernelINS0_14default_configENS1_25transform_config_selectorIsLb0EEEZNS1_14transform_implILb0ES3_S5_NS0_18transform_iteratorINS0_17counting_iteratorImlEEZNS1_24adjacent_difference_implIS3_Lb1ELb0EPsSB_N6thrust23THRUST_200600_302600_NS5minusIsEEEE10hipError_tPvRmT2_T3_mT4_P12ihipStream_tbEUlmE_sEESB_NS0_8identityIvEEEESG_SJ_SK_mSL_SN_bEUlT_E_NS1_11comp_targetILNS1_3genE10ELNS1_11target_archE1201ELNS1_3gpuE5ELNS1_3repE0EEENS1_30default_config_static_selectorELNS0_4arch9wavefront6targetE1EEEvT1_,@function
_ZN7rocprim17ROCPRIM_400000_NS6detail17trampoline_kernelINS0_14default_configENS1_25transform_config_selectorIsLb0EEEZNS1_14transform_implILb0ES3_S5_NS0_18transform_iteratorINS0_17counting_iteratorImlEEZNS1_24adjacent_difference_implIS3_Lb1ELb0EPsSB_N6thrust23THRUST_200600_302600_NS5minusIsEEEE10hipError_tPvRmT2_T3_mT4_P12ihipStream_tbEUlmE_sEESB_NS0_8identityIvEEEESG_SJ_SK_mSL_SN_bEUlT_E_NS1_11comp_targetILNS1_3genE10ELNS1_11target_archE1201ELNS1_3gpuE5ELNS1_3repE0EEENS1_30default_config_static_selectorELNS0_4arch9wavefront6targetE1EEEvT1_: ; @_ZN7rocprim17ROCPRIM_400000_NS6detail17trampoline_kernelINS0_14default_configENS1_25transform_config_selectorIsLb0EEEZNS1_14transform_implILb0ES3_S5_NS0_18transform_iteratorINS0_17counting_iteratorImlEEZNS1_24adjacent_difference_implIS3_Lb1ELb0EPsSB_N6thrust23THRUST_200600_302600_NS5minusIsEEEE10hipError_tPvRmT2_T3_mT4_P12ihipStream_tbEUlmE_sEESB_NS0_8identityIvEEEESG_SJ_SK_mSL_SN_bEUlT_E_NS1_11comp_targetILNS1_3genE10ELNS1_11target_archE1201ELNS1_3gpuE5ELNS1_3repE0EEENS1_30default_config_static_selectorELNS0_4arch9wavefront6targetE1EEEvT1_
; %bb.0:
	.section	.rodata,"a",@progbits
	.p2align	6, 0x0
	.amdhsa_kernel _ZN7rocprim17ROCPRIM_400000_NS6detail17trampoline_kernelINS0_14default_configENS1_25transform_config_selectorIsLb0EEEZNS1_14transform_implILb0ES3_S5_NS0_18transform_iteratorINS0_17counting_iteratorImlEEZNS1_24adjacent_difference_implIS3_Lb1ELb0EPsSB_N6thrust23THRUST_200600_302600_NS5minusIsEEEE10hipError_tPvRmT2_T3_mT4_P12ihipStream_tbEUlmE_sEESB_NS0_8identityIvEEEESG_SJ_SK_mSL_SN_bEUlT_E_NS1_11comp_targetILNS1_3genE10ELNS1_11target_archE1201ELNS1_3gpuE5ELNS1_3repE0EEENS1_30default_config_static_selectorELNS0_4arch9wavefront6targetE1EEEvT1_
		.amdhsa_group_segment_fixed_size 0
		.amdhsa_private_segment_fixed_size 0
		.amdhsa_kernarg_size 56
		.amdhsa_user_sgpr_count 6
		.amdhsa_user_sgpr_private_segment_buffer 1
		.amdhsa_user_sgpr_dispatch_ptr 0
		.amdhsa_user_sgpr_queue_ptr 0
		.amdhsa_user_sgpr_kernarg_segment_ptr 1
		.amdhsa_user_sgpr_dispatch_id 0
		.amdhsa_user_sgpr_flat_scratch_init 0
		.amdhsa_user_sgpr_private_segment_size 0
		.amdhsa_uses_dynamic_stack 0
		.amdhsa_system_sgpr_private_segment_wavefront_offset 0
		.amdhsa_system_sgpr_workgroup_id_x 1
		.amdhsa_system_sgpr_workgroup_id_y 0
		.amdhsa_system_sgpr_workgroup_id_z 0
		.amdhsa_system_sgpr_workgroup_info 0
		.amdhsa_system_vgpr_workitem_id 0
		.amdhsa_next_free_vgpr 1
		.amdhsa_next_free_sgpr 0
		.amdhsa_reserve_vcc 0
		.amdhsa_reserve_flat_scratch 0
		.amdhsa_float_round_mode_32 0
		.amdhsa_float_round_mode_16_64 0
		.amdhsa_float_denorm_mode_32 3
		.amdhsa_float_denorm_mode_16_64 3
		.amdhsa_dx10_clamp 1
		.amdhsa_ieee_mode 1
		.amdhsa_fp16_overflow 0
		.amdhsa_exception_fp_ieee_invalid_op 0
		.amdhsa_exception_fp_denorm_src 0
		.amdhsa_exception_fp_ieee_div_zero 0
		.amdhsa_exception_fp_ieee_overflow 0
		.amdhsa_exception_fp_ieee_underflow 0
		.amdhsa_exception_fp_ieee_inexact 0
		.amdhsa_exception_int_div_zero 0
	.end_amdhsa_kernel
	.section	.text._ZN7rocprim17ROCPRIM_400000_NS6detail17trampoline_kernelINS0_14default_configENS1_25transform_config_selectorIsLb0EEEZNS1_14transform_implILb0ES3_S5_NS0_18transform_iteratorINS0_17counting_iteratorImlEEZNS1_24adjacent_difference_implIS3_Lb1ELb0EPsSB_N6thrust23THRUST_200600_302600_NS5minusIsEEEE10hipError_tPvRmT2_T3_mT4_P12ihipStream_tbEUlmE_sEESB_NS0_8identityIvEEEESG_SJ_SK_mSL_SN_bEUlT_E_NS1_11comp_targetILNS1_3genE10ELNS1_11target_archE1201ELNS1_3gpuE5ELNS1_3repE0EEENS1_30default_config_static_selectorELNS0_4arch9wavefront6targetE1EEEvT1_,"axG",@progbits,_ZN7rocprim17ROCPRIM_400000_NS6detail17trampoline_kernelINS0_14default_configENS1_25transform_config_selectorIsLb0EEEZNS1_14transform_implILb0ES3_S5_NS0_18transform_iteratorINS0_17counting_iteratorImlEEZNS1_24adjacent_difference_implIS3_Lb1ELb0EPsSB_N6thrust23THRUST_200600_302600_NS5minusIsEEEE10hipError_tPvRmT2_T3_mT4_P12ihipStream_tbEUlmE_sEESB_NS0_8identityIvEEEESG_SJ_SK_mSL_SN_bEUlT_E_NS1_11comp_targetILNS1_3genE10ELNS1_11target_archE1201ELNS1_3gpuE5ELNS1_3repE0EEENS1_30default_config_static_selectorELNS0_4arch9wavefront6targetE1EEEvT1_,comdat
.Lfunc_end371:
	.size	_ZN7rocprim17ROCPRIM_400000_NS6detail17trampoline_kernelINS0_14default_configENS1_25transform_config_selectorIsLb0EEEZNS1_14transform_implILb0ES3_S5_NS0_18transform_iteratorINS0_17counting_iteratorImlEEZNS1_24adjacent_difference_implIS3_Lb1ELb0EPsSB_N6thrust23THRUST_200600_302600_NS5minusIsEEEE10hipError_tPvRmT2_T3_mT4_P12ihipStream_tbEUlmE_sEESB_NS0_8identityIvEEEESG_SJ_SK_mSL_SN_bEUlT_E_NS1_11comp_targetILNS1_3genE10ELNS1_11target_archE1201ELNS1_3gpuE5ELNS1_3repE0EEENS1_30default_config_static_selectorELNS0_4arch9wavefront6targetE1EEEvT1_, .Lfunc_end371-_ZN7rocprim17ROCPRIM_400000_NS6detail17trampoline_kernelINS0_14default_configENS1_25transform_config_selectorIsLb0EEEZNS1_14transform_implILb0ES3_S5_NS0_18transform_iteratorINS0_17counting_iteratorImlEEZNS1_24adjacent_difference_implIS3_Lb1ELb0EPsSB_N6thrust23THRUST_200600_302600_NS5minusIsEEEE10hipError_tPvRmT2_T3_mT4_P12ihipStream_tbEUlmE_sEESB_NS0_8identityIvEEEESG_SJ_SK_mSL_SN_bEUlT_E_NS1_11comp_targetILNS1_3genE10ELNS1_11target_archE1201ELNS1_3gpuE5ELNS1_3repE0EEENS1_30default_config_static_selectorELNS0_4arch9wavefront6targetE1EEEvT1_
                                        ; -- End function
	.set _ZN7rocprim17ROCPRIM_400000_NS6detail17trampoline_kernelINS0_14default_configENS1_25transform_config_selectorIsLb0EEEZNS1_14transform_implILb0ES3_S5_NS0_18transform_iteratorINS0_17counting_iteratorImlEEZNS1_24adjacent_difference_implIS3_Lb1ELb0EPsSB_N6thrust23THRUST_200600_302600_NS5minusIsEEEE10hipError_tPvRmT2_T3_mT4_P12ihipStream_tbEUlmE_sEESB_NS0_8identityIvEEEESG_SJ_SK_mSL_SN_bEUlT_E_NS1_11comp_targetILNS1_3genE10ELNS1_11target_archE1201ELNS1_3gpuE5ELNS1_3repE0EEENS1_30default_config_static_selectorELNS0_4arch9wavefront6targetE1EEEvT1_.num_vgpr, 0
	.set _ZN7rocprim17ROCPRIM_400000_NS6detail17trampoline_kernelINS0_14default_configENS1_25transform_config_selectorIsLb0EEEZNS1_14transform_implILb0ES3_S5_NS0_18transform_iteratorINS0_17counting_iteratorImlEEZNS1_24adjacent_difference_implIS3_Lb1ELb0EPsSB_N6thrust23THRUST_200600_302600_NS5minusIsEEEE10hipError_tPvRmT2_T3_mT4_P12ihipStream_tbEUlmE_sEESB_NS0_8identityIvEEEESG_SJ_SK_mSL_SN_bEUlT_E_NS1_11comp_targetILNS1_3genE10ELNS1_11target_archE1201ELNS1_3gpuE5ELNS1_3repE0EEENS1_30default_config_static_selectorELNS0_4arch9wavefront6targetE1EEEvT1_.num_agpr, 0
	.set _ZN7rocprim17ROCPRIM_400000_NS6detail17trampoline_kernelINS0_14default_configENS1_25transform_config_selectorIsLb0EEEZNS1_14transform_implILb0ES3_S5_NS0_18transform_iteratorINS0_17counting_iteratorImlEEZNS1_24adjacent_difference_implIS3_Lb1ELb0EPsSB_N6thrust23THRUST_200600_302600_NS5minusIsEEEE10hipError_tPvRmT2_T3_mT4_P12ihipStream_tbEUlmE_sEESB_NS0_8identityIvEEEESG_SJ_SK_mSL_SN_bEUlT_E_NS1_11comp_targetILNS1_3genE10ELNS1_11target_archE1201ELNS1_3gpuE5ELNS1_3repE0EEENS1_30default_config_static_selectorELNS0_4arch9wavefront6targetE1EEEvT1_.numbered_sgpr, 0
	.set _ZN7rocprim17ROCPRIM_400000_NS6detail17trampoline_kernelINS0_14default_configENS1_25transform_config_selectorIsLb0EEEZNS1_14transform_implILb0ES3_S5_NS0_18transform_iteratorINS0_17counting_iteratorImlEEZNS1_24adjacent_difference_implIS3_Lb1ELb0EPsSB_N6thrust23THRUST_200600_302600_NS5minusIsEEEE10hipError_tPvRmT2_T3_mT4_P12ihipStream_tbEUlmE_sEESB_NS0_8identityIvEEEESG_SJ_SK_mSL_SN_bEUlT_E_NS1_11comp_targetILNS1_3genE10ELNS1_11target_archE1201ELNS1_3gpuE5ELNS1_3repE0EEENS1_30default_config_static_selectorELNS0_4arch9wavefront6targetE1EEEvT1_.num_named_barrier, 0
	.set _ZN7rocprim17ROCPRIM_400000_NS6detail17trampoline_kernelINS0_14default_configENS1_25transform_config_selectorIsLb0EEEZNS1_14transform_implILb0ES3_S5_NS0_18transform_iteratorINS0_17counting_iteratorImlEEZNS1_24adjacent_difference_implIS3_Lb1ELb0EPsSB_N6thrust23THRUST_200600_302600_NS5minusIsEEEE10hipError_tPvRmT2_T3_mT4_P12ihipStream_tbEUlmE_sEESB_NS0_8identityIvEEEESG_SJ_SK_mSL_SN_bEUlT_E_NS1_11comp_targetILNS1_3genE10ELNS1_11target_archE1201ELNS1_3gpuE5ELNS1_3repE0EEENS1_30default_config_static_selectorELNS0_4arch9wavefront6targetE1EEEvT1_.private_seg_size, 0
	.set _ZN7rocprim17ROCPRIM_400000_NS6detail17trampoline_kernelINS0_14default_configENS1_25transform_config_selectorIsLb0EEEZNS1_14transform_implILb0ES3_S5_NS0_18transform_iteratorINS0_17counting_iteratorImlEEZNS1_24adjacent_difference_implIS3_Lb1ELb0EPsSB_N6thrust23THRUST_200600_302600_NS5minusIsEEEE10hipError_tPvRmT2_T3_mT4_P12ihipStream_tbEUlmE_sEESB_NS0_8identityIvEEEESG_SJ_SK_mSL_SN_bEUlT_E_NS1_11comp_targetILNS1_3genE10ELNS1_11target_archE1201ELNS1_3gpuE5ELNS1_3repE0EEENS1_30default_config_static_selectorELNS0_4arch9wavefront6targetE1EEEvT1_.uses_vcc, 0
	.set _ZN7rocprim17ROCPRIM_400000_NS6detail17trampoline_kernelINS0_14default_configENS1_25transform_config_selectorIsLb0EEEZNS1_14transform_implILb0ES3_S5_NS0_18transform_iteratorINS0_17counting_iteratorImlEEZNS1_24adjacent_difference_implIS3_Lb1ELb0EPsSB_N6thrust23THRUST_200600_302600_NS5minusIsEEEE10hipError_tPvRmT2_T3_mT4_P12ihipStream_tbEUlmE_sEESB_NS0_8identityIvEEEESG_SJ_SK_mSL_SN_bEUlT_E_NS1_11comp_targetILNS1_3genE10ELNS1_11target_archE1201ELNS1_3gpuE5ELNS1_3repE0EEENS1_30default_config_static_selectorELNS0_4arch9wavefront6targetE1EEEvT1_.uses_flat_scratch, 0
	.set _ZN7rocprim17ROCPRIM_400000_NS6detail17trampoline_kernelINS0_14default_configENS1_25transform_config_selectorIsLb0EEEZNS1_14transform_implILb0ES3_S5_NS0_18transform_iteratorINS0_17counting_iteratorImlEEZNS1_24adjacent_difference_implIS3_Lb1ELb0EPsSB_N6thrust23THRUST_200600_302600_NS5minusIsEEEE10hipError_tPvRmT2_T3_mT4_P12ihipStream_tbEUlmE_sEESB_NS0_8identityIvEEEESG_SJ_SK_mSL_SN_bEUlT_E_NS1_11comp_targetILNS1_3genE10ELNS1_11target_archE1201ELNS1_3gpuE5ELNS1_3repE0EEENS1_30default_config_static_selectorELNS0_4arch9wavefront6targetE1EEEvT1_.has_dyn_sized_stack, 0
	.set _ZN7rocprim17ROCPRIM_400000_NS6detail17trampoline_kernelINS0_14default_configENS1_25transform_config_selectorIsLb0EEEZNS1_14transform_implILb0ES3_S5_NS0_18transform_iteratorINS0_17counting_iteratorImlEEZNS1_24adjacent_difference_implIS3_Lb1ELb0EPsSB_N6thrust23THRUST_200600_302600_NS5minusIsEEEE10hipError_tPvRmT2_T3_mT4_P12ihipStream_tbEUlmE_sEESB_NS0_8identityIvEEEESG_SJ_SK_mSL_SN_bEUlT_E_NS1_11comp_targetILNS1_3genE10ELNS1_11target_archE1201ELNS1_3gpuE5ELNS1_3repE0EEENS1_30default_config_static_selectorELNS0_4arch9wavefront6targetE1EEEvT1_.has_recursion, 0
	.set _ZN7rocprim17ROCPRIM_400000_NS6detail17trampoline_kernelINS0_14default_configENS1_25transform_config_selectorIsLb0EEEZNS1_14transform_implILb0ES3_S5_NS0_18transform_iteratorINS0_17counting_iteratorImlEEZNS1_24adjacent_difference_implIS3_Lb1ELb0EPsSB_N6thrust23THRUST_200600_302600_NS5minusIsEEEE10hipError_tPvRmT2_T3_mT4_P12ihipStream_tbEUlmE_sEESB_NS0_8identityIvEEEESG_SJ_SK_mSL_SN_bEUlT_E_NS1_11comp_targetILNS1_3genE10ELNS1_11target_archE1201ELNS1_3gpuE5ELNS1_3repE0EEENS1_30default_config_static_selectorELNS0_4arch9wavefront6targetE1EEEvT1_.has_indirect_call, 0
	.section	.AMDGPU.csdata,"",@progbits
; Kernel info:
; codeLenInByte = 0
; TotalNumSgprs: 4
; NumVgprs: 0
; ScratchSize: 0
; MemoryBound: 0
; FloatMode: 240
; IeeeMode: 1
; LDSByteSize: 0 bytes/workgroup (compile time only)
; SGPRBlocks: 0
; VGPRBlocks: 0
; NumSGPRsForWavesPerEU: 4
; NumVGPRsForWavesPerEU: 1
; Occupancy: 10
; WaveLimiterHint : 0
; COMPUTE_PGM_RSRC2:SCRATCH_EN: 0
; COMPUTE_PGM_RSRC2:USER_SGPR: 6
; COMPUTE_PGM_RSRC2:TRAP_HANDLER: 0
; COMPUTE_PGM_RSRC2:TGID_X_EN: 1
; COMPUTE_PGM_RSRC2:TGID_Y_EN: 0
; COMPUTE_PGM_RSRC2:TGID_Z_EN: 0
; COMPUTE_PGM_RSRC2:TIDIG_COMP_CNT: 0
	.section	.text._ZN7rocprim17ROCPRIM_400000_NS6detail17trampoline_kernelINS0_14default_configENS1_25transform_config_selectorIsLb0EEEZNS1_14transform_implILb0ES3_S5_NS0_18transform_iteratorINS0_17counting_iteratorImlEEZNS1_24adjacent_difference_implIS3_Lb1ELb0EPsSB_N6thrust23THRUST_200600_302600_NS5minusIsEEEE10hipError_tPvRmT2_T3_mT4_P12ihipStream_tbEUlmE_sEESB_NS0_8identityIvEEEESG_SJ_SK_mSL_SN_bEUlT_E_NS1_11comp_targetILNS1_3genE10ELNS1_11target_archE1200ELNS1_3gpuE4ELNS1_3repE0EEENS1_30default_config_static_selectorELNS0_4arch9wavefront6targetE1EEEvT1_,"axG",@progbits,_ZN7rocprim17ROCPRIM_400000_NS6detail17trampoline_kernelINS0_14default_configENS1_25transform_config_selectorIsLb0EEEZNS1_14transform_implILb0ES3_S5_NS0_18transform_iteratorINS0_17counting_iteratorImlEEZNS1_24adjacent_difference_implIS3_Lb1ELb0EPsSB_N6thrust23THRUST_200600_302600_NS5minusIsEEEE10hipError_tPvRmT2_T3_mT4_P12ihipStream_tbEUlmE_sEESB_NS0_8identityIvEEEESG_SJ_SK_mSL_SN_bEUlT_E_NS1_11comp_targetILNS1_3genE10ELNS1_11target_archE1200ELNS1_3gpuE4ELNS1_3repE0EEENS1_30default_config_static_selectorELNS0_4arch9wavefront6targetE1EEEvT1_,comdat
	.protected	_ZN7rocprim17ROCPRIM_400000_NS6detail17trampoline_kernelINS0_14default_configENS1_25transform_config_selectorIsLb0EEEZNS1_14transform_implILb0ES3_S5_NS0_18transform_iteratorINS0_17counting_iteratorImlEEZNS1_24adjacent_difference_implIS3_Lb1ELb0EPsSB_N6thrust23THRUST_200600_302600_NS5minusIsEEEE10hipError_tPvRmT2_T3_mT4_P12ihipStream_tbEUlmE_sEESB_NS0_8identityIvEEEESG_SJ_SK_mSL_SN_bEUlT_E_NS1_11comp_targetILNS1_3genE10ELNS1_11target_archE1200ELNS1_3gpuE4ELNS1_3repE0EEENS1_30default_config_static_selectorELNS0_4arch9wavefront6targetE1EEEvT1_ ; -- Begin function _ZN7rocprim17ROCPRIM_400000_NS6detail17trampoline_kernelINS0_14default_configENS1_25transform_config_selectorIsLb0EEEZNS1_14transform_implILb0ES3_S5_NS0_18transform_iteratorINS0_17counting_iteratorImlEEZNS1_24adjacent_difference_implIS3_Lb1ELb0EPsSB_N6thrust23THRUST_200600_302600_NS5minusIsEEEE10hipError_tPvRmT2_T3_mT4_P12ihipStream_tbEUlmE_sEESB_NS0_8identityIvEEEESG_SJ_SK_mSL_SN_bEUlT_E_NS1_11comp_targetILNS1_3genE10ELNS1_11target_archE1200ELNS1_3gpuE4ELNS1_3repE0EEENS1_30default_config_static_selectorELNS0_4arch9wavefront6targetE1EEEvT1_
	.globl	_ZN7rocprim17ROCPRIM_400000_NS6detail17trampoline_kernelINS0_14default_configENS1_25transform_config_selectorIsLb0EEEZNS1_14transform_implILb0ES3_S5_NS0_18transform_iteratorINS0_17counting_iteratorImlEEZNS1_24adjacent_difference_implIS3_Lb1ELb0EPsSB_N6thrust23THRUST_200600_302600_NS5minusIsEEEE10hipError_tPvRmT2_T3_mT4_P12ihipStream_tbEUlmE_sEESB_NS0_8identityIvEEEESG_SJ_SK_mSL_SN_bEUlT_E_NS1_11comp_targetILNS1_3genE10ELNS1_11target_archE1200ELNS1_3gpuE4ELNS1_3repE0EEENS1_30default_config_static_selectorELNS0_4arch9wavefront6targetE1EEEvT1_
	.p2align	8
	.type	_ZN7rocprim17ROCPRIM_400000_NS6detail17trampoline_kernelINS0_14default_configENS1_25transform_config_selectorIsLb0EEEZNS1_14transform_implILb0ES3_S5_NS0_18transform_iteratorINS0_17counting_iteratorImlEEZNS1_24adjacent_difference_implIS3_Lb1ELb0EPsSB_N6thrust23THRUST_200600_302600_NS5minusIsEEEE10hipError_tPvRmT2_T3_mT4_P12ihipStream_tbEUlmE_sEESB_NS0_8identityIvEEEESG_SJ_SK_mSL_SN_bEUlT_E_NS1_11comp_targetILNS1_3genE10ELNS1_11target_archE1200ELNS1_3gpuE4ELNS1_3repE0EEENS1_30default_config_static_selectorELNS0_4arch9wavefront6targetE1EEEvT1_,@function
_ZN7rocprim17ROCPRIM_400000_NS6detail17trampoline_kernelINS0_14default_configENS1_25transform_config_selectorIsLb0EEEZNS1_14transform_implILb0ES3_S5_NS0_18transform_iteratorINS0_17counting_iteratorImlEEZNS1_24adjacent_difference_implIS3_Lb1ELb0EPsSB_N6thrust23THRUST_200600_302600_NS5minusIsEEEE10hipError_tPvRmT2_T3_mT4_P12ihipStream_tbEUlmE_sEESB_NS0_8identityIvEEEESG_SJ_SK_mSL_SN_bEUlT_E_NS1_11comp_targetILNS1_3genE10ELNS1_11target_archE1200ELNS1_3gpuE4ELNS1_3repE0EEENS1_30default_config_static_selectorELNS0_4arch9wavefront6targetE1EEEvT1_: ; @_ZN7rocprim17ROCPRIM_400000_NS6detail17trampoline_kernelINS0_14default_configENS1_25transform_config_selectorIsLb0EEEZNS1_14transform_implILb0ES3_S5_NS0_18transform_iteratorINS0_17counting_iteratorImlEEZNS1_24adjacent_difference_implIS3_Lb1ELb0EPsSB_N6thrust23THRUST_200600_302600_NS5minusIsEEEE10hipError_tPvRmT2_T3_mT4_P12ihipStream_tbEUlmE_sEESB_NS0_8identityIvEEEESG_SJ_SK_mSL_SN_bEUlT_E_NS1_11comp_targetILNS1_3genE10ELNS1_11target_archE1200ELNS1_3gpuE4ELNS1_3repE0EEENS1_30default_config_static_selectorELNS0_4arch9wavefront6targetE1EEEvT1_
; %bb.0:
	.section	.rodata,"a",@progbits
	.p2align	6, 0x0
	.amdhsa_kernel _ZN7rocprim17ROCPRIM_400000_NS6detail17trampoline_kernelINS0_14default_configENS1_25transform_config_selectorIsLb0EEEZNS1_14transform_implILb0ES3_S5_NS0_18transform_iteratorINS0_17counting_iteratorImlEEZNS1_24adjacent_difference_implIS3_Lb1ELb0EPsSB_N6thrust23THRUST_200600_302600_NS5minusIsEEEE10hipError_tPvRmT2_T3_mT4_P12ihipStream_tbEUlmE_sEESB_NS0_8identityIvEEEESG_SJ_SK_mSL_SN_bEUlT_E_NS1_11comp_targetILNS1_3genE10ELNS1_11target_archE1200ELNS1_3gpuE4ELNS1_3repE0EEENS1_30default_config_static_selectorELNS0_4arch9wavefront6targetE1EEEvT1_
		.amdhsa_group_segment_fixed_size 0
		.amdhsa_private_segment_fixed_size 0
		.amdhsa_kernarg_size 56
		.amdhsa_user_sgpr_count 6
		.amdhsa_user_sgpr_private_segment_buffer 1
		.amdhsa_user_sgpr_dispatch_ptr 0
		.amdhsa_user_sgpr_queue_ptr 0
		.amdhsa_user_sgpr_kernarg_segment_ptr 1
		.amdhsa_user_sgpr_dispatch_id 0
		.amdhsa_user_sgpr_flat_scratch_init 0
		.amdhsa_user_sgpr_private_segment_size 0
		.amdhsa_uses_dynamic_stack 0
		.amdhsa_system_sgpr_private_segment_wavefront_offset 0
		.amdhsa_system_sgpr_workgroup_id_x 1
		.amdhsa_system_sgpr_workgroup_id_y 0
		.amdhsa_system_sgpr_workgroup_id_z 0
		.amdhsa_system_sgpr_workgroup_info 0
		.amdhsa_system_vgpr_workitem_id 0
		.amdhsa_next_free_vgpr 1
		.amdhsa_next_free_sgpr 0
		.amdhsa_reserve_vcc 0
		.amdhsa_reserve_flat_scratch 0
		.amdhsa_float_round_mode_32 0
		.amdhsa_float_round_mode_16_64 0
		.amdhsa_float_denorm_mode_32 3
		.amdhsa_float_denorm_mode_16_64 3
		.amdhsa_dx10_clamp 1
		.amdhsa_ieee_mode 1
		.amdhsa_fp16_overflow 0
		.amdhsa_exception_fp_ieee_invalid_op 0
		.amdhsa_exception_fp_denorm_src 0
		.amdhsa_exception_fp_ieee_div_zero 0
		.amdhsa_exception_fp_ieee_overflow 0
		.amdhsa_exception_fp_ieee_underflow 0
		.amdhsa_exception_fp_ieee_inexact 0
		.amdhsa_exception_int_div_zero 0
	.end_amdhsa_kernel
	.section	.text._ZN7rocprim17ROCPRIM_400000_NS6detail17trampoline_kernelINS0_14default_configENS1_25transform_config_selectorIsLb0EEEZNS1_14transform_implILb0ES3_S5_NS0_18transform_iteratorINS0_17counting_iteratorImlEEZNS1_24adjacent_difference_implIS3_Lb1ELb0EPsSB_N6thrust23THRUST_200600_302600_NS5minusIsEEEE10hipError_tPvRmT2_T3_mT4_P12ihipStream_tbEUlmE_sEESB_NS0_8identityIvEEEESG_SJ_SK_mSL_SN_bEUlT_E_NS1_11comp_targetILNS1_3genE10ELNS1_11target_archE1200ELNS1_3gpuE4ELNS1_3repE0EEENS1_30default_config_static_selectorELNS0_4arch9wavefront6targetE1EEEvT1_,"axG",@progbits,_ZN7rocprim17ROCPRIM_400000_NS6detail17trampoline_kernelINS0_14default_configENS1_25transform_config_selectorIsLb0EEEZNS1_14transform_implILb0ES3_S5_NS0_18transform_iteratorINS0_17counting_iteratorImlEEZNS1_24adjacent_difference_implIS3_Lb1ELb0EPsSB_N6thrust23THRUST_200600_302600_NS5minusIsEEEE10hipError_tPvRmT2_T3_mT4_P12ihipStream_tbEUlmE_sEESB_NS0_8identityIvEEEESG_SJ_SK_mSL_SN_bEUlT_E_NS1_11comp_targetILNS1_3genE10ELNS1_11target_archE1200ELNS1_3gpuE4ELNS1_3repE0EEENS1_30default_config_static_selectorELNS0_4arch9wavefront6targetE1EEEvT1_,comdat
.Lfunc_end372:
	.size	_ZN7rocprim17ROCPRIM_400000_NS6detail17trampoline_kernelINS0_14default_configENS1_25transform_config_selectorIsLb0EEEZNS1_14transform_implILb0ES3_S5_NS0_18transform_iteratorINS0_17counting_iteratorImlEEZNS1_24adjacent_difference_implIS3_Lb1ELb0EPsSB_N6thrust23THRUST_200600_302600_NS5minusIsEEEE10hipError_tPvRmT2_T3_mT4_P12ihipStream_tbEUlmE_sEESB_NS0_8identityIvEEEESG_SJ_SK_mSL_SN_bEUlT_E_NS1_11comp_targetILNS1_3genE10ELNS1_11target_archE1200ELNS1_3gpuE4ELNS1_3repE0EEENS1_30default_config_static_selectorELNS0_4arch9wavefront6targetE1EEEvT1_, .Lfunc_end372-_ZN7rocprim17ROCPRIM_400000_NS6detail17trampoline_kernelINS0_14default_configENS1_25transform_config_selectorIsLb0EEEZNS1_14transform_implILb0ES3_S5_NS0_18transform_iteratorINS0_17counting_iteratorImlEEZNS1_24adjacent_difference_implIS3_Lb1ELb0EPsSB_N6thrust23THRUST_200600_302600_NS5minusIsEEEE10hipError_tPvRmT2_T3_mT4_P12ihipStream_tbEUlmE_sEESB_NS0_8identityIvEEEESG_SJ_SK_mSL_SN_bEUlT_E_NS1_11comp_targetILNS1_3genE10ELNS1_11target_archE1200ELNS1_3gpuE4ELNS1_3repE0EEENS1_30default_config_static_selectorELNS0_4arch9wavefront6targetE1EEEvT1_
                                        ; -- End function
	.set _ZN7rocprim17ROCPRIM_400000_NS6detail17trampoline_kernelINS0_14default_configENS1_25transform_config_selectorIsLb0EEEZNS1_14transform_implILb0ES3_S5_NS0_18transform_iteratorINS0_17counting_iteratorImlEEZNS1_24adjacent_difference_implIS3_Lb1ELb0EPsSB_N6thrust23THRUST_200600_302600_NS5minusIsEEEE10hipError_tPvRmT2_T3_mT4_P12ihipStream_tbEUlmE_sEESB_NS0_8identityIvEEEESG_SJ_SK_mSL_SN_bEUlT_E_NS1_11comp_targetILNS1_3genE10ELNS1_11target_archE1200ELNS1_3gpuE4ELNS1_3repE0EEENS1_30default_config_static_selectorELNS0_4arch9wavefront6targetE1EEEvT1_.num_vgpr, 0
	.set _ZN7rocprim17ROCPRIM_400000_NS6detail17trampoline_kernelINS0_14default_configENS1_25transform_config_selectorIsLb0EEEZNS1_14transform_implILb0ES3_S5_NS0_18transform_iteratorINS0_17counting_iteratorImlEEZNS1_24adjacent_difference_implIS3_Lb1ELb0EPsSB_N6thrust23THRUST_200600_302600_NS5minusIsEEEE10hipError_tPvRmT2_T3_mT4_P12ihipStream_tbEUlmE_sEESB_NS0_8identityIvEEEESG_SJ_SK_mSL_SN_bEUlT_E_NS1_11comp_targetILNS1_3genE10ELNS1_11target_archE1200ELNS1_3gpuE4ELNS1_3repE0EEENS1_30default_config_static_selectorELNS0_4arch9wavefront6targetE1EEEvT1_.num_agpr, 0
	.set _ZN7rocprim17ROCPRIM_400000_NS6detail17trampoline_kernelINS0_14default_configENS1_25transform_config_selectorIsLb0EEEZNS1_14transform_implILb0ES3_S5_NS0_18transform_iteratorINS0_17counting_iteratorImlEEZNS1_24adjacent_difference_implIS3_Lb1ELb0EPsSB_N6thrust23THRUST_200600_302600_NS5minusIsEEEE10hipError_tPvRmT2_T3_mT4_P12ihipStream_tbEUlmE_sEESB_NS0_8identityIvEEEESG_SJ_SK_mSL_SN_bEUlT_E_NS1_11comp_targetILNS1_3genE10ELNS1_11target_archE1200ELNS1_3gpuE4ELNS1_3repE0EEENS1_30default_config_static_selectorELNS0_4arch9wavefront6targetE1EEEvT1_.numbered_sgpr, 0
	.set _ZN7rocprim17ROCPRIM_400000_NS6detail17trampoline_kernelINS0_14default_configENS1_25transform_config_selectorIsLb0EEEZNS1_14transform_implILb0ES3_S5_NS0_18transform_iteratorINS0_17counting_iteratorImlEEZNS1_24adjacent_difference_implIS3_Lb1ELb0EPsSB_N6thrust23THRUST_200600_302600_NS5minusIsEEEE10hipError_tPvRmT2_T3_mT4_P12ihipStream_tbEUlmE_sEESB_NS0_8identityIvEEEESG_SJ_SK_mSL_SN_bEUlT_E_NS1_11comp_targetILNS1_3genE10ELNS1_11target_archE1200ELNS1_3gpuE4ELNS1_3repE0EEENS1_30default_config_static_selectorELNS0_4arch9wavefront6targetE1EEEvT1_.num_named_barrier, 0
	.set _ZN7rocprim17ROCPRIM_400000_NS6detail17trampoline_kernelINS0_14default_configENS1_25transform_config_selectorIsLb0EEEZNS1_14transform_implILb0ES3_S5_NS0_18transform_iteratorINS0_17counting_iteratorImlEEZNS1_24adjacent_difference_implIS3_Lb1ELb0EPsSB_N6thrust23THRUST_200600_302600_NS5minusIsEEEE10hipError_tPvRmT2_T3_mT4_P12ihipStream_tbEUlmE_sEESB_NS0_8identityIvEEEESG_SJ_SK_mSL_SN_bEUlT_E_NS1_11comp_targetILNS1_3genE10ELNS1_11target_archE1200ELNS1_3gpuE4ELNS1_3repE0EEENS1_30default_config_static_selectorELNS0_4arch9wavefront6targetE1EEEvT1_.private_seg_size, 0
	.set _ZN7rocprim17ROCPRIM_400000_NS6detail17trampoline_kernelINS0_14default_configENS1_25transform_config_selectorIsLb0EEEZNS1_14transform_implILb0ES3_S5_NS0_18transform_iteratorINS0_17counting_iteratorImlEEZNS1_24adjacent_difference_implIS3_Lb1ELb0EPsSB_N6thrust23THRUST_200600_302600_NS5minusIsEEEE10hipError_tPvRmT2_T3_mT4_P12ihipStream_tbEUlmE_sEESB_NS0_8identityIvEEEESG_SJ_SK_mSL_SN_bEUlT_E_NS1_11comp_targetILNS1_3genE10ELNS1_11target_archE1200ELNS1_3gpuE4ELNS1_3repE0EEENS1_30default_config_static_selectorELNS0_4arch9wavefront6targetE1EEEvT1_.uses_vcc, 0
	.set _ZN7rocprim17ROCPRIM_400000_NS6detail17trampoline_kernelINS0_14default_configENS1_25transform_config_selectorIsLb0EEEZNS1_14transform_implILb0ES3_S5_NS0_18transform_iteratorINS0_17counting_iteratorImlEEZNS1_24adjacent_difference_implIS3_Lb1ELb0EPsSB_N6thrust23THRUST_200600_302600_NS5minusIsEEEE10hipError_tPvRmT2_T3_mT4_P12ihipStream_tbEUlmE_sEESB_NS0_8identityIvEEEESG_SJ_SK_mSL_SN_bEUlT_E_NS1_11comp_targetILNS1_3genE10ELNS1_11target_archE1200ELNS1_3gpuE4ELNS1_3repE0EEENS1_30default_config_static_selectorELNS0_4arch9wavefront6targetE1EEEvT1_.uses_flat_scratch, 0
	.set _ZN7rocprim17ROCPRIM_400000_NS6detail17trampoline_kernelINS0_14default_configENS1_25transform_config_selectorIsLb0EEEZNS1_14transform_implILb0ES3_S5_NS0_18transform_iteratorINS0_17counting_iteratorImlEEZNS1_24adjacent_difference_implIS3_Lb1ELb0EPsSB_N6thrust23THRUST_200600_302600_NS5minusIsEEEE10hipError_tPvRmT2_T3_mT4_P12ihipStream_tbEUlmE_sEESB_NS0_8identityIvEEEESG_SJ_SK_mSL_SN_bEUlT_E_NS1_11comp_targetILNS1_3genE10ELNS1_11target_archE1200ELNS1_3gpuE4ELNS1_3repE0EEENS1_30default_config_static_selectorELNS0_4arch9wavefront6targetE1EEEvT1_.has_dyn_sized_stack, 0
	.set _ZN7rocprim17ROCPRIM_400000_NS6detail17trampoline_kernelINS0_14default_configENS1_25transform_config_selectorIsLb0EEEZNS1_14transform_implILb0ES3_S5_NS0_18transform_iteratorINS0_17counting_iteratorImlEEZNS1_24adjacent_difference_implIS3_Lb1ELb0EPsSB_N6thrust23THRUST_200600_302600_NS5minusIsEEEE10hipError_tPvRmT2_T3_mT4_P12ihipStream_tbEUlmE_sEESB_NS0_8identityIvEEEESG_SJ_SK_mSL_SN_bEUlT_E_NS1_11comp_targetILNS1_3genE10ELNS1_11target_archE1200ELNS1_3gpuE4ELNS1_3repE0EEENS1_30default_config_static_selectorELNS0_4arch9wavefront6targetE1EEEvT1_.has_recursion, 0
	.set _ZN7rocprim17ROCPRIM_400000_NS6detail17trampoline_kernelINS0_14default_configENS1_25transform_config_selectorIsLb0EEEZNS1_14transform_implILb0ES3_S5_NS0_18transform_iteratorINS0_17counting_iteratorImlEEZNS1_24adjacent_difference_implIS3_Lb1ELb0EPsSB_N6thrust23THRUST_200600_302600_NS5minusIsEEEE10hipError_tPvRmT2_T3_mT4_P12ihipStream_tbEUlmE_sEESB_NS0_8identityIvEEEESG_SJ_SK_mSL_SN_bEUlT_E_NS1_11comp_targetILNS1_3genE10ELNS1_11target_archE1200ELNS1_3gpuE4ELNS1_3repE0EEENS1_30default_config_static_selectorELNS0_4arch9wavefront6targetE1EEEvT1_.has_indirect_call, 0
	.section	.AMDGPU.csdata,"",@progbits
; Kernel info:
; codeLenInByte = 0
; TotalNumSgprs: 4
; NumVgprs: 0
; ScratchSize: 0
; MemoryBound: 0
; FloatMode: 240
; IeeeMode: 1
; LDSByteSize: 0 bytes/workgroup (compile time only)
; SGPRBlocks: 0
; VGPRBlocks: 0
; NumSGPRsForWavesPerEU: 4
; NumVGPRsForWavesPerEU: 1
; Occupancy: 10
; WaveLimiterHint : 0
; COMPUTE_PGM_RSRC2:SCRATCH_EN: 0
; COMPUTE_PGM_RSRC2:USER_SGPR: 6
; COMPUTE_PGM_RSRC2:TRAP_HANDLER: 0
; COMPUTE_PGM_RSRC2:TGID_X_EN: 1
; COMPUTE_PGM_RSRC2:TGID_Y_EN: 0
; COMPUTE_PGM_RSRC2:TGID_Z_EN: 0
; COMPUTE_PGM_RSRC2:TIDIG_COMP_CNT: 0
	.section	.text._ZN7rocprim17ROCPRIM_400000_NS6detail17trampoline_kernelINS0_14default_configENS1_25transform_config_selectorIsLb0EEEZNS1_14transform_implILb0ES3_S5_NS0_18transform_iteratorINS0_17counting_iteratorImlEEZNS1_24adjacent_difference_implIS3_Lb1ELb0EPsSB_N6thrust23THRUST_200600_302600_NS5minusIsEEEE10hipError_tPvRmT2_T3_mT4_P12ihipStream_tbEUlmE_sEESB_NS0_8identityIvEEEESG_SJ_SK_mSL_SN_bEUlT_E_NS1_11comp_targetILNS1_3genE9ELNS1_11target_archE1100ELNS1_3gpuE3ELNS1_3repE0EEENS1_30default_config_static_selectorELNS0_4arch9wavefront6targetE1EEEvT1_,"axG",@progbits,_ZN7rocprim17ROCPRIM_400000_NS6detail17trampoline_kernelINS0_14default_configENS1_25transform_config_selectorIsLb0EEEZNS1_14transform_implILb0ES3_S5_NS0_18transform_iteratorINS0_17counting_iteratorImlEEZNS1_24adjacent_difference_implIS3_Lb1ELb0EPsSB_N6thrust23THRUST_200600_302600_NS5minusIsEEEE10hipError_tPvRmT2_T3_mT4_P12ihipStream_tbEUlmE_sEESB_NS0_8identityIvEEEESG_SJ_SK_mSL_SN_bEUlT_E_NS1_11comp_targetILNS1_3genE9ELNS1_11target_archE1100ELNS1_3gpuE3ELNS1_3repE0EEENS1_30default_config_static_selectorELNS0_4arch9wavefront6targetE1EEEvT1_,comdat
	.protected	_ZN7rocprim17ROCPRIM_400000_NS6detail17trampoline_kernelINS0_14default_configENS1_25transform_config_selectorIsLb0EEEZNS1_14transform_implILb0ES3_S5_NS0_18transform_iteratorINS0_17counting_iteratorImlEEZNS1_24adjacent_difference_implIS3_Lb1ELb0EPsSB_N6thrust23THRUST_200600_302600_NS5minusIsEEEE10hipError_tPvRmT2_T3_mT4_P12ihipStream_tbEUlmE_sEESB_NS0_8identityIvEEEESG_SJ_SK_mSL_SN_bEUlT_E_NS1_11comp_targetILNS1_3genE9ELNS1_11target_archE1100ELNS1_3gpuE3ELNS1_3repE0EEENS1_30default_config_static_selectorELNS0_4arch9wavefront6targetE1EEEvT1_ ; -- Begin function _ZN7rocprim17ROCPRIM_400000_NS6detail17trampoline_kernelINS0_14default_configENS1_25transform_config_selectorIsLb0EEEZNS1_14transform_implILb0ES3_S5_NS0_18transform_iteratorINS0_17counting_iteratorImlEEZNS1_24adjacent_difference_implIS3_Lb1ELb0EPsSB_N6thrust23THRUST_200600_302600_NS5minusIsEEEE10hipError_tPvRmT2_T3_mT4_P12ihipStream_tbEUlmE_sEESB_NS0_8identityIvEEEESG_SJ_SK_mSL_SN_bEUlT_E_NS1_11comp_targetILNS1_3genE9ELNS1_11target_archE1100ELNS1_3gpuE3ELNS1_3repE0EEENS1_30default_config_static_selectorELNS0_4arch9wavefront6targetE1EEEvT1_
	.globl	_ZN7rocprim17ROCPRIM_400000_NS6detail17trampoline_kernelINS0_14default_configENS1_25transform_config_selectorIsLb0EEEZNS1_14transform_implILb0ES3_S5_NS0_18transform_iteratorINS0_17counting_iteratorImlEEZNS1_24adjacent_difference_implIS3_Lb1ELb0EPsSB_N6thrust23THRUST_200600_302600_NS5minusIsEEEE10hipError_tPvRmT2_T3_mT4_P12ihipStream_tbEUlmE_sEESB_NS0_8identityIvEEEESG_SJ_SK_mSL_SN_bEUlT_E_NS1_11comp_targetILNS1_3genE9ELNS1_11target_archE1100ELNS1_3gpuE3ELNS1_3repE0EEENS1_30default_config_static_selectorELNS0_4arch9wavefront6targetE1EEEvT1_
	.p2align	8
	.type	_ZN7rocprim17ROCPRIM_400000_NS6detail17trampoline_kernelINS0_14default_configENS1_25transform_config_selectorIsLb0EEEZNS1_14transform_implILb0ES3_S5_NS0_18transform_iteratorINS0_17counting_iteratorImlEEZNS1_24adjacent_difference_implIS3_Lb1ELb0EPsSB_N6thrust23THRUST_200600_302600_NS5minusIsEEEE10hipError_tPvRmT2_T3_mT4_P12ihipStream_tbEUlmE_sEESB_NS0_8identityIvEEEESG_SJ_SK_mSL_SN_bEUlT_E_NS1_11comp_targetILNS1_3genE9ELNS1_11target_archE1100ELNS1_3gpuE3ELNS1_3repE0EEENS1_30default_config_static_selectorELNS0_4arch9wavefront6targetE1EEEvT1_,@function
_ZN7rocprim17ROCPRIM_400000_NS6detail17trampoline_kernelINS0_14default_configENS1_25transform_config_selectorIsLb0EEEZNS1_14transform_implILb0ES3_S5_NS0_18transform_iteratorINS0_17counting_iteratorImlEEZNS1_24adjacent_difference_implIS3_Lb1ELb0EPsSB_N6thrust23THRUST_200600_302600_NS5minusIsEEEE10hipError_tPvRmT2_T3_mT4_P12ihipStream_tbEUlmE_sEESB_NS0_8identityIvEEEESG_SJ_SK_mSL_SN_bEUlT_E_NS1_11comp_targetILNS1_3genE9ELNS1_11target_archE1100ELNS1_3gpuE3ELNS1_3repE0EEENS1_30default_config_static_selectorELNS0_4arch9wavefront6targetE1EEEvT1_: ; @_ZN7rocprim17ROCPRIM_400000_NS6detail17trampoline_kernelINS0_14default_configENS1_25transform_config_selectorIsLb0EEEZNS1_14transform_implILb0ES3_S5_NS0_18transform_iteratorINS0_17counting_iteratorImlEEZNS1_24adjacent_difference_implIS3_Lb1ELb0EPsSB_N6thrust23THRUST_200600_302600_NS5minusIsEEEE10hipError_tPvRmT2_T3_mT4_P12ihipStream_tbEUlmE_sEESB_NS0_8identityIvEEEESG_SJ_SK_mSL_SN_bEUlT_E_NS1_11comp_targetILNS1_3genE9ELNS1_11target_archE1100ELNS1_3gpuE3ELNS1_3repE0EEENS1_30default_config_static_selectorELNS0_4arch9wavefront6targetE1EEEvT1_
; %bb.0:
	.section	.rodata,"a",@progbits
	.p2align	6, 0x0
	.amdhsa_kernel _ZN7rocprim17ROCPRIM_400000_NS6detail17trampoline_kernelINS0_14default_configENS1_25transform_config_selectorIsLb0EEEZNS1_14transform_implILb0ES3_S5_NS0_18transform_iteratorINS0_17counting_iteratorImlEEZNS1_24adjacent_difference_implIS3_Lb1ELb0EPsSB_N6thrust23THRUST_200600_302600_NS5minusIsEEEE10hipError_tPvRmT2_T3_mT4_P12ihipStream_tbEUlmE_sEESB_NS0_8identityIvEEEESG_SJ_SK_mSL_SN_bEUlT_E_NS1_11comp_targetILNS1_3genE9ELNS1_11target_archE1100ELNS1_3gpuE3ELNS1_3repE0EEENS1_30default_config_static_selectorELNS0_4arch9wavefront6targetE1EEEvT1_
		.amdhsa_group_segment_fixed_size 0
		.amdhsa_private_segment_fixed_size 0
		.amdhsa_kernarg_size 56
		.amdhsa_user_sgpr_count 6
		.amdhsa_user_sgpr_private_segment_buffer 1
		.amdhsa_user_sgpr_dispatch_ptr 0
		.amdhsa_user_sgpr_queue_ptr 0
		.amdhsa_user_sgpr_kernarg_segment_ptr 1
		.amdhsa_user_sgpr_dispatch_id 0
		.amdhsa_user_sgpr_flat_scratch_init 0
		.amdhsa_user_sgpr_private_segment_size 0
		.amdhsa_uses_dynamic_stack 0
		.amdhsa_system_sgpr_private_segment_wavefront_offset 0
		.amdhsa_system_sgpr_workgroup_id_x 1
		.amdhsa_system_sgpr_workgroup_id_y 0
		.amdhsa_system_sgpr_workgroup_id_z 0
		.amdhsa_system_sgpr_workgroup_info 0
		.amdhsa_system_vgpr_workitem_id 0
		.amdhsa_next_free_vgpr 1
		.amdhsa_next_free_sgpr 0
		.amdhsa_reserve_vcc 0
		.amdhsa_reserve_flat_scratch 0
		.amdhsa_float_round_mode_32 0
		.amdhsa_float_round_mode_16_64 0
		.amdhsa_float_denorm_mode_32 3
		.amdhsa_float_denorm_mode_16_64 3
		.amdhsa_dx10_clamp 1
		.amdhsa_ieee_mode 1
		.amdhsa_fp16_overflow 0
		.amdhsa_exception_fp_ieee_invalid_op 0
		.amdhsa_exception_fp_denorm_src 0
		.amdhsa_exception_fp_ieee_div_zero 0
		.amdhsa_exception_fp_ieee_overflow 0
		.amdhsa_exception_fp_ieee_underflow 0
		.amdhsa_exception_fp_ieee_inexact 0
		.amdhsa_exception_int_div_zero 0
	.end_amdhsa_kernel
	.section	.text._ZN7rocprim17ROCPRIM_400000_NS6detail17trampoline_kernelINS0_14default_configENS1_25transform_config_selectorIsLb0EEEZNS1_14transform_implILb0ES3_S5_NS0_18transform_iteratorINS0_17counting_iteratorImlEEZNS1_24adjacent_difference_implIS3_Lb1ELb0EPsSB_N6thrust23THRUST_200600_302600_NS5minusIsEEEE10hipError_tPvRmT2_T3_mT4_P12ihipStream_tbEUlmE_sEESB_NS0_8identityIvEEEESG_SJ_SK_mSL_SN_bEUlT_E_NS1_11comp_targetILNS1_3genE9ELNS1_11target_archE1100ELNS1_3gpuE3ELNS1_3repE0EEENS1_30default_config_static_selectorELNS0_4arch9wavefront6targetE1EEEvT1_,"axG",@progbits,_ZN7rocprim17ROCPRIM_400000_NS6detail17trampoline_kernelINS0_14default_configENS1_25transform_config_selectorIsLb0EEEZNS1_14transform_implILb0ES3_S5_NS0_18transform_iteratorINS0_17counting_iteratorImlEEZNS1_24adjacent_difference_implIS3_Lb1ELb0EPsSB_N6thrust23THRUST_200600_302600_NS5minusIsEEEE10hipError_tPvRmT2_T3_mT4_P12ihipStream_tbEUlmE_sEESB_NS0_8identityIvEEEESG_SJ_SK_mSL_SN_bEUlT_E_NS1_11comp_targetILNS1_3genE9ELNS1_11target_archE1100ELNS1_3gpuE3ELNS1_3repE0EEENS1_30default_config_static_selectorELNS0_4arch9wavefront6targetE1EEEvT1_,comdat
.Lfunc_end373:
	.size	_ZN7rocprim17ROCPRIM_400000_NS6detail17trampoline_kernelINS0_14default_configENS1_25transform_config_selectorIsLb0EEEZNS1_14transform_implILb0ES3_S5_NS0_18transform_iteratorINS0_17counting_iteratorImlEEZNS1_24adjacent_difference_implIS3_Lb1ELb0EPsSB_N6thrust23THRUST_200600_302600_NS5minusIsEEEE10hipError_tPvRmT2_T3_mT4_P12ihipStream_tbEUlmE_sEESB_NS0_8identityIvEEEESG_SJ_SK_mSL_SN_bEUlT_E_NS1_11comp_targetILNS1_3genE9ELNS1_11target_archE1100ELNS1_3gpuE3ELNS1_3repE0EEENS1_30default_config_static_selectorELNS0_4arch9wavefront6targetE1EEEvT1_, .Lfunc_end373-_ZN7rocprim17ROCPRIM_400000_NS6detail17trampoline_kernelINS0_14default_configENS1_25transform_config_selectorIsLb0EEEZNS1_14transform_implILb0ES3_S5_NS0_18transform_iteratorINS0_17counting_iteratorImlEEZNS1_24adjacent_difference_implIS3_Lb1ELb0EPsSB_N6thrust23THRUST_200600_302600_NS5minusIsEEEE10hipError_tPvRmT2_T3_mT4_P12ihipStream_tbEUlmE_sEESB_NS0_8identityIvEEEESG_SJ_SK_mSL_SN_bEUlT_E_NS1_11comp_targetILNS1_3genE9ELNS1_11target_archE1100ELNS1_3gpuE3ELNS1_3repE0EEENS1_30default_config_static_selectorELNS0_4arch9wavefront6targetE1EEEvT1_
                                        ; -- End function
	.set _ZN7rocprim17ROCPRIM_400000_NS6detail17trampoline_kernelINS0_14default_configENS1_25transform_config_selectorIsLb0EEEZNS1_14transform_implILb0ES3_S5_NS0_18transform_iteratorINS0_17counting_iteratorImlEEZNS1_24adjacent_difference_implIS3_Lb1ELb0EPsSB_N6thrust23THRUST_200600_302600_NS5minusIsEEEE10hipError_tPvRmT2_T3_mT4_P12ihipStream_tbEUlmE_sEESB_NS0_8identityIvEEEESG_SJ_SK_mSL_SN_bEUlT_E_NS1_11comp_targetILNS1_3genE9ELNS1_11target_archE1100ELNS1_3gpuE3ELNS1_3repE0EEENS1_30default_config_static_selectorELNS0_4arch9wavefront6targetE1EEEvT1_.num_vgpr, 0
	.set _ZN7rocprim17ROCPRIM_400000_NS6detail17trampoline_kernelINS0_14default_configENS1_25transform_config_selectorIsLb0EEEZNS1_14transform_implILb0ES3_S5_NS0_18transform_iteratorINS0_17counting_iteratorImlEEZNS1_24adjacent_difference_implIS3_Lb1ELb0EPsSB_N6thrust23THRUST_200600_302600_NS5minusIsEEEE10hipError_tPvRmT2_T3_mT4_P12ihipStream_tbEUlmE_sEESB_NS0_8identityIvEEEESG_SJ_SK_mSL_SN_bEUlT_E_NS1_11comp_targetILNS1_3genE9ELNS1_11target_archE1100ELNS1_3gpuE3ELNS1_3repE0EEENS1_30default_config_static_selectorELNS0_4arch9wavefront6targetE1EEEvT1_.num_agpr, 0
	.set _ZN7rocprim17ROCPRIM_400000_NS6detail17trampoline_kernelINS0_14default_configENS1_25transform_config_selectorIsLb0EEEZNS1_14transform_implILb0ES3_S5_NS0_18transform_iteratorINS0_17counting_iteratorImlEEZNS1_24adjacent_difference_implIS3_Lb1ELb0EPsSB_N6thrust23THRUST_200600_302600_NS5minusIsEEEE10hipError_tPvRmT2_T3_mT4_P12ihipStream_tbEUlmE_sEESB_NS0_8identityIvEEEESG_SJ_SK_mSL_SN_bEUlT_E_NS1_11comp_targetILNS1_3genE9ELNS1_11target_archE1100ELNS1_3gpuE3ELNS1_3repE0EEENS1_30default_config_static_selectorELNS0_4arch9wavefront6targetE1EEEvT1_.numbered_sgpr, 0
	.set _ZN7rocprim17ROCPRIM_400000_NS6detail17trampoline_kernelINS0_14default_configENS1_25transform_config_selectorIsLb0EEEZNS1_14transform_implILb0ES3_S5_NS0_18transform_iteratorINS0_17counting_iteratorImlEEZNS1_24adjacent_difference_implIS3_Lb1ELb0EPsSB_N6thrust23THRUST_200600_302600_NS5minusIsEEEE10hipError_tPvRmT2_T3_mT4_P12ihipStream_tbEUlmE_sEESB_NS0_8identityIvEEEESG_SJ_SK_mSL_SN_bEUlT_E_NS1_11comp_targetILNS1_3genE9ELNS1_11target_archE1100ELNS1_3gpuE3ELNS1_3repE0EEENS1_30default_config_static_selectorELNS0_4arch9wavefront6targetE1EEEvT1_.num_named_barrier, 0
	.set _ZN7rocprim17ROCPRIM_400000_NS6detail17trampoline_kernelINS0_14default_configENS1_25transform_config_selectorIsLb0EEEZNS1_14transform_implILb0ES3_S5_NS0_18transform_iteratorINS0_17counting_iteratorImlEEZNS1_24adjacent_difference_implIS3_Lb1ELb0EPsSB_N6thrust23THRUST_200600_302600_NS5minusIsEEEE10hipError_tPvRmT2_T3_mT4_P12ihipStream_tbEUlmE_sEESB_NS0_8identityIvEEEESG_SJ_SK_mSL_SN_bEUlT_E_NS1_11comp_targetILNS1_3genE9ELNS1_11target_archE1100ELNS1_3gpuE3ELNS1_3repE0EEENS1_30default_config_static_selectorELNS0_4arch9wavefront6targetE1EEEvT1_.private_seg_size, 0
	.set _ZN7rocprim17ROCPRIM_400000_NS6detail17trampoline_kernelINS0_14default_configENS1_25transform_config_selectorIsLb0EEEZNS1_14transform_implILb0ES3_S5_NS0_18transform_iteratorINS0_17counting_iteratorImlEEZNS1_24adjacent_difference_implIS3_Lb1ELb0EPsSB_N6thrust23THRUST_200600_302600_NS5minusIsEEEE10hipError_tPvRmT2_T3_mT4_P12ihipStream_tbEUlmE_sEESB_NS0_8identityIvEEEESG_SJ_SK_mSL_SN_bEUlT_E_NS1_11comp_targetILNS1_3genE9ELNS1_11target_archE1100ELNS1_3gpuE3ELNS1_3repE0EEENS1_30default_config_static_selectorELNS0_4arch9wavefront6targetE1EEEvT1_.uses_vcc, 0
	.set _ZN7rocprim17ROCPRIM_400000_NS6detail17trampoline_kernelINS0_14default_configENS1_25transform_config_selectorIsLb0EEEZNS1_14transform_implILb0ES3_S5_NS0_18transform_iteratorINS0_17counting_iteratorImlEEZNS1_24adjacent_difference_implIS3_Lb1ELb0EPsSB_N6thrust23THRUST_200600_302600_NS5minusIsEEEE10hipError_tPvRmT2_T3_mT4_P12ihipStream_tbEUlmE_sEESB_NS0_8identityIvEEEESG_SJ_SK_mSL_SN_bEUlT_E_NS1_11comp_targetILNS1_3genE9ELNS1_11target_archE1100ELNS1_3gpuE3ELNS1_3repE0EEENS1_30default_config_static_selectorELNS0_4arch9wavefront6targetE1EEEvT1_.uses_flat_scratch, 0
	.set _ZN7rocprim17ROCPRIM_400000_NS6detail17trampoline_kernelINS0_14default_configENS1_25transform_config_selectorIsLb0EEEZNS1_14transform_implILb0ES3_S5_NS0_18transform_iteratorINS0_17counting_iteratorImlEEZNS1_24adjacent_difference_implIS3_Lb1ELb0EPsSB_N6thrust23THRUST_200600_302600_NS5minusIsEEEE10hipError_tPvRmT2_T3_mT4_P12ihipStream_tbEUlmE_sEESB_NS0_8identityIvEEEESG_SJ_SK_mSL_SN_bEUlT_E_NS1_11comp_targetILNS1_3genE9ELNS1_11target_archE1100ELNS1_3gpuE3ELNS1_3repE0EEENS1_30default_config_static_selectorELNS0_4arch9wavefront6targetE1EEEvT1_.has_dyn_sized_stack, 0
	.set _ZN7rocprim17ROCPRIM_400000_NS6detail17trampoline_kernelINS0_14default_configENS1_25transform_config_selectorIsLb0EEEZNS1_14transform_implILb0ES3_S5_NS0_18transform_iteratorINS0_17counting_iteratorImlEEZNS1_24adjacent_difference_implIS3_Lb1ELb0EPsSB_N6thrust23THRUST_200600_302600_NS5minusIsEEEE10hipError_tPvRmT2_T3_mT4_P12ihipStream_tbEUlmE_sEESB_NS0_8identityIvEEEESG_SJ_SK_mSL_SN_bEUlT_E_NS1_11comp_targetILNS1_3genE9ELNS1_11target_archE1100ELNS1_3gpuE3ELNS1_3repE0EEENS1_30default_config_static_selectorELNS0_4arch9wavefront6targetE1EEEvT1_.has_recursion, 0
	.set _ZN7rocprim17ROCPRIM_400000_NS6detail17trampoline_kernelINS0_14default_configENS1_25transform_config_selectorIsLb0EEEZNS1_14transform_implILb0ES3_S5_NS0_18transform_iteratorINS0_17counting_iteratorImlEEZNS1_24adjacent_difference_implIS3_Lb1ELb0EPsSB_N6thrust23THRUST_200600_302600_NS5minusIsEEEE10hipError_tPvRmT2_T3_mT4_P12ihipStream_tbEUlmE_sEESB_NS0_8identityIvEEEESG_SJ_SK_mSL_SN_bEUlT_E_NS1_11comp_targetILNS1_3genE9ELNS1_11target_archE1100ELNS1_3gpuE3ELNS1_3repE0EEENS1_30default_config_static_selectorELNS0_4arch9wavefront6targetE1EEEvT1_.has_indirect_call, 0
	.section	.AMDGPU.csdata,"",@progbits
; Kernel info:
; codeLenInByte = 0
; TotalNumSgprs: 4
; NumVgprs: 0
; ScratchSize: 0
; MemoryBound: 0
; FloatMode: 240
; IeeeMode: 1
; LDSByteSize: 0 bytes/workgroup (compile time only)
; SGPRBlocks: 0
; VGPRBlocks: 0
; NumSGPRsForWavesPerEU: 4
; NumVGPRsForWavesPerEU: 1
; Occupancy: 10
; WaveLimiterHint : 0
; COMPUTE_PGM_RSRC2:SCRATCH_EN: 0
; COMPUTE_PGM_RSRC2:USER_SGPR: 6
; COMPUTE_PGM_RSRC2:TRAP_HANDLER: 0
; COMPUTE_PGM_RSRC2:TGID_X_EN: 1
; COMPUTE_PGM_RSRC2:TGID_Y_EN: 0
; COMPUTE_PGM_RSRC2:TGID_Z_EN: 0
; COMPUTE_PGM_RSRC2:TIDIG_COMP_CNT: 0
	.section	.text._ZN7rocprim17ROCPRIM_400000_NS6detail17trampoline_kernelINS0_14default_configENS1_25transform_config_selectorIsLb0EEEZNS1_14transform_implILb0ES3_S5_NS0_18transform_iteratorINS0_17counting_iteratorImlEEZNS1_24adjacent_difference_implIS3_Lb1ELb0EPsSB_N6thrust23THRUST_200600_302600_NS5minusIsEEEE10hipError_tPvRmT2_T3_mT4_P12ihipStream_tbEUlmE_sEESB_NS0_8identityIvEEEESG_SJ_SK_mSL_SN_bEUlT_E_NS1_11comp_targetILNS1_3genE8ELNS1_11target_archE1030ELNS1_3gpuE2ELNS1_3repE0EEENS1_30default_config_static_selectorELNS0_4arch9wavefront6targetE1EEEvT1_,"axG",@progbits,_ZN7rocprim17ROCPRIM_400000_NS6detail17trampoline_kernelINS0_14default_configENS1_25transform_config_selectorIsLb0EEEZNS1_14transform_implILb0ES3_S5_NS0_18transform_iteratorINS0_17counting_iteratorImlEEZNS1_24adjacent_difference_implIS3_Lb1ELb0EPsSB_N6thrust23THRUST_200600_302600_NS5minusIsEEEE10hipError_tPvRmT2_T3_mT4_P12ihipStream_tbEUlmE_sEESB_NS0_8identityIvEEEESG_SJ_SK_mSL_SN_bEUlT_E_NS1_11comp_targetILNS1_3genE8ELNS1_11target_archE1030ELNS1_3gpuE2ELNS1_3repE0EEENS1_30default_config_static_selectorELNS0_4arch9wavefront6targetE1EEEvT1_,comdat
	.protected	_ZN7rocprim17ROCPRIM_400000_NS6detail17trampoline_kernelINS0_14default_configENS1_25transform_config_selectorIsLb0EEEZNS1_14transform_implILb0ES3_S5_NS0_18transform_iteratorINS0_17counting_iteratorImlEEZNS1_24adjacent_difference_implIS3_Lb1ELb0EPsSB_N6thrust23THRUST_200600_302600_NS5minusIsEEEE10hipError_tPvRmT2_T3_mT4_P12ihipStream_tbEUlmE_sEESB_NS0_8identityIvEEEESG_SJ_SK_mSL_SN_bEUlT_E_NS1_11comp_targetILNS1_3genE8ELNS1_11target_archE1030ELNS1_3gpuE2ELNS1_3repE0EEENS1_30default_config_static_selectorELNS0_4arch9wavefront6targetE1EEEvT1_ ; -- Begin function _ZN7rocprim17ROCPRIM_400000_NS6detail17trampoline_kernelINS0_14default_configENS1_25transform_config_selectorIsLb0EEEZNS1_14transform_implILb0ES3_S5_NS0_18transform_iteratorINS0_17counting_iteratorImlEEZNS1_24adjacent_difference_implIS3_Lb1ELb0EPsSB_N6thrust23THRUST_200600_302600_NS5minusIsEEEE10hipError_tPvRmT2_T3_mT4_P12ihipStream_tbEUlmE_sEESB_NS0_8identityIvEEEESG_SJ_SK_mSL_SN_bEUlT_E_NS1_11comp_targetILNS1_3genE8ELNS1_11target_archE1030ELNS1_3gpuE2ELNS1_3repE0EEENS1_30default_config_static_selectorELNS0_4arch9wavefront6targetE1EEEvT1_
	.globl	_ZN7rocprim17ROCPRIM_400000_NS6detail17trampoline_kernelINS0_14default_configENS1_25transform_config_selectorIsLb0EEEZNS1_14transform_implILb0ES3_S5_NS0_18transform_iteratorINS0_17counting_iteratorImlEEZNS1_24adjacent_difference_implIS3_Lb1ELb0EPsSB_N6thrust23THRUST_200600_302600_NS5minusIsEEEE10hipError_tPvRmT2_T3_mT4_P12ihipStream_tbEUlmE_sEESB_NS0_8identityIvEEEESG_SJ_SK_mSL_SN_bEUlT_E_NS1_11comp_targetILNS1_3genE8ELNS1_11target_archE1030ELNS1_3gpuE2ELNS1_3repE0EEENS1_30default_config_static_selectorELNS0_4arch9wavefront6targetE1EEEvT1_
	.p2align	8
	.type	_ZN7rocprim17ROCPRIM_400000_NS6detail17trampoline_kernelINS0_14default_configENS1_25transform_config_selectorIsLb0EEEZNS1_14transform_implILb0ES3_S5_NS0_18transform_iteratorINS0_17counting_iteratorImlEEZNS1_24adjacent_difference_implIS3_Lb1ELb0EPsSB_N6thrust23THRUST_200600_302600_NS5minusIsEEEE10hipError_tPvRmT2_T3_mT4_P12ihipStream_tbEUlmE_sEESB_NS0_8identityIvEEEESG_SJ_SK_mSL_SN_bEUlT_E_NS1_11comp_targetILNS1_3genE8ELNS1_11target_archE1030ELNS1_3gpuE2ELNS1_3repE0EEENS1_30default_config_static_selectorELNS0_4arch9wavefront6targetE1EEEvT1_,@function
_ZN7rocprim17ROCPRIM_400000_NS6detail17trampoline_kernelINS0_14default_configENS1_25transform_config_selectorIsLb0EEEZNS1_14transform_implILb0ES3_S5_NS0_18transform_iteratorINS0_17counting_iteratorImlEEZNS1_24adjacent_difference_implIS3_Lb1ELb0EPsSB_N6thrust23THRUST_200600_302600_NS5minusIsEEEE10hipError_tPvRmT2_T3_mT4_P12ihipStream_tbEUlmE_sEESB_NS0_8identityIvEEEESG_SJ_SK_mSL_SN_bEUlT_E_NS1_11comp_targetILNS1_3genE8ELNS1_11target_archE1030ELNS1_3gpuE2ELNS1_3repE0EEENS1_30default_config_static_selectorELNS0_4arch9wavefront6targetE1EEEvT1_: ; @_ZN7rocprim17ROCPRIM_400000_NS6detail17trampoline_kernelINS0_14default_configENS1_25transform_config_selectorIsLb0EEEZNS1_14transform_implILb0ES3_S5_NS0_18transform_iteratorINS0_17counting_iteratorImlEEZNS1_24adjacent_difference_implIS3_Lb1ELb0EPsSB_N6thrust23THRUST_200600_302600_NS5minusIsEEEE10hipError_tPvRmT2_T3_mT4_P12ihipStream_tbEUlmE_sEESB_NS0_8identityIvEEEESG_SJ_SK_mSL_SN_bEUlT_E_NS1_11comp_targetILNS1_3genE8ELNS1_11target_archE1030ELNS1_3gpuE2ELNS1_3repE0EEENS1_30default_config_static_selectorELNS0_4arch9wavefront6targetE1EEEvT1_
; %bb.0:
	.section	.rodata,"a",@progbits
	.p2align	6, 0x0
	.amdhsa_kernel _ZN7rocprim17ROCPRIM_400000_NS6detail17trampoline_kernelINS0_14default_configENS1_25transform_config_selectorIsLb0EEEZNS1_14transform_implILb0ES3_S5_NS0_18transform_iteratorINS0_17counting_iteratorImlEEZNS1_24adjacent_difference_implIS3_Lb1ELb0EPsSB_N6thrust23THRUST_200600_302600_NS5minusIsEEEE10hipError_tPvRmT2_T3_mT4_P12ihipStream_tbEUlmE_sEESB_NS0_8identityIvEEEESG_SJ_SK_mSL_SN_bEUlT_E_NS1_11comp_targetILNS1_3genE8ELNS1_11target_archE1030ELNS1_3gpuE2ELNS1_3repE0EEENS1_30default_config_static_selectorELNS0_4arch9wavefront6targetE1EEEvT1_
		.amdhsa_group_segment_fixed_size 0
		.amdhsa_private_segment_fixed_size 0
		.amdhsa_kernarg_size 56
		.amdhsa_user_sgpr_count 6
		.amdhsa_user_sgpr_private_segment_buffer 1
		.amdhsa_user_sgpr_dispatch_ptr 0
		.amdhsa_user_sgpr_queue_ptr 0
		.amdhsa_user_sgpr_kernarg_segment_ptr 1
		.amdhsa_user_sgpr_dispatch_id 0
		.amdhsa_user_sgpr_flat_scratch_init 0
		.amdhsa_user_sgpr_private_segment_size 0
		.amdhsa_uses_dynamic_stack 0
		.amdhsa_system_sgpr_private_segment_wavefront_offset 0
		.amdhsa_system_sgpr_workgroup_id_x 1
		.amdhsa_system_sgpr_workgroup_id_y 0
		.amdhsa_system_sgpr_workgroup_id_z 0
		.amdhsa_system_sgpr_workgroup_info 0
		.amdhsa_system_vgpr_workitem_id 0
		.amdhsa_next_free_vgpr 1
		.amdhsa_next_free_sgpr 0
		.amdhsa_reserve_vcc 0
		.amdhsa_reserve_flat_scratch 0
		.amdhsa_float_round_mode_32 0
		.amdhsa_float_round_mode_16_64 0
		.amdhsa_float_denorm_mode_32 3
		.amdhsa_float_denorm_mode_16_64 3
		.amdhsa_dx10_clamp 1
		.amdhsa_ieee_mode 1
		.amdhsa_fp16_overflow 0
		.amdhsa_exception_fp_ieee_invalid_op 0
		.amdhsa_exception_fp_denorm_src 0
		.amdhsa_exception_fp_ieee_div_zero 0
		.amdhsa_exception_fp_ieee_overflow 0
		.amdhsa_exception_fp_ieee_underflow 0
		.amdhsa_exception_fp_ieee_inexact 0
		.amdhsa_exception_int_div_zero 0
	.end_amdhsa_kernel
	.section	.text._ZN7rocprim17ROCPRIM_400000_NS6detail17trampoline_kernelINS0_14default_configENS1_25transform_config_selectorIsLb0EEEZNS1_14transform_implILb0ES3_S5_NS0_18transform_iteratorINS0_17counting_iteratorImlEEZNS1_24adjacent_difference_implIS3_Lb1ELb0EPsSB_N6thrust23THRUST_200600_302600_NS5minusIsEEEE10hipError_tPvRmT2_T3_mT4_P12ihipStream_tbEUlmE_sEESB_NS0_8identityIvEEEESG_SJ_SK_mSL_SN_bEUlT_E_NS1_11comp_targetILNS1_3genE8ELNS1_11target_archE1030ELNS1_3gpuE2ELNS1_3repE0EEENS1_30default_config_static_selectorELNS0_4arch9wavefront6targetE1EEEvT1_,"axG",@progbits,_ZN7rocprim17ROCPRIM_400000_NS6detail17trampoline_kernelINS0_14default_configENS1_25transform_config_selectorIsLb0EEEZNS1_14transform_implILb0ES3_S5_NS0_18transform_iteratorINS0_17counting_iteratorImlEEZNS1_24adjacent_difference_implIS3_Lb1ELb0EPsSB_N6thrust23THRUST_200600_302600_NS5minusIsEEEE10hipError_tPvRmT2_T3_mT4_P12ihipStream_tbEUlmE_sEESB_NS0_8identityIvEEEESG_SJ_SK_mSL_SN_bEUlT_E_NS1_11comp_targetILNS1_3genE8ELNS1_11target_archE1030ELNS1_3gpuE2ELNS1_3repE0EEENS1_30default_config_static_selectorELNS0_4arch9wavefront6targetE1EEEvT1_,comdat
.Lfunc_end374:
	.size	_ZN7rocprim17ROCPRIM_400000_NS6detail17trampoline_kernelINS0_14default_configENS1_25transform_config_selectorIsLb0EEEZNS1_14transform_implILb0ES3_S5_NS0_18transform_iteratorINS0_17counting_iteratorImlEEZNS1_24adjacent_difference_implIS3_Lb1ELb0EPsSB_N6thrust23THRUST_200600_302600_NS5minusIsEEEE10hipError_tPvRmT2_T3_mT4_P12ihipStream_tbEUlmE_sEESB_NS0_8identityIvEEEESG_SJ_SK_mSL_SN_bEUlT_E_NS1_11comp_targetILNS1_3genE8ELNS1_11target_archE1030ELNS1_3gpuE2ELNS1_3repE0EEENS1_30default_config_static_selectorELNS0_4arch9wavefront6targetE1EEEvT1_, .Lfunc_end374-_ZN7rocprim17ROCPRIM_400000_NS6detail17trampoline_kernelINS0_14default_configENS1_25transform_config_selectorIsLb0EEEZNS1_14transform_implILb0ES3_S5_NS0_18transform_iteratorINS0_17counting_iteratorImlEEZNS1_24adjacent_difference_implIS3_Lb1ELb0EPsSB_N6thrust23THRUST_200600_302600_NS5minusIsEEEE10hipError_tPvRmT2_T3_mT4_P12ihipStream_tbEUlmE_sEESB_NS0_8identityIvEEEESG_SJ_SK_mSL_SN_bEUlT_E_NS1_11comp_targetILNS1_3genE8ELNS1_11target_archE1030ELNS1_3gpuE2ELNS1_3repE0EEENS1_30default_config_static_selectorELNS0_4arch9wavefront6targetE1EEEvT1_
                                        ; -- End function
	.set _ZN7rocprim17ROCPRIM_400000_NS6detail17trampoline_kernelINS0_14default_configENS1_25transform_config_selectorIsLb0EEEZNS1_14transform_implILb0ES3_S5_NS0_18transform_iteratorINS0_17counting_iteratorImlEEZNS1_24adjacent_difference_implIS3_Lb1ELb0EPsSB_N6thrust23THRUST_200600_302600_NS5minusIsEEEE10hipError_tPvRmT2_T3_mT4_P12ihipStream_tbEUlmE_sEESB_NS0_8identityIvEEEESG_SJ_SK_mSL_SN_bEUlT_E_NS1_11comp_targetILNS1_3genE8ELNS1_11target_archE1030ELNS1_3gpuE2ELNS1_3repE0EEENS1_30default_config_static_selectorELNS0_4arch9wavefront6targetE1EEEvT1_.num_vgpr, 0
	.set _ZN7rocprim17ROCPRIM_400000_NS6detail17trampoline_kernelINS0_14default_configENS1_25transform_config_selectorIsLb0EEEZNS1_14transform_implILb0ES3_S5_NS0_18transform_iteratorINS0_17counting_iteratorImlEEZNS1_24adjacent_difference_implIS3_Lb1ELb0EPsSB_N6thrust23THRUST_200600_302600_NS5minusIsEEEE10hipError_tPvRmT2_T3_mT4_P12ihipStream_tbEUlmE_sEESB_NS0_8identityIvEEEESG_SJ_SK_mSL_SN_bEUlT_E_NS1_11comp_targetILNS1_3genE8ELNS1_11target_archE1030ELNS1_3gpuE2ELNS1_3repE0EEENS1_30default_config_static_selectorELNS0_4arch9wavefront6targetE1EEEvT1_.num_agpr, 0
	.set _ZN7rocprim17ROCPRIM_400000_NS6detail17trampoline_kernelINS0_14default_configENS1_25transform_config_selectorIsLb0EEEZNS1_14transform_implILb0ES3_S5_NS0_18transform_iteratorINS0_17counting_iteratorImlEEZNS1_24adjacent_difference_implIS3_Lb1ELb0EPsSB_N6thrust23THRUST_200600_302600_NS5minusIsEEEE10hipError_tPvRmT2_T3_mT4_P12ihipStream_tbEUlmE_sEESB_NS0_8identityIvEEEESG_SJ_SK_mSL_SN_bEUlT_E_NS1_11comp_targetILNS1_3genE8ELNS1_11target_archE1030ELNS1_3gpuE2ELNS1_3repE0EEENS1_30default_config_static_selectorELNS0_4arch9wavefront6targetE1EEEvT1_.numbered_sgpr, 0
	.set _ZN7rocprim17ROCPRIM_400000_NS6detail17trampoline_kernelINS0_14default_configENS1_25transform_config_selectorIsLb0EEEZNS1_14transform_implILb0ES3_S5_NS0_18transform_iteratorINS0_17counting_iteratorImlEEZNS1_24adjacent_difference_implIS3_Lb1ELb0EPsSB_N6thrust23THRUST_200600_302600_NS5minusIsEEEE10hipError_tPvRmT2_T3_mT4_P12ihipStream_tbEUlmE_sEESB_NS0_8identityIvEEEESG_SJ_SK_mSL_SN_bEUlT_E_NS1_11comp_targetILNS1_3genE8ELNS1_11target_archE1030ELNS1_3gpuE2ELNS1_3repE0EEENS1_30default_config_static_selectorELNS0_4arch9wavefront6targetE1EEEvT1_.num_named_barrier, 0
	.set _ZN7rocprim17ROCPRIM_400000_NS6detail17trampoline_kernelINS0_14default_configENS1_25transform_config_selectorIsLb0EEEZNS1_14transform_implILb0ES3_S5_NS0_18transform_iteratorINS0_17counting_iteratorImlEEZNS1_24adjacent_difference_implIS3_Lb1ELb0EPsSB_N6thrust23THRUST_200600_302600_NS5minusIsEEEE10hipError_tPvRmT2_T3_mT4_P12ihipStream_tbEUlmE_sEESB_NS0_8identityIvEEEESG_SJ_SK_mSL_SN_bEUlT_E_NS1_11comp_targetILNS1_3genE8ELNS1_11target_archE1030ELNS1_3gpuE2ELNS1_3repE0EEENS1_30default_config_static_selectorELNS0_4arch9wavefront6targetE1EEEvT1_.private_seg_size, 0
	.set _ZN7rocprim17ROCPRIM_400000_NS6detail17trampoline_kernelINS0_14default_configENS1_25transform_config_selectorIsLb0EEEZNS1_14transform_implILb0ES3_S5_NS0_18transform_iteratorINS0_17counting_iteratorImlEEZNS1_24adjacent_difference_implIS3_Lb1ELb0EPsSB_N6thrust23THRUST_200600_302600_NS5minusIsEEEE10hipError_tPvRmT2_T3_mT4_P12ihipStream_tbEUlmE_sEESB_NS0_8identityIvEEEESG_SJ_SK_mSL_SN_bEUlT_E_NS1_11comp_targetILNS1_3genE8ELNS1_11target_archE1030ELNS1_3gpuE2ELNS1_3repE0EEENS1_30default_config_static_selectorELNS0_4arch9wavefront6targetE1EEEvT1_.uses_vcc, 0
	.set _ZN7rocprim17ROCPRIM_400000_NS6detail17trampoline_kernelINS0_14default_configENS1_25transform_config_selectorIsLb0EEEZNS1_14transform_implILb0ES3_S5_NS0_18transform_iteratorINS0_17counting_iteratorImlEEZNS1_24adjacent_difference_implIS3_Lb1ELb0EPsSB_N6thrust23THRUST_200600_302600_NS5minusIsEEEE10hipError_tPvRmT2_T3_mT4_P12ihipStream_tbEUlmE_sEESB_NS0_8identityIvEEEESG_SJ_SK_mSL_SN_bEUlT_E_NS1_11comp_targetILNS1_3genE8ELNS1_11target_archE1030ELNS1_3gpuE2ELNS1_3repE0EEENS1_30default_config_static_selectorELNS0_4arch9wavefront6targetE1EEEvT1_.uses_flat_scratch, 0
	.set _ZN7rocprim17ROCPRIM_400000_NS6detail17trampoline_kernelINS0_14default_configENS1_25transform_config_selectorIsLb0EEEZNS1_14transform_implILb0ES3_S5_NS0_18transform_iteratorINS0_17counting_iteratorImlEEZNS1_24adjacent_difference_implIS3_Lb1ELb0EPsSB_N6thrust23THRUST_200600_302600_NS5minusIsEEEE10hipError_tPvRmT2_T3_mT4_P12ihipStream_tbEUlmE_sEESB_NS0_8identityIvEEEESG_SJ_SK_mSL_SN_bEUlT_E_NS1_11comp_targetILNS1_3genE8ELNS1_11target_archE1030ELNS1_3gpuE2ELNS1_3repE0EEENS1_30default_config_static_selectorELNS0_4arch9wavefront6targetE1EEEvT1_.has_dyn_sized_stack, 0
	.set _ZN7rocprim17ROCPRIM_400000_NS6detail17trampoline_kernelINS0_14default_configENS1_25transform_config_selectorIsLb0EEEZNS1_14transform_implILb0ES3_S5_NS0_18transform_iteratorINS0_17counting_iteratorImlEEZNS1_24adjacent_difference_implIS3_Lb1ELb0EPsSB_N6thrust23THRUST_200600_302600_NS5minusIsEEEE10hipError_tPvRmT2_T3_mT4_P12ihipStream_tbEUlmE_sEESB_NS0_8identityIvEEEESG_SJ_SK_mSL_SN_bEUlT_E_NS1_11comp_targetILNS1_3genE8ELNS1_11target_archE1030ELNS1_3gpuE2ELNS1_3repE0EEENS1_30default_config_static_selectorELNS0_4arch9wavefront6targetE1EEEvT1_.has_recursion, 0
	.set _ZN7rocprim17ROCPRIM_400000_NS6detail17trampoline_kernelINS0_14default_configENS1_25transform_config_selectorIsLb0EEEZNS1_14transform_implILb0ES3_S5_NS0_18transform_iteratorINS0_17counting_iteratorImlEEZNS1_24adjacent_difference_implIS3_Lb1ELb0EPsSB_N6thrust23THRUST_200600_302600_NS5minusIsEEEE10hipError_tPvRmT2_T3_mT4_P12ihipStream_tbEUlmE_sEESB_NS0_8identityIvEEEESG_SJ_SK_mSL_SN_bEUlT_E_NS1_11comp_targetILNS1_3genE8ELNS1_11target_archE1030ELNS1_3gpuE2ELNS1_3repE0EEENS1_30default_config_static_selectorELNS0_4arch9wavefront6targetE1EEEvT1_.has_indirect_call, 0
	.section	.AMDGPU.csdata,"",@progbits
; Kernel info:
; codeLenInByte = 0
; TotalNumSgprs: 4
; NumVgprs: 0
; ScratchSize: 0
; MemoryBound: 0
; FloatMode: 240
; IeeeMode: 1
; LDSByteSize: 0 bytes/workgroup (compile time only)
; SGPRBlocks: 0
; VGPRBlocks: 0
; NumSGPRsForWavesPerEU: 4
; NumVGPRsForWavesPerEU: 1
; Occupancy: 10
; WaveLimiterHint : 0
; COMPUTE_PGM_RSRC2:SCRATCH_EN: 0
; COMPUTE_PGM_RSRC2:USER_SGPR: 6
; COMPUTE_PGM_RSRC2:TRAP_HANDLER: 0
; COMPUTE_PGM_RSRC2:TGID_X_EN: 1
; COMPUTE_PGM_RSRC2:TGID_Y_EN: 0
; COMPUTE_PGM_RSRC2:TGID_Z_EN: 0
; COMPUTE_PGM_RSRC2:TIDIG_COMP_CNT: 0
	.section	.text._ZN7rocprim17ROCPRIM_400000_NS6detail17trampoline_kernelINS0_14default_configENS1_35adjacent_difference_config_selectorILb1EsEEZNS1_24adjacent_difference_implIS3_Lb1ELb0EPsS7_N6thrust23THRUST_200600_302600_NS5minusIsEEEE10hipError_tPvRmT2_T3_mT4_P12ihipStream_tbEUlT_E_NS1_11comp_targetILNS1_3genE0ELNS1_11target_archE4294967295ELNS1_3gpuE0ELNS1_3repE0EEENS1_30default_config_static_selectorELNS0_4arch9wavefront6targetE1EEEvT1_,"axG",@progbits,_ZN7rocprim17ROCPRIM_400000_NS6detail17trampoline_kernelINS0_14default_configENS1_35adjacent_difference_config_selectorILb1EsEEZNS1_24adjacent_difference_implIS3_Lb1ELb0EPsS7_N6thrust23THRUST_200600_302600_NS5minusIsEEEE10hipError_tPvRmT2_T3_mT4_P12ihipStream_tbEUlT_E_NS1_11comp_targetILNS1_3genE0ELNS1_11target_archE4294967295ELNS1_3gpuE0ELNS1_3repE0EEENS1_30default_config_static_selectorELNS0_4arch9wavefront6targetE1EEEvT1_,comdat
	.protected	_ZN7rocprim17ROCPRIM_400000_NS6detail17trampoline_kernelINS0_14default_configENS1_35adjacent_difference_config_selectorILb1EsEEZNS1_24adjacent_difference_implIS3_Lb1ELb0EPsS7_N6thrust23THRUST_200600_302600_NS5minusIsEEEE10hipError_tPvRmT2_T3_mT4_P12ihipStream_tbEUlT_E_NS1_11comp_targetILNS1_3genE0ELNS1_11target_archE4294967295ELNS1_3gpuE0ELNS1_3repE0EEENS1_30default_config_static_selectorELNS0_4arch9wavefront6targetE1EEEvT1_ ; -- Begin function _ZN7rocprim17ROCPRIM_400000_NS6detail17trampoline_kernelINS0_14default_configENS1_35adjacent_difference_config_selectorILb1EsEEZNS1_24adjacent_difference_implIS3_Lb1ELb0EPsS7_N6thrust23THRUST_200600_302600_NS5minusIsEEEE10hipError_tPvRmT2_T3_mT4_P12ihipStream_tbEUlT_E_NS1_11comp_targetILNS1_3genE0ELNS1_11target_archE4294967295ELNS1_3gpuE0ELNS1_3repE0EEENS1_30default_config_static_selectorELNS0_4arch9wavefront6targetE1EEEvT1_
	.globl	_ZN7rocprim17ROCPRIM_400000_NS6detail17trampoline_kernelINS0_14default_configENS1_35adjacent_difference_config_selectorILb1EsEEZNS1_24adjacent_difference_implIS3_Lb1ELb0EPsS7_N6thrust23THRUST_200600_302600_NS5minusIsEEEE10hipError_tPvRmT2_T3_mT4_P12ihipStream_tbEUlT_E_NS1_11comp_targetILNS1_3genE0ELNS1_11target_archE4294967295ELNS1_3gpuE0ELNS1_3repE0EEENS1_30default_config_static_selectorELNS0_4arch9wavefront6targetE1EEEvT1_
	.p2align	8
	.type	_ZN7rocprim17ROCPRIM_400000_NS6detail17trampoline_kernelINS0_14default_configENS1_35adjacent_difference_config_selectorILb1EsEEZNS1_24adjacent_difference_implIS3_Lb1ELb0EPsS7_N6thrust23THRUST_200600_302600_NS5minusIsEEEE10hipError_tPvRmT2_T3_mT4_P12ihipStream_tbEUlT_E_NS1_11comp_targetILNS1_3genE0ELNS1_11target_archE4294967295ELNS1_3gpuE0ELNS1_3repE0EEENS1_30default_config_static_selectorELNS0_4arch9wavefront6targetE1EEEvT1_,@function
_ZN7rocprim17ROCPRIM_400000_NS6detail17trampoline_kernelINS0_14default_configENS1_35adjacent_difference_config_selectorILb1EsEEZNS1_24adjacent_difference_implIS3_Lb1ELb0EPsS7_N6thrust23THRUST_200600_302600_NS5minusIsEEEE10hipError_tPvRmT2_T3_mT4_P12ihipStream_tbEUlT_E_NS1_11comp_targetILNS1_3genE0ELNS1_11target_archE4294967295ELNS1_3gpuE0ELNS1_3repE0EEENS1_30default_config_static_selectorELNS0_4arch9wavefront6targetE1EEEvT1_: ; @_ZN7rocprim17ROCPRIM_400000_NS6detail17trampoline_kernelINS0_14default_configENS1_35adjacent_difference_config_selectorILb1EsEEZNS1_24adjacent_difference_implIS3_Lb1ELb0EPsS7_N6thrust23THRUST_200600_302600_NS5minusIsEEEE10hipError_tPvRmT2_T3_mT4_P12ihipStream_tbEUlT_E_NS1_11comp_targetILNS1_3genE0ELNS1_11target_archE4294967295ELNS1_3gpuE0ELNS1_3repE0EEENS1_30default_config_static_selectorELNS0_4arch9wavefront6targetE1EEEvT1_
; %bb.0:
	.section	.rodata,"a",@progbits
	.p2align	6, 0x0
	.amdhsa_kernel _ZN7rocprim17ROCPRIM_400000_NS6detail17trampoline_kernelINS0_14default_configENS1_35adjacent_difference_config_selectorILb1EsEEZNS1_24adjacent_difference_implIS3_Lb1ELb0EPsS7_N6thrust23THRUST_200600_302600_NS5minusIsEEEE10hipError_tPvRmT2_T3_mT4_P12ihipStream_tbEUlT_E_NS1_11comp_targetILNS1_3genE0ELNS1_11target_archE4294967295ELNS1_3gpuE0ELNS1_3repE0EEENS1_30default_config_static_selectorELNS0_4arch9wavefront6targetE1EEEvT1_
		.amdhsa_group_segment_fixed_size 0
		.amdhsa_private_segment_fixed_size 0
		.amdhsa_kernarg_size 56
		.amdhsa_user_sgpr_count 6
		.amdhsa_user_sgpr_private_segment_buffer 1
		.amdhsa_user_sgpr_dispatch_ptr 0
		.amdhsa_user_sgpr_queue_ptr 0
		.amdhsa_user_sgpr_kernarg_segment_ptr 1
		.amdhsa_user_sgpr_dispatch_id 0
		.amdhsa_user_sgpr_flat_scratch_init 0
		.amdhsa_user_sgpr_private_segment_size 0
		.amdhsa_uses_dynamic_stack 0
		.amdhsa_system_sgpr_private_segment_wavefront_offset 0
		.amdhsa_system_sgpr_workgroup_id_x 1
		.amdhsa_system_sgpr_workgroup_id_y 0
		.amdhsa_system_sgpr_workgroup_id_z 0
		.amdhsa_system_sgpr_workgroup_info 0
		.amdhsa_system_vgpr_workitem_id 0
		.amdhsa_next_free_vgpr 1
		.amdhsa_next_free_sgpr 0
		.amdhsa_reserve_vcc 0
		.amdhsa_reserve_flat_scratch 0
		.amdhsa_float_round_mode_32 0
		.amdhsa_float_round_mode_16_64 0
		.amdhsa_float_denorm_mode_32 3
		.amdhsa_float_denorm_mode_16_64 3
		.amdhsa_dx10_clamp 1
		.amdhsa_ieee_mode 1
		.amdhsa_fp16_overflow 0
		.amdhsa_exception_fp_ieee_invalid_op 0
		.amdhsa_exception_fp_denorm_src 0
		.amdhsa_exception_fp_ieee_div_zero 0
		.amdhsa_exception_fp_ieee_overflow 0
		.amdhsa_exception_fp_ieee_underflow 0
		.amdhsa_exception_fp_ieee_inexact 0
		.amdhsa_exception_int_div_zero 0
	.end_amdhsa_kernel
	.section	.text._ZN7rocprim17ROCPRIM_400000_NS6detail17trampoline_kernelINS0_14default_configENS1_35adjacent_difference_config_selectorILb1EsEEZNS1_24adjacent_difference_implIS3_Lb1ELb0EPsS7_N6thrust23THRUST_200600_302600_NS5minusIsEEEE10hipError_tPvRmT2_T3_mT4_P12ihipStream_tbEUlT_E_NS1_11comp_targetILNS1_3genE0ELNS1_11target_archE4294967295ELNS1_3gpuE0ELNS1_3repE0EEENS1_30default_config_static_selectorELNS0_4arch9wavefront6targetE1EEEvT1_,"axG",@progbits,_ZN7rocprim17ROCPRIM_400000_NS6detail17trampoline_kernelINS0_14default_configENS1_35adjacent_difference_config_selectorILb1EsEEZNS1_24adjacent_difference_implIS3_Lb1ELb0EPsS7_N6thrust23THRUST_200600_302600_NS5minusIsEEEE10hipError_tPvRmT2_T3_mT4_P12ihipStream_tbEUlT_E_NS1_11comp_targetILNS1_3genE0ELNS1_11target_archE4294967295ELNS1_3gpuE0ELNS1_3repE0EEENS1_30default_config_static_selectorELNS0_4arch9wavefront6targetE1EEEvT1_,comdat
.Lfunc_end375:
	.size	_ZN7rocprim17ROCPRIM_400000_NS6detail17trampoline_kernelINS0_14default_configENS1_35adjacent_difference_config_selectorILb1EsEEZNS1_24adjacent_difference_implIS3_Lb1ELb0EPsS7_N6thrust23THRUST_200600_302600_NS5minusIsEEEE10hipError_tPvRmT2_T3_mT4_P12ihipStream_tbEUlT_E_NS1_11comp_targetILNS1_3genE0ELNS1_11target_archE4294967295ELNS1_3gpuE0ELNS1_3repE0EEENS1_30default_config_static_selectorELNS0_4arch9wavefront6targetE1EEEvT1_, .Lfunc_end375-_ZN7rocprim17ROCPRIM_400000_NS6detail17trampoline_kernelINS0_14default_configENS1_35adjacent_difference_config_selectorILb1EsEEZNS1_24adjacent_difference_implIS3_Lb1ELb0EPsS7_N6thrust23THRUST_200600_302600_NS5minusIsEEEE10hipError_tPvRmT2_T3_mT4_P12ihipStream_tbEUlT_E_NS1_11comp_targetILNS1_3genE0ELNS1_11target_archE4294967295ELNS1_3gpuE0ELNS1_3repE0EEENS1_30default_config_static_selectorELNS0_4arch9wavefront6targetE1EEEvT1_
                                        ; -- End function
	.set _ZN7rocprim17ROCPRIM_400000_NS6detail17trampoline_kernelINS0_14default_configENS1_35adjacent_difference_config_selectorILb1EsEEZNS1_24adjacent_difference_implIS3_Lb1ELb0EPsS7_N6thrust23THRUST_200600_302600_NS5minusIsEEEE10hipError_tPvRmT2_T3_mT4_P12ihipStream_tbEUlT_E_NS1_11comp_targetILNS1_3genE0ELNS1_11target_archE4294967295ELNS1_3gpuE0ELNS1_3repE0EEENS1_30default_config_static_selectorELNS0_4arch9wavefront6targetE1EEEvT1_.num_vgpr, 0
	.set _ZN7rocprim17ROCPRIM_400000_NS6detail17trampoline_kernelINS0_14default_configENS1_35adjacent_difference_config_selectorILb1EsEEZNS1_24adjacent_difference_implIS3_Lb1ELb0EPsS7_N6thrust23THRUST_200600_302600_NS5minusIsEEEE10hipError_tPvRmT2_T3_mT4_P12ihipStream_tbEUlT_E_NS1_11comp_targetILNS1_3genE0ELNS1_11target_archE4294967295ELNS1_3gpuE0ELNS1_3repE0EEENS1_30default_config_static_selectorELNS0_4arch9wavefront6targetE1EEEvT1_.num_agpr, 0
	.set _ZN7rocprim17ROCPRIM_400000_NS6detail17trampoline_kernelINS0_14default_configENS1_35adjacent_difference_config_selectorILb1EsEEZNS1_24adjacent_difference_implIS3_Lb1ELb0EPsS7_N6thrust23THRUST_200600_302600_NS5minusIsEEEE10hipError_tPvRmT2_T3_mT4_P12ihipStream_tbEUlT_E_NS1_11comp_targetILNS1_3genE0ELNS1_11target_archE4294967295ELNS1_3gpuE0ELNS1_3repE0EEENS1_30default_config_static_selectorELNS0_4arch9wavefront6targetE1EEEvT1_.numbered_sgpr, 0
	.set _ZN7rocprim17ROCPRIM_400000_NS6detail17trampoline_kernelINS0_14default_configENS1_35adjacent_difference_config_selectorILb1EsEEZNS1_24adjacent_difference_implIS3_Lb1ELb0EPsS7_N6thrust23THRUST_200600_302600_NS5minusIsEEEE10hipError_tPvRmT2_T3_mT4_P12ihipStream_tbEUlT_E_NS1_11comp_targetILNS1_3genE0ELNS1_11target_archE4294967295ELNS1_3gpuE0ELNS1_3repE0EEENS1_30default_config_static_selectorELNS0_4arch9wavefront6targetE1EEEvT1_.num_named_barrier, 0
	.set _ZN7rocprim17ROCPRIM_400000_NS6detail17trampoline_kernelINS0_14default_configENS1_35adjacent_difference_config_selectorILb1EsEEZNS1_24adjacent_difference_implIS3_Lb1ELb0EPsS7_N6thrust23THRUST_200600_302600_NS5minusIsEEEE10hipError_tPvRmT2_T3_mT4_P12ihipStream_tbEUlT_E_NS1_11comp_targetILNS1_3genE0ELNS1_11target_archE4294967295ELNS1_3gpuE0ELNS1_3repE0EEENS1_30default_config_static_selectorELNS0_4arch9wavefront6targetE1EEEvT1_.private_seg_size, 0
	.set _ZN7rocprim17ROCPRIM_400000_NS6detail17trampoline_kernelINS0_14default_configENS1_35adjacent_difference_config_selectorILb1EsEEZNS1_24adjacent_difference_implIS3_Lb1ELb0EPsS7_N6thrust23THRUST_200600_302600_NS5minusIsEEEE10hipError_tPvRmT2_T3_mT4_P12ihipStream_tbEUlT_E_NS1_11comp_targetILNS1_3genE0ELNS1_11target_archE4294967295ELNS1_3gpuE0ELNS1_3repE0EEENS1_30default_config_static_selectorELNS0_4arch9wavefront6targetE1EEEvT1_.uses_vcc, 0
	.set _ZN7rocprim17ROCPRIM_400000_NS6detail17trampoline_kernelINS0_14default_configENS1_35adjacent_difference_config_selectorILb1EsEEZNS1_24adjacent_difference_implIS3_Lb1ELb0EPsS7_N6thrust23THRUST_200600_302600_NS5minusIsEEEE10hipError_tPvRmT2_T3_mT4_P12ihipStream_tbEUlT_E_NS1_11comp_targetILNS1_3genE0ELNS1_11target_archE4294967295ELNS1_3gpuE0ELNS1_3repE0EEENS1_30default_config_static_selectorELNS0_4arch9wavefront6targetE1EEEvT1_.uses_flat_scratch, 0
	.set _ZN7rocprim17ROCPRIM_400000_NS6detail17trampoline_kernelINS0_14default_configENS1_35adjacent_difference_config_selectorILb1EsEEZNS1_24adjacent_difference_implIS3_Lb1ELb0EPsS7_N6thrust23THRUST_200600_302600_NS5minusIsEEEE10hipError_tPvRmT2_T3_mT4_P12ihipStream_tbEUlT_E_NS1_11comp_targetILNS1_3genE0ELNS1_11target_archE4294967295ELNS1_3gpuE0ELNS1_3repE0EEENS1_30default_config_static_selectorELNS0_4arch9wavefront6targetE1EEEvT1_.has_dyn_sized_stack, 0
	.set _ZN7rocprim17ROCPRIM_400000_NS6detail17trampoline_kernelINS0_14default_configENS1_35adjacent_difference_config_selectorILb1EsEEZNS1_24adjacent_difference_implIS3_Lb1ELb0EPsS7_N6thrust23THRUST_200600_302600_NS5minusIsEEEE10hipError_tPvRmT2_T3_mT4_P12ihipStream_tbEUlT_E_NS1_11comp_targetILNS1_3genE0ELNS1_11target_archE4294967295ELNS1_3gpuE0ELNS1_3repE0EEENS1_30default_config_static_selectorELNS0_4arch9wavefront6targetE1EEEvT1_.has_recursion, 0
	.set _ZN7rocprim17ROCPRIM_400000_NS6detail17trampoline_kernelINS0_14default_configENS1_35adjacent_difference_config_selectorILb1EsEEZNS1_24adjacent_difference_implIS3_Lb1ELb0EPsS7_N6thrust23THRUST_200600_302600_NS5minusIsEEEE10hipError_tPvRmT2_T3_mT4_P12ihipStream_tbEUlT_E_NS1_11comp_targetILNS1_3genE0ELNS1_11target_archE4294967295ELNS1_3gpuE0ELNS1_3repE0EEENS1_30default_config_static_selectorELNS0_4arch9wavefront6targetE1EEEvT1_.has_indirect_call, 0
	.section	.AMDGPU.csdata,"",@progbits
; Kernel info:
; codeLenInByte = 0
; TotalNumSgprs: 4
; NumVgprs: 0
; ScratchSize: 0
; MemoryBound: 0
; FloatMode: 240
; IeeeMode: 1
; LDSByteSize: 0 bytes/workgroup (compile time only)
; SGPRBlocks: 0
; VGPRBlocks: 0
; NumSGPRsForWavesPerEU: 4
; NumVGPRsForWavesPerEU: 1
; Occupancy: 10
; WaveLimiterHint : 0
; COMPUTE_PGM_RSRC2:SCRATCH_EN: 0
; COMPUTE_PGM_RSRC2:USER_SGPR: 6
; COMPUTE_PGM_RSRC2:TRAP_HANDLER: 0
; COMPUTE_PGM_RSRC2:TGID_X_EN: 1
; COMPUTE_PGM_RSRC2:TGID_Y_EN: 0
; COMPUTE_PGM_RSRC2:TGID_Z_EN: 0
; COMPUTE_PGM_RSRC2:TIDIG_COMP_CNT: 0
	.section	.text._ZN7rocprim17ROCPRIM_400000_NS6detail17trampoline_kernelINS0_14default_configENS1_35adjacent_difference_config_selectorILb1EsEEZNS1_24adjacent_difference_implIS3_Lb1ELb0EPsS7_N6thrust23THRUST_200600_302600_NS5minusIsEEEE10hipError_tPvRmT2_T3_mT4_P12ihipStream_tbEUlT_E_NS1_11comp_targetILNS1_3genE10ELNS1_11target_archE1201ELNS1_3gpuE5ELNS1_3repE0EEENS1_30default_config_static_selectorELNS0_4arch9wavefront6targetE1EEEvT1_,"axG",@progbits,_ZN7rocprim17ROCPRIM_400000_NS6detail17trampoline_kernelINS0_14default_configENS1_35adjacent_difference_config_selectorILb1EsEEZNS1_24adjacent_difference_implIS3_Lb1ELb0EPsS7_N6thrust23THRUST_200600_302600_NS5minusIsEEEE10hipError_tPvRmT2_T3_mT4_P12ihipStream_tbEUlT_E_NS1_11comp_targetILNS1_3genE10ELNS1_11target_archE1201ELNS1_3gpuE5ELNS1_3repE0EEENS1_30default_config_static_selectorELNS0_4arch9wavefront6targetE1EEEvT1_,comdat
	.protected	_ZN7rocprim17ROCPRIM_400000_NS6detail17trampoline_kernelINS0_14default_configENS1_35adjacent_difference_config_selectorILb1EsEEZNS1_24adjacent_difference_implIS3_Lb1ELb0EPsS7_N6thrust23THRUST_200600_302600_NS5minusIsEEEE10hipError_tPvRmT2_T3_mT4_P12ihipStream_tbEUlT_E_NS1_11comp_targetILNS1_3genE10ELNS1_11target_archE1201ELNS1_3gpuE5ELNS1_3repE0EEENS1_30default_config_static_selectorELNS0_4arch9wavefront6targetE1EEEvT1_ ; -- Begin function _ZN7rocprim17ROCPRIM_400000_NS6detail17trampoline_kernelINS0_14default_configENS1_35adjacent_difference_config_selectorILb1EsEEZNS1_24adjacent_difference_implIS3_Lb1ELb0EPsS7_N6thrust23THRUST_200600_302600_NS5minusIsEEEE10hipError_tPvRmT2_T3_mT4_P12ihipStream_tbEUlT_E_NS1_11comp_targetILNS1_3genE10ELNS1_11target_archE1201ELNS1_3gpuE5ELNS1_3repE0EEENS1_30default_config_static_selectorELNS0_4arch9wavefront6targetE1EEEvT1_
	.globl	_ZN7rocprim17ROCPRIM_400000_NS6detail17trampoline_kernelINS0_14default_configENS1_35adjacent_difference_config_selectorILb1EsEEZNS1_24adjacent_difference_implIS3_Lb1ELb0EPsS7_N6thrust23THRUST_200600_302600_NS5minusIsEEEE10hipError_tPvRmT2_T3_mT4_P12ihipStream_tbEUlT_E_NS1_11comp_targetILNS1_3genE10ELNS1_11target_archE1201ELNS1_3gpuE5ELNS1_3repE0EEENS1_30default_config_static_selectorELNS0_4arch9wavefront6targetE1EEEvT1_
	.p2align	8
	.type	_ZN7rocprim17ROCPRIM_400000_NS6detail17trampoline_kernelINS0_14default_configENS1_35adjacent_difference_config_selectorILb1EsEEZNS1_24adjacent_difference_implIS3_Lb1ELb0EPsS7_N6thrust23THRUST_200600_302600_NS5minusIsEEEE10hipError_tPvRmT2_T3_mT4_P12ihipStream_tbEUlT_E_NS1_11comp_targetILNS1_3genE10ELNS1_11target_archE1201ELNS1_3gpuE5ELNS1_3repE0EEENS1_30default_config_static_selectorELNS0_4arch9wavefront6targetE1EEEvT1_,@function
_ZN7rocprim17ROCPRIM_400000_NS6detail17trampoline_kernelINS0_14default_configENS1_35adjacent_difference_config_selectorILb1EsEEZNS1_24adjacent_difference_implIS3_Lb1ELb0EPsS7_N6thrust23THRUST_200600_302600_NS5minusIsEEEE10hipError_tPvRmT2_T3_mT4_P12ihipStream_tbEUlT_E_NS1_11comp_targetILNS1_3genE10ELNS1_11target_archE1201ELNS1_3gpuE5ELNS1_3repE0EEENS1_30default_config_static_selectorELNS0_4arch9wavefront6targetE1EEEvT1_: ; @_ZN7rocprim17ROCPRIM_400000_NS6detail17trampoline_kernelINS0_14default_configENS1_35adjacent_difference_config_selectorILb1EsEEZNS1_24adjacent_difference_implIS3_Lb1ELb0EPsS7_N6thrust23THRUST_200600_302600_NS5minusIsEEEE10hipError_tPvRmT2_T3_mT4_P12ihipStream_tbEUlT_E_NS1_11comp_targetILNS1_3genE10ELNS1_11target_archE1201ELNS1_3gpuE5ELNS1_3repE0EEENS1_30default_config_static_selectorELNS0_4arch9wavefront6targetE1EEEvT1_
; %bb.0:
	.section	.rodata,"a",@progbits
	.p2align	6, 0x0
	.amdhsa_kernel _ZN7rocprim17ROCPRIM_400000_NS6detail17trampoline_kernelINS0_14default_configENS1_35adjacent_difference_config_selectorILb1EsEEZNS1_24adjacent_difference_implIS3_Lb1ELb0EPsS7_N6thrust23THRUST_200600_302600_NS5minusIsEEEE10hipError_tPvRmT2_T3_mT4_P12ihipStream_tbEUlT_E_NS1_11comp_targetILNS1_3genE10ELNS1_11target_archE1201ELNS1_3gpuE5ELNS1_3repE0EEENS1_30default_config_static_selectorELNS0_4arch9wavefront6targetE1EEEvT1_
		.amdhsa_group_segment_fixed_size 0
		.amdhsa_private_segment_fixed_size 0
		.amdhsa_kernarg_size 56
		.amdhsa_user_sgpr_count 6
		.amdhsa_user_sgpr_private_segment_buffer 1
		.amdhsa_user_sgpr_dispatch_ptr 0
		.amdhsa_user_sgpr_queue_ptr 0
		.amdhsa_user_sgpr_kernarg_segment_ptr 1
		.amdhsa_user_sgpr_dispatch_id 0
		.amdhsa_user_sgpr_flat_scratch_init 0
		.amdhsa_user_sgpr_private_segment_size 0
		.amdhsa_uses_dynamic_stack 0
		.amdhsa_system_sgpr_private_segment_wavefront_offset 0
		.amdhsa_system_sgpr_workgroup_id_x 1
		.amdhsa_system_sgpr_workgroup_id_y 0
		.amdhsa_system_sgpr_workgroup_id_z 0
		.amdhsa_system_sgpr_workgroup_info 0
		.amdhsa_system_vgpr_workitem_id 0
		.amdhsa_next_free_vgpr 1
		.amdhsa_next_free_sgpr 0
		.amdhsa_reserve_vcc 0
		.amdhsa_reserve_flat_scratch 0
		.amdhsa_float_round_mode_32 0
		.amdhsa_float_round_mode_16_64 0
		.amdhsa_float_denorm_mode_32 3
		.amdhsa_float_denorm_mode_16_64 3
		.amdhsa_dx10_clamp 1
		.amdhsa_ieee_mode 1
		.amdhsa_fp16_overflow 0
		.amdhsa_exception_fp_ieee_invalid_op 0
		.amdhsa_exception_fp_denorm_src 0
		.amdhsa_exception_fp_ieee_div_zero 0
		.amdhsa_exception_fp_ieee_overflow 0
		.amdhsa_exception_fp_ieee_underflow 0
		.amdhsa_exception_fp_ieee_inexact 0
		.amdhsa_exception_int_div_zero 0
	.end_amdhsa_kernel
	.section	.text._ZN7rocprim17ROCPRIM_400000_NS6detail17trampoline_kernelINS0_14default_configENS1_35adjacent_difference_config_selectorILb1EsEEZNS1_24adjacent_difference_implIS3_Lb1ELb0EPsS7_N6thrust23THRUST_200600_302600_NS5minusIsEEEE10hipError_tPvRmT2_T3_mT4_P12ihipStream_tbEUlT_E_NS1_11comp_targetILNS1_3genE10ELNS1_11target_archE1201ELNS1_3gpuE5ELNS1_3repE0EEENS1_30default_config_static_selectorELNS0_4arch9wavefront6targetE1EEEvT1_,"axG",@progbits,_ZN7rocprim17ROCPRIM_400000_NS6detail17trampoline_kernelINS0_14default_configENS1_35adjacent_difference_config_selectorILb1EsEEZNS1_24adjacent_difference_implIS3_Lb1ELb0EPsS7_N6thrust23THRUST_200600_302600_NS5minusIsEEEE10hipError_tPvRmT2_T3_mT4_P12ihipStream_tbEUlT_E_NS1_11comp_targetILNS1_3genE10ELNS1_11target_archE1201ELNS1_3gpuE5ELNS1_3repE0EEENS1_30default_config_static_selectorELNS0_4arch9wavefront6targetE1EEEvT1_,comdat
.Lfunc_end376:
	.size	_ZN7rocprim17ROCPRIM_400000_NS6detail17trampoline_kernelINS0_14default_configENS1_35adjacent_difference_config_selectorILb1EsEEZNS1_24adjacent_difference_implIS3_Lb1ELb0EPsS7_N6thrust23THRUST_200600_302600_NS5minusIsEEEE10hipError_tPvRmT2_T3_mT4_P12ihipStream_tbEUlT_E_NS1_11comp_targetILNS1_3genE10ELNS1_11target_archE1201ELNS1_3gpuE5ELNS1_3repE0EEENS1_30default_config_static_selectorELNS0_4arch9wavefront6targetE1EEEvT1_, .Lfunc_end376-_ZN7rocprim17ROCPRIM_400000_NS6detail17trampoline_kernelINS0_14default_configENS1_35adjacent_difference_config_selectorILb1EsEEZNS1_24adjacent_difference_implIS3_Lb1ELb0EPsS7_N6thrust23THRUST_200600_302600_NS5minusIsEEEE10hipError_tPvRmT2_T3_mT4_P12ihipStream_tbEUlT_E_NS1_11comp_targetILNS1_3genE10ELNS1_11target_archE1201ELNS1_3gpuE5ELNS1_3repE0EEENS1_30default_config_static_selectorELNS0_4arch9wavefront6targetE1EEEvT1_
                                        ; -- End function
	.set _ZN7rocprim17ROCPRIM_400000_NS6detail17trampoline_kernelINS0_14default_configENS1_35adjacent_difference_config_selectorILb1EsEEZNS1_24adjacent_difference_implIS3_Lb1ELb0EPsS7_N6thrust23THRUST_200600_302600_NS5minusIsEEEE10hipError_tPvRmT2_T3_mT4_P12ihipStream_tbEUlT_E_NS1_11comp_targetILNS1_3genE10ELNS1_11target_archE1201ELNS1_3gpuE5ELNS1_3repE0EEENS1_30default_config_static_selectorELNS0_4arch9wavefront6targetE1EEEvT1_.num_vgpr, 0
	.set _ZN7rocprim17ROCPRIM_400000_NS6detail17trampoline_kernelINS0_14default_configENS1_35adjacent_difference_config_selectorILb1EsEEZNS1_24adjacent_difference_implIS3_Lb1ELb0EPsS7_N6thrust23THRUST_200600_302600_NS5minusIsEEEE10hipError_tPvRmT2_T3_mT4_P12ihipStream_tbEUlT_E_NS1_11comp_targetILNS1_3genE10ELNS1_11target_archE1201ELNS1_3gpuE5ELNS1_3repE0EEENS1_30default_config_static_selectorELNS0_4arch9wavefront6targetE1EEEvT1_.num_agpr, 0
	.set _ZN7rocprim17ROCPRIM_400000_NS6detail17trampoline_kernelINS0_14default_configENS1_35adjacent_difference_config_selectorILb1EsEEZNS1_24adjacent_difference_implIS3_Lb1ELb0EPsS7_N6thrust23THRUST_200600_302600_NS5minusIsEEEE10hipError_tPvRmT2_T3_mT4_P12ihipStream_tbEUlT_E_NS1_11comp_targetILNS1_3genE10ELNS1_11target_archE1201ELNS1_3gpuE5ELNS1_3repE0EEENS1_30default_config_static_selectorELNS0_4arch9wavefront6targetE1EEEvT1_.numbered_sgpr, 0
	.set _ZN7rocprim17ROCPRIM_400000_NS6detail17trampoline_kernelINS0_14default_configENS1_35adjacent_difference_config_selectorILb1EsEEZNS1_24adjacent_difference_implIS3_Lb1ELb0EPsS7_N6thrust23THRUST_200600_302600_NS5minusIsEEEE10hipError_tPvRmT2_T3_mT4_P12ihipStream_tbEUlT_E_NS1_11comp_targetILNS1_3genE10ELNS1_11target_archE1201ELNS1_3gpuE5ELNS1_3repE0EEENS1_30default_config_static_selectorELNS0_4arch9wavefront6targetE1EEEvT1_.num_named_barrier, 0
	.set _ZN7rocprim17ROCPRIM_400000_NS6detail17trampoline_kernelINS0_14default_configENS1_35adjacent_difference_config_selectorILb1EsEEZNS1_24adjacent_difference_implIS3_Lb1ELb0EPsS7_N6thrust23THRUST_200600_302600_NS5minusIsEEEE10hipError_tPvRmT2_T3_mT4_P12ihipStream_tbEUlT_E_NS1_11comp_targetILNS1_3genE10ELNS1_11target_archE1201ELNS1_3gpuE5ELNS1_3repE0EEENS1_30default_config_static_selectorELNS0_4arch9wavefront6targetE1EEEvT1_.private_seg_size, 0
	.set _ZN7rocprim17ROCPRIM_400000_NS6detail17trampoline_kernelINS0_14default_configENS1_35adjacent_difference_config_selectorILb1EsEEZNS1_24adjacent_difference_implIS3_Lb1ELb0EPsS7_N6thrust23THRUST_200600_302600_NS5minusIsEEEE10hipError_tPvRmT2_T3_mT4_P12ihipStream_tbEUlT_E_NS1_11comp_targetILNS1_3genE10ELNS1_11target_archE1201ELNS1_3gpuE5ELNS1_3repE0EEENS1_30default_config_static_selectorELNS0_4arch9wavefront6targetE1EEEvT1_.uses_vcc, 0
	.set _ZN7rocprim17ROCPRIM_400000_NS6detail17trampoline_kernelINS0_14default_configENS1_35adjacent_difference_config_selectorILb1EsEEZNS1_24adjacent_difference_implIS3_Lb1ELb0EPsS7_N6thrust23THRUST_200600_302600_NS5minusIsEEEE10hipError_tPvRmT2_T3_mT4_P12ihipStream_tbEUlT_E_NS1_11comp_targetILNS1_3genE10ELNS1_11target_archE1201ELNS1_3gpuE5ELNS1_3repE0EEENS1_30default_config_static_selectorELNS0_4arch9wavefront6targetE1EEEvT1_.uses_flat_scratch, 0
	.set _ZN7rocprim17ROCPRIM_400000_NS6detail17trampoline_kernelINS0_14default_configENS1_35adjacent_difference_config_selectorILb1EsEEZNS1_24adjacent_difference_implIS3_Lb1ELb0EPsS7_N6thrust23THRUST_200600_302600_NS5minusIsEEEE10hipError_tPvRmT2_T3_mT4_P12ihipStream_tbEUlT_E_NS1_11comp_targetILNS1_3genE10ELNS1_11target_archE1201ELNS1_3gpuE5ELNS1_3repE0EEENS1_30default_config_static_selectorELNS0_4arch9wavefront6targetE1EEEvT1_.has_dyn_sized_stack, 0
	.set _ZN7rocprim17ROCPRIM_400000_NS6detail17trampoline_kernelINS0_14default_configENS1_35adjacent_difference_config_selectorILb1EsEEZNS1_24adjacent_difference_implIS3_Lb1ELb0EPsS7_N6thrust23THRUST_200600_302600_NS5minusIsEEEE10hipError_tPvRmT2_T3_mT4_P12ihipStream_tbEUlT_E_NS1_11comp_targetILNS1_3genE10ELNS1_11target_archE1201ELNS1_3gpuE5ELNS1_3repE0EEENS1_30default_config_static_selectorELNS0_4arch9wavefront6targetE1EEEvT1_.has_recursion, 0
	.set _ZN7rocprim17ROCPRIM_400000_NS6detail17trampoline_kernelINS0_14default_configENS1_35adjacent_difference_config_selectorILb1EsEEZNS1_24adjacent_difference_implIS3_Lb1ELb0EPsS7_N6thrust23THRUST_200600_302600_NS5minusIsEEEE10hipError_tPvRmT2_T3_mT4_P12ihipStream_tbEUlT_E_NS1_11comp_targetILNS1_3genE10ELNS1_11target_archE1201ELNS1_3gpuE5ELNS1_3repE0EEENS1_30default_config_static_selectorELNS0_4arch9wavefront6targetE1EEEvT1_.has_indirect_call, 0
	.section	.AMDGPU.csdata,"",@progbits
; Kernel info:
; codeLenInByte = 0
; TotalNumSgprs: 4
; NumVgprs: 0
; ScratchSize: 0
; MemoryBound: 0
; FloatMode: 240
; IeeeMode: 1
; LDSByteSize: 0 bytes/workgroup (compile time only)
; SGPRBlocks: 0
; VGPRBlocks: 0
; NumSGPRsForWavesPerEU: 4
; NumVGPRsForWavesPerEU: 1
; Occupancy: 10
; WaveLimiterHint : 0
; COMPUTE_PGM_RSRC2:SCRATCH_EN: 0
; COMPUTE_PGM_RSRC2:USER_SGPR: 6
; COMPUTE_PGM_RSRC2:TRAP_HANDLER: 0
; COMPUTE_PGM_RSRC2:TGID_X_EN: 1
; COMPUTE_PGM_RSRC2:TGID_Y_EN: 0
; COMPUTE_PGM_RSRC2:TGID_Z_EN: 0
; COMPUTE_PGM_RSRC2:TIDIG_COMP_CNT: 0
	.section	.text._ZN7rocprim17ROCPRIM_400000_NS6detail17trampoline_kernelINS0_14default_configENS1_35adjacent_difference_config_selectorILb1EsEEZNS1_24adjacent_difference_implIS3_Lb1ELb0EPsS7_N6thrust23THRUST_200600_302600_NS5minusIsEEEE10hipError_tPvRmT2_T3_mT4_P12ihipStream_tbEUlT_E_NS1_11comp_targetILNS1_3genE5ELNS1_11target_archE942ELNS1_3gpuE9ELNS1_3repE0EEENS1_30default_config_static_selectorELNS0_4arch9wavefront6targetE1EEEvT1_,"axG",@progbits,_ZN7rocprim17ROCPRIM_400000_NS6detail17trampoline_kernelINS0_14default_configENS1_35adjacent_difference_config_selectorILb1EsEEZNS1_24adjacent_difference_implIS3_Lb1ELb0EPsS7_N6thrust23THRUST_200600_302600_NS5minusIsEEEE10hipError_tPvRmT2_T3_mT4_P12ihipStream_tbEUlT_E_NS1_11comp_targetILNS1_3genE5ELNS1_11target_archE942ELNS1_3gpuE9ELNS1_3repE0EEENS1_30default_config_static_selectorELNS0_4arch9wavefront6targetE1EEEvT1_,comdat
	.protected	_ZN7rocprim17ROCPRIM_400000_NS6detail17trampoline_kernelINS0_14default_configENS1_35adjacent_difference_config_selectorILb1EsEEZNS1_24adjacent_difference_implIS3_Lb1ELb0EPsS7_N6thrust23THRUST_200600_302600_NS5minusIsEEEE10hipError_tPvRmT2_T3_mT4_P12ihipStream_tbEUlT_E_NS1_11comp_targetILNS1_3genE5ELNS1_11target_archE942ELNS1_3gpuE9ELNS1_3repE0EEENS1_30default_config_static_selectorELNS0_4arch9wavefront6targetE1EEEvT1_ ; -- Begin function _ZN7rocprim17ROCPRIM_400000_NS6detail17trampoline_kernelINS0_14default_configENS1_35adjacent_difference_config_selectorILb1EsEEZNS1_24adjacent_difference_implIS3_Lb1ELb0EPsS7_N6thrust23THRUST_200600_302600_NS5minusIsEEEE10hipError_tPvRmT2_T3_mT4_P12ihipStream_tbEUlT_E_NS1_11comp_targetILNS1_3genE5ELNS1_11target_archE942ELNS1_3gpuE9ELNS1_3repE0EEENS1_30default_config_static_selectorELNS0_4arch9wavefront6targetE1EEEvT1_
	.globl	_ZN7rocprim17ROCPRIM_400000_NS6detail17trampoline_kernelINS0_14default_configENS1_35adjacent_difference_config_selectorILb1EsEEZNS1_24adjacent_difference_implIS3_Lb1ELb0EPsS7_N6thrust23THRUST_200600_302600_NS5minusIsEEEE10hipError_tPvRmT2_T3_mT4_P12ihipStream_tbEUlT_E_NS1_11comp_targetILNS1_3genE5ELNS1_11target_archE942ELNS1_3gpuE9ELNS1_3repE0EEENS1_30default_config_static_selectorELNS0_4arch9wavefront6targetE1EEEvT1_
	.p2align	8
	.type	_ZN7rocprim17ROCPRIM_400000_NS6detail17trampoline_kernelINS0_14default_configENS1_35adjacent_difference_config_selectorILb1EsEEZNS1_24adjacent_difference_implIS3_Lb1ELb0EPsS7_N6thrust23THRUST_200600_302600_NS5minusIsEEEE10hipError_tPvRmT2_T3_mT4_P12ihipStream_tbEUlT_E_NS1_11comp_targetILNS1_3genE5ELNS1_11target_archE942ELNS1_3gpuE9ELNS1_3repE0EEENS1_30default_config_static_selectorELNS0_4arch9wavefront6targetE1EEEvT1_,@function
_ZN7rocprim17ROCPRIM_400000_NS6detail17trampoline_kernelINS0_14default_configENS1_35adjacent_difference_config_selectorILb1EsEEZNS1_24adjacent_difference_implIS3_Lb1ELb0EPsS7_N6thrust23THRUST_200600_302600_NS5minusIsEEEE10hipError_tPvRmT2_T3_mT4_P12ihipStream_tbEUlT_E_NS1_11comp_targetILNS1_3genE5ELNS1_11target_archE942ELNS1_3gpuE9ELNS1_3repE0EEENS1_30default_config_static_selectorELNS0_4arch9wavefront6targetE1EEEvT1_: ; @_ZN7rocprim17ROCPRIM_400000_NS6detail17trampoline_kernelINS0_14default_configENS1_35adjacent_difference_config_selectorILb1EsEEZNS1_24adjacent_difference_implIS3_Lb1ELb0EPsS7_N6thrust23THRUST_200600_302600_NS5minusIsEEEE10hipError_tPvRmT2_T3_mT4_P12ihipStream_tbEUlT_E_NS1_11comp_targetILNS1_3genE5ELNS1_11target_archE942ELNS1_3gpuE9ELNS1_3repE0EEENS1_30default_config_static_selectorELNS0_4arch9wavefront6targetE1EEEvT1_
; %bb.0:
	.section	.rodata,"a",@progbits
	.p2align	6, 0x0
	.amdhsa_kernel _ZN7rocprim17ROCPRIM_400000_NS6detail17trampoline_kernelINS0_14default_configENS1_35adjacent_difference_config_selectorILb1EsEEZNS1_24adjacent_difference_implIS3_Lb1ELb0EPsS7_N6thrust23THRUST_200600_302600_NS5minusIsEEEE10hipError_tPvRmT2_T3_mT4_P12ihipStream_tbEUlT_E_NS1_11comp_targetILNS1_3genE5ELNS1_11target_archE942ELNS1_3gpuE9ELNS1_3repE0EEENS1_30default_config_static_selectorELNS0_4arch9wavefront6targetE1EEEvT1_
		.amdhsa_group_segment_fixed_size 0
		.amdhsa_private_segment_fixed_size 0
		.amdhsa_kernarg_size 56
		.amdhsa_user_sgpr_count 6
		.amdhsa_user_sgpr_private_segment_buffer 1
		.amdhsa_user_sgpr_dispatch_ptr 0
		.amdhsa_user_sgpr_queue_ptr 0
		.amdhsa_user_sgpr_kernarg_segment_ptr 1
		.amdhsa_user_sgpr_dispatch_id 0
		.amdhsa_user_sgpr_flat_scratch_init 0
		.amdhsa_user_sgpr_private_segment_size 0
		.amdhsa_uses_dynamic_stack 0
		.amdhsa_system_sgpr_private_segment_wavefront_offset 0
		.amdhsa_system_sgpr_workgroup_id_x 1
		.amdhsa_system_sgpr_workgroup_id_y 0
		.amdhsa_system_sgpr_workgroup_id_z 0
		.amdhsa_system_sgpr_workgroup_info 0
		.amdhsa_system_vgpr_workitem_id 0
		.amdhsa_next_free_vgpr 1
		.amdhsa_next_free_sgpr 0
		.amdhsa_reserve_vcc 0
		.amdhsa_reserve_flat_scratch 0
		.amdhsa_float_round_mode_32 0
		.amdhsa_float_round_mode_16_64 0
		.amdhsa_float_denorm_mode_32 3
		.amdhsa_float_denorm_mode_16_64 3
		.amdhsa_dx10_clamp 1
		.amdhsa_ieee_mode 1
		.amdhsa_fp16_overflow 0
		.amdhsa_exception_fp_ieee_invalid_op 0
		.amdhsa_exception_fp_denorm_src 0
		.amdhsa_exception_fp_ieee_div_zero 0
		.amdhsa_exception_fp_ieee_overflow 0
		.amdhsa_exception_fp_ieee_underflow 0
		.amdhsa_exception_fp_ieee_inexact 0
		.amdhsa_exception_int_div_zero 0
	.end_amdhsa_kernel
	.section	.text._ZN7rocprim17ROCPRIM_400000_NS6detail17trampoline_kernelINS0_14default_configENS1_35adjacent_difference_config_selectorILb1EsEEZNS1_24adjacent_difference_implIS3_Lb1ELb0EPsS7_N6thrust23THRUST_200600_302600_NS5minusIsEEEE10hipError_tPvRmT2_T3_mT4_P12ihipStream_tbEUlT_E_NS1_11comp_targetILNS1_3genE5ELNS1_11target_archE942ELNS1_3gpuE9ELNS1_3repE0EEENS1_30default_config_static_selectorELNS0_4arch9wavefront6targetE1EEEvT1_,"axG",@progbits,_ZN7rocprim17ROCPRIM_400000_NS6detail17trampoline_kernelINS0_14default_configENS1_35adjacent_difference_config_selectorILb1EsEEZNS1_24adjacent_difference_implIS3_Lb1ELb0EPsS7_N6thrust23THRUST_200600_302600_NS5minusIsEEEE10hipError_tPvRmT2_T3_mT4_P12ihipStream_tbEUlT_E_NS1_11comp_targetILNS1_3genE5ELNS1_11target_archE942ELNS1_3gpuE9ELNS1_3repE0EEENS1_30default_config_static_selectorELNS0_4arch9wavefront6targetE1EEEvT1_,comdat
.Lfunc_end377:
	.size	_ZN7rocprim17ROCPRIM_400000_NS6detail17trampoline_kernelINS0_14default_configENS1_35adjacent_difference_config_selectorILb1EsEEZNS1_24adjacent_difference_implIS3_Lb1ELb0EPsS7_N6thrust23THRUST_200600_302600_NS5minusIsEEEE10hipError_tPvRmT2_T3_mT4_P12ihipStream_tbEUlT_E_NS1_11comp_targetILNS1_3genE5ELNS1_11target_archE942ELNS1_3gpuE9ELNS1_3repE0EEENS1_30default_config_static_selectorELNS0_4arch9wavefront6targetE1EEEvT1_, .Lfunc_end377-_ZN7rocprim17ROCPRIM_400000_NS6detail17trampoline_kernelINS0_14default_configENS1_35adjacent_difference_config_selectorILb1EsEEZNS1_24adjacent_difference_implIS3_Lb1ELb0EPsS7_N6thrust23THRUST_200600_302600_NS5minusIsEEEE10hipError_tPvRmT2_T3_mT4_P12ihipStream_tbEUlT_E_NS1_11comp_targetILNS1_3genE5ELNS1_11target_archE942ELNS1_3gpuE9ELNS1_3repE0EEENS1_30default_config_static_selectorELNS0_4arch9wavefront6targetE1EEEvT1_
                                        ; -- End function
	.set _ZN7rocprim17ROCPRIM_400000_NS6detail17trampoline_kernelINS0_14default_configENS1_35adjacent_difference_config_selectorILb1EsEEZNS1_24adjacent_difference_implIS3_Lb1ELb0EPsS7_N6thrust23THRUST_200600_302600_NS5minusIsEEEE10hipError_tPvRmT2_T3_mT4_P12ihipStream_tbEUlT_E_NS1_11comp_targetILNS1_3genE5ELNS1_11target_archE942ELNS1_3gpuE9ELNS1_3repE0EEENS1_30default_config_static_selectorELNS0_4arch9wavefront6targetE1EEEvT1_.num_vgpr, 0
	.set _ZN7rocprim17ROCPRIM_400000_NS6detail17trampoline_kernelINS0_14default_configENS1_35adjacent_difference_config_selectorILb1EsEEZNS1_24adjacent_difference_implIS3_Lb1ELb0EPsS7_N6thrust23THRUST_200600_302600_NS5minusIsEEEE10hipError_tPvRmT2_T3_mT4_P12ihipStream_tbEUlT_E_NS1_11comp_targetILNS1_3genE5ELNS1_11target_archE942ELNS1_3gpuE9ELNS1_3repE0EEENS1_30default_config_static_selectorELNS0_4arch9wavefront6targetE1EEEvT1_.num_agpr, 0
	.set _ZN7rocprim17ROCPRIM_400000_NS6detail17trampoline_kernelINS0_14default_configENS1_35adjacent_difference_config_selectorILb1EsEEZNS1_24adjacent_difference_implIS3_Lb1ELb0EPsS7_N6thrust23THRUST_200600_302600_NS5minusIsEEEE10hipError_tPvRmT2_T3_mT4_P12ihipStream_tbEUlT_E_NS1_11comp_targetILNS1_3genE5ELNS1_11target_archE942ELNS1_3gpuE9ELNS1_3repE0EEENS1_30default_config_static_selectorELNS0_4arch9wavefront6targetE1EEEvT1_.numbered_sgpr, 0
	.set _ZN7rocprim17ROCPRIM_400000_NS6detail17trampoline_kernelINS0_14default_configENS1_35adjacent_difference_config_selectorILb1EsEEZNS1_24adjacent_difference_implIS3_Lb1ELb0EPsS7_N6thrust23THRUST_200600_302600_NS5minusIsEEEE10hipError_tPvRmT2_T3_mT4_P12ihipStream_tbEUlT_E_NS1_11comp_targetILNS1_3genE5ELNS1_11target_archE942ELNS1_3gpuE9ELNS1_3repE0EEENS1_30default_config_static_selectorELNS0_4arch9wavefront6targetE1EEEvT1_.num_named_barrier, 0
	.set _ZN7rocprim17ROCPRIM_400000_NS6detail17trampoline_kernelINS0_14default_configENS1_35adjacent_difference_config_selectorILb1EsEEZNS1_24adjacent_difference_implIS3_Lb1ELb0EPsS7_N6thrust23THRUST_200600_302600_NS5minusIsEEEE10hipError_tPvRmT2_T3_mT4_P12ihipStream_tbEUlT_E_NS1_11comp_targetILNS1_3genE5ELNS1_11target_archE942ELNS1_3gpuE9ELNS1_3repE0EEENS1_30default_config_static_selectorELNS0_4arch9wavefront6targetE1EEEvT1_.private_seg_size, 0
	.set _ZN7rocprim17ROCPRIM_400000_NS6detail17trampoline_kernelINS0_14default_configENS1_35adjacent_difference_config_selectorILb1EsEEZNS1_24adjacent_difference_implIS3_Lb1ELb0EPsS7_N6thrust23THRUST_200600_302600_NS5minusIsEEEE10hipError_tPvRmT2_T3_mT4_P12ihipStream_tbEUlT_E_NS1_11comp_targetILNS1_3genE5ELNS1_11target_archE942ELNS1_3gpuE9ELNS1_3repE0EEENS1_30default_config_static_selectorELNS0_4arch9wavefront6targetE1EEEvT1_.uses_vcc, 0
	.set _ZN7rocprim17ROCPRIM_400000_NS6detail17trampoline_kernelINS0_14default_configENS1_35adjacent_difference_config_selectorILb1EsEEZNS1_24adjacent_difference_implIS3_Lb1ELb0EPsS7_N6thrust23THRUST_200600_302600_NS5minusIsEEEE10hipError_tPvRmT2_T3_mT4_P12ihipStream_tbEUlT_E_NS1_11comp_targetILNS1_3genE5ELNS1_11target_archE942ELNS1_3gpuE9ELNS1_3repE0EEENS1_30default_config_static_selectorELNS0_4arch9wavefront6targetE1EEEvT1_.uses_flat_scratch, 0
	.set _ZN7rocprim17ROCPRIM_400000_NS6detail17trampoline_kernelINS0_14default_configENS1_35adjacent_difference_config_selectorILb1EsEEZNS1_24adjacent_difference_implIS3_Lb1ELb0EPsS7_N6thrust23THRUST_200600_302600_NS5minusIsEEEE10hipError_tPvRmT2_T3_mT4_P12ihipStream_tbEUlT_E_NS1_11comp_targetILNS1_3genE5ELNS1_11target_archE942ELNS1_3gpuE9ELNS1_3repE0EEENS1_30default_config_static_selectorELNS0_4arch9wavefront6targetE1EEEvT1_.has_dyn_sized_stack, 0
	.set _ZN7rocprim17ROCPRIM_400000_NS6detail17trampoline_kernelINS0_14default_configENS1_35adjacent_difference_config_selectorILb1EsEEZNS1_24adjacent_difference_implIS3_Lb1ELb0EPsS7_N6thrust23THRUST_200600_302600_NS5minusIsEEEE10hipError_tPvRmT2_T3_mT4_P12ihipStream_tbEUlT_E_NS1_11comp_targetILNS1_3genE5ELNS1_11target_archE942ELNS1_3gpuE9ELNS1_3repE0EEENS1_30default_config_static_selectorELNS0_4arch9wavefront6targetE1EEEvT1_.has_recursion, 0
	.set _ZN7rocprim17ROCPRIM_400000_NS6detail17trampoline_kernelINS0_14default_configENS1_35adjacent_difference_config_selectorILb1EsEEZNS1_24adjacent_difference_implIS3_Lb1ELb0EPsS7_N6thrust23THRUST_200600_302600_NS5minusIsEEEE10hipError_tPvRmT2_T3_mT4_P12ihipStream_tbEUlT_E_NS1_11comp_targetILNS1_3genE5ELNS1_11target_archE942ELNS1_3gpuE9ELNS1_3repE0EEENS1_30default_config_static_selectorELNS0_4arch9wavefront6targetE1EEEvT1_.has_indirect_call, 0
	.section	.AMDGPU.csdata,"",@progbits
; Kernel info:
; codeLenInByte = 0
; TotalNumSgprs: 4
; NumVgprs: 0
; ScratchSize: 0
; MemoryBound: 0
; FloatMode: 240
; IeeeMode: 1
; LDSByteSize: 0 bytes/workgroup (compile time only)
; SGPRBlocks: 0
; VGPRBlocks: 0
; NumSGPRsForWavesPerEU: 4
; NumVGPRsForWavesPerEU: 1
; Occupancy: 10
; WaveLimiterHint : 0
; COMPUTE_PGM_RSRC2:SCRATCH_EN: 0
; COMPUTE_PGM_RSRC2:USER_SGPR: 6
; COMPUTE_PGM_RSRC2:TRAP_HANDLER: 0
; COMPUTE_PGM_RSRC2:TGID_X_EN: 1
; COMPUTE_PGM_RSRC2:TGID_Y_EN: 0
; COMPUTE_PGM_RSRC2:TGID_Z_EN: 0
; COMPUTE_PGM_RSRC2:TIDIG_COMP_CNT: 0
	.section	.text._ZN7rocprim17ROCPRIM_400000_NS6detail17trampoline_kernelINS0_14default_configENS1_35adjacent_difference_config_selectorILb1EsEEZNS1_24adjacent_difference_implIS3_Lb1ELb0EPsS7_N6thrust23THRUST_200600_302600_NS5minusIsEEEE10hipError_tPvRmT2_T3_mT4_P12ihipStream_tbEUlT_E_NS1_11comp_targetILNS1_3genE4ELNS1_11target_archE910ELNS1_3gpuE8ELNS1_3repE0EEENS1_30default_config_static_selectorELNS0_4arch9wavefront6targetE1EEEvT1_,"axG",@progbits,_ZN7rocprim17ROCPRIM_400000_NS6detail17trampoline_kernelINS0_14default_configENS1_35adjacent_difference_config_selectorILb1EsEEZNS1_24adjacent_difference_implIS3_Lb1ELb0EPsS7_N6thrust23THRUST_200600_302600_NS5minusIsEEEE10hipError_tPvRmT2_T3_mT4_P12ihipStream_tbEUlT_E_NS1_11comp_targetILNS1_3genE4ELNS1_11target_archE910ELNS1_3gpuE8ELNS1_3repE0EEENS1_30default_config_static_selectorELNS0_4arch9wavefront6targetE1EEEvT1_,comdat
	.protected	_ZN7rocprim17ROCPRIM_400000_NS6detail17trampoline_kernelINS0_14default_configENS1_35adjacent_difference_config_selectorILb1EsEEZNS1_24adjacent_difference_implIS3_Lb1ELb0EPsS7_N6thrust23THRUST_200600_302600_NS5minusIsEEEE10hipError_tPvRmT2_T3_mT4_P12ihipStream_tbEUlT_E_NS1_11comp_targetILNS1_3genE4ELNS1_11target_archE910ELNS1_3gpuE8ELNS1_3repE0EEENS1_30default_config_static_selectorELNS0_4arch9wavefront6targetE1EEEvT1_ ; -- Begin function _ZN7rocprim17ROCPRIM_400000_NS6detail17trampoline_kernelINS0_14default_configENS1_35adjacent_difference_config_selectorILb1EsEEZNS1_24adjacent_difference_implIS3_Lb1ELb0EPsS7_N6thrust23THRUST_200600_302600_NS5minusIsEEEE10hipError_tPvRmT2_T3_mT4_P12ihipStream_tbEUlT_E_NS1_11comp_targetILNS1_3genE4ELNS1_11target_archE910ELNS1_3gpuE8ELNS1_3repE0EEENS1_30default_config_static_selectorELNS0_4arch9wavefront6targetE1EEEvT1_
	.globl	_ZN7rocprim17ROCPRIM_400000_NS6detail17trampoline_kernelINS0_14default_configENS1_35adjacent_difference_config_selectorILb1EsEEZNS1_24adjacent_difference_implIS3_Lb1ELb0EPsS7_N6thrust23THRUST_200600_302600_NS5minusIsEEEE10hipError_tPvRmT2_T3_mT4_P12ihipStream_tbEUlT_E_NS1_11comp_targetILNS1_3genE4ELNS1_11target_archE910ELNS1_3gpuE8ELNS1_3repE0EEENS1_30default_config_static_selectorELNS0_4arch9wavefront6targetE1EEEvT1_
	.p2align	8
	.type	_ZN7rocprim17ROCPRIM_400000_NS6detail17trampoline_kernelINS0_14default_configENS1_35adjacent_difference_config_selectorILb1EsEEZNS1_24adjacent_difference_implIS3_Lb1ELb0EPsS7_N6thrust23THRUST_200600_302600_NS5minusIsEEEE10hipError_tPvRmT2_T3_mT4_P12ihipStream_tbEUlT_E_NS1_11comp_targetILNS1_3genE4ELNS1_11target_archE910ELNS1_3gpuE8ELNS1_3repE0EEENS1_30default_config_static_selectorELNS0_4arch9wavefront6targetE1EEEvT1_,@function
_ZN7rocprim17ROCPRIM_400000_NS6detail17trampoline_kernelINS0_14default_configENS1_35adjacent_difference_config_selectorILb1EsEEZNS1_24adjacent_difference_implIS3_Lb1ELb0EPsS7_N6thrust23THRUST_200600_302600_NS5minusIsEEEE10hipError_tPvRmT2_T3_mT4_P12ihipStream_tbEUlT_E_NS1_11comp_targetILNS1_3genE4ELNS1_11target_archE910ELNS1_3gpuE8ELNS1_3repE0EEENS1_30default_config_static_selectorELNS0_4arch9wavefront6targetE1EEEvT1_: ; @_ZN7rocprim17ROCPRIM_400000_NS6detail17trampoline_kernelINS0_14default_configENS1_35adjacent_difference_config_selectorILb1EsEEZNS1_24adjacent_difference_implIS3_Lb1ELb0EPsS7_N6thrust23THRUST_200600_302600_NS5minusIsEEEE10hipError_tPvRmT2_T3_mT4_P12ihipStream_tbEUlT_E_NS1_11comp_targetILNS1_3genE4ELNS1_11target_archE910ELNS1_3gpuE8ELNS1_3repE0EEENS1_30default_config_static_selectorELNS0_4arch9wavefront6targetE1EEEvT1_
; %bb.0:
	.section	.rodata,"a",@progbits
	.p2align	6, 0x0
	.amdhsa_kernel _ZN7rocprim17ROCPRIM_400000_NS6detail17trampoline_kernelINS0_14default_configENS1_35adjacent_difference_config_selectorILb1EsEEZNS1_24adjacent_difference_implIS3_Lb1ELb0EPsS7_N6thrust23THRUST_200600_302600_NS5minusIsEEEE10hipError_tPvRmT2_T3_mT4_P12ihipStream_tbEUlT_E_NS1_11comp_targetILNS1_3genE4ELNS1_11target_archE910ELNS1_3gpuE8ELNS1_3repE0EEENS1_30default_config_static_selectorELNS0_4arch9wavefront6targetE1EEEvT1_
		.amdhsa_group_segment_fixed_size 0
		.amdhsa_private_segment_fixed_size 0
		.amdhsa_kernarg_size 56
		.amdhsa_user_sgpr_count 6
		.amdhsa_user_sgpr_private_segment_buffer 1
		.amdhsa_user_sgpr_dispatch_ptr 0
		.amdhsa_user_sgpr_queue_ptr 0
		.amdhsa_user_sgpr_kernarg_segment_ptr 1
		.amdhsa_user_sgpr_dispatch_id 0
		.amdhsa_user_sgpr_flat_scratch_init 0
		.amdhsa_user_sgpr_private_segment_size 0
		.amdhsa_uses_dynamic_stack 0
		.amdhsa_system_sgpr_private_segment_wavefront_offset 0
		.amdhsa_system_sgpr_workgroup_id_x 1
		.amdhsa_system_sgpr_workgroup_id_y 0
		.amdhsa_system_sgpr_workgroup_id_z 0
		.amdhsa_system_sgpr_workgroup_info 0
		.amdhsa_system_vgpr_workitem_id 0
		.amdhsa_next_free_vgpr 1
		.amdhsa_next_free_sgpr 0
		.amdhsa_reserve_vcc 0
		.amdhsa_reserve_flat_scratch 0
		.amdhsa_float_round_mode_32 0
		.amdhsa_float_round_mode_16_64 0
		.amdhsa_float_denorm_mode_32 3
		.amdhsa_float_denorm_mode_16_64 3
		.amdhsa_dx10_clamp 1
		.amdhsa_ieee_mode 1
		.amdhsa_fp16_overflow 0
		.amdhsa_exception_fp_ieee_invalid_op 0
		.amdhsa_exception_fp_denorm_src 0
		.amdhsa_exception_fp_ieee_div_zero 0
		.amdhsa_exception_fp_ieee_overflow 0
		.amdhsa_exception_fp_ieee_underflow 0
		.amdhsa_exception_fp_ieee_inexact 0
		.amdhsa_exception_int_div_zero 0
	.end_amdhsa_kernel
	.section	.text._ZN7rocprim17ROCPRIM_400000_NS6detail17trampoline_kernelINS0_14default_configENS1_35adjacent_difference_config_selectorILb1EsEEZNS1_24adjacent_difference_implIS3_Lb1ELb0EPsS7_N6thrust23THRUST_200600_302600_NS5minusIsEEEE10hipError_tPvRmT2_T3_mT4_P12ihipStream_tbEUlT_E_NS1_11comp_targetILNS1_3genE4ELNS1_11target_archE910ELNS1_3gpuE8ELNS1_3repE0EEENS1_30default_config_static_selectorELNS0_4arch9wavefront6targetE1EEEvT1_,"axG",@progbits,_ZN7rocprim17ROCPRIM_400000_NS6detail17trampoline_kernelINS0_14default_configENS1_35adjacent_difference_config_selectorILb1EsEEZNS1_24adjacent_difference_implIS3_Lb1ELb0EPsS7_N6thrust23THRUST_200600_302600_NS5minusIsEEEE10hipError_tPvRmT2_T3_mT4_P12ihipStream_tbEUlT_E_NS1_11comp_targetILNS1_3genE4ELNS1_11target_archE910ELNS1_3gpuE8ELNS1_3repE0EEENS1_30default_config_static_selectorELNS0_4arch9wavefront6targetE1EEEvT1_,comdat
.Lfunc_end378:
	.size	_ZN7rocprim17ROCPRIM_400000_NS6detail17trampoline_kernelINS0_14default_configENS1_35adjacent_difference_config_selectorILb1EsEEZNS1_24adjacent_difference_implIS3_Lb1ELb0EPsS7_N6thrust23THRUST_200600_302600_NS5minusIsEEEE10hipError_tPvRmT2_T3_mT4_P12ihipStream_tbEUlT_E_NS1_11comp_targetILNS1_3genE4ELNS1_11target_archE910ELNS1_3gpuE8ELNS1_3repE0EEENS1_30default_config_static_selectorELNS0_4arch9wavefront6targetE1EEEvT1_, .Lfunc_end378-_ZN7rocprim17ROCPRIM_400000_NS6detail17trampoline_kernelINS0_14default_configENS1_35adjacent_difference_config_selectorILb1EsEEZNS1_24adjacent_difference_implIS3_Lb1ELb0EPsS7_N6thrust23THRUST_200600_302600_NS5minusIsEEEE10hipError_tPvRmT2_T3_mT4_P12ihipStream_tbEUlT_E_NS1_11comp_targetILNS1_3genE4ELNS1_11target_archE910ELNS1_3gpuE8ELNS1_3repE0EEENS1_30default_config_static_selectorELNS0_4arch9wavefront6targetE1EEEvT1_
                                        ; -- End function
	.set _ZN7rocprim17ROCPRIM_400000_NS6detail17trampoline_kernelINS0_14default_configENS1_35adjacent_difference_config_selectorILb1EsEEZNS1_24adjacent_difference_implIS3_Lb1ELb0EPsS7_N6thrust23THRUST_200600_302600_NS5minusIsEEEE10hipError_tPvRmT2_T3_mT4_P12ihipStream_tbEUlT_E_NS1_11comp_targetILNS1_3genE4ELNS1_11target_archE910ELNS1_3gpuE8ELNS1_3repE0EEENS1_30default_config_static_selectorELNS0_4arch9wavefront6targetE1EEEvT1_.num_vgpr, 0
	.set _ZN7rocprim17ROCPRIM_400000_NS6detail17trampoline_kernelINS0_14default_configENS1_35adjacent_difference_config_selectorILb1EsEEZNS1_24adjacent_difference_implIS3_Lb1ELb0EPsS7_N6thrust23THRUST_200600_302600_NS5minusIsEEEE10hipError_tPvRmT2_T3_mT4_P12ihipStream_tbEUlT_E_NS1_11comp_targetILNS1_3genE4ELNS1_11target_archE910ELNS1_3gpuE8ELNS1_3repE0EEENS1_30default_config_static_selectorELNS0_4arch9wavefront6targetE1EEEvT1_.num_agpr, 0
	.set _ZN7rocprim17ROCPRIM_400000_NS6detail17trampoline_kernelINS0_14default_configENS1_35adjacent_difference_config_selectorILb1EsEEZNS1_24adjacent_difference_implIS3_Lb1ELb0EPsS7_N6thrust23THRUST_200600_302600_NS5minusIsEEEE10hipError_tPvRmT2_T3_mT4_P12ihipStream_tbEUlT_E_NS1_11comp_targetILNS1_3genE4ELNS1_11target_archE910ELNS1_3gpuE8ELNS1_3repE0EEENS1_30default_config_static_selectorELNS0_4arch9wavefront6targetE1EEEvT1_.numbered_sgpr, 0
	.set _ZN7rocprim17ROCPRIM_400000_NS6detail17trampoline_kernelINS0_14default_configENS1_35adjacent_difference_config_selectorILb1EsEEZNS1_24adjacent_difference_implIS3_Lb1ELb0EPsS7_N6thrust23THRUST_200600_302600_NS5minusIsEEEE10hipError_tPvRmT2_T3_mT4_P12ihipStream_tbEUlT_E_NS1_11comp_targetILNS1_3genE4ELNS1_11target_archE910ELNS1_3gpuE8ELNS1_3repE0EEENS1_30default_config_static_selectorELNS0_4arch9wavefront6targetE1EEEvT1_.num_named_barrier, 0
	.set _ZN7rocprim17ROCPRIM_400000_NS6detail17trampoline_kernelINS0_14default_configENS1_35adjacent_difference_config_selectorILb1EsEEZNS1_24adjacent_difference_implIS3_Lb1ELb0EPsS7_N6thrust23THRUST_200600_302600_NS5minusIsEEEE10hipError_tPvRmT2_T3_mT4_P12ihipStream_tbEUlT_E_NS1_11comp_targetILNS1_3genE4ELNS1_11target_archE910ELNS1_3gpuE8ELNS1_3repE0EEENS1_30default_config_static_selectorELNS0_4arch9wavefront6targetE1EEEvT1_.private_seg_size, 0
	.set _ZN7rocprim17ROCPRIM_400000_NS6detail17trampoline_kernelINS0_14default_configENS1_35adjacent_difference_config_selectorILb1EsEEZNS1_24adjacent_difference_implIS3_Lb1ELb0EPsS7_N6thrust23THRUST_200600_302600_NS5minusIsEEEE10hipError_tPvRmT2_T3_mT4_P12ihipStream_tbEUlT_E_NS1_11comp_targetILNS1_3genE4ELNS1_11target_archE910ELNS1_3gpuE8ELNS1_3repE0EEENS1_30default_config_static_selectorELNS0_4arch9wavefront6targetE1EEEvT1_.uses_vcc, 0
	.set _ZN7rocprim17ROCPRIM_400000_NS6detail17trampoline_kernelINS0_14default_configENS1_35adjacent_difference_config_selectorILb1EsEEZNS1_24adjacent_difference_implIS3_Lb1ELb0EPsS7_N6thrust23THRUST_200600_302600_NS5minusIsEEEE10hipError_tPvRmT2_T3_mT4_P12ihipStream_tbEUlT_E_NS1_11comp_targetILNS1_3genE4ELNS1_11target_archE910ELNS1_3gpuE8ELNS1_3repE0EEENS1_30default_config_static_selectorELNS0_4arch9wavefront6targetE1EEEvT1_.uses_flat_scratch, 0
	.set _ZN7rocprim17ROCPRIM_400000_NS6detail17trampoline_kernelINS0_14default_configENS1_35adjacent_difference_config_selectorILb1EsEEZNS1_24adjacent_difference_implIS3_Lb1ELb0EPsS7_N6thrust23THRUST_200600_302600_NS5minusIsEEEE10hipError_tPvRmT2_T3_mT4_P12ihipStream_tbEUlT_E_NS1_11comp_targetILNS1_3genE4ELNS1_11target_archE910ELNS1_3gpuE8ELNS1_3repE0EEENS1_30default_config_static_selectorELNS0_4arch9wavefront6targetE1EEEvT1_.has_dyn_sized_stack, 0
	.set _ZN7rocprim17ROCPRIM_400000_NS6detail17trampoline_kernelINS0_14default_configENS1_35adjacent_difference_config_selectorILb1EsEEZNS1_24adjacent_difference_implIS3_Lb1ELb0EPsS7_N6thrust23THRUST_200600_302600_NS5minusIsEEEE10hipError_tPvRmT2_T3_mT4_P12ihipStream_tbEUlT_E_NS1_11comp_targetILNS1_3genE4ELNS1_11target_archE910ELNS1_3gpuE8ELNS1_3repE0EEENS1_30default_config_static_selectorELNS0_4arch9wavefront6targetE1EEEvT1_.has_recursion, 0
	.set _ZN7rocprim17ROCPRIM_400000_NS6detail17trampoline_kernelINS0_14default_configENS1_35adjacent_difference_config_selectorILb1EsEEZNS1_24adjacent_difference_implIS3_Lb1ELb0EPsS7_N6thrust23THRUST_200600_302600_NS5minusIsEEEE10hipError_tPvRmT2_T3_mT4_P12ihipStream_tbEUlT_E_NS1_11comp_targetILNS1_3genE4ELNS1_11target_archE910ELNS1_3gpuE8ELNS1_3repE0EEENS1_30default_config_static_selectorELNS0_4arch9wavefront6targetE1EEEvT1_.has_indirect_call, 0
	.section	.AMDGPU.csdata,"",@progbits
; Kernel info:
; codeLenInByte = 0
; TotalNumSgprs: 4
; NumVgprs: 0
; ScratchSize: 0
; MemoryBound: 0
; FloatMode: 240
; IeeeMode: 1
; LDSByteSize: 0 bytes/workgroup (compile time only)
; SGPRBlocks: 0
; VGPRBlocks: 0
; NumSGPRsForWavesPerEU: 4
; NumVGPRsForWavesPerEU: 1
; Occupancy: 10
; WaveLimiterHint : 0
; COMPUTE_PGM_RSRC2:SCRATCH_EN: 0
; COMPUTE_PGM_RSRC2:USER_SGPR: 6
; COMPUTE_PGM_RSRC2:TRAP_HANDLER: 0
; COMPUTE_PGM_RSRC2:TGID_X_EN: 1
; COMPUTE_PGM_RSRC2:TGID_Y_EN: 0
; COMPUTE_PGM_RSRC2:TGID_Z_EN: 0
; COMPUTE_PGM_RSRC2:TIDIG_COMP_CNT: 0
	.section	.text._ZN7rocprim17ROCPRIM_400000_NS6detail17trampoline_kernelINS0_14default_configENS1_35adjacent_difference_config_selectorILb1EsEEZNS1_24adjacent_difference_implIS3_Lb1ELb0EPsS7_N6thrust23THRUST_200600_302600_NS5minusIsEEEE10hipError_tPvRmT2_T3_mT4_P12ihipStream_tbEUlT_E_NS1_11comp_targetILNS1_3genE3ELNS1_11target_archE908ELNS1_3gpuE7ELNS1_3repE0EEENS1_30default_config_static_selectorELNS0_4arch9wavefront6targetE1EEEvT1_,"axG",@progbits,_ZN7rocprim17ROCPRIM_400000_NS6detail17trampoline_kernelINS0_14default_configENS1_35adjacent_difference_config_selectorILb1EsEEZNS1_24adjacent_difference_implIS3_Lb1ELb0EPsS7_N6thrust23THRUST_200600_302600_NS5minusIsEEEE10hipError_tPvRmT2_T3_mT4_P12ihipStream_tbEUlT_E_NS1_11comp_targetILNS1_3genE3ELNS1_11target_archE908ELNS1_3gpuE7ELNS1_3repE0EEENS1_30default_config_static_selectorELNS0_4arch9wavefront6targetE1EEEvT1_,comdat
	.protected	_ZN7rocprim17ROCPRIM_400000_NS6detail17trampoline_kernelINS0_14default_configENS1_35adjacent_difference_config_selectorILb1EsEEZNS1_24adjacent_difference_implIS3_Lb1ELb0EPsS7_N6thrust23THRUST_200600_302600_NS5minusIsEEEE10hipError_tPvRmT2_T3_mT4_P12ihipStream_tbEUlT_E_NS1_11comp_targetILNS1_3genE3ELNS1_11target_archE908ELNS1_3gpuE7ELNS1_3repE0EEENS1_30default_config_static_selectorELNS0_4arch9wavefront6targetE1EEEvT1_ ; -- Begin function _ZN7rocprim17ROCPRIM_400000_NS6detail17trampoline_kernelINS0_14default_configENS1_35adjacent_difference_config_selectorILb1EsEEZNS1_24adjacent_difference_implIS3_Lb1ELb0EPsS7_N6thrust23THRUST_200600_302600_NS5minusIsEEEE10hipError_tPvRmT2_T3_mT4_P12ihipStream_tbEUlT_E_NS1_11comp_targetILNS1_3genE3ELNS1_11target_archE908ELNS1_3gpuE7ELNS1_3repE0EEENS1_30default_config_static_selectorELNS0_4arch9wavefront6targetE1EEEvT1_
	.globl	_ZN7rocprim17ROCPRIM_400000_NS6detail17trampoline_kernelINS0_14default_configENS1_35adjacent_difference_config_selectorILb1EsEEZNS1_24adjacent_difference_implIS3_Lb1ELb0EPsS7_N6thrust23THRUST_200600_302600_NS5minusIsEEEE10hipError_tPvRmT2_T3_mT4_P12ihipStream_tbEUlT_E_NS1_11comp_targetILNS1_3genE3ELNS1_11target_archE908ELNS1_3gpuE7ELNS1_3repE0EEENS1_30default_config_static_selectorELNS0_4arch9wavefront6targetE1EEEvT1_
	.p2align	8
	.type	_ZN7rocprim17ROCPRIM_400000_NS6detail17trampoline_kernelINS0_14default_configENS1_35adjacent_difference_config_selectorILb1EsEEZNS1_24adjacent_difference_implIS3_Lb1ELb0EPsS7_N6thrust23THRUST_200600_302600_NS5minusIsEEEE10hipError_tPvRmT2_T3_mT4_P12ihipStream_tbEUlT_E_NS1_11comp_targetILNS1_3genE3ELNS1_11target_archE908ELNS1_3gpuE7ELNS1_3repE0EEENS1_30default_config_static_selectorELNS0_4arch9wavefront6targetE1EEEvT1_,@function
_ZN7rocprim17ROCPRIM_400000_NS6detail17trampoline_kernelINS0_14default_configENS1_35adjacent_difference_config_selectorILb1EsEEZNS1_24adjacent_difference_implIS3_Lb1ELb0EPsS7_N6thrust23THRUST_200600_302600_NS5minusIsEEEE10hipError_tPvRmT2_T3_mT4_P12ihipStream_tbEUlT_E_NS1_11comp_targetILNS1_3genE3ELNS1_11target_archE908ELNS1_3gpuE7ELNS1_3repE0EEENS1_30default_config_static_selectorELNS0_4arch9wavefront6targetE1EEEvT1_: ; @_ZN7rocprim17ROCPRIM_400000_NS6detail17trampoline_kernelINS0_14default_configENS1_35adjacent_difference_config_selectorILb1EsEEZNS1_24adjacent_difference_implIS3_Lb1ELb0EPsS7_N6thrust23THRUST_200600_302600_NS5minusIsEEEE10hipError_tPvRmT2_T3_mT4_P12ihipStream_tbEUlT_E_NS1_11comp_targetILNS1_3genE3ELNS1_11target_archE908ELNS1_3gpuE7ELNS1_3repE0EEENS1_30default_config_static_selectorELNS0_4arch9wavefront6targetE1EEEvT1_
; %bb.0:
	.section	.rodata,"a",@progbits
	.p2align	6, 0x0
	.amdhsa_kernel _ZN7rocprim17ROCPRIM_400000_NS6detail17trampoline_kernelINS0_14default_configENS1_35adjacent_difference_config_selectorILb1EsEEZNS1_24adjacent_difference_implIS3_Lb1ELb0EPsS7_N6thrust23THRUST_200600_302600_NS5minusIsEEEE10hipError_tPvRmT2_T3_mT4_P12ihipStream_tbEUlT_E_NS1_11comp_targetILNS1_3genE3ELNS1_11target_archE908ELNS1_3gpuE7ELNS1_3repE0EEENS1_30default_config_static_selectorELNS0_4arch9wavefront6targetE1EEEvT1_
		.amdhsa_group_segment_fixed_size 0
		.amdhsa_private_segment_fixed_size 0
		.amdhsa_kernarg_size 56
		.amdhsa_user_sgpr_count 6
		.amdhsa_user_sgpr_private_segment_buffer 1
		.amdhsa_user_sgpr_dispatch_ptr 0
		.amdhsa_user_sgpr_queue_ptr 0
		.amdhsa_user_sgpr_kernarg_segment_ptr 1
		.amdhsa_user_sgpr_dispatch_id 0
		.amdhsa_user_sgpr_flat_scratch_init 0
		.amdhsa_user_sgpr_private_segment_size 0
		.amdhsa_uses_dynamic_stack 0
		.amdhsa_system_sgpr_private_segment_wavefront_offset 0
		.amdhsa_system_sgpr_workgroup_id_x 1
		.amdhsa_system_sgpr_workgroup_id_y 0
		.amdhsa_system_sgpr_workgroup_id_z 0
		.amdhsa_system_sgpr_workgroup_info 0
		.amdhsa_system_vgpr_workitem_id 0
		.amdhsa_next_free_vgpr 1
		.amdhsa_next_free_sgpr 0
		.amdhsa_reserve_vcc 0
		.amdhsa_reserve_flat_scratch 0
		.amdhsa_float_round_mode_32 0
		.amdhsa_float_round_mode_16_64 0
		.amdhsa_float_denorm_mode_32 3
		.amdhsa_float_denorm_mode_16_64 3
		.amdhsa_dx10_clamp 1
		.amdhsa_ieee_mode 1
		.amdhsa_fp16_overflow 0
		.amdhsa_exception_fp_ieee_invalid_op 0
		.amdhsa_exception_fp_denorm_src 0
		.amdhsa_exception_fp_ieee_div_zero 0
		.amdhsa_exception_fp_ieee_overflow 0
		.amdhsa_exception_fp_ieee_underflow 0
		.amdhsa_exception_fp_ieee_inexact 0
		.amdhsa_exception_int_div_zero 0
	.end_amdhsa_kernel
	.section	.text._ZN7rocprim17ROCPRIM_400000_NS6detail17trampoline_kernelINS0_14default_configENS1_35adjacent_difference_config_selectorILb1EsEEZNS1_24adjacent_difference_implIS3_Lb1ELb0EPsS7_N6thrust23THRUST_200600_302600_NS5minusIsEEEE10hipError_tPvRmT2_T3_mT4_P12ihipStream_tbEUlT_E_NS1_11comp_targetILNS1_3genE3ELNS1_11target_archE908ELNS1_3gpuE7ELNS1_3repE0EEENS1_30default_config_static_selectorELNS0_4arch9wavefront6targetE1EEEvT1_,"axG",@progbits,_ZN7rocprim17ROCPRIM_400000_NS6detail17trampoline_kernelINS0_14default_configENS1_35adjacent_difference_config_selectorILb1EsEEZNS1_24adjacent_difference_implIS3_Lb1ELb0EPsS7_N6thrust23THRUST_200600_302600_NS5minusIsEEEE10hipError_tPvRmT2_T3_mT4_P12ihipStream_tbEUlT_E_NS1_11comp_targetILNS1_3genE3ELNS1_11target_archE908ELNS1_3gpuE7ELNS1_3repE0EEENS1_30default_config_static_selectorELNS0_4arch9wavefront6targetE1EEEvT1_,comdat
.Lfunc_end379:
	.size	_ZN7rocprim17ROCPRIM_400000_NS6detail17trampoline_kernelINS0_14default_configENS1_35adjacent_difference_config_selectorILb1EsEEZNS1_24adjacent_difference_implIS3_Lb1ELb0EPsS7_N6thrust23THRUST_200600_302600_NS5minusIsEEEE10hipError_tPvRmT2_T3_mT4_P12ihipStream_tbEUlT_E_NS1_11comp_targetILNS1_3genE3ELNS1_11target_archE908ELNS1_3gpuE7ELNS1_3repE0EEENS1_30default_config_static_selectorELNS0_4arch9wavefront6targetE1EEEvT1_, .Lfunc_end379-_ZN7rocprim17ROCPRIM_400000_NS6detail17trampoline_kernelINS0_14default_configENS1_35adjacent_difference_config_selectorILb1EsEEZNS1_24adjacent_difference_implIS3_Lb1ELb0EPsS7_N6thrust23THRUST_200600_302600_NS5minusIsEEEE10hipError_tPvRmT2_T3_mT4_P12ihipStream_tbEUlT_E_NS1_11comp_targetILNS1_3genE3ELNS1_11target_archE908ELNS1_3gpuE7ELNS1_3repE0EEENS1_30default_config_static_selectorELNS0_4arch9wavefront6targetE1EEEvT1_
                                        ; -- End function
	.set _ZN7rocprim17ROCPRIM_400000_NS6detail17trampoline_kernelINS0_14default_configENS1_35adjacent_difference_config_selectorILb1EsEEZNS1_24adjacent_difference_implIS3_Lb1ELb0EPsS7_N6thrust23THRUST_200600_302600_NS5minusIsEEEE10hipError_tPvRmT2_T3_mT4_P12ihipStream_tbEUlT_E_NS1_11comp_targetILNS1_3genE3ELNS1_11target_archE908ELNS1_3gpuE7ELNS1_3repE0EEENS1_30default_config_static_selectorELNS0_4arch9wavefront6targetE1EEEvT1_.num_vgpr, 0
	.set _ZN7rocprim17ROCPRIM_400000_NS6detail17trampoline_kernelINS0_14default_configENS1_35adjacent_difference_config_selectorILb1EsEEZNS1_24adjacent_difference_implIS3_Lb1ELb0EPsS7_N6thrust23THRUST_200600_302600_NS5minusIsEEEE10hipError_tPvRmT2_T3_mT4_P12ihipStream_tbEUlT_E_NS1_11comp_targetILNS1_3genE3ELNS1_11target_archE908ELNS1_3gpuE7ELNS1_3repE0EEENS1_30default_config_static_selectorELNS0_4arch9wavefront6targetE1EEEvT1_.num_agpr, 0
	.set _ZN7rocprim17ROCPRIM_400000_NS6detail17trampoline_kernelINS0_14default_configENS1_35adjacent_difference_config_selectorILb1EsEEZNS1_24adjacent_difference_implIS3_Lb1ELb0EPsS7_N6thrust23THRUST_200600_302600_NS5minusIsEEEE10hipError_tPvRmT2_T3_mT4_P12ihipStream_tbEUlT_E_NS1_11comp_targetILNS1_3genE3ELNS1_11target_archE908ELNS1_3gpuE7ELNS1_3repE0EEENS1_30default_config_static_selectorELNS0_4arch9wavefront6targetE1EEEvT1_.numbered_sgpr, 0
	.set _ZN7rocprim17ROCPRIM_400000_NS6detail17trampoline_kernelINS0_14default_configENS1_35adjacent_difference_config_selectorILb1EsEEZNS1_24adjacent_difference_implIS3_Lb1ELb0EPsS7_N6thrust23THRUST_200600_302600_NS5minusIsEEEE10hipError_tPvRmT2_T3_mT4_P12ihipStream_tbEUlT_E_NS1_11comp_targetILNS1_3genE3ELNS1_11target_archE908ELNS1_3gpuE7ELNS1_3repE0EEENS1_30default_config_static_selectorELNS0_4arch9wavefront6targetE1EEEvT1_.num_named_barrier, 0
	.set _ZN7rocprim17ROCPRIM_400000_NS6detail17trampoline_kernelINS0_14default_configENS1_35adjacent_difference_config_selectorILb1EsEEZNS1_24adjacent_difference_implIS3_Lb1ELb0EPsS7_N6thrust23THRUST_200600_302600_NS5minusIsEEEE10hipError_tPvRmT2_T3_mT4_P12ihipStream_tbEUlT_E_NS1_11comp_targetILNS1_3genE3ELNS1_11target_archE908ELNS1_3gpuE7ELNS1_3repE0EEENS1_30default_config_static_selectorELNS0_4arch9wavefront6targetE1EEEvT1_.private_seg_size, 0
	.set _ZN7rocprim17ROCPRIM_400000_NS6detail17trampoline_kernelINS0_14default_configENS1_35adjacent_difference_config_selectorILb1EsEEZNS1_24adjacent_difference_implIS3_Lb1ELb0EPsS7_N6thrust23THRUST_200600_302600_NS5minusIsEEEE10hipError_tPvRmT2_T3_mT4_P12ihipStream_tbEUlT_E_NS1_11comp_targetILNS1_3genE3ELNS1_11target_archE908ELNS1_3gpuE7ELNS1_3repE0EEENS1_30default_config_static_selectorELNS0_4arch9wavefront6targetE1EEEvT1_.uses_vcc, 0
	.set _ZN7rocprim17ROCPRIM_400000_NS6detail17trampoline_kernelINS0_14default_configENS1_35adjacent_difference_config_selectorILb1EsEEZNS1_24adjacent_difference_implIS3_Lb1ELb0EPsS7_N6thrust23THRUST_200600_302600_NS5minusIsEEEE10hipError_tPvRmT2_T3_mT4_P12ihipStream_tbEUlT_E_NS1_11comp_targetILNS1_3genE3ELNS1_11target_archE908ELNS1_3gpuE7ELNS1_3repE0EEENS1_30default_config_static_selectorELNS0_4arch9wavefront6targetE1EEEvT1_.uses_flat_scratch, 0
	.set _ZN7rocprim17ROCPRIM_400000_NS6detail17trampoline_kernelINS0_14default_configENS1_35adjacent_difference_config_selectorILb1EsEEZNS1_24adjacent_difference_implIS3_Lb1ELb0EPsS7_N6thrust23THRUST_200600_302600_NS5minusIsEEEE10hipError_tPvRmT2_T3_mT4_P12ihipStream_tbEUlT_E_NS1_11comp_targetILNS1_3genE3ELNS1_11target_archE908ELNS1_3gpuE7ELNS1_3repE0EEENS1_30default_config_static_selectorELNS0_4arch9wavefront6targetE1EEEvT1_.has_dyn_sized_stack, 0
	.set _ZN7rocprim17ROCPRIM_400000_NS6detail17trampoline_kernelINS0_14default_configENS1_35adjacent_difference_config_selectorILb1EsEEZNS1_24adjacent_difference_implIS3_Lb1ELb0EPsS7_N6thrust23THRUST_200600_302600_NS5minusIsEEEE10hipError_tPvRmT2_T3_mT4_P12ihipStream_tbEUlT_E_NS1_11comp_targetILNS1_3genE3ELNS1_11target_archE908ELNS1_3gpuE7ELNS1_3repE0EEENS1_30default_config_static_selectorELNS0_4arch9wavefront6targetE1EEEvT1_.has_recursion, 0
	.set _ZN7rocprim17ROCPRIM_400000_NS6detail17trampoline_kernelINS0_14default_configENS1_35adjacent_difference_config_selectorILb1EsEEZNS1_24adjacent_difference_implIS3_Lb1ELb0EPsS7_N6thrust23THRUST_200600_302600_NS5minusIsEEEE10hipError_tPvRmT2_T3_mT4_P12ihipStream_tbEUlT_E_NS1_11comp_targetILNS1_3genE3ELNS1_11target_archE908ELNS1_3gpuE7ELNS1_3repE0EEENS1_30default_config_static_selectorELNS0_4arch9wavefront6targetE1EEEvT1_.has_indirect_call, 0
	.section	.AMDGPU.csdata,"",@progbits
; Kernel info:
; codeLenInByte = 0
; TotalNumSgprs: 4
; NumVgprs: 0
; ScratchSize: 0
; MemoryBound: 0
; FloatMode: 240
; IeeeMode: 1
; LDSByteSize: 0 bytes/workgroup (compile time only)
; SGPRBlocks: 0
; VGPRBlocks: 0
; NumSGPRsForWavesPerEU: 4
; NumVGPRsForWavesPerEU: 1
; Occupancy: 10
; WaveLimiterHint : 0
; COMPUTE_PGM_RSRC2:SCRATCH_EN: 0
; COMPUTE_PGM_RSRC2:USER_SGPR: 6
; COMPUTE_PGM_RSRC2:TRAP_HANDLER: 0
; COMPUTE_PGM_RSRC2:TGID_X_EN: 1
; COMPUTE_PGM_RSRC2:TGID_Y_EN: 0
; COMPUTE_PGM_RSRC2:TGID_Z_EN: 0
; COMPUTE_PGM_RSRC2:TIDIG_COMP_CNT: 0
	.section	.text._ZN7rocprim17ROCPRIM_400000_NS6detail17trampoline_kernelINS0_14default_configENS1_35adjacent_difference_config_selectorILb1EsEEZNS1_24adjacent_difference_implIS3_Lb1ELb0EPsS7_N6thrust23THRUST_200600_302600_NS5minusIsEEEE10hipError_tPvRmT2_T3_mT4_P12ihipStream_tbEUlT_E_NS1_11comp_targetILNS1_3genE2ELNS1_11target_archE906ELNS1_3gpuE6ELNS1_3repE0EEENS1_30default_config_static_selectorELNS0_4arch9wavefront6targetE1EEEvT1_,"axG",@progbits,_ZN7rocprim17ROCPRIM_400000_NS6detail17trampoline_kernelINS0_14default_configENS1_35adjacent_difference_config_selectorILb1EsEEZNS1_24adjacent_difference_implIS3_Lb1ELb0EPsS7_N6thrust23THRUST_200600_302600_NS5minusIsEEEE10hipError_tPvRmT2_T3_mT4_P12ihipStream_tbEUlT_E_NS1_11comp_targetILNS1_3genE2ELNS1_11target_archE906ELNS1_3gpuE6ELNS1_3repE0EEENS1_30default_config_static_selectorELNS0_4arch9wavefront6targetE1EEEvT1_,comdat
	.protected	_ZN7rocprim17ROCPRIM_400000_NS6detail17trampoline_kernelINS0_14default_configENS1_35adjacent_difference_config_selectorILb1EsEEZNS1_24adjacent_difference_implIS3_Lb1ELb0EPsS7_N6thrust23THRUST_200600_302600_NS5minusIsEEEE10hipError_tPvRmT2_T3_mT4_P12ihipStream_tbEUlT_E_NS1_11comp_targetILNS1_3genE2ELNS1_11target_archE906ELNS1_3gpuE6ELNS1_3repE0EEENS1_30default_config_static_selectorELNS0_4arch9wavefront6targetE1EEEvT1_ ; -- Begin function _ZN7rocprim17ROCPRIM_400000_NS6detail17trampoline_kernelINS0_14default_configENS1_35adjacent_difference_config_selectorILb1EsEEZNS1_24adjacent_difference_implIS3_Lb1ELb0EPsS7_N6thrust23THRUST_200600_302600_NS5minusIsEEEE10hipError_tPvRmT2_T3_mT4_P12ihipStream_tbEUlT_E_NS1_11comp_targetILNS1_3genE2ELNS1_11target_archE906ELNS1_3gpuE6ELNS1_3repE0EEENS1_30default_config_static_selectorELNS0_4arch9wavefront6targetE1EEEvT1_
	.globl	_ZN7rocprim17ROCPRIM_400000_NS6detail17trampoline_kernelINS0_14default_configENS1_35adjacent_difference_config_selectorILb1EsEEZNS1_24adjacent_difference_implIS3_Lb1ELb0EPsS7_N6thrust23THRUST_200600_302600_NS5minusIsEEEE10hipError_tPvRmT2_T3_mT4_P12ihipStream_tbEUlT_E_NS1_11comp_targetILNS1_3genE2ELNS1_11target_archE906ELNS1_3gpuE6ELNS1_3repE0EEENS1_30default_config_static_selectorELNS0_4arch9wavefront6targetE1EEEvT1_
	.p2align	8
	.type	_ZN7rocprim17ROCPRIM_400000_NS6detail17trampoline_kernelINS0_14default_configENS1_35adjacent_difference_config_selectorILb1EsEEZNS1_24adjacent_difference_implIS3_Lb1ELb0EPsS7_N6thrust23THRUST_200600_302600_NS5minusIsEEEE10hipError_tPvRmT2_T3_mT4_P12ihipStream_tbEUlT_E_NS1_11comp_targetILNS1_3genE2ELNS1_11target_archE906ELNS1_3gpuE6ELNS1_3repE0EEENS1_30default_config_static_selectorELNS0_4arch9wavefront6targetE1EEEvT1_,@function
_ZN7rocprim17ROCPRIM_400000_NS6detail17trampoline_kernelINS0_14default_configENS1_35adjacent_difference_config_selectorILb1EsEEZNS1_24adjacent_difference_implIS3_Lb1ELb0EPsS7_N6thrust23THRUST_200600_302600_NS5minusIsEEEE10hipError_tPvRmT2_T3_mT4_P12ihipStream_tbEUlT_E_NS1_11comp_targetILNS1_3genE2ELNS1_11target_archE906ELNS1_3gpuE6ELNS1_3repE0EEENS1_30default_config_static_selectorELNS0_4arch9wavefront6targetE1EEEvT1_: ; @_ZN7rocprim17ROCPRIM_400000_NS6detail17trampoline_kernelINS0_14default_configENS1_35adjacent_difference_config_selectorILb1EsEEZNS1_24adjacent_difference_implIS3_Lb1ELb0EPsS7_N6thrust23THRUST_200600_302600_NS5minusIsEEEE10hipError_tPvRmT2_T3_mT4_P12ihipStream_tbEUlT_E_NS1_11comp_targetILNS1_3genE2ELNS1_11target_archE906ELNS1_3gpuE6ELNS1_3repE0EEENS1_30default_config_static_selectorELNS0_4arch9wavefront6targetE1EEEvT1_
; %bb.0:
	s_load_dwordx8 s[36:43], s[4:5], 0x0
	s_load_dwordx4 s[8:11], s[4:5], 0x28
	s_mul_i32 s44, s6, 0x440
	s_mov_b32 s7, 0
	s_mov_b64 s[14:15], -1
	s_waitcnt lgkmcnt(0)
	s_lshl_b64 s[38:39], s[38:39], 1
	s_add_u32 s18, s36, s38
	s_addc_u32 s19, s37, s39
	s_mul_i32 s3, s43, 0xf0f0f0f1
	s_mul_hi_u32 s4, s42, 0xf0f0f0f1
	s_mul_hi_u32 s2, s43, 0xf0f0f0f1
	s_add_u32 s3, s3, s4
	s_mul_i32 s1, s42, 0xf0f0f0f0
	s_addc_u32 s2, s2, 0
	s_mul_hi_u32 s0, s42, 0xf0f0f0f0
	s_add_u32 s1, s1, s3
	s_addc_u32 s0, s0, 0
	s_add_u32 s0, s2, s0
	s_addc_u32 s1, 0, 0
	s_mul_i32 s3, s43, 0xf0f0f0f0
	s_mul_hi_u32 s2, s43, 0xf0f0f0f0
	s_add_u32 s0, s3, s0
	s_addc_u32 s1, s2, s1
	s_lshr_b64 s[2:3], s[0:1], 10
	s_lshr_b32 s0, s1, 10
	s_mulk_i32 s0, 0x440
	s_mul_hi_u32 s1, s2, 0x440
	s_add_i32 s1, s1, s0
	s_mul_i32 s0, s2, 0x440
	s_sub_u32 s0, s42, s0
	s_subb_u32 s1, s43, s1
	s_cmp_lg_u64 s[0:1], 0
	s_cselect_b64 s[0:1], -1, 0
	v_cndmask_b32_e64 v1, 0, 1, s[0:1]
	v_readfirstlane_b32 s0, v1
	s_add_u32 s2, s2, s0
	s_addc_u32 s3, s3, 0
	s_add_u32 s4, s10, s6
	s_addc_u32 s5, s11, 0
	s_add_u32 s12, s2, -1
	s_addc_u32 s13, s3, -1
	v_mov_b32_e32 v1, s12
	v_mov_b32_e32 v2, s13
	v_cmp_ge_u64_e64 s[0:1], s[4:5], v[1:2]
	s_mul_i32 s33, s12, 0xfffffbc0
	s_and_b64 vcc, exec, s[0:1]
	s_cbranch_vccz .LBB380_36
; %bb.1:
	s_mov_b32 s45, s7
	s_add_i32 s20, s33, s42
	s_lshl_b64 s[14:15], s[44:45], 1
	s_add_u32 s14, s18, s14
	v_mov_b32_e32 v1, 0
	s_addc_u32 s15, s19, s15
	v_cmp_gt_u32_e32 vcc, s20, v0
	v_mov_b32_e32 v2, v1
	v_mov_b32_e32 v3, v1
	;; [unrolled: 1-line block ×8, first 2 shown]
	s_and_saveexec_b64 s[16:17], vcc
	s_cbranch_execz .LBB380_3
; %bb.2:
	v_lshlrev_b32_e32 v2, 1, v0
	global_load_ushort v10, v2, s[14:15]
	v_mov_b32_e32 v2, v1
	v_mov_b32_e32 v3, v1
	;; [unrolled: 1-line block ×8, first 2 shown]
	s_waitcnt vmcnt(0)
	v_and_b32_e32 v1, 0xffff, v10
.LBB380_3:
	s_or_b64 exec, exec, s[16:17]
	v_or_b32_e32 v10, 64, v0
	v_cmp_gt_u32_e32 vcc, s20, v10
	s_and_saveexec_b64 s[16:17], vcc
	s_cbranch_execz .LBB380_5
; %bb.4:
	v_lshlrev_b32_e32 v10, 1, v0
	global_load_ushort v10, v10, s[14:15] offset:128
	s_mov_b32 s21, 0x5040100
	s_waitcnt vmcnt(0)
	v_perm_b32 v1, v10, v1, s21
.LBB380_5:
	s_or_b64 exec, exec, s[16:17]
	v_or_b32_e32 v10, 0x80, v0
	v_cmp_gt_u32_e32 vcc, s20, v10
	s_and_saveexec_b64 s[16:17], vcc
	s_cbranch_execz .LBB380_7
; %bb.6:
	v_lshlrev_b32_e32 v10, 1, v0
	global_load_ushort v10, v10, s[14:15] offset:256
	s_mov_b32 s21, 0xffff
	s_waitcnt vmcnt(0)
	v_bfi_b32 v2, s21, v10, v2
.LBB380_7:
	s_or_b64 exec, exec, s[16:17]
	v_or_b32_e32 v10, 0xc0, v0
	v_cmp_gt_u32_e32 vcc, s20, v10
	s_and_saveexec_b64 s[16:17], vcc
	s_cbranch_execz .LBB380_9
; %bb.8:
	v_lshlrev_b32_e32 v10, 1, v0
	global_load_ushort v10, v10, s[14:15] offset:384
	s_mov_b32 s21, 0x5040100
	s_waitcnt vmcnt(0)
	v_perm_b32 v2, v10, v2, s21
.LBB380_9:
	s_or_b64 exec, exec, s[16:17]
	v_or_b32_e32 v10, 0x100, v0
	v_cmp_gt_u32_e32 vcc, s20, v10
	s_and_saveexec_b64 s[16:17], vcc
	s_cbranch_execz .LBB380_11
; %bb.10:
	v_lshlrev_b32_e32 v10, 1, v0
	global_load_ushort v10, v10, s[14:15] offset:512
	s_mov_b32 s21, 0xffff
	s_waitcnt vmcnt(0)
	v_bfi_b32 v3, s21, v10, v3
.LBB380_11:
	s_or_b64 exec, exec, s[16:17]
	v_or_b32_e32 v10, 0x140, v0
	v_cmp_gt_u32_e32 vcc, s20, v10
	s_and_saveexec_b64 s[16:17], vcc
	s_cbranch_execz .LBB380_13
; %bb.12:
	v_lshlrev_b32_e32 v10, 1, v0
	global_load_ushort v10, v10, s[14:15] offset:640
	s_mov_b32 s21, 0x5040100
	s_waitcnt vmcnt(0)
	v_perm_b32 v3, v10, v3, s21
.LBB380_13:
	s_or_b64 exec, exec, s[16:17]
	v_or_b32_e32 v10, 0x180, v0
	v_cmp_gt_u32_e32 vcc, s20, v10
	s_and_saveexec_b64 s[16:17], vcc
	s_cbranch_execz .LBB380_15
; %bb.14:
	v_lshlrev_b32_e32 v10, 1, v0
	global_load_ushort v10, v10, s[14:15] offset:768
	s_mov_b32 s21, 0xffff
	s_waitcnt vmcnt(0)
	v_bfi_b32 v4, s21, v10, v4
.LBB380_15:
	s_or_b64 exec, exec, s[16:17]
	v_or_b32_e32 v10, 0x1c0, v0
	v_cmp_gt_u32_e32 vcc, s20, v10
	s_and_saveexec_b64 s[16:17], vcc
	s_cbranch_execz .LBB380_17
; %bb.16:
	v_lshlrev_b32_e32 v10, 1, v0
	global_load_ushort v10, v10, s[14:15] offset:896
	s_mov_b32 s21, 0x5040100
	s_waitcnt vmcnt(0)
	v_perm_b32 v4, v10, v4, s21
.LBB380_17:
	s_or_b64 exec, exec, s[16:17]
	v_or_b32_e32 v10, 0x200, v0
	v_cmp_gt_u32_e32 vcc, s20, v10
	s_and_saveexec_b64 s[16:17], vcc
	s_cbranch_execz .LBB380_19
; %bb.18:
	v_lshlrev_b32_e32 v10, 1, v0
	global_load_ushort v10, v10, s[14:15] offset:1024
	s_mov_b32 s21, 0xffff
	s_waitcnt vmcnt(0)
	v_bfi_b32 v5, s21, v10, v5
.LBB380_19:
	s_or_b64 exec, exec, s[16:17]
	v_or_b32_e32 v10, 0x240, v0
	v_cmp_gt_u32_e32 vcc, s20, v10
	s_and_saveexec_b64 s[16:17], vcc
	s_cbranch_execz .LBB380_21
; %bb.20:
	v_lshlrev_b32_e32 v10, 1, v0
	global_load_ushort v10, v10, s[14:15] offset:1152
	s_mov_b32 s21, 0x5040100
	s_waitcnt vmcnt(0)
	v_perm_b32 v5, v10, v5, s21
.LBB380_21:
	s_or_b64 exec, exec, s[16:17]
	v_or_b32_e32 v10, 0x280, v0
	v_cmp_gt_u32_e32 vcc, s20, v10
	s_and_saveexec_b64 s[16:17], vcc
	s_cbranch_execz .LBB380_23
; %bb.22:
	v_lshlrev_b32_e32 v10, 1, v0
	global_load_ushort v10, v10, s[14:15] offset:1280
	s_mov_b32 s21, 0xffff
	s_waitcnt vmcnt(0)
	v_bfi_b32 v6, s21, v10, v6
.LBB380_23:
	s_or_b64 exec, exec, s[16:17]
	v_or_b32_e32 v10, 0x2c0, v0
	v_cmp_gt_u32_e32 vcc, s20, v10
	s_and_saveexec_b64 s[16:17], vcc
	s_cbranch_execz .LBB380_25
; %bb.24:
	v_lshlrev_b32_e32 v10, 1, v0
	global_load_ushort v10, v10, s[14:15] offset:1408
	s_mov_b32 s21, 0x5040100
	s_waitcnt vmcnt(0)
	v_perm_b32 v6, v10, v6, s21
.LBB380_25:
	s_or_b64 exec, exec, s[16:17]
	v_or_b32_e32 v10, 0x300, v0
	v_cmp_gt_u32_e32 vcc, s20, v10
	s_and_saveexec_b64 s[16:17], vcc
	s_cbranch_execz .LBB380_27
; %bb.26:
	v_lshlrev_b32_e32 v10, 1, v0
	global_load_ushort v10, v10, s[14:15] offset:1536
	s_mov_b32 s21, 0xffff
	s_waitcnt vmcnt(0)
	v_bfi_b32 v7, s21, v10, v7
.LBB380_27:
	s_or_b64 exec, exec, s[16:17]
	v_or_b32_e32 v10, 0x340, v0
	v_cmp_gt_u32_e32 vcc, s20, v10
	s_and_saveexec_b64 s[16:17], vcc
	s_cbranch_execz .LBB380_29
; %bb.28:
	v_lshlrev_b32_e32 v10, 1, v0
	global_load_ushort v10, v10, s[14:15] offset:1664
	s_mov_b32 s21, 0x5040100
	s_waitcnt vmcnt(0)
	v_perm_b32 v7, v10, v7, s21
.LBB380_29:
	s_or_b64 exec, exec, s[16:17]
	v_or_b32_e32 v10, 0x380, v0
	v_cmp_gt_u32_e32 vcc, s20, v10
	s_and_saveexec_b64 s[16:17], vcc
	s_cbranch_execz .LBB380_31
; %bb.30:
	v_lshlrev_b32_e32 v10, 1, v0
	global_load_ushort v10, v10, s[14:15] offset:1792
	s_mov_b32 s21, 0xffff
	s_waitcnt vmcnt(0)
	v_bfi_b32 v8, s21, v10, v8
.LBB380_31:
	s_or_b64 exec, exec, s[16:17]
	v_or_b32_e32 v10, 0x3c0, v0
	v_cmp_gt_u32_e32 vcc, s20, v10
	s_and_saveexec_b64 s[16:17], vcc
	s_cbranch_execz .LBB380_33
; %bb.32:
	v_lshlrev_b32_e32 v10, 1, v0
	global_load_ushort v10, v10, s[14:15] offset:1920
	s_mov_b32 s21, 0x5040100
	s_waitcnt vmcnt(0)
	v_perm_b32 v8, v10, v8, s21
.LBB380_33:
	s_or_b64 exec, exec, s[16:17]
	v_or_b32_e32 v10, 0x400, v0
	v_cmp_gt_u32_e32 vcc, s20, v10
	s_and_saveexec_b64 s[16:17], vcc
	s_cbranch_execz .LBB380_35
; %bb.34:
	v_lshlrev_b32_e32 v9, 1, v0
	global_load_ushort v9, v9, s[14:15] offset:2048
.LBB380_35:
	s_or_b64 exec, exec, s[16:17]
	v_lshlrev_b32_e32 v10, 1, v0
	s_mov_b64 s[14:15], 0
	ds_write_b16 v10, v1
	ds_write_b16_d16_hi v10, v1 offset:128
	ds_write_b16 v10, v2 offset:256
	ds_write_b16_d16_hi v10, v2 offset:384
	ds_write_b16 v10, v3 offset:512
	;; [unrolled: 2-line block ×7, first 2 shown]
	ds_write_b16_d16_hi v10, v8 offset:1920
	s_waitcnt vmcnt(0)
	ds_write_b16 v10, v9 offset:2048
	s_waitcnt lgkmcnt(0)
	; wave barrier
.LBB380_36:
	s_and_b64 vcc, exec, s[14:15]
	v_lshlrev_b32_e32 v9, 1, v0
	s_cbranch_vccz .LBB380_38
; %bb.37:
	s_mov_b32 s45, 0
	s_lshl_b64 s[14:15], s[44:45], 1
	s_add_u32 s14, s18, s14
	s_addc_u32 s15, s19, s15
	global_load_ushort v1, v9, s[14:15]
	global_load_ushort v2, v9, s[14:15] offset:128
	global_load_ushort v3, v9, s[14:15] offset:256
	;; [unrolled: 1-line block ×16, first 2 shown]
	s_waitcnt vmcnt(16)
	ds_write_b16 v9, v1
	s_waitcnt vmcnt(15)
	ds_write_b16 v9, v2 offset:128
	s_waitcnt vmcnt(14)
	ds_write_b16 v9, v3 offset:256
	;; [unrolled: 2-line block ×16, first 2 shown]
	s_waitcnt lgkmcnt(0)
	; wave barrier
.LBB380_38:
	v_mul_u32_u24_e32 v10, 34, v0
	ds_read_b128 v[5:8], v10
	ds_read_b128 v[1:4], v10 offset:16
	ds_read_u16 v14, v10 offset:32
	s_cmp_eq_u64 s[4:5], 0
	s_waitcnt lgkmcnt(0)
	v_lshrrev_b32_e32 v12, 16, v5
	v_lshrrev_b32_e32 v13, 16, v6
	;; [unrolled: 1-line block ×8, first 2 shown]
	; wave barrier
	s_cbranch_scc1 .LBB380_43
; %bb.39:
	s_lshl_b64 s[10:11], s[10:11], 1
	s_add_u32 s8, s8, s10
	s_addc_u32 s9, s9, s11
	s_lshl_b64 s[6:7], s[6:7], 1
	s_add_u32 s6, s8, s6
	s_addc_u32 s7, s9, s7
	v_mov_b32_e32 v11, 0
	global_load_ushort v37, v11, s[6:7] offset:-2
	s_cmp_eq_u64 s[4:5], s[12:13]
	s_cbranch_scc1 .LBB380_44
; %bb.40:
	v_cmp_ne_u32_e32 vcc, 0, v0
	s_waitcnt vmcnt(0)
	v_mov_b32_e32 v11, v37
	ds_write_b16 v9, v14
	s_waitcnt lgkmcnt(0)
	; wave barrier
	s_and_saveexec_b64 s[6:7], vcc
; %bb.41:
	v_add_u32_e32 v11, -2, v9
	ds_read_u16 v11, v11
; %bb.42:
	s_or_b64 exec, exec, s[6:7]
	s_waitcnt lgkmcnt(0)
	v_sub_u16_e32 v11, v5, v11
	s_mov_b64 s[6:7], 0
	s_branch .LBB380_45
.LBB380_43:
                                        ; implicit-def: $vgpr21
                                        ; implicit-def: $vgpr22
                                        ; implicit-def: $vgpr23
                                        ; implicit-def: $vgpr11
                                        ; implicit-def: $vgpr36
                                        ; implicit-def: $vgpr35
                                        ; implicit-def: $vgpr34
                                        ; implicit-def: $vgpr33
                                        ; implicit-def: $vgpr32
                                        ; implicit-def: $vgpr24
                                        ; implicit-def: $vgpr25
                                        ; implicit-def: $vgpr31
                                        ; implicit-def: $vgpr30
                                        ; implicit-def: $vgpr29
                                        ; implicit-def: $vgpr28
                                        ; implicit-def: $vgpr27
                                        ; implicit-def: $vgpr26
	s_branch .LBB380_50
.LBB380_44:
	s_mov_b64 s[6:7], -1
                                        ; implicit-def: $vgpr11
.LBB380_45:
	s_and_b64 vcc, exec, s[6:7]
	v_mov_b32_e32 v21, v20
	v_mov_b32_e32 v22, v4
	;; [unrolled: 1-line block ×16, first 2 shown]
	s_cbranch_vccz .LBB380_49
; %bb.46:
	v_mul_u32_u24_e32 v11, 17, v0
	v_cmp_ne_u32_e32 vcc, 0, v0
	ds_write_b16 v9, v14
	s_waitcnt lgkmcnt(0)
	; wave barrier
	s_and_saveexec_b64 s[6:7], vcc
	s_cbranch_execz .LBB380_48
; %bb.47:
	v_add_u32_e32 v21, -2, v9
	s_waitcnt vmcnt(0)
	ds_read_u16 v37, v21
.LBB380_48:
	s_or_b64 exec, exec, s[6:7]
	s_mulk_i32 s4, 0xfbc0
	s_add_i32 s4, s4, s42
	v_add_u32_e32 v21, 16, v11
	v_cmp_gt_u32_e32 vcc, s4, v21
	v_add_u32_e32 v22, 15, v11
	v_cndmask_b32_e32 v21, 0, v20, vcc
	v_cmp_gt_u32_e32 vcc, s4, v22
	v_add_u32_e32 v23, 14, v11
	v_cndmask_b32_e32 v22, 0, v4, vcc
	;; [unrolled: 3-line block ×15, first 2 shown]
	v_cmp_gt_u32_e32 vcc, s4, v36
	v_cndmask_b32_e32 v36, 0, v5, vcc
	v_cmp_gt_u32_e32 vcc, s4, v11
	s_waitcnt vmcnt(0) lgkmcnt(0)
	v_cndmask_b32_e32 v11, 0, v37, vcc
	v_sub_u16_e32 v11, v5, v11
.LBB380_49:
	s_cbranch_execnz .LBB380_60
.LBB380_50:
	s_cmp_eq_u64 s[2:3], 1
	v_cmp_ne_u32_e32 vcc, 0, v0
	s_cbranch_scc1 .LBB380_55
; %bb.51:
	v_mov_b32_e32 v11, v5
	ds_write_b16 v9, v14
	s_waitcnt lgkmcnt(0)
	; wave barrier
	s_and_saveexec_b64 s[2:3], vcc
	s_cbranch_execz .LBB380_53
; %bb.52:
	v_add_u32_e32 v11, -2, v9
	ds_read_u16 v11, v11
	s_waitcnt lgkmcnt(0)
	v_sub_u16_e32 v11, v5, v11
.LBB380_53:
	s_or_b64 exec, exec, s[2:3]
	s_cbranch_execz .LBB380_56
; %bb.54:
	v_mov_b32_e32 v21, v20
	v_mov_b32_e32 v22, v4
	;; [unrolled: 1-line block ×15, first 2 shown]
	s_branch .LBB380_59
.LBB380_55:
                                        ; implicit-def: $vgpr11
.LBB380_56:
	v_mad_u32_u24 v21, v0, 17, 16
	v_cmp_gt_u32_e32 vcc, s42, v21
	v_mad_u32_u24 v21, v0, 17, 15
	v_cmp_gt_u32_e64 s[2:3], s42, v21
	v_mad_u32_u24 v21, v0, 17, 14
	v_cmp_gt_u32_e64 s[4:5], s42, v21
	v_mad_u32_u24 v21, v0, 17, 13
	v_cmp_gt_u32_e64 s[6:7], s42, v21
	v_mad_u32_u24 v21, v0, 17, 12
	v_cmp_gt_u32_e64 s[8:9], s42, v21
	v_mad_u32_u24 v21, v0, 17, 11
	v_cmp_gt_u32_e64 s[10:11], s42, v21
	v_mad_u32_u24 v21, v0, 17, 10
	v_cmp_gt_u32_e64 s[12:13], s42, v21
	v_mad_u32_u24 v21, v0, 17, 9
	v_cmp_gt_u32_e64 s[14:15], s42, v21
	v_mad_u32_u24 v21, v0, 17, 8
	v_cmp_gt_u32_e64 s[16:17], s42, v21
	v_mad_u32_u24 v21, v0, 17, 7
	v_cmp_gt_u32_e64 s[18:19], s42, v21
	v_mad_u32_u24 v21, v0, 17, 6
	v_cmp_gt_u32_e64 s[20:21], s42, v21
	v_mad_u32_u24 v21, v0, 17, 5
	v_cmp_gt_u32_e64 s[22:23], s42, v21
	v_mad_u32_u24 v21, v0, 17, 4
	v_cmp_gt_u32_e64 s[24:25], s42, v21
	v_mad_u32_u24 v21, v0, 17, 3
	v_mul_u32_u24_e32 v11, 17, v0
	v_cmp_gt_u32_e64 s[26:27], s42, v21
	v_mad_u32_u24 v21, v0, 17, 2
	v_cmp_gt_u32_e64 s[28:29], s42, v21
	v_mad_u32_u24 v21, v0, 17, 1
	v_cmp_ne_u32_e64 s[34:35], 0, v0
	v_cmp_gt_u32_e64 s[36:37], s42, v11
	v_cmp_gt_u32_e64 s[30:31], s42, v21
	s_and_b64 s[36:37], s[34:35], s[36:37]
	v_mov_b32_e32 v11, v5
	ds_write_b16 v9, v14
	s_waitcnt lgkmcnt(0)
	; wave barrier
	s_and_saveexec_b64 s[34:35], s[36:37]
	s_cbranch_execz .LBB380_58
; %bb.57:
	v_add_u32_e32 v11, -2, v9
	ds_read_u16 v11, v11
	s_waitcnt lgkmcnt(0)
	v_sub_u16_e32 v11, v5, v11
.LBB380_58:
	s_or_b64 exec, exec, s[34:35]
	v_cndmask_b32_e32 v21, 0, v20, vcc
	v_cndmask_b32_e64 v22, 0, v4, s[2:3]
	v_cndmask_b32_e64 v23, 0, v19, s[4:5]
	;; [unrolled: 1-line block ×15, first 2 shown]
.LBB380_59:
	v_mov_b32_e32 v36, v5
.LBB380_60:
	s_add_u32 s4, s40, s38
	s_addc_u32 s5, s41, s39
	v_sub_u16_e32 v5, v14, v21
	v_sub_u16_e32 v14, v20, v22
	;; [unrolled: 1-line block ×16, first 2 shown]
	s_and_b64 vcc, exec, s[0:1]
	v_lshlrev_b32_e32 v3, 5, v0
	; wave barrier
	s_cbranch_vccz .LBB380_94
; %bb.61:
	s_mov_b32 s2, 0x5040100
	v_perm_b32 v29, v25, v24, s2
	v_perm_b32 v28, v23, v22, s2
	;; [unrolled: 1-line block ×4, first 2 shown]
	ds_write_b128 v10, v[26:29]
	v_perm_b32 v29, v14, v4, s2
	v_perm_b32 v28, v16, v15, s2
	;; [unrolled: 1-line block ×4, first 2 shown]
	v_sub_u32_e32 v1, v10, v3
	ds_write_b128 v10, v[26:29] offset:16
	ds_write_b16 v10, v5 offset:32
	s_waitcnt lgkmcnt(0)
	; wave barrier
	ds_read_u16 v38, v1 offset:128
	s_waitcnt vmcnt(0)
	ds_read_u16 v37, v1 offset:256
	ds_read_u16 v36, v1 offset:384
	;; [unrolled: 1-line block ×15, first 2 shown]
	s_mov_b32 s45, 0
	s_add_i32 s33, s33, s42
	s_lshl_b64 s[0:1], s[44:45], 1
	s_add_u32 s0, s4, s0
	s_addc_u32 s1, s5, s1
	v_mov_b32_e32 v2, s1
	v_add_co_u32_e32 v1, vcc, s0, v9
	v_addc_co_u32_e32 v2, vcc, 0, v2, vcc
	v_cmp_gt_u32_e32 vcc, s33, v0
	s_and_saveexec_b64 s[0:1], vcc
	s_cbranch_execz .LBB380_63
; %bb.62:
	v_sub_u32_e32 v39, 0, v3
	v_add_u32_e32 v39, v10, v39
	ds_read_u16 v39, v39
	s_waitcnt lgkmcnt(0)
	global_store_short v[1:2], v39, off
.LBB380_63:
	s_or_b64 exec, exec, s[0:1]
	v_or_b32_e32 v39, 64, v0
	v_cmp_gt_u32_e32 vcc, s33, v39
	s_and_saveexec_b64 s[0:1], vcc
	s_cbranch_execz .LBB380_65
; %bb.64:
	s_waitcnt lgkmcnt(14)
	global_store_short v[1:2], v38, off offset:128
.LBB380_65:
	s_or_b64 exec, exec, s[0:1]
	s_waitcnt lgkmcnt(14)
	v_or_b32_e32 v38, 0x80, v0
	v_cmp_gt_u32_e32 vcc, s33, v38
	s_and_saveexec_b64 s[0:1], vcc
	s_cbranch_execz .LBB380_67
; %bb.66:
	global_store_short v[1:2], v37, off offset:256
.LBB380_67:
	s_or_b64 exec, exec, s[0:1]
	v_or_b32_e32 v37, 0xc0, v0
	v_cmp_gt_u32_e32 vcc, s33, v37
	s_and_saveexec_b64 s[0:1], vcc
	s_cbranch_execz .LBB380_69
; %bb.68:
	s_waitcnt lgkmcnt(13)
	global_store_short v[1:2], v36, off offset:384
.LBB380_69:
	s_or_b64 exec, exec, s[0:1]
	s_waitcnt lgkmcnt(13)
	v_or_b32_e32 v36, 0x100, v0
	v_cmp_gt_u32_e32 vcc, s33, v36
	s_and_saveexec_b64 s[0:1], vcc
	s_cbranch_execz .LBB380_71
; %bb.70:
	s_waitcnt lgkmcnt(12)
	global_store_short v[1:2], v35, off offset:512
.LBB380_71:
	s_or_b64 exec, exec, s[0:1]
	s_waitcnt lgkmcnt(12)
	;; [unrolled: 10-line block ×6, first 2 shown]
	v_or_b32_e32 v30, 0x240, v0
	v_cmp_gt_u32_e32 vcc, s33, v30
	s_and_saveexec_b64 s[0:1], vcc
	s_cbranch_execz .LBB380_81
; %bb.80:
	s_waitcnt lgkmcnt(7)
	global_store_short v[1:2], v31, off offset:1152
.LBB380_81:
	s_or_b64 exec, exec, s[0:1]
	v_or_b32_e32 v30, 0x280, v0
	v_cmp_gt_u32_e32 vcc, s33, v30
	s_and_saveexec_b64 s[0:1], vcc
	s_cbranch_execz .LBB380_83
; %bb.82:
	s_waitcnt lgkmcnt(6)
	global_store_short v[1:2], v29, off offset:1280
.LBB380_83:
	s_or_b64 exec, exec, s[0:1]
	s_waitcnt lgkmcnt(6)
	v_or_b32_e32 v29, 0x2c0, v0
	v_cmp_gt_u32_e32 vcc, s33, v29
	s_and_saveexec_b64 s[0:1], vcc
	s_cbranch_execz .LBB380_85
; %bb.84:
	s_waitcnt lgkmcnt(5)
	global_store_short v[1:2], v28, off offset:1408
.LBB380_85:
	s_or_b64 exec, exec, s[0:1]
	s_waitcnt lgkmcnt(5)
	;; [unrolled: 10-line block ×5, first 2 shown]
	v_or_b32_e32 v19, 0x3c0, v0
	v_cmp_gt_u32_e32 vcc, s33, v19
	s_and_saveexec_b64 s[0:1], vcc
	s_cbranch_execz .LBB380_93
; %bb.92:
	s_waitcnt lgkmcnt(1)
	global_store_short v[1:2], v18, off offset:1920
.LBB380_93:
	s_or_b64 exec, exec, s[0:1]
	v_or_b32_e32 v0, 0x400, v0
	v_cmp_gt_u32_e64 s[0:1], s33, v0
	s_branch .LBB380_96
.LBB380_94:
	s_mov_b64 s[0:1], 0
                                        ; implicit-def: $vgpr17
                                        ; implicit-def: $vgpr1_vgpr2
	s_cbranch_execz .LBB380_96
; %bb.95:
	s_mov_b32 s45, 0
	s_lshl_b64 s[2:3], s[44:45], 1
	s_add_u32 s2, s4, s2
	s_mov_b32 s4, 0x5040100
	v_perm_b32 v24, v25, v24, s4
	v_perm_b32 v23, v23, v22, s4
	;; [unrolled: 1-line block ×4, first 2 shown]
	s_waitcnt lgkmcnt(0)
	v_perm_b32 v17, v14, v4, s4
	v_perm_b32 v16, v16, v15, s4
	;; [unrolled: 1-line block ×4, first 2 shown]
	v_sub_u32_e32 v0, v10, v3
	ds_write_b128 v10, v[21:24]
	ds_write_b128 v10, v[14:17] offset:16
	ds_write_b16 v10, v5 offset:32
	s_waitcnt lgkmcnt(0)
	; wave barrier
	ds_read_u16 v3, v0
	ds_read_u16 v4, v0 offset:128
	ds_read_u16 v5, v0 offset:256
	;; [unrolled: 1-line block ×16, first 2 shown]
	s_addc_u32 s3, s5, s3
	v_mov_b32_e32 v0, s3
	v_add_co_u32_e32 v1, vcc, s2, v9
	v_addc_co_u32_e32 v2, vcc, 0, v0, vcc
	s_or_b64 s[0:1], s[0:1], exec
	s_waitcnt lgkmcnt(14)
	global_store_short v9, v3, s[2:3]
	global_store_short v9, v4, s[2:3] offset:128
	global_store_short v9, v5, s[2:3] offset:256
	s_waitcnt lgkmcnt(13)
	global_store_short v9, v6, s[2:3] offset:384
	s_waitcnt lgkmcnt(12)
	;; [unrolled: 2-line block ×13, first 2 shown]
	global_store_short v9, v20, s[2:3] offset:1920
.LBB380_96:
	s_and_saveexec_b64 s[2:3], s[0:1]
	s_cbranch_execnz .LBB380_98
; %bb.97:
	s_endpgm
.LBB380_98:
	s_waitcnt lgkmcnt(0)
	global_store_short v[1:2], v17, off offset:2048
	s_endpgm
	.section	.rodata,"a",@progbits
	.p2align	6, 0x0
	.amdhsa_kernel _ZN7rocprim17ROCPRIM_400000_NS6detail17trampoline_kernelINS0_14default_configENS1_35adjacent_difference_config_selectorILb1EsEEZNS1_24adjacent_difference_implIS3_Lb1ELb0EPsS7_N6thrust23THRUST_200600_302600_NS5minusIsEEEE10hipError_tPvRmT2_T3_mT4_P12ihipStream_tbEUlT_E_NS1_11comp_targetILNS1_3genE2ELNS1_11target_archE906ELNS1_3gpuE6ELNS1_3repE0EEENS1_30default_config_static_selectorELNS0_4arch9wavefront6targetE1EEEvT1_
		.amdhsa_group_segment_fixed_size 2176
		.amdhsa_private_segment_fixed_size 0
		.amdhsa_kernarg_size 56
		.amdhsa_user_sgpr_count 6
		.amdhsa_user_sgpr_private_segment_buffer 1
		.amdhsa_user_sgpr_dispatch_ptr 0
		.amdhsa_user_sgpr_queue_ptr 0
		.amdhsa_user_sgpr_kernarg_segment_ptr 1
		.amdhsa_user_sgpr_dispatch_id 0
		.amdhsa_user_sgpr_flat_scratch_init 0
		.amdhsa_user_sgpr_private_segment_size 0
		.amdhsa_uses_dynamic_stack 0
		.amdhsa_system_sgpr_private_segment_wavefront_offset 0
		.amdhsa_system_sgpr_workgroup_id_x 1
		.amdhsa_system_sgpr_workgroup_id_y 0
		.amdhsa_system_sgpr_workgroup_id_z 0
		.amdhsa_system_sgpr_workgroup_info 0
		.amdhsa_system_vgpr_workitem_id 0
		.amdhsa_next_free_vgpr 40
		.amdhsa_next_free_sgpr 61
		.amdhsa_reserve_vcc 1
		.amdhsa_reserve_flat_scratch 0
		.amdhsa_float_round_mode_32 0
		.amdhsa_float_round_mode_16_64 0
		.amdhsa_float_denorm_mode_32 3
		.amdhsa_float_denorm_mode_16_64 3
		.amdhsa_dx10_clamp 1
		.amdhsa_ieee_mode 1
		.amdhsa_fp16_overflow 0
		.amdhsa_exception_fp_ieee_invalid_op 0
		.amdhsa_exception_fp_denorm_src 0
		.amdhsa_exception_fp_ieee_div_zero 0
		.amdhsa_exception_fp_ieee_overflow 0
		.amdhsa_exception_fp_ieee_underflow 0
		.amdhsa_exception_fp_ieee_inexact 0
		.amdhsa_exception_int_div_zero 0
	.end_amdhsa_kernel
	.section	.text._ZN7rocprim17ROCPRIM_400000_NS6detail17trampoline_kernelINS0_14default_configENS1_35adjacent_difference_config_selectorILb1EsEEZNS1_24adjacent_difference_implIS3_Lb1ELb0EPsS7_N6thrust23THRUST_200600_302600_NS5minusIsEEEE10hipError_tPvRmT2_T3_mT4_P12ihipStream_tbEUlT_E_NS1_11comp_targetILNS1_3genE2ELNS1_11target_archE906ELNS1_3gpuE6ELNS1_3repE0EEENS1_30default_config_static_selectorELNS0_4arch9wavefront6targetE1EEEvT1_,"axG",@progbits,_ZN7rocprim17ROCPRIM_400000_NS6detail17trampoline_kernelINS0_14default_configENS1_35adjacent_difference_config_selectorILb1EsEEZNS1_24adjacent_difference_implIS3_Lb1ELb0EPsS7_N6thrust23THRUST_200600_302600_NS5minusIsEEEE10hipError_tPvRmT2_T3_mT4_P12ihipStream_tbEUlT_E_NS1_11comp_targetILNS1_3genE2ELNS1_11target_archE906ELNS1_3gpuE6ELNS1_3repE0EEENS1_30default_config_static_selectorELNS0_4arch9wavefront6targetE1EEEvT1_,comdat
.Lfunc_end380:
	.size	_ZN7rocprim17ROCPRIM_400000_NS6detail17trampoline_kernelINS0_14default_configENS1_35adjacent_difference_config_selectorILb1EsEEZNS1_24adjacent_difference_implIS3_Lb1ELb0EPsS7_N6thrust23THRUST_200600_302600_NS5minusIsEEEE10hipError_tPvRmT2_T3_mT4_P12ihipStream_tbEUlT_E_NS1_11comp_targetILNS1_3genE2ELNS1_11target_archE906ELNS1_3gpuE6ELNS1_3repE0EEENS1_30default_config_static_selectorELNS0_4arch9wavefront6targetE1EEEvT1_, .Lfunc_end380-_ZN7rocprim17ROCPRIM_400000_NS6detail17trampoline_kernelINS0_14default_configENS1_35adjacent_difference_config_selectorILb1EsEEZNS1_24adjacent_difference_implIS3_Lb1ELb0EPsS7_N6thrust23THRUST_200600_302600_NS5minusIsEEEE10hipError_tPvRmT2_T3_mT4_P12ihipStream_tbEUlT_E_NS1_11comp_targetILNS1_3genE2ELNS1_11target_archE906ELNS1_3gpuE6ELNS1_3repE0EEENS1_30default_config_static_selectorELNS0_4arch9wavefront6targetE1EEEvT1_
                                        ; -- End function
	.set _ZN7rocprim17ROCPRIM_400000_NS6detail17trampoline_kernelINS0_14default_configENS1_35adjacent_difference_config_selectorILb1EsEEZNS1_24adjacent_difference_implIS3_Lb1ELb0EPsS7_N6thrust23THRUST_200600_302600_NS5minusIsEEEE10hipError_tPvRmT2_T3_mT4_P12ihipStream_tbEUlT_E_NS1_11comp_targetILNS1_3genE2ELNS1_11target_archE906ELNS1_3gpuE6ELNS1_3repE0EEENS1_30default_config_static_selectorELNS0_4arch9wavefront6targetE1EEEvT1_.num_vgpr, 40
	.set _ZN7rocprim17ROCPRIM_400000_NS6detail17trampoline_kernelINS0_14default_configENS1_35adjacent_difference_config_selectorILb1EsEEZNS1_24adjacent_difference_implIS3_Lb1ELb0EPsS7_N6thrust23THRUST_200600_302600_NS5minusIsEEEE10hipError_tPvRmT2_T3_mT4_P12ihipStream_tbEUlT_E_NS1_11comp_targetILNS1_3genE2ELNS1_11target_archE906ELNS1_3gpuE6ELNS1_3repE0EEENS1_30default_config_static_selectorELNS0_4arch9wavefront6targetE1EEEvT1_.num_agpr, 0
	.set _ZN7rocprim17ROCPRIM_400000_NS6detail17trampoline_kernelINS0_14default_configENS1_35adjacent_difference_config_selectorILb1EsEEZNS1_24adjacent_difference_implIS3_Lb1ELb0EPsS7_N6thrust23THRUST_200600_302600_NS5minusIsEEEE10hipError_tPvRmT2_T3_mT4_P12ihipStream_tbEUlT_E_NS1_11comp_targetILNS1_3genE2ELNS1_11target_archE906ELNS1_3gpuE6ELNS1_3repE0EEENS1_30default_config_static_selectorELNS0_4arch9wavefront6targetE1EEEvT1_.numbered_sgpr, 46
	.set _ZN7rocprim17ROCPRIM_400000_NS6detail17trampoline_kernelINS0_14default_configENS1_35adjacent_difference_config_selectorILb1EsEEZNS1_24adjacent_difference_implIS3_Lb1ELb0EPsS7_N6thrust23THRUST_200600_302600_NS5minusIsEEEE10hipError_tPvRmT2_T3_mT4_P12ihipStream_tbEUlT_E_NS1_11comp_targetILNS1_3genE2ELNS1_11target_archE906ELNS1_3gpuE6ELNS1_3repE0EEENS1_30default_config_static_selectorELNS0_4arch9wavefront6targetE1EEEvT1_.num_named_barrier, 0
	.set _ZN7rocprim17ROCPRIM_400000_NS6detail17trampoline_kernelINS0_14default_configENS1_35adjacent_difference_config_selectorILb1EsEEZNS1_24adjacent_difference_implIS3_Lb1ELb0EPsS7_N6thrust23THRUST_200600_302600_NS5minusIsEEEE10hipError_tPvRmT2_T3_mT4_P12ihipStream_tbEUlT_E_NS1_11comp_targetILNS1_3genE2ELNS1_11target_archE906ELNS1_3gpuE6ELNS1_3repE0EEENS1_30default_config_static_selectorELNS0_4arch9wavefront6targetE1EEEvT1_.private_seg_size, 0
	.set _ZN7rocprim17ROCPRIM_400000_NS6detail17trampoline_kernelINS0_14default_configENS1_35adjacent_difference_config_selectorILb1EsEEZNS1_24adjacent_difference_implIS3_Lb1ELb0EPsS7_N6thrust23THRUST_200600_302600_NS5minusIsEEEE10hipError_tPvRmT2_T3_mT4_P12ihipStream_tbEUlT_E_NS1_11comp_targetILNS1_3genE2ELNS1_11target_archE906ELNS1_3gpuE6ELNS1_3repE0EEENS1_30default_config_static_selectorELNS0_4arch9wavefront6targetE1EEEvT1_.uses_vcc, 1
	.set _ZN7rocprim17ROCPRIM_400000_NS6detail17trampoline_kernelINS0_14default_configENS1_35adjacent_difference_config_selectorILb1EsEEZNS1_24adjacent_difference_implIS3_Lb1ELb0EPsS7_N6thrust23THRUST_200600_302600_NS5minusIsEEEE10hipError_tPvRmT2_T3_mT4_P12ihipStream_tbEUlT_E_NS1_11comp_targetILNS1_3genE2ELNS1_11target_archE906ELNS1_3gpuE6ELNS1_3repE0EEENS1_30default_config_static_selectorELNS0_4arch9wavefront6targetE1EEEvT1_.uses_flat_scratch, 0
	.set _ZN7rocprim17ROCPRIM_400000_NS6detail17trampoline_kernelINS0_14default_configENS1_35adjacent_difference_config_selectorILb1EsEEZNS1_24adjacent_difference_implIS3_Lb1ELb0EPsS7_N6thrust23THRUST_200600_302600_NS5minusIsEEEE10hipError_tPvRmT2_T3_mT4_P12ihipStream_tbEUlT_E_NS1_11comp_targetILNS1_3genE2ELNS1_11target_archE906ELNS1_3gpuE6ELNS1_3repE0EEENS1_30default_config_static_selectorELNS0_4arch9wavefront6targetE1EEEvT1_.has_dyn_sized_stack, 0
	.set _ZN7rocprim17ROCPRIM_400000_NS6detail17trampoline_kernelINS0_14default_configENS1_35adjacent_difference_config_selectorILb1EsEEZNS1_24adjacent_difference_implIS3_Lb1ELb0EPsS7_N6thrust23THRUST_200600_302600_NS5minusIsEEEE10hipError_tPvRmT2_T3_mT4_P12ihipStream_tbEUlT_E_NS1_11comp_targetILNS1_3genE2ELNS1_11target_archE906ELNS1_3gpuE6ELNS1_3repE0EEENS1_30default_config_static_selectorELNS0_4arch9wavefront6targetE1EEEvT1_.has_recursion, 0
	.set _ZN7rocprim17ROCPRIM_400000_NS6detail17trampoline_kernelINS0_14default_configENS1_35adjacent_difference_config_selectorILb1EsEEZNS1_24adjacent_difference_implIS3_Lb1ELb0EPsS7_N6thrust23THRUST_200600_302600_NS5minusIsEEEE10hipError_tPvRmT2_T3_mT4_P12ihipStream_tbEUlT_E_NS1_11comp_targetILNS1_3genE2ELNS1_11target_archE906ELNS1_3gpuE6ELNS1_3repE0EEENS1_30default_config_static_selectorELNS0_4arch9wavefront6targetE1EEEvT1_.has_indirect_call, 0
	.section	.AMDGPU.csdata,"",@progbits
; Kernel info:
; codeLenInByte = 4372
; TotalNumSgprs: 50
; NumVgprs: 40
; ScratchSize: 0
; MemoryBound: 0
; FloatMode: 240
; IeeeMode: 1
; LDSByteSize: 2176 bytes/workgroup (compile time only)
; SGPRBlocks: 8
; VGPRBlocks: 9
; NumSGPRsForWavesPerEU: 65
; NumVGPRsForWavesPerEU: 40
; Occupancy: 6
; WaveLimiterHint : 1
; COMPUTE_PGM_RSRC2:SCRATCH_EN: 0
; COMPUTE_PGM_RSRC2:USER_SGPR: 6
; COMPUTE_PGM_RSRC2:TRAP_HANDLER: 0
; COMPUTE_PGM_RSRC2:TGID_X_EN: 1
; COMPUTE_PGM_RSRC2:TGID_Y_EN: 0
; COMPUTE_PGM_RSRC2:TGID_Z_EN: 0
; COMPUTE_PGM_RSRC2:TIDIG_COMP_CNT: 0
	.section	.text._ZN7rocprim17ROCPRIM_400000_NS6detail17trampoline_kernelINS0_14default_configENS1_35adjacent_difference_config_selectorILb1EsEEZNS1_24adjacent_difference_implIS3_Lb1ELb0EPsS7_N6thrust23THRUST_200600_302600_NS5minusIsEEEE10hipError_tPvRmT2_T3_mT4_P12ihipStream_tbEUlT_E_NS1_11comp_targetILNS1_3genE9ELNS1_11target_archE1100ELNS1_3gpuE3ELNS1_3repE0EEENS1_30default_config_static_selectorELNS0_4arch9wavefront6targetE1EEEvT1_,"axG",@progbits,_ZN7rocprim17ROCPRIM_400000_NS6detail17trampoline_kernelINS0_14default_configENS1_35adjacent_difference_config_selectorILb1EsEEZNS1_24adjacent_difference_implIS3_Lb1ELb0EPsS7_N6thrust23THRUST_200600_302600_NS5minusIsEEEE10hipError_tPvRmT2_T3_mT4_P12ihipStream_tbEUlT_E_NS1_11comp_targetILNS1_3genE9ELNS1_11target_archE1100ELNS1_3gpuE3ELNS1_3repE0EEENS1_30default_config_static_selectorELNS0_4arch9wavefront6targetE1EEEvT1_,comdat
	.protected	_ZN7rocprim17ROCPRIM_400000_NS6detail17trampoline_kernelINS0_14default_configENS1_35adjacent_difference_config_selectorILb1EsEEZNS1_24adjacent_difference_implIS3_Lb1ELb0EPsS7_N6thrust23THRUST_200600_302600_NS5minusIsEEEE10hipError_tPvRmT2_T3_mT4_P12ihipStream_tbEUlT_E_NS1_11comp_targetILNS1_3genE9ELNS1_11target_archE1100ELNS1_3gpuE3ELNS1_3repE0EEENS1_30default_config_static_selectorELNS0_4arch9wavefront6targetE1EEEvT1_ ; -- Begin function _ZN7rocprim17ROCPRIM_400000_NS6detail17trampoline_kernelINS0_14default_configENS1_35adjacent_difference_config_selectorILb1EsEEZNS1_24adjacent_difference_implIS3_Lb1ELb0EPsS7_N6thrust23THRUST_200600_302600_NS5minusIsEEEE10hipError_tPvRmT2_T3_mT4_P12ihipStream_tbEUlT_E_NS1_11comp_targetILNS1_3genE9ELNS1_11target_archE1100ELNS1_3gpuE3ELNS1_3repE0EEENS1_30default_config_static_selectorELNS0_4arch9wavefront6targetE1EEEvT1_
	.globl	_ZN7rocprim17ROCPRIM_400000_NS6detail17trampoline_kernelINS0_14default_configENS1_35adjacent_difference_config_selectorILb1EsEEZNS1_24adjacent_difference_implIS3_Lb1ELb0EPsS7_N6thrust23THRUST_200600_302600_NS5minusIsEEEE10hipError_tPvRmT2_T3_mT4_P12ihipStream_tbEUlT_E_NS1_11comp_targetILNS1_3genE9ELNS1_11target_archE1100ELNS1_3gpuE3ELNS1_3repE0EEENS1_30default_config_static_selectorELNS0_4arch9wavefront6targetE1EEEvT1_
	.p2align	8
	.type	_ZN7rocprim17ROCPRIM_400000_NS6detail17trampoline_kernelINS0_14default_configENS1_35adjacent_difference_config_selectorILb1EsEEZNS1_24adjacent_difference_implIS3_Lb1ELb0EPsS7_N6thrust23THRUST_200600_302600_NS5minusIsEEEE10hipError_tPvRmT2_T3_mT4_P12ihipStream_tbEUlT_E_NS1_11comp_targetILNS1_3genE9ELNS1_11target_archE1100ELNS1_3gpuE3ELNS1_3repE0EEENS1_30default_config_static_selectorELNS0_4arch9wavefront6targetE1EEEvT1_,@function
_ZN7rocprim17ROCPRIM_400000_NS6detail17trampoline_kernelINS0_14default_configENS1_35adjacent_difference_config_selectorILb1EsEEZNS1_24adjacent_difference_implIS3_Lb1ELb0EPsS7_N6thrust23THRUST_200600_302600_NS5minusIsEEEE10hipError_tPvRmT2_T3_mT4_P12ihipStream_tbEUlT_E_NS1_11comp_targetILNS1_3genE9ELNS1_11target_archE1100ELNS1_3gpuE3ELNS1_3repE0EEENS1_30default_config_static_selectorELNS0_4arch9wavefront6targetE1EEEvT1_: ; @_ZN7rocprim17ROCPRIM_400000_NS6detail17trampoline_kernelINS0_14default_configENS1_35adjacent_difference_config_selectorILb1EsEEZNS1_24adjacent_difference_implIS3_Lb1ELb0EPsS7_N6thrust23THRUST_200600_302600_NS5minusIsEEEE10hipError_tPvRmT2_T3_mT4_P12ihipStream_tbEUlT_E_NS1_11comp_targetILNS1_3genE9ELNS1_11target_archE1100ELNS1_3gpuE3ELNS1_3repE0EEENS1_30default_config_static_selectorELNS0_4arch9wavefront6targetE1EEEvT1_
; %bb.0:
	.section	.rodata,"a",@progbits
	.p2align	6, 0x0
	.amdhsa_kernel _ZN7rocprim17ROCPRIM_400000_NS6detail17trampoline_kernelINS0_14default_configENS1_35adjacent_difference_config_selectorILb1EsEEZNS1_24adjacent_difference_implIS3_Lb1ELb0EPsS7_N6thrust23THRUST_200600_302600_NS5minusIsEEEE10hipError_tPvRmT2_T3_mT4_P12ihipStream_tbEUlT_E_NS1_11comp_targetILNS1_3genE9ELNS1_11target_archE1100ELNS1_3gpuE3ELNS1_3repE0EEENS1_30default_config_static_selectorELNS0_4arch9wavefront6targetE1EEEvT1_
		.amdhsa_group_segment_fixed_size 0
		.amdhsa_private_segment_fixed_size 0
		.amdhsa_kernarg_size 56
		.amdhsa_user_sgpr_count 6
		.amdhsa_user_sgpr_private_segment_buffer 1
		.amdhsa_user_sgpr_dispatch_ptr 0
		.amdhsa_user_sgpr_queue_ptr 0
		.amdhsa_user_sgpr_kernarg_segment_ptr 1
		.amdhsa_user_sgpr_dispatch_id 0
		.amdhsa_user_sgpr_flat_scratch_init 0
		.amdhsa_user_sgpr_private_segment_size 0
		.amdhsa_uses_dynamic_stack 0
		.amdhsa_system_sgpr_private_segment_wavefront_offset 0
		.amdhsa_system_sgpr_workgroup_id_x 1
		.amdhsa_system_sgpr_workgroup_id_y 0
		.amdhsa_system_sgpr_workgroup_id_z 0
		.amdhsa_system_sgpr_workgroup_info 0
		.amdhsa_system_vgpr_workitem_id 0
		.amdhsa_next_free_vgpr 1
		.amdhsa_next_free_sgpr 0
		.amdhsa_reserve_vcc 0
		.amdhsa_reserve_flat_scratch 0
		.amdhsa_float_round_mode_32 0
		.amdhsa_float_round_mode_16_64 0
		.amdhsa_float_denorm_mode_32 3
		.amdhsa_float_denorm_mode_16_64 3
		.amdhsa_dx10_clamp 1
		.amdhsa_ieee_mode 1
		.amdhsa_fp16_overflow 0
		.amdhsa_exception_fp_ieee_invalid_op 0
		.amdhsa_exception_fp_denorm_src 0
		.amdhsa_exception_fp_ieee_div_zero 0
		.amdhsa_exception_fp_ieee_overflow 0
		.amdhsa_exception_fp_ieee_underflow 0
		.amdhsa_exception_fp_ieee_inexact 0
		.amdhsa_exception_int_div_zero 0
	.end_amdhsa_kernel
	.section	.text._ZN7rocprim17ROCPRIM_400000_NS6detail17trampoline_kernelINS0_14default_configENS1_35adjacent_difference_config_selectorILb1EsEEZNS1_24adjacent_difference_implIS3_Lb1ELb0EPsS7_N6thrust23THRUST_200600_302600_NS5minusIsEEEE10hipError_tPvRmT2_T3_mT4_P12ihipStream_tbEUlT_E_NS1_11comp_targetILNS1_3genE9ELNS1_11target_archE1100ELNS1_3gpuE3ELNS1_3repE0EEENS1_30default_config_static_selectorELNS0_4arch9wavefront6targetE1EEEvT1_,"axG",@progbits,_ZN7rocprim17ROCPRIM_400000_NS6detail17trampoline_kernelINS0_14default_configENS1_35adjacent_difference_config_selectorILb1EsEEZNS1_24adjacent_difference_implIS3_Lb1ELb0EPsS7_N6thrust23THRUST_200600_302600_NS5minusIsEEEE10hipError_tPvRmT2_T3_mT4_P12ihipStream_tbEUlT_E_NS1_11comp_targetILNS1_3genE9ELNS1_11target_archE1100ELNS1_3gpuE3ELNS1_3repE0EEENS1_30default_config_static_selectorELNS0_4arch9wavefront6targetE1EEEvT1_,comdat
.Lfunc_end381:
	.size	_ZN7rocprim17ROCPRIM_400000_NS6detail17trampoline_kernelINS0_14default_configENS1_35adjacent_difference_config_selectorILb1EsEEZNS1_24adjacent_difference_implIS3_Lb1ELb0EPsS7_N6thrust23THRUST_200600_302600_NS5minusIsEEEE10hipError_tPvRmT2_T3_mT4_P12ihipStream_tbEUlT_E_NS1_11comp_targetILNS1_3genE9ELNS1_11target_archE1100ELNS1_3gpuE3ELNS1_3repE0EEENS1_30default_config_static_selectorELNS0_4arch9wavefront6targetE1EEEvT1_, .Lfunc_end381-_ZN7rocprim17ROCPRIM_400000_NS6detail17trampoline_kernelINS0_14default_configENS1_35adjacent_difference_config_selectorILb1EsEEZNS1_24adjacent_difference_implIS3_Lb1ELb0EPsS7_N6thrust23THRUST_200600_302600_NS5minusIsEEEE10hipError_tPvRmT2_T3_mT4_P12ihipStream_tbEUlT_E_NS1_11comp_targetILNS1_3genE9ELNS1_11target_archE1100ELNS1_3gpuE3ELNS1_3repE0EEENS1_30default_config_static_selectorELNS0_4arch9wavefront6targetE1EEEvT1_
                                        ; -- End function
	.set _ZN7rocprim17ROCPRIM_400000_NS6detail17trampoline_kernelINS0_14default_configENS1_35adjacent_difference_config_selectorILb1EsEEZNS1_24adjacent_difference_implIS3_Lb1ELb0EPsS7_N6thrust23THRUST_200600_302600_NS5minusIsEEEE10hipError_tPvRmT2_T3_mT4_P12ihipStream_tbEUlT_E_NS1_11comp_targetILNS1_3genE9ELNS1_11target_archE1100ELNS1_3gpuE3ELNS1_3repE0EEENS1_30default_config_static_selectorELNS0_4arch9wavefront6targetE1EEEvT1_.num_vgpr, 0
	.set _ZN7rocprim17ROCPRIM_400000_NS6detail17trampoline_kernelINS0_14default_configENS1_35adjacent_difference_config_selectorILb1EsEEZNS1_24adjacent_difference_implIS3_Lb1ELb0EPsS7_N6thrust23THRUST_200600_302600_NS5minusIsEEEE10hipError_tPvRmT2_T3_mT4_P12ihipStream_tbEUlT_E_NS1_11comp_targetILNS1_3genE9ELNS1_11target_archE1100ELNS1_3gpuE3ELNS1_3repE0EEENS1_30default_config_static_selectorELNS0_4arch9wavefront6targetE1EEEvT1_.num_agpr, 0
	.set _ZN7rocprim17ROCPRIM_400000_NS6detail17trampoline_kernelINS0_14default_configENS1_35adjacent_difference_config_selectorILb1EsEEZNS1_24adjacent_difference_implIS3_Lb1ELb0EPsS7_N6thrust23THRUST_200600_302600_NS5minusIsEEEE10hipError_tPvRmT2_T3_mT4_P12ihipStream_tbEUlT_E_NS1_11comp_targetILNS1_3genE9ELNS1_11target_archE1100ELNS1_3gpuE3ELNS1_3repE0EEENS1_30default_config_static_selectorELNS0_4arch9wavefront6targetE1EEEvT1_.numbered_sgpr, 0
	.set _ZN7rocprim17ROCPRIM_400000_NS6detail17trampoline_kernelINS0_14default_configENS1_35adjacent_difference_config_selectorILb1EsEEZNS1_24adjacent_difference_implIS3_Lb1ELb0EPsS7_N6thrust23THRUST_200600_302600_NS5minusIsEEEE10hipError_tPvRmT2_T3_mT4_P12ihipStream_tbEUlT_E_NS1_11comp_targetILNS1_3genE9ELNS1_11target_archE1100ELNS1_3gpuE3ELNS1_3repE0EEENS1_30default_config_static_selectorELNS0_4arch9wavefront6targetE1EEEvT1_.num_named_barrier, 0
	.set _ZN7rocprim17ROCPRIM_400000_NS6detail17trampoline_kernelINS0_14default_configENS1_35adjacent_difference_config_selectorILb1EsEEZNS1_24adjacent_difference_implIS3_Lb1ELb0EPsS7_N6thrust23THRUST_200600_302600_NS5minusIsEEEE10hipError_tPvRmT2_T3_mT4_P12ihipStream_tbEUlT_E_NS1_11comp_targetILNS1_3genE9ELNS1_11target_archE1100ELNS1_3gpuE3ELNS1_3repE0EEENS1_30default_config_static_selectorELNS0_4arch9wavefront6targetE1EEEvT1_.private_seg_size, 0
	.set _ZN7rocprim17ROCPRIM_400000_NS6detail17trampoline_kernelINS0_14default_configENS1_35adjacent_difference_config_selectorILb1EsEEZNS1_24adjacent_difference_implIS3_Lb1ELb0EPsS7_N6thrust23THRUST_200600_302600_NS5minusIsEEEE10hipError_tPvRmT2_T3_mT4_P12ihipStream_tbEUlT_E_NS1_11comp_targetILNS1_3genE9ELNS1_11target_archE1100ELNS1_3gpuE3ELNS1_3repE0EEENS1_30default_config_static_selectorELNS0_4arch9wavefront6targetE1EEEvT1_.uses_vcc, 0
	.set _ZN7rocprim17ROCPRIM_400000_NS6detail17trampoline_kernelINS0_14default_configENS1_35adjacent_difference_config_selectorILb1EsEEZNS1_24adjacent_difference_implIS3_Lb1ELb0EPsS7_N6thrust23THRUST_200600_302600_NS5minusIsEEEE10hipError_tPvRmT2_T3_mT4_P12ihipStream_tbEUlT_E_NS1_11comp_targetILNS1_3genE9ELNS1_11target_archE1100ELNS1_3gpuE3ELNS1_3repE0EEENS1_30default_config_static_selectorELNS0_4arch9wavefront6targetE1EEEvT1_.uses_flat_scratch, 0
	.set _ZN7rocprim17ROCPRIM_400000_NS6detail17trampoline_kernelINS0_14default_configENS1_35adjacent_difference_config_selectorILb1EsEEZNS1_24adjacent_difference_implIS3_Lb1ELb0EPsS7_N6thrust23THRUST_200600_302600_NS5minusIsEEEE10hipError_tPvRmT2_T3_mT4_P12ihipStream_tbEUlT_E_NS1_11comp_targetILNS1_3genE9ELNS1_11target_archE1100ELNS1_3gpuE3ELNS1_3repE0EEENS1_30default_config_static_selectorELNS0_4arch9wavefront6targetE1EEEvT1_.has_dyn_sized_stack, 0
	.set _ZN7rocprim17ROCPRIM_400000_NS6detail17trampoline_kernelINS0_14default_configENS1_35adjacent_difference_config_selectorILb1EsEEZNS1_24adjacent_difference_implIS3_Lb1ELb0EPsS7_N6thrust23THRUST_200600_302600_NS5minusIsEEEE10hipError_tPvRmT2_T3_mT4_P12ihipStream_tbEUlT_E_NS1_11comp_targetILNS1_3genE9ELNS1_11target_archE1100ELNS1_3gpuE3ELNS1_3repE0EEENS1_30default_config_static_selectorELNS0_4arch9wavefront6targetE1EEEvT1_.has_recursion, 0
	.set _ZN7rocprim17ROCPRIM_400000_NS6detail17trampoline_kernelINS0_14default_configENS1_35adjacent_difference_config_selectorILb1EsEEZNS1_24adjacent_difference_implIS3_Lb1ELb0EPsS7_N6thrust23THRUST_200600_302600_NS5minusIsEEEE10hipError_tPvRmT2_T3_mT4_P12ihipStream_tbEUlT_E_NS1_11comp_targetILNS1_3genE9ELNS1_11target_archE1100ELNS1_3gpuE3ELNS1_3repE0EEENS1_30default_config_static_selectorELNS0_4arch9wavefront6targetE1EEEvT1_.has_indirect_call, 0
	.section	.AMDGPU.csdata,"",@progbits
; Kernel info:
; codeLenInByte = 0
; TotalNumSgprs: 4
; NumVgprs: 0
; ScratchSize: 0
; MemoryBound: 0
; FloatMode: 240
; IeeeMode: 1
; LDSByteSize: 0 bytes/workgroup (compile time only)
; SGPRBlocks: 0
; VGPRBlocks: 0
; NumSGPRsForWavesPerEU: 4
; NumVGPRsForWavesPerEU: 1
; Occupancy: 10
; WaveLimiterHint : 0
; COMPUTE_PGM_RSRC2:SCRATCH_EN: 0
; COMPUTE_PGM_RSRC2:USER_SGPR: 6
; COMPUTE_PGM_RSRC2:TRAP_HANDLER: 0
; COMPUTE_PGM_RSRC2:TGID_X_EN: 1
; COMPUTE_PGM_RSRC2:TGID_Y_EN: 0
; COMPUTE_PGM_RSRC2:TGID_Z_EN: 0
; COMPUTE_PGM_RSRC2:TIDIG_COMP_CNT: 0
	.section	.text._ZN7rocprim17ROCPRIM_400000_NS6detail17trampoline_kernelINS0_14default_configENS1_35adjacent_difference_config_selectorILb1EsEEZNS1_24adjacent_difference_implIS3_Lb1ELb0EPsS7_N6thrust23THRUST_200600_302600_NS5minusIsEEEE10hipError_tPvRmT2_T3_mT4_P12ihipStream_tbEUlT_E_NS1_11comp_targetILNS1_3genE8ELNS1_11target_archE1030ELNS1_3gpuE2ELNS1_3repE0EEENS1_30default_config_static_selectorELNS0_4arch9wavefront6targetE1EEEvT1_,"axG",@progbits,_ZN7rocprim17ROCPRIM_400000_NS6detail17trampoline_kernelINS0_14default_configENS1_35adjacent_difference_config_selectorILb1EsEEZNS1_24adjacent_difference_implIS3_Lb1ELb0EPsS7_N6thrust23THRUST_200600_302600_NS5minusIsEEEE10hipError_tPvRmT2_T3_mT4_P12ihipStream_tbEUlT_E_NS1_11comp_targetILNS1_3genE8ELNS1_11target_archE1030ELNS1_3gpuE2ELNS1_3repE0EEENS1_30default_config_static_selectorELNS0_4arch9wavefront6targetE1EEEvT1_,comdat
	.protected	_ZN7rocprim17ROCPRIM_400000_NS6detail17trampoline_kernelINS0_14default_configENS1_35adjacent_difference_config_selectorILb1EsEEZNS1_24adjacent_difference_implIS3_Lb1ELb0EPsS7_N6thrust23THRUST_200600_302600_NS5minusIsEEEE10hipError_tPvRmT2_T3_mT4_P12ihipStream_tbEUlT_E_NS1_11comp_targetILNS1_3genE8ELNS1_11target_archE1030ELNS1_3gpuE2ELNS1_3repE0EEENS1_30default_config_static_selectorELNS0_4arch9wavefront6targetE1EEEvT1_ ; -- Begin function _ZN7rocprim17ROCPRIM_400000_NS6detail17trampoline_kernelINS0_14default_configENS1_35adjacent_difference_config_selectorILb1EsEEZNS1_24adjacent_difference_implIS3_Lb1ELb0EPsS7_N6thrust23THRUST_200600_302600_NS5minusIsEEEE10hipError_tPvRmT2_T3_mT4_P12ihipStream_tbEUlT_E_NS1_11comp_targetILNS1_3genE8ELNS1_11target_archE1030ELNS1_3gpuE2ELNS1_3repE0EEENS1_30default_config_static_selectorELNS0_4arch9wavefront6targetE1EEEvT1_
	.globl	_ZN7rocprim17ROCPRIM_400000_NS6detail17trampoline_kernelINS0_14default_configENS1_35adjacent_difference_config_selectorILb1EsEEZNS1_24adjacent_difference_implIS3_Lb1ELb0EPsS7_N6thrust23THRUST_200600_302600_NS5minusIsEEEE10hipError_tPvRmT2_T3_mT4_P12ihipStream_tbEUlT_E_NS1_11comp_targetILNS1_3genE8ELNS1_11target_archE1030ELNS1_3gpuE2ELNS1_3repE0EEENS1_30default_config_static_selectorELNS0_4arch9wavefront6targetE1EEEvT1_
	.p2align	8
	.type	_ZN7rocprim17ROCPRIM_400000_NS6detail17trampoline_kernelINS0_14default_configENS1_35adjacent_difference_config_selectorILb1EsEEZNS1_24adjacent_difference_implIS3_Lb1ELb0EPsS7_N6thrust23THRUST_200600_302600_NS5minusIsEEEE10hipError_tPvRmT2_T3_mT4_P12ihipStream_tbEUlT_E_NS1_11comp_targetILNS1_3genE8ELNS1_11target_archE1030ELNS1_3gpuE2ELNS1_3repE0EEENS1_30default_config_static_selectorELNS0_4arch9wavefront6targetE1EEEvT1_,@function
_ZN7rocprim17ROCPRIM_400000_NS6detail17trampoline_kernelINS0_14default_configENS1_35adjacent_difference_config_selectorILb1EsEEZNS1_24adjacent_difference_implIS3_Lb1ELb0EPsS7_N6thrust23THRUST_200600_302600_NS5minusIsEEEE10hipError_tPvRmT2_T3_mT4_P12ihipStream_tbEUlT_E_NS1_11comp_targetILNS1_3genE8ELNS1_11target_archE1030ELNS1_3gpuE2ELNS1_3repE0EEENS1_30default_config_static_selectorELNS0_4arch9wavefront6targetE1EEEvT1_: ; @_ZN7rocprim17ROCPRIM_400000_NS6detail17trampoline_kernelINS0_14default_configENS1_35adjacent_difference_config_selectorILb1EsEEZNS1_24adjacent_difference_implIS3_Lb1ELb0EPsS7_N6thrust23THRUST_200600_302600_NS5minusIsEEEE10hipError_tPvRmT2_T3_mT4_P12ihipStream_tbEUlT_E_NS1_11comp_targetILNS1_3genE8ELNS1_11target_archE1030ELNS1_3gpuE2ELNS1_3repE0EEENS1_30default_config_static_selectorELNS0_4arch9wavefront6targetE1EEEvT1_
; %bb.0:
	.section	.rodata,"a",@progbits
	.p2align	6, 0x0
	.amdhsa_kernel _ZN7rocprim17ROCPRIM_400000_NS6detail17trampoline_kernelINS0_14default_configENS1_35adjacent_difference_config_selectorILb1EsEEZNS1_24adjacent_difference_implIS3_Lb1ELb0EPsS7_N6thrust23THRUST_200600_302600_NS5minusIsEEEE10hipError_tPvRmT2_T3_mT4_P12ihipStream_tbEUlT_E_NS1_11comp_targetILNS1_3genE8ELNS1_11target_archE1030ELNS1_3gpuE2ELNS1_3repE0EEENS1_30default_config_static_selectorELNS0_4arch9wavefront6targetE1EEEvT1_
		.amdhsa_group_segment_fixed_size 0
		.amdhsa_private_segment_fixed_size 0
		.amdhsa_kernarg_size 56
		.amdhsa_user_sgpr_count 6
		.amdhsa_user_sgpr_private_segment_buffer 1
		.amdhsa_user_sgpr_dispatch_ptr 0
		.amdhsa_user_sgpr_queue_ptr 0
		.amdhsa_user_sgpr_kernarg_segment_ptr 1
		.amdhsa_user_sgpr_dispatch_id 0
		.amdhsa_user_sgpr_flat_scratch_init 0
		.amdhsa_user_sgpr_private_segment_size 0
		.amdhsa_uses_dynamic_stack 0
		.amdhsa_system_sgpr_private_segment_wavefront_offset 0
		.amdhsa_system_sgpr_workgroup_id_x 1
		.amdhsa_system_sgpr_workgroup_id_y 0
		.amdhsa_system_sgpr_workgroup_id_z 0
		.amdhsa_system_sgpr_workgroup_info 0
		.amdhsa_system_vgpr_workitem_id 0
		.amdhsa_next_free_vgpr 1
		.amdhsa_next_free_sgpr 0
		.amdhsa_reserve_vcc 0
		.amdhsa_reserve_flat_scratch 0
		.amdhsa_float_round_mode_32 0
		.amdhsa_float_round_mode_16_64 0
		.amdhsa_float_denorm_mode_32 3
		.amdhsa_float_denorm_mode_16_64 3
		.amdhsa_dx10_clamp 1
		.amdhsa_ieee_mode 1
		.amdhsa_fp16_overflow 0
		.amdhsa_exception_fp_ieee_invalid_op 0
		.amdhsa_exception_fp_denorm_src 0
		.amdhsa_exception_fp_ieee_div_zero 0
		.amdhsa_exception_fp_ieee_overflow 0
		.amdhsa_exception_fp_ieee_underflow 0
		.amdhsa_exception_fp_ieee_inexact 0
		.amdhsa_exception_int_div_zero 0
	.end_amdhsa_kernel
	.section	.text._ZN7rocprim17ROCPRIM_400000_NS6detail17trampoline_kernelINS0_14default_configENS1_35adjacent_difference_config_selectorILb1EsEEZNS1_24adjacent_difference_implIS3_Lb1ELb0EPsS7_N6thrust23THRUST_200600_302600_NS5minusIsEEEE10hipError_tPvRmT2_T3_mT4_P12ihipStream_tbEUlT_E_NS1_11comp_targetILNS1_3genE8ELNS1_11target_archE1030ELNS1_3gpuE2ELNS1_3repE0EEENS1_30default_config_static_selectorELNS0_4arch9wavefront6targetE1EEEvT1_,"axG",@progbits,_ZN7rocprim17ROCPRIM_400000_NS6detail17trampoline_kernelINS0_14default_configENS1_35adjacent_difference_config_selectorILb1EsEEZNS1_24adjacent_difference_implIS3_Lb1ELb0EPsS7_N6thrust23THRUST_200600_302600_NS5minusIsEEEE10hipError_tPvRmT2_T3_mT4_P12ihipStream_tbEUlT_E_NS1_11comp_targetILNS1_3genE8ELNS1_11target_archE1030ELNS1_3gpuE2ELNS1_3repE0EEENS1_30default_config_static_selectorELNS0_4arch9wavefront6targetE1EEEvT1_,comdat
.Lfunc_end382:
	.size	_ZN7rocprim17ROCPRIM_400000_NS6detail17trampoline_kernelINS0_14default_configENS1_35adjacent_difference_config_selectorILb1EsEEZNS1_24adjacent_difference_implIS3_Lb1ELb0EPsS7_N6thrust23THRUST_200600_302600_NS5minusIsEEEE10hipError_tPvRmT2_T3_mT4_P12ihipStream_tbEUlT_E_NS1_11comp_targetILNS1_3genE8ELNS1_11target_archE1030ELNS1_3gpuE2ELNS1_3repE0EEENS1_30default_config_static_selectorELNS0_4arch9wavefront6targetE1EEEvT1_, .Lfunc_end382-_ZN7rocprim17ROCPRIM_400000_NS6detail17trampoline_kernelINS0_14default_configENS1_35adjacent_difference_config_selectorILb1EsEEZNS1_24adjacent_difference_implIS3_Lb1ELb0EPsS7_N6thrust23THRUST_200600_302600_NS5minusIsEEEE10hipError_tPvRmT2_T3_mT4_P12ihipStream_tbEUlT_E_NS1_11comp_targetILNS1_3genE8ELNS1_11target_archE1030ELNS1_3gpuE2ELNS1_3repE0EEENS1_30default_config_static_selectorELNS0_4arch9wavefront6targetE1EEEvT1_
                                        ; -- End function
	.set _ZN7rocprim17ROCPRIM_400000_NS6detail17trampoline_kernelINS0_14default_configENS1_35adjacent_difference_config_selectorILb1EsEEZNS1_24adjacent_difference_implIS3_Lb1ELb0EPsS7_N6thrust23THRUST_200600_302600_NS5minusIsEEEE10hipError_tPvRmT2_T3_mT4_P12ihipStream_tbEUlT_E_NS1_11comp_targetILNS1_3genE8ELNS1_11target_archE1030ELNS1_3gpuE2ELNS1_3repE0EEENS1_30default_config_static_selectorELNS0_4arch9wavefront6targetE1EEEvT1_.num_vgpr, 0
	.set _ZN7rocprim17ROCPRIM_400000_NS6detail17trampoline_kernelINS0_14default_configENS1_35adjacent_difference_config_selectorILb1EsEEZNS1_24adjacent_difference_implIS3_Lb1ELb0EPsS7_N6thrust23THRUST_200600_302600_NS5minusIsEEEE10hipError_tPvRmT2_T3_mT4_P12ihipStream_tbEUlT_E_NS1_11comp_targetILNS1_3genE8ELNS1_11target_archE1030ELNS1_3gpuE2ELNS1_3repE0EEENS1_30default_config_static_selectorELNS0_4arch9wavefront6targetE1EEEvT1_.num_agpr, 0
	.set _ZN7rocprim17ROCPRIM_400000_NS6detail17trampoline_kernelINS0_14default_configENS1_35adjacent_difference_config_selectorILb1EsEEZNS1_24adjacent_difference_implIS3_Lb1ELb0EPsS7_N6thrust23THRUST_200600_302600_NS5minusIsEEEE10hipError_tPvRmT2_T3_mT4_P12ihipStream_tbEUlT_E_NS1_11comp_targetILNS1_3genE8ELNS1_11target_archE1030ELNS1_3gpuE2ELNS1_3repE0EEENS1_30default_config_static_selectorELNS0_4arch9wavefront6targetE1EEEvT1_.numbered_sgpr, 0
	.set _ZN7rocprim17ROCPRIM_400000_NS6detail17trampoline_kernelINS0_14default_configENS1_35adjacent_difference_config_selectorILb1EsEEZNS1_24adjacent_difference_implIS3_Lb1ELb0EPsS7_N6thrust23THRUST_200600_302600_NS5minusIsEEEE10hipError_tPvRmT2_T3_mT4_P12ihipStream_tbEUlT_E_NS1_11comp_targetILNS1_3genE8ELNS1_11target_archE1030ELNS1_3gpuE2ELNS1_3repE0EEENS1_30default_config_static_selectorELNS0_4arch9wavefront6targetE1EEEvT1_.num_named_barrier, 0
	.set _ZN7rocprim17ROCPRIM_400000_NS6detail17trampoline_kernelINS0_14default_configENS1_35adjacent_difference_config_selectorILb1EsEEZNS1_24adjacent_difference_implIS3_Lb1ELb0EPsS7_N6thrust23THRUST_200600_302600_NS5minusIsEEEE10hipError_tPvRmT2_T3_mT4_P12ihipStream_tbEUlT_E_NS1_11comp_targetILNS1_3genE8ELNS1_11target_archE1030ELNS1_3gpuE2ELNS1_3repE0EEENS1_30default_config_static_selectorELNS0_4arch9wavefront6targetE1EEEvT1_.private_seg_size, 0
	.set _ZN7rocprim17ROCPRIM_400000_NS6detail17trampoline_kernelINS0_14default_configENS1_35adjacent_difference_config_selectorILb1EsEEZNS1_24adjacent_difference_implIS3_Lb1ELb0EPsS7_N6thrust23THRUST_200600_302600_NS5minusIsEEEE10hipError_tPvRmT2_T3_mT4_P12ihipStream_tbEUlT_E_NS1_11comp_targetILNS1_3genE8ELNS1_11target_archE1030ELNS1_3gpuE2ELNS1_3repE0EEENS1_30default_config_static_selectorELNS0_4arch9wavefront6targetE1EEEvT1_.uses_vcc, 0
	.set _ZN7rocprim17ROCPRIM_400000_NS6detail17trampoline_kernelINS0_14default_configENS1_35adjacent_difference_config_selectorILb1EsEEZNS1_24adjacent_difference_implIS3_Lb1ELb0EPsS7_N6thrust23THRUST_200600_302600_NS5minusIsEEEE10hipError_tPvRmT2_T3_mT4_P12ihipStream_tbEUlT_E_NS1_11comp_targetILNS1_3genE8ELNS1_11target_archE1030ELNS1_3gpuE2ELNS1_3repE0EEENS1_30default_config_static_selectorELNS0_4arch9wavefront6targetE1EEEvT1_.uses_flat_scratch, 0
	.set _ZN7rocprim17ROCPRIM_400000_NS6detail17trampoline_kernelINS0_14default_configENS1_35adjacent_difference_config_selectorILb1EsEEZNS1_24adjacent_difference_implIS3_Lb1ELb0EPsS7_N6thrust23THRUST_200600_302600_NS5minusIsEEEE10hipError_tPvRmT2_T3_mT4_P12ihipStream_tbEUlT_E_NS1_11comp_targetILNS1_3genE8ELNS1_11target_archE1030ELNS1_3gpuE2ELNS1_3repE0EEENS1_30default_config_static_selectorELNS0_4arch9wavefront6targetE1EEEvT1_.has_dyn_sized_stack, 0
	.set _ZN7rocprim17ROCPRIM_400000_NS6detail17trampoline_kernelINS0_14default_configENS1_35adjacent_difference_config_selectorILb1EsEEZNS1_24adjacent_difference_implIS3_Lb1ELb0EPsS7_N6thrust23THRUST_200600_302600_NS5minusIsEEEE10hipError_tPvRmT2_T3_mT4_P12ihipStream_tbEUlT_E_NS1_11comp_targetILNS1_3genE8ELNS1_11target_archE1030ELNS1_3gpuE2ELNS1_3repE0EEENS1_30default_config_static_selectorELNS0_4arch9wavefront6targetE1EEEvT1_.has_recursion, 0
	.set _ZN7rocprim17ROCPRIM_400000_NS6detail17trampoline_kernelINS0_14default_configENS1_35adjacent_difference_config_selectorILb1EsEEZNS1_24adjacent_difference_implIS3_Lb1ELb0EPsS7_N6thrust23THRUST_200600_302600_NS5minusIsEEEE10hipError_tPvRmT2_T3_mT4_P12ihipStream_tbEUlT_E_NS1_11comp_targetILNS1_3genE8ELNS1_11target_archE1030ELNS1_3gpuE2ELNS1_3repE0EEENS1_30default_config_static_selectorELNS0_4arch9wavefront6targetE1EEEvT1_.has_indirect_call, 0
	.section	.AMDGPU.csdata,"",@progbits
; Kernel info:
; codeLenInByte = 0
; TotalNumSgprs: 4
; NumVgprs: 0
; ScratchSize: 0
; MemoryBound: 0
; FloatMode: 240
; IeeeMode: 1
; LDSByteSize: 0 bytes/workgroup (compile time only)
; SGPRBlocks: 0
; VGPRBlocks: 0
; NumSGPRsForWavesPerEU: 4
; NumVGPRsForWavesPerEU: 1
; Occupancy: 10
; WaveLimiterHint : 0
; COMPUTE_PGM_RSRC2:SCRATCH_EN: 0
; COMPUTE_PGM_RSRC2:USER_SGPR: 6
; COMPUTE_PGM_RSRC2:TRAP_HANDLER: 0
; COMPUTE_PGM_RSRC2:TGID_X_EN: 1
; COMPUTE_PGM_RSRC2:TGID_Y_EN: 0
; COMPUTE_PGM_RSRC2:TGID_Z_EN: 0
; COMPUTE_PGM_RSRC2:TIDIG_COMP_CNT: 0
	.section	.text._ZN7rocprim17ROCPRIM_400000_NS6detail17trampoline_kernelINS0_14default_configENS1_35adjacent_difference_config_selectorILb0EsEEZNS1_24adjacent_difference_implIS3_Lb0ELb0EPsS7_N6thrust23THRUST_200600_302600_NS4plusIsEEEE10hipError_tPvRmT2_T3_mT4_P12ihipStream_tbEUlT_E_NS1_11comp_targetILNS1_3genE0ELNS1_11target_archE4294967295ELNS1_3gpuE0ELNS1_3repE0EEENS1_30default_config_static_selectorELNS0_4arch9wavefront6targetE1EEEvT1_,"axG",@progbits,_ZN7rocprim17ROCPRIM_400000_NS6detail17trampoline_kernelINS0_14default_configENS1_35adjacent_difference_config_selectorILb0EsEEZNS1_24adjacent_difference_implIS3_Lb0ELb0EPsS7_N6thrust23THRUST_200600_302600_NS4plusIsEEEE10hipError_tPvRmT2_T3_mT4_P12ihipStream_tbEUlT_E_NS1_11comp_targetILNS1_3genE0ELNS1_11target_archE4294967295ELNS1_3gpuE0ELNS1_3repE0EEENS1_30default_config_static_selectorELNS0_4arch9wavefront6targetE1EEEvT1_,comdat
	.protected	_ZN7rocprim17ROCPRIM_400000_NS6detail17trampoline_kernelINS0_14default_configENS1_35adjacent_difference_config_selectorILb0EsEEZNS1_24adjacent_difference_implIS3_Lb0ELb0EPsS7_N6thrust23THRUST_200600_302600_NS4plusIsEEEE10hipError_tPvRmT2_T3_mT4_P12ihipStream_tbEUlT_E_NS1_11comp_targetILNS1_3genE0ELNS1_11target_archE4294967295ELNS1_3gpuE0ELNS1_3repE0EEENS1_30default_config_static_selectorELNS0_4arch9wavefront6targetE1EEEvT1_ ; -- Begin function _ZN7rocprim17ROCPRIM_400000_NS6detail17trampoline_kernelINS0_14default_configENS1_35adjacent_difference_config_selectorILb0EsEEZNS1_24adjacent_difference_implIS3_Lb0ELb0EPsS7_N6thrust23THRUST_200600_302600_NS4plusIsEEEE10hipError_tPvRmT2_T3_mT4_P12ihipStream_tbEUlT_E_NS1_11comp_targetILNS1_3genE0ELNS1_11target_archE4294967295ELNS1_3gpuE0ELNS1_3repE0EEENS1_30default_config_static_selectorELNS0_4arch9wavefront6targetE1EEEvT1_
	.globl	_ZN7rocprim17ROCPRIM_400000_NS6detail17trampoline_kernelINS0_14default_configENS1_35adjacent_difference_config_selectorILb0EsEEZNS1_24adjacent_difference_implIS3_Lb0ELb0EPsS7_N6thrust23THRUST_200600_302600_NS4plusIsEEEE10hipError_tPvRmT2_T3_mT4_P12ihipStream_tbEUlT_E_NS1_11comp_targetILNS1_3genE0ELNS1_11target_archE4294967295ELNS1_3gpuE0ELNS1_3repE0EEENS1_30default_config_static_selectorELNS0_4arch9wavefront6targetE1EEEvT1_
	.p2align	8
	.type	_ZN7rocprim17ROCPRIM_400000_NS6detail17trampoline_kernelINS0_14default_configENS1_35adjacent_difference_config_selectorILb0EsEEZNS1_24adjacent_difference_implIS3_Lb0ELb0EPsS7_N6thrust23THRUST_200600_302600_NS4plusIsEEEE10hipError_tPvRmT2_T3_mT4_P12ihipStream_tbEUlT_E_NS1_11comp_targetILNS1_3genE0ELNS1_11target_archE4294967295ELNS1_3gpuE0ELNS1_3repE0EEENS1_30default_config_static_selectorELNS0_4arch9wavefront6targetE1EEEvT1_,@function
_ZN7rocprim17ROCPRIM_400000_NS6detail17trampoline_kernelINS0_14default_configENS1_35adjacent_difference_config_selectorILb0EsEEZNS1_24adjacent_difference_implIS3_Lb0ELb0EPsS7_N6thrust23THRUST_200600_302600_NS4plusIsEEEE10hipError_tPvRmT2_T3_mT4_P12ihipStream_tbEUlT_E_NS1_11comp_targetILNS1_3genE0ELNS1_11target_archE4294967295ELNS1_3gpuE0ELNS1_3repE0EEENS1_30default_config_static_selectorELNS0_4arch9wavefront6targetE1EEEvT1_: ; @_ZN7rocprim17ROCPRIM_400000_NS6detail17trampoline_kernelINS0_14default_configENS1_35adjacent_difference_config_selectorILb0EsEEZNS1_24adjacent_difference_implIS3_Lb0ELb0EPsS7_N6thrust23THRUST_200600_302600_NS4plusIsEEEE10hipError_tPvRmT2_T3_mT4_P12ihipStream_tbEUlT_E_NS1_11comp_targetILNS1_3genE0ELNS1_11target_archE4294967295ELNS1_3gpuE0ELNS1_3repE0EEENS1_30default_config_static_selectorELNS0_4arch9wavefront6targetE1EEEvT1_
; %bb.0:
	.section	.rodata,"a",@progbits
	.p2align	6, 0x0
	.amdhsa_kernel _ZN7rocprim17ROCPRIM_400000_NS6detail17trampoline_kernelINS0_14default_configENS1_35adjacent_difference_config_selectorILb0EsEEZNS1_24adjacent_difference_implIS3_Lb0ELb0EPsS7_N6thrust23THRUST_200600_302600_NS4plusIsEEEE10hipError_tPvRmT2_T3_mT4_P12ihipStream_tbEUlT_E_NS1_11comp_targetILNS1_3genE0ELNS1_11target_archE4294967295ELNS1_3gpuE0ELNS1_3repE0EEENS1_30default_config_static_selectorELNS0_4arch9wavefront6targetE1EEEvT1_
		.amdhsa_group_segment_fixed_size 0
		.amdhsa_private_segment_fixed_size 0
		.amdhsa_kernarg_size 56
		.amdhsa_user_sgpr_count 6
		.amdhsa_user_sgpr_private_segment_buffer 1
		.amdhsa_user_sgpr_dispatch_ptr 0
		.amdhsa_user_sgpr_queue_ptr 0
		.amdhsa_user_sgpr_kernarg_segment_ptr 1
		.amdhsa_user_sgpr_dispatch_id 0
		.amdhsa_user_sgpr_flat_scratch_init 0
		.amdhsa_user_sgpr_private_segment_size 0
		.amdhsa_uses_dynamic_stack 0
		.amdhsa_system_sgpr_private_segment_wavefront_offset 0
		.amdhsa_system_sgpr_workgroup_id_x 1
		.amdhsa_system_sgpr_workgroup_id_y 0
		.amdhsa_system_sgpr_workgroup_id_z 0
		.amdhsa_system_sgpr_workgroup_info 0
		.amdhsa_system_vgpr_workitem_id 0
		.amdhsa_next_free_vgpr 1
		.amdhsa_next_free_sgpr 0
		.amdhsa_reserve_vcc 0
		.amdhsa_reserve_flat_scratch 0
		.amdhsa_float_round_mode_32 0
		.amdhsa_float_round_mode_16_64 0
		.amdhsa_float_denorm_mode_32 3
		.amdhsa_float_denorm_mode_16_64 3
		.amdhsa_dx10_clamp 1
		.amdhsa_ieee_mode 1
		.amdhsa_fp16_overflow 0
		.amdhsa_exception_fp_ieee_invalid_op 0
		.amdhsa_exception_fp_denorm_src 0
		.amdhsa_exception_fp_ieee_div_zero 0
		.amdhsa_exception_fp_ieee_overflow 0
		.amdhsa_exception_fp_ieee_underflow 0
		.amdhsa_exception_fp_ieee_inexact 0
		.amdhsa_exception_int_div_zero 0
	.end_amdhsa_kernel
	.section	.text._ZN7rocprim17ROCPRIM_400000_NS6detail17trampoline_kernelINS0_14default_configENS1_35adjacent_difference_config_selectorILb0EsEEZNS1_24adjacent_difference_implIS3_Lb0ELb0EPsS7_N6thrust23THRUST_200600_302600_NS4plusIsEEEE10hipError_tPvRmT2_T3_mT4_P12ihipStream_tbEUlT_E_NS1_11comp_targetILNS1_3genE0ELNS1_11target_archE4294967295ELNS1_3gpuE0ELNS1_3repE0EEENS1_30default_config_static_selectorELNS0_4arch9wavefront6targetE1EEEvT1_,"axG",@progbits,_ZN7rocprim17ROCPRIM_400000_NS6detail17trampoline_kernelINS0_14default_configENS1_35adjacent_difference_config_selectorILb0EsEEZNS1_24adjacent_difference_implIS3_Lb0ELb0EPsS7_N6thrust23THRUST_200600_302600_NS4plusIsEEEE10hipError_tPvRmT2_T3_mT4_P12ihipStream_tbEUlT_E_NS1_11comp_targetILNS1_3genE0ELNS1_11target_archE4294967295ELNS1_3gpuE0ELNS1_3repE0EEENS1_30default_config_static_selectorELNS0_4arch9wavefront6targetE1EEEvT1_,comdat
.Lfunc_end383:
	.size	_ZN7rocprim17ROCPRIM_400000_NS6detail17trampoline_kernelINS0_14default_configENS1_35adjacent_difference_config_selectorILb0EsEEZNS1_24adjacent_difference_implIS3_Lb0ELb0EPsS7_N6thrust23THRUST_200600_302600_NS4plusIsEEEE10hipError_tPvRmT2_T3_mT4_P12ihipStream_tbEUlT_E_NS1_11comp_targetILNS1_3genE0ELNS1_11target_archE4294967295ELNS1_3gpuE0ELNS1_3repE0EEENS1_30default_config_static_selectorELNS0_4arch9wavefront6targetE1EEEvT1_, .Lfunc_end383-_ZN7rocprim17ROCPRIM_400000_NS6detail17trampoline_kernelINS0_14default_configENS1_35adjacent_difference_config_selectorILb0EsEEZNS1_24adjacent_difference_implIS3_Lb0ELb0EPsS7_N6thrust23THRUST_200600_302600_NS4plusIsEEEE10hipError_tPvRmT2_T3_mT4_P12ihipStream_tbEUlT_E_NS1_11comp_targetILNS1_3genE0ELNS1_11target_archE4294967295ELNS1_3gpuE0ELNS1_3repE0EEENS1_30default_config_static_selectorELNS0_4arch9wavefront6targetE1EEEvT1_
                                        ; -- End function
	.set _ZN7rocprim17ROCPRIM_400000_NS6detail17trampoline_kernelINS0_14default_configENS1_35adjacent_difference_config_selectorILb0EsEEZNS1_24adjacent_difference_implIS3_Lb0ELb0EPsS7_N6thrust23THRUST_200600_302600_NS4plusIsEEEE10hipError_tPvRmT2_T3_mT4_P12ihipStream_tbEUlT_E_NS1_11comp_targetILNS1_3genE0ELNS1_11target_archE4294967295ELNS1_3gpuE0ELNS1_3repE0EEENS1_30default_config_static_selectorELNS0_4arch9wavefront6targetE1EEEvT1_.num_vgpr, 0
	.set _ZN7rocprim17ROCPRIM_400000_NS6detail17trampoline_kernelINS0_14default_configENS1_35adjacent_difference_config_selectorILb0EsEEZNS1_24adjacent_difference_implIS3_Lb0ELb0EPsS7_N6thrust23THRUST_200600_302600_NS4plusIsEEEE10hipError_tPvRmT2_T3_mT4_P12ihipStream_tbEUlT_E_NS1_11comp_targetILNS1_3genE0ELNS1_11target_archE4294967295ELNS1_3gpuE0ELNS1_3repE0EEENS1_30default_config_static_selectorELNS0_4arch9wavefront6targetE1EEEvT1_.num_agpr, 0
	.set _ZN7rocprim17ROCPRIM_400000_NS6detail17trampoline_kernelINS0_14default_configENS1_35adjacent_difference_config_selectorILb0EsEEZNS1_24adjacent_difference_implIS3_Lb0ELb0EPsS7_N6thrust23THRUST_200600_302600_NS4plusIsEEEE10hipError_tPvRmT2_T3_mT4_P12ihipStream_tbEUlT_E_NS1_11comp_targetILNS1_3genE0ELNS1_11target_archE4294967295ELNS1_3gpuE0ELNS1_3repE0EEENS1_30default_config_static_selectorELNS0_4arch9wavefront6targetE1EEEvT1_.numbered_sgpr, 0
	.set _ZN7rocprim17ROCPRIM_400000_NS6detail17trampoline_kernelINS0_14default_configENS1_35adjacent_difference_config_selectorILb0EsEEZNS1_24adjacent_difference_implIS3_Lb0ELb0EPsS7_N6thrust23THRUST_200600_302600_NS4plusIsEEEE10hipError_tPvRmT2_T3_mT4_P12ihipStream_tbEUlT_E_NS1_11comp_targetILNS1_3genE0ELNS1_11target_archE4294967295ELNS1_3gpuE0ELNS1_3repE0EEENS1_30default_config_static_selectorELNS0_4arch9wavefront6targetE1EEEvT1_.num_named_barrier, 0
	.set _ZN7rocprim17ROCPRIM_400000_NS6detail17trampoline_kernelINS0_14default_configENS1_35adjacent_difference_config_selectorILb0EsEEZNS1_24adjacent_difference_implIS3_Lb0ELb0EPsS7_N6thrust23THRUST_200600_302600_NS4plusIsEEEE10hipError_tPvRmT2_T3_mT4_P12ihipStream_tbEUlT_E_NS1_11comp_targetILNS1_3genE0ELNS1_11target_archE4294967295ELNS1_3gpuE0ELNS1_3repE0EEENS1_30default_config_static_selectorELNS0_4arch9wavefront6targetE1EEEvT1_.private_seg_size, 0
	.set _ZN7rocprim17ROCPRIM_400000_NS6detail17trampoline_kernelINS0_14default_configENS1_35adjacent_difference_config_selectorILb0EsEEZNS1_24adjacent_difference_implIS3_Lb0ELb0EPsS7_N6thrust23THRUST_200600_302600_NS4plusIsEEEE10hipError_tPvRmT2_T3_mT4_P12ihipStream_tbEUlT_E_NS1_11comp_targetILNS1_3genE0ELNS1_11target_archE4294967295ELNS1_3gpuE0ELNS1_3repE0EEENS1_30default_config_static_selectorELNS0_4arch9wavefront6targetE1EEEvT1_.uses_vcc, 0
	.set _ZN7rocprim17ROCPRIM_400000_NS6detail17trampoline_kernelINS0_14default_configENS1_35adjacent_difference_config_selectorILb0EsEEZNS1_24adjacent_difference_implIS3_Lb0ELb0EPsS7_N6thrust23THRUST_200600_302600_NS4plusIsEEEE10hipError_tPvRmT2_T3_mT4_P12ihipStream_tbEUlT_E_NS1_11comp_targetILNS1_3genE0ELNS1_11target_archE4294967295ELNS1_3gpuE0ELNS1_3repE0EEENS1_30default_config_static_selectorELNS0_4arch9wavefront6targetE1EEEvT1_.uses_flat_scratch, 0
	.set _ZN7rocprim17ROCPRIM_400000_NS6detail17trampoline_kernelINS0_14default_configENS1_35adjacent_difference_config_selectorILb0EsEEZNS1_24adjacent_difference_implIS3_Lb0ELb0EPsS7_N6thrust23THRUST_200600_302600_NS4plusIsEEEE10hipError_tPvRmT2_T3_mT4_P12ihipStream_tbEUlT_E_NS1_11comp_targetILNS1_3genE0ELNS1_11target_archE4294967295ELNS1_3gpuE0ELNS1_3repE0EEENS1_30default_config_static_selectorELNS0_4arch9wavefront6targetE1EEEvT1_.has_dyn_sized_stack, 0
	.set _ZN7rocprim17ROCPRIM_400000_NS6detail17trampoline_kernelINS0_14default_configENS1_35adjacent_difference_config_selectorILb0EsEEZNS1_24adjacent_difference_implIS3_Lb0ELb0EPsS7_N6thrust23THRUST_200600_302600_NS4plusIsEEEE10hipError_tPvRmT2_T3_mT4_P12ihipStream_tbEUlT_E_NS1_11comp_targetILNS1_3genE0ELNS1_11target_archE4294967295ELNS1_3gpuE0ELNS1_3repE0EEENS1_30default_config_static_selectorELNS0_4arch9wavefront6targetE1EEEvT1_.has_recursion, 0
	.set _ZN7rocprim17ROCPRIM_400000_NS6detail17trampoline_kernelINS0_14default_configENS1_35adjacent_difference_config_selectorILb0EsEEZNS1_24adjacent_difference_implIS3_Lb0ELb0EPsS7_N6thrust23THRUST_200600_302600_NS4plusIsEEEE10hipError_tPvRmT2_T3_mT4_P12ihipStream_tbEUlT_E_NS1_11comp_targetILNS1_3genE0ELNS1_11target_archE4294967295ELNS1_3gpuE0ELNS1_3repE0EEENS1_30default_config_static_selectorELNS0_4arch9wavefront6targetE1EEEvT1_.has_indirect_call, 0
	.section	.AMDGPU.csdata,"",@progbits
; Kernel info:
; codeLenInByte = 0
; TotalNumSgprs: 4
; NumVgprs: 0
; ScratchSize: 0
; MemoryBound: 0
; FloatMode: 240
; IeeeMode: 1
; LDSByteSize: 0 bytes/workgroup (compile time only)
; SGPRBlocks: 0
; VGPRBlocks: 0
; NumSGPRsForWavesPerEU: 4
; NumVGPRsForWavesPerEU: 1
; Occupancy: 10
; WaveLimiterHint : 0
; COMPUTE_PGM_RSRC2:SCRATCH_EN: 0
; COMPUTE_PGM_RSRC2:USER_SGPR: 6
; COMPUTE_PGM_RSRC2:TRAP_HANDLER: 0
; COMPUTE_PGM_RSRC2:TGID_X_EN: 1
; COMPUTE_PGM_RSRC2:TGID_Y_EN: 0
; COMPUTE_PGM_RSRC2:TGID_Z_EN: 0
; COMPUTE_PGM_RSRC2:TIDIG_COMP_CNT: 0
	.section	.text._ZN7rocprim17ROCPRIM_400000_NS6detail17trampoline_kernelINS0_14default_configENS1_35adjacent_difference_config_selectorILb0EsEEZNS1_24adjacent_difference_implIS3_Lb0ELb0EPsS7_N6thrust23THRUST_200600_302600_NS4plusIsEEEE10hipError_tPvRmT2_T3_mT4_P12ihipStream_tbEUlT_E_NS1_11comp_targetILNS1_3genE10ELNS1_11target_archE1201ELNS1_3gpuE5ELNS1_3repE0EEENS1_30default_config_static_selectorELNS0_4arch9wavefront6targetE1EEEvT1_,"axG",@progbits,_ZN7rocprim17ROCPRIM_400000_NS6detail17trampoline_kernelINS0_14default_configENS1_35adjacent_difference_config_selectorILb0EsEEZNS1_24adjacent_difference_implIS3_Lb0ELb0EPsS7_N6thrust23THRUST_200600_302600_NS4plusIsEEEE10hipError_tPvRmT2_T3_mT4_P12ihipStream_tbEUlT_E_NS1_11comp_targetILNS1_3genE10ELNS1_11target_archE1201ELNS1_3gpuE5ELNS1_3repE0EEENS1_30default_config_static_selectorELNS0_4arch9wavefront6targetE1EEEvT1_,comdat
	.protected	_ZN7rocprim17ROCPRIM_400000_NS6detail17trampoline_kernelINS0_14default_configENS1_35adjacent_difference_config_selectorILb0EsEEZNS1_24adjacent_difference_implIS3_Lb0ELb0EPsS7_N6thrust23THRUST_200600_302600_NS4plusIsEEEE10hipError_tPvRmT2_T3_mT4_P12ihipStream_tbEUlT_E_NS1_11comp_targetILNS1_3genE10ELNS1_11target_archE1201ELNS1_3gpuE5ELNS1_3repE0EEENS1_30default_config_static_selectorELNS0_4arch9wavefront6targetE1EEEvT1_ ; -- Begin function _ZN7rocprim17ROCPRIM_400000_NS6detail17trampoline_kernelINS0_14default_configENS1_35adjacent_difference_config_selectorILb0EsEEZNS1_24adjacent_difference_implIS3_Lb0ELb0EPsS7_N6thrust23THRUST_200600_302600_NS4plusIsEEEE10hipError_tPvRmT2_T3_mT4_P12ihipStream_tbEUlT_E_NS1_11comp_targetILNS1_3genE10ELNS1_11target_archE1201ELNS1_3gpuE5ELNS1_3repE0EEENS1_30default_config_static_selectorELNS0_4arch9wavefront6targetE1EEEvT1_
	.globl	_ZN7rocprim17ROCPRIM_400000_NS6detail17trampoline_kernelINS0_14default_configENS1_35adjacent_difference_config_selectorILb0EsEEZNS1_24adjacent_difference_implIS3_Lb0ELb0EPsS7_N6thrust23THRUST_200600_302600_NS4plusIsEEEE10hipError_tPvRmT2_T3_mT4_P12ihipStream_tbEUlT_E_NS1_11comp_targetILNS1_3genE10ELNS1_11target_archE1201ELNS1_3gpuE5ELNS1_3repE0EEENS1_30default_config_static_selectorELNS0_4arch9wavefront6targetE1EEEvT1_
	.p2align	8
	.type	_ZN7rocprim17ROCPRIM_400000_NS6detail17trampoline_kernelINS0_14default_configENS1_35adjacent_difference_config_selectorILb0EsEEZNS1_24adjacent_difference_implIS3_Lb0ELb0EPsS7_N6thrust23THRUST_200600_302600_NS4plusIsEEEE10hipError_tPvRmT2_T3_mT4_P12ihipStream_tbEUlT_E_NS1_11comp_targetILNS1_3genE10ELNS1_11target_archE1201ELNS1_3gpuE5ELNS1_3repE0EEENS1_30default_config_static_selectorELNS0_4arch9wavefront6targetE1EEEvT1_,@function
_ZN7rocprim17ROCPRIM_400000_NS6detail17trampoline_kernelINS0_14default_configENS1_35adjacent_difference_config_selectorILb0EsEEZNS1_24adjacent_difference_implIS3_Lb0ELb0EPsS7_N6thrust23THRUST_200600_302600_NS4plusIsEEEE10hipError_tPvRmT2_T3_mT4_P12ihipStream_tbEUlT_E_NS1_11comp_targetILNS1_3genE10ELNS1_11target_archE1201ELNS1_3gpuE5ELNS1_3repE0EEENS1_30default_config_static_selectorELNS0_4arch9wavefront6targetE1EEEvT1_: ; @_ZN7rocprim17ROCPRIM_400000_NS6detail17trampoline_kernelINS0_14default_configENS1_35adjacent_difference_config_selectorILb0EsEEZNS1_24adjacent_difference_implIS3_Lb0ELb0EPsS7_N6thrust23THRUST_200600_302600_NS4plusIsEEEE10hipError_tPvRmT2_T3_mT4_P12ihipStream_tbEUlT_E_NS1_11comp_targetILNS1_3genE10ELNS1_11target_archE1201ELNS1_3gpuE5ELNS1_3repE0EEENS1_30default_config_static_selectorELNS0_4arch9wavefront6targetE1EEEvT1_
; %bb.0:
	.section	.rodata,"a",@progbits
	.p2align	6, 0x0
	.amdhsa_kernel _ZN7rocprim17ROCPRIM_400000_NS6detail17trampoline_kernelINS0_14default_configENS1_35adjacent_difference_config_selectorILb0EsEEZNS1_24adjacent_difference_implIS3_Lb0ELb0EPsS7_N6thrust23THRUST_200600_302600_NS4plusIsEEEE10hipError_tPvRmT2_T3_mT4_P12ihipStream_tbEUlT_E_NS1_11comp_targetILNS1_3genE10ELNS1_11target_archE1201ELNS1_3gpuE5ELNS1_3repE0EEENS1_30default_config_static_selectorELNS0_4arch9wavefront6targetE1EEEvT1_
		.amdhsa_group_segment_fixed_size 0
		.amdhsa_private_segment_fixed_size 0
		.amdhsa_kernarg_size 56
		.amdhsa_user_sgpr_count 6
		.amdhsa_user_sgpr_private_segment_buffer 1
		.amdhsa_user_sgpr_dispatch_ptr 0
		.amdhsa_user_sgpr_queue_ptr 0
		.amdhsa_user_sgpr_kernarg_segment_ptr 1
		.amdhsa_user_sgpr_dispatch_id 0
		.amdhsa_user_sgpr_flat_scratch_init 0
		.amdhsa_user_sgpr_private_segment_size 0
		.amdhsa_uses_dynamic_stack 0
		.amdhsa_system_sgpr_private_segment_wavefront_offset 0
		.amdhsa_system_sgpr_workgroup_id_x 1
		.amdhsa_system_sgpr_workgroup_id_y 0
		.amdhsa_system_sgpr_workgroup_id_z 0
		.amdhsa_system_sgpr_workgroup_info 0
		.amdhsa_system_vgpr_workitem_id 0
		.amdhsa_next_free_vgpr 1
		.amdhsa_next_free_sgpr 0
		.amdhsa_reserve_vcc 0
		.amdhsa_reserve_flat_scratch 0
		.amdhsa_float_round_mode_32 0
		.amdhsa_float_round_mode_16_64 0
		.amdhsa_float_denorm_mode_32 3
		.amdhsa_float_denorm_mode_16_64 3
		.amdhsa_dx10_clamp 1
		.amdhsa_ieee_mode 1
		.amdhsa_fp16_overflow 0
		.amdhsa_exception_fp_ieee_invalid_op 0
		.amdhsa_exception_fp_denorm_src 0
		.amdhsa_exception_fp_ieee_div_zero 0
		.amdhsa_exception_fp_ieee_overflow 0
		.amdhsa_exception_fp_ieee_underflow 0
		.amdhsa_exception_fp_ieee_inexact 0
		.amdhsa_exception_int_div_zero 0
	.end_amdhsa_kernel
	.section	.text._ZN7rocprim17ROCPRIM_400000_NS6detail17trampoline_kernelINS0_14default_configENS1_35adjacent_difference_config_selectorILb0EsEEZNS1_24adjacent_difference_implIS3_Lb0ELb0EPsS7_N6thrust23THRUST_200600_302600_NS4plusIsEEEE10hipError_tPvRmT2_T3_mT4_P12ihipStream_tbEUlT_E_NS1_11comp_targetILNS1_3genE10ELNS1_11target_archE1201ELNS1_3gpuE5ELNS1_3repE0EEENS1_30default_config_static_selectorELNS0_4arch9wavefront6targetE1EEEvT1_,"axG",@progbits,_ZN7rocprim17ROCPRIM_400000_NS6detail17trampoline_kernelINS0_14default_configENS1_35adjacent_difference_config_selectorILb0EsEEZNS1_24adjacent_difference_implIS3_Lb0ELb0EPsS7_N6thrust23THRUST_200600_302600_NS4plusIsEEEE10hipError_tPvRmT2_T3_mT4_P12ihipStream_tbEUlT_E_NS1_11comp_targetILNS1_3genE10ELNS1_11target_archE1201ELNS1_3gpuE5ELNS1_3repE0EEENS1_30default_config_static_selectorELNS0_4arch9wavefront6targetE1EEEvT1_,comdat
.Lfunc_end384:
	.size	_ZN7rocprim17ROCPRIM_400000_NS6detail17trampoline_kernelINS0_14default_configENS1_35adjacent_difference_config_selectorILb0EsEEZNS1_24adjacent_difference_implIS3_Lb0ELb0EPsS7_N6thrust23THRUST_200600_302600_NS4plusIsEEEE10hipError_tPvRmT2_T3_mT4_P12ihipStream_tbEUlT_E_NS1_11comp_targetILNS1_3genE10ELNS1_11target_archE1201ELNS1_3gpuE5ELNS1_3repE0EEENS1_30default_config_static_selectorELNS0_4arch9wavefront6targetE1EEEvT1_, .Lfunc_end384-_ZN7rocprim17ROCPRIM_400000_NS6detail17trampoline_kernelINS0_14default_configENS1_35adjacent_difference_config_selectorILb0EsEEZNS1_24adjacent_difference_implIS3_Lb0ELb0EPsS7_N6thrust23THRUST_200600_302600_NS4plusIsEEEE10hipError_tPvRmT2_T3_mT4_P12ihipStream_tbEUlT_E_NS1_11comp_targetILNS1_3genE10ELNS1_11target_archE1201ELNS1_3gpuE5ELNS1_3repE0EEENS1_30default_config_static_selectorELNS0_4arch9wavefront6targetE1EEEvT1_
                                        ; -- End function
	.set _ZN7rocprim17ROCPRIM_400000_NS6detail17trampoline_kernelINS0_14default_configENS1_35adjacent_difference_config_selectorILb0EsEEZNS1_24adjacent_difference_implIS3_Lb0ELb0EPsS7_N6thrust23THRUST_200600_302600_NS4plusIsEEEE10hipError_tPvRmT2_T3_mT4_P12ihipStream_tbEUlT_E_NS1_11comp_targetILNS1_3genE10ELNS1_11target_archE1201ELNS1_3gpuE5ELNS1_3repE0EEENS1_30default_config_static_selectorELNS0_4arch9wavefront6targetE1EEEvT1_.num_vgpr, 0
	.set _ZN7rocprim17ROCPRIM_400000_NS6detail17trampoline_kernelINS0_14default_configENS1_35adjacent_difference_config_selectorILb0EsEEZNS1_24adjacent_difference_implIS3_Lb0ELb0EPsS7_N6thrust23THRUST_200600_302600_NS4plusIsEEEE10hipError_tPvRmT2_T3_mT4_P12ihipStream_tbEUlT_E_NS1_11comp_targetILNS1_3genE10ELNS1_11target_archE1201ELNS1_3gpuE5ELNS1_3repE0EEENS1_30default_config_static_selectorELNS0_4arch9wavefront6targetE1EEEvT1_.num_agpr, 0
	.set _ZN7rocprim17ROCPRIM_400000_NS6detail17trampoline_kernelINS0_14default_configENS1_35adjacent_difference_config_selectorILb0EsEEZNS1_24adjacent_difference_implIS3_Lb0ELb0EPsS7_N6thrust23THRUST_200600_302600_NS4plusIsEEEE10hipError_tPvRmT2_T3_mT4_P12ihipStream_tbEUlT_E_NS1_11comp_targetILNS1_3genE10ELNS1_11target_archE1201ELNS1_3gpuE5ELNS1_3repE0EEENS1_30default_config_static_selectorELNS0_4arch9wavefront6targetE1EEEvT1_.numbered_sgpr, 0
	.set _ZN7rocprim17ROCPRIM_400000_NS6detail17trampoline_kernelINS0_14default_configENS1_35adjacent_difference_config_selectorILb0EsEEZNS1_24adjacent_difference_implIS3_Lb0ELb0EPsS7_N6thrust23THRUST_200600_302600_NS4plusIsEEEE10hipError_tPvRmT2_T3_mT4_P12ihipStream_tbEUlT_E_NS1_11comp_targetILNS1_3genE10ELNS1_11target_archE1201ELNS1_3gpuE5ELNS1_3repE0EEENS1_30default_config_static_selectorELNS0_4arch9wavefront6targetE1EEEvT1_.num_named_barrier, 0
	.set _ZN7rocprim17ROCPRIM_400000_NS6detail17trampoline_kernelINS0_14default_configENS1_35adjacent_difference_config_selectorILb0EsEEZNS1_24adjacent_difference_implIS3_Lb0ELb0EPsS7_N6thrust23THRUST_200600_302600_NS4plusIsEEEE10hipError_tPvRmT2_T3_mT4_P12ihipStream_tbEUlT_E_NS1_11comp_targetILNS1_3genE10ELNS1_11target_archE1201ELNS1_3gpuE5ELNS1_3repE0EEENS1_30default_config_static_selectorELNS0_4arch9wavefront6targetE1EEEvT1_.private_seg_size, 0
	.set _ZN7rocprim17ROCPRIM_400000_NS6detail17trampoline_kernelINS0_14default_configENS1_35adjacent_difference_config_selectorILb0EsEEZNS1_24adjacent_difference_implIS3_Lb0ELb0EPsS7_N6thrust23THRUST_200600_302600_NS4plusIsEEEE10hipError_tPvRmT2_T3_mT4_P12ihipStream_tbEUlT_E_NS1_11comp_targetILNS1_3genE10ELNS1_11target_archE1201ELNS1_3gpuE5ELNS1_3repE0EEENS1_30default_config_static_selectorELNS0_4arch9wavefront6targetE1EEEvT1_.uses_vcc, 0
	.set _ZN7rocprim17ROCPRIM_400000_NS6detail17trampoline_kernelINS0_14default_configENS1_35adjacent_difference_config_selectorILb0EsEEZNS1_24adjacent_difference_implIS3_Lb0ELb0EPsS7_N6thrust23THRUST_200600_302600_NS4plusIsEEEE10hipError_tPvRmT2_T3_mT4_P12ihipStream_tbEUlT_E_NS1_11comp_targetILNS1_3genE10ELNS1_11target_archE1201ELNS1_3gpuE5ELNS1_3repE0EEENS1_30default_config_static_selectorELNS0_4arch9wavefront6targetE1EEEvT1_.uses_flat_scratch, 0
	.set _ZN7rocprim17ROCPRIM_400000_NS6detail17trampoline_kernelINS0_14default_configENS1_35adjacent_difference_config_selectorILb0EsEEZNS1_24adjacent_difference_implIS3_Lb0ELb0EPsS7_N6thrust23THRUST_200600_302600_NS4plusIsEEEE10hipError_tPvRmT2_T3_mT4_P12ihipStream_tbEUlT_E_NS1_11comp_targetILNS1_3genE10ELNS1_11target_archE1201ELNS1_3gpuE5ELNS1_3repE0EEENS1_30default_config_static_selectorELNS0_4arch9wavefront6targetE1EEEvT1_.has_dyn_sized_stack, 0
	.set _ZN7rocprim17ROCPRIM_400000_NS6detail17trampoline_kernelINS0_14default_configENS1_35adjacent_difference_config_selectorILb0EsEEZNS1_24adjacent_difference_implIS3_Lb0ELb0EPsS7_N6thrust23THRUST_200600_302600_NS4plusIsEEEE10hipError_tPvRmT2_T3_mT4_P12ihipStream_tbEUlT_E_NS1_11comp_targetILNS1_3genE10ELNS1_11target_archE1201ELNS1_3gpuE5ELNS1_3repE0EEENS1_30default_config_static_selectorELNS0_4arch9wavefront6targetE1EEEvT1_.has_recursion, 0
	.set _ZN7rocprim17ROCPRIM_400000_NS6detail17trampoline_kernelINS0_14default_configENS1_35adjacent_difference_config_selectorILb0EsEEZNS1_24adjacent_difference_implIS3_Lb0ELb0EPsS7_N6thrust23THRUST_200600_302600_NS4plusIsEEEE10hipError_tPvRmT2_T3_mT4_P12ihipStream_tbEUlT_E_NS1_11comp_targetILNS1_3genE10ELNS1_11target_archE1201ELNS1_3gpuE5ELNS1_3repE0EEENS1_30default_config_static_selectorELNS0_4arch9wavefront6targetE1EEEvT1_.has_indirect_call, 0
	.section	.AMDGPU.csdata,"",@progbits
; Kernel info:
; codeLenInByte = 0
; TotalNumSgprs: 4
; NumVgprs: 0
; ScratchSize: 0
; MemoryBound: 0
; FloatMode: 240
; IeeeMode: 1
; LDSByteSize: 0 bytes/workgroup (compile time only)
; SGPRBlocks: 0
; VGPRBlocks: 0
; NumSGPRsForWavesPerEU: 4
; NumVGPRsForWavesPerEU: 1
; Occupancy: 10
; WaveLimiterHint : 0
; COMPUTE_PGM_RSRC2:SCRATCH_EN: 0
; COMPUTE_PGM_RSRC2:USER_SGPR: 6
; COMPUTE_PGM_RSRC2:TRAP_HANDLER: 0
; COMPUTE_PGM_RSRC2:TGID_X_EN: 1
; COMPUTE_PGM_RSRC2:TGID_Y_EN: 0
; COMPUTE_PGM_RSRC2:TGID_Z_EN: 0
; COMPUTE_PGM_RSRC2:TIDIG_COMP_CNT: 0
	.section	.text._ZN7rocprim17ROCPRIM_400000_NS6detail17trampoline_kernelINS0_14default_configENS1_35adjacent_difference_config_selectorILb0EsEEZNS1_24adjacent_difference_implIS3_Lb0ELb0EPsS7_N6thrust23THRUST_200600_302600_NS4plusIsEEEE10hipError_tPvRmT2_T3_mT4_P12ihipStream_tbEUlT_E_NS1_11comp_targetILNS1_3genE5ELNS1_11target_archE942ELNS1_3gpuE9ELNS1_3repE0EEENS1_30default_config_static_selectorELNS0_4arch9wavefront6targetE1EEEvT1_,"axG",@progbits,_ZN7rocprim17ROCPRIM_400000_NS6detail17trampoline_kernelINS0_14default_configENS1_35adjacent_difference_config_selectorILb0EsEEZNS1_24adjacent_difference_implIS3_Lb0ELb0EPsS7_N6thrust23THRUST_200600_302600_NS4plusIsEEEE10hipError_tPvRmT2_T3_mT4_P12ihipStream_tbEUlT_E_NS1_11comp_targetILNS1_3genE5ELNS1_11target_archE942ELNS1_3gpuE9ELNS1_3repE0EEENS1_30default_config_static_selectorELNS0_4arch9wavefront6targetE1EEEvT1_,comdat
	.protected	_ZN7rocprim17ROCPRIM_400000_NS6detail17trampoline_kernelINS0_14default_configENS1_35adjacent_difference_config_selectorILb0EsEEZNS1_24adjacent_difference_implIS3_Lb0ELb0EPsS7_N6thrust23THRUST_200600_302600_NS4plusIsEEEE10hipError_tPvRmT2_T3_mT4_P12ihipStream_tbEUlT_E_NS1_11comp_targetILNS1_3genE5ELNS1_11target_archE942ELNS1_3gpuE9ELNS1_3repE0EEENS1_30default_config_static_selectorELNS0_4arch9wavefront6targetE1EEEvT1_ ; -- Begin function _ZN7rocprim17ROCPRIM_400000_NS6detail17trampoline_kernelINS0_14default_configENS1_35adjacent_difference_config_selectorILb0EsEEZNS1_24adjacent_difference_implIS3_Lb0ELb0EPsS7_N6thrust23THRUST_200600_302600_NS4plusIsEEEE10hipError_tPvRmT2_T3_mT4_P12ihipStream_tbEUlT_E_NS1_11comp_targetILNS1_3genE5ELNS1_11target_archE942ELNS1_3gpuE9ELNS1_3repE0EEENS1_30default_config_static_selectorELNS0_4arch9wavefront6targetE1EEEvT1_
	.globl	_ZN7rocprim17ROCPRIM_400000_NS6detail17trampoline_kernelINS0_14default_configENS1_35adjacent_difference_config_selectorILb0EsEEZNS1_24adjacent_difference_implIS3_Lb0ELb0EPsS7_N6thrust23THRUST_200600_302600_NS4plusIsEEEE10hipError_tPvRmT2_T3_mT4_P12ihipStream_tbEUlT_E_NS1_11comp_targetILNS1_3genE5ELNS1_11target_archE942ELNS1_3gpuE9ELNS1_3repE0EEENS1_30default_config_static_selectorELNS0_4arch9wavefront6targetE1EEEvT1_
	.p2align	8
	.type	_ZN7rocprim17ROCPRIM_400000_NS6detail17trampoline_kernelINS0_14default_configENS1_35adjacent_difference_config_selectorILb0EsEEZNS1_24adjacent_difference_implIS3_Lb0ELb0EPsS7_N6thrust23THRUST_200600_302600_NS4plusIsEEEE10hipError_tPvRmT2_T3_mT4_P12ihipStream_tbEUlT_E_NS1_11comp_targetILNS1_3genE5ELNS1_11target_archE942ELNS1_3gpuE9ELNS1_3repE0EEENS1_30default_config_static_selectorELNS0_4arch9wavefront6targetE1EEEvT1_,@function
_ZN7rocprim17ROCPRIM_400000_NS6detail17trampoline_kernelINS0_14default_configENS1_35adjacent_difference_config_selectorILb0EsEEZNS1_24adjacent_difference_implIS3_Lb0ELb0EPsS7_N6thrust23THRUST_200600_302600_NS4plusIsEEEE10hipError_tPvRmT2_T3_mT4_P12ihipStream_tbEUlT_E_NS1_11comp_targetILNS1_3genE5ELNS1_11target_archE942ELNS1_3gpuE9ELNS1_3repE0EEENS1_30default_config_static_selectorELNS0_4arch9wavefront6targetE1EEEvT1_: ; @_ZN7rocprim17ROCPRIM_400000_NS6detail17trampoline_kernelINS0_14default_configENS1_35adjacent_difference_config_selectorILb0EsEEZNS1_24adjacent_difference_implIS3_Lb0ELb0EPsS7_N6thrust23THRUST_200600_302600_NS4plusIsEEEE10hipError_tPvRmT2_T3_mT4_P12ihipStream_tbEUlT_E_NS1_11comp_targetILNS1_3genE5ELNS1_11target_archE942ELNS1_3gpuE9ELNS1_3repE0EEENS1_30default_config_static_selectorELNS0_4arch9wavefront6targetE1EEEvT1_
; %bb.0:
	.section	.rodata,"a",@progbits
	.p2align	6, 0x0
	.amdhsa_kernel _ZN7rocprim17ROCPRIM_400000_NS6detail17trampoline_kernelINS0_14default_configENS1_35adjacent_difference_config_selectorILb0EsEEZNS1_24adjacent_difference_implIS3_Lb0ELb0EPsS7_N6thrust23THRUST_200600_302600_NS4plusIsEEEE10hipError_tPvRmT2_T3_mT4_P12ihipStream_tbEUlT_E_NS1_11comp_targetILNS1_3genE5ELNS1_11target_archE942ELNS1_3gpuE9ELNS1_3repE0EEENS1_30default_config_static_selectorELNS0_4arch9wavefront6targetE1EEEvT1_
		.amdhsa_group_segment_fixed_size 0
		.amdhsa_private_segment_fixed_size 0
		.amdhsa_kernarg_size 56
		.amdhsa_user_sgpr_count 6
		.amdhsa_user_sgpr_private_segment_buffer 1
		.amdhsa_user_sgpr_dispatch_ptr 0
		.amdhsa_user_sgpr_queue_ptr 0
		.amdhsa_user_sgpr_kernarg_segment_ptr 1
		.amdhsa_user_sgpr_dispatch_id 0
		.amdhsa_user_sgpr_flat_scratch_init 0
		.amdhsa_user_sgpr_private_segment_size 0
		.amdhsa_uses_dynamic_stack 0
		.amdhsa_system_sgpr_private_segment_wavefront_offset 0
		.amdhsa_system_sgpr_workgroup_id_x 1
		.amdhsa_system_sgpr_workgroup_id_y 0
		.amdhsa_system_sgpr_workgroup_id_z 0
		.amdhsa_system_sgpr_workgroup_info 0
		.amdhsa_system_vgpr_workitem_id 0
		.amdhsa_next_free_vgpr 1
		.amdhsa_next_free_sgpr 0
		.amdhsa_reserve_vcc 0
		.amdhsa_reserve_flat_scratch 0
		.amdhsa_float_round_mode_32 0
		.amdhsa_float_round_mode_16_64 0
		.amdhsa_float_denorm_mode_32 3
		.amdhsa_float_denorm_mode_16_64 3
		.amdhsa_dx10_clamp 1
		.amdhsa_ieee_mode 1
		.amdhsa_fp16_overflow 0
		.amdhsa_exception_fp_ieee_invalid_op 0
		.amdhsa_exception_fp_denorm_src 0
		.amdhsa_exception_fp_ieee_div_zero 0
		.amdhsa_exception_fp_ieee_overflow 0
		.amdhsa_exception_fp_ieee_underflow 0
		.amdhsa_exception_fp_ieee_inexact 0
		.amdhsa_exception_int_div_zero 0
	.end_amdhsa_kernel
	.section	.text._ZN7rocprim17ROCPRIM_400000_NS6detail17trampoline_kernelINS0_14default_configENS1_35adjacent_difference_config_selectorILb0EsEEZNS1_24adjacent_difference_implIS3_Lb0ELb0EPsS7_N6thrust23THRUST_200600_302600_NS4plusIsEEEE10hipError_tPvRmT2_T3_mT4_P12ihipStream_tbEUlT_E_NS1_11comp_targetILNS1_3genE5ELNS1_11target_archE942ELNS1_3gpuE9ELNS1_3repE0EEENS1_30default_config_static_selectorELNS0_4arch9wavefront6targetE1EEEvT1_,"axG",@progbits,_ZN7rocprim17ROCPRIM_400000_NS6detail17trampoline_kernelINS0_14default_configENS1_35adjacent_difference_config_selectorILb0EsEEZNS1_24adjacent_difference_implIS3_Lb0ELb0EPsS7_N6thrust23THRUST_200600_302600_NS4plusIsEEEE10hipError_tPvRmT2_T3_mT4_P12ihipStream_tbEUlT_E_NS1_11comp_targetILNS1_3genE5ELNS1_11target_archE942ELNS1_3gpuE9ELNS1_3repE0EEENS1_30default_config_static_selectorELNS0_4arch9wavefront6targetE1EEEvT1_,comdat
.Lfunc_end385:
	.size	_ZN7rocprim17ROCPRIM_400000_NS6detail17trampoline_kernelINS0_14default_configENS1_35adjacent_difference_config_selectorILb0EsEEZNS1_24adjacent_difference_implIS3_Lb0ELb0EPsS7_N6thrust23THRUST_200600_302600_NS4plusIsEEEE10hipError_tPvRmT2_T3_mT4_P12ihipStream_tbEUlT_E_NS1_11comp_targetILNS1_3genE5ELNS1_11target_archE942ELNS1_3gpuE9ELNS1_3repE0EEENS1_30default_config_static_selectorELNS0_4arch9wavefront6targetE1EEEvT1_, .Lfunc_end385-_ZN7rocprim17ROCPRIM_400000_NS6detail17trampoline_kernelINS0_14default_configENS1_35adjacent_difference_config_selectorILb0EsEEZNS1_24adjacent_difference_implIS3_Lb0ELb0EPsS7_N6thrust23THRUST_200600_302600_NS4plusIsEEEE10hipError_tPvRmT2_T3_mT4_P12ihipStream_tbEUlT_E_NS1_11comp_targetILNS1_3genE5ELNS1_11target_archE942ELNS1_3gpuE9ELNS1_3repE0EEENS1_30default_config_static_selectorELNS0_4arch9wavefront6targetE1EEEvT1_
                                        ; -- End function
	.set _ZN7rocprim17ROCPRIM_400000_NS6detail17trampoline_kernelINS0_14default_configENS1_35adjacent_difference_config_selectorILb0EsEEZNS1_24adjacent_difference_implIS3_Lb0ELb0EPsS7_N6thrust23THRUST_200600_302600_NS4plusIsEEEE10hipError_tPvRmT2_T3_mT4_P12ihipStream_tbEUlT_E_NS1_11comp_targetILNS1_3genE5ELNS1_11target_archE942ELNS1_3gpuE9ELNS1_3repE0EEENS1_30default_config_static_selectorELNS0_4arch9wavefront6targetE1EEEvT1_.num_vgpr, 0
	.set _ZN7rocprim17ROCPRIM_400000_NS6detail17trampoline_kernelINS0_14default_configENS1_35adjacent_difference_config_selectorILb0EsEEZNS1_24adjacent_difference_implIS3_Lb0ELb0EPsS7_N6thrust23THRUST_200600_302600_NS4plusIsEEEE10hipError_tPvRmT2_T3_mT4_P12ihipStream_tbEUlT_E_NS1_11comp_targetILNS1_3genE5ELNS1_11target_archE942ELNS1_3gpuE9ELNS1_3repE0EEENS1_30default_config_static_selectorELNS0_4arch9wavefront6targetE1EEEvT1_.num_agpr, 0
	.set _ZN7rocprim17ROCPRIM_400000_NS6detail17trampoline_kernelINS0_14default_configENS1_35adjacent_difference_config_selectorILb0EsEEZNS1_24adjacent_difference_implIS3_Lb0ELb0EPsS7_N6thrust23THRUST_200600_302600_NS4plusIsEEEE10hipError_tPvRmT2_T3_mT4_P12ihipStream_tbEUlT_E_NS1_11comp_targetILNS1_3genE5ELNS1_11target_archE942ELNS1_3gpuE9ELNS1_3repE0EEENS1_30default_config_static_selectorELNS0_4arch9wavefront6targetE1EEEvT1_.numbered_sgpr, 0
	.set _ZN7rocprim17ROCPRIM_400000_NS6detail17trampoline_kernelINS0_14default_configENS1_35adjacent_difference_config_selectorILb0EsEEZNS1_24adjacent_difference_implIS3_Lb0ELb0EPsS7_N6thrust23THRUST_200600_302600_NS4plusIsEEEE10hipError_tPvRmT2_T3_mT4_P12ihipStream_tbEUlT_E_NS1_11comp_targetILNS1_3genE5ELNS1_11target_archE942ELNS1_3gpuE9ELNS1_3repE0EEENS1_30default_config_static_selectorELNS0_4arch9wavefront6targetE1EEEvT1_.num_named_barrier, 0
	.set _ZN7rocprim17ROCPRIM_400000_NS6detail17trampoline_kernelINS0_14default_configENS1_35adjacent_difference_config_selectorILb0EsEEZNS1_24adjacent_difference_implIS3_Lb0ELb0EPsS7_N6thrust23THRUST_200600_302600_NS4plusIsEEEE10hipError_tPvRmT2_T3_mT4_P12ihipStream_tbEUlT_E_NS1_11comp_targetILNS1_3genE5ELNS1_11target_archE942ELNS1_3gpuE9ELNS1_3repE0EEENS1_30default_config_static_selectorELNS0_4arch9wavefront6targetE1EEEvT1_.private_seg_size, 0
	.set _ZN7rocprim17ROCPRIM_400000_NS6detail17trampoline_kernelINS0_14default_configENS1_35adjacent_difference_config_selectorILb0EsEEZNS1_24adjacent_difference_implIS3_Lb0ELb0EPsS7_N6thrust23THRUST_200600_302600_NS4plusIsEEEE10hipError_tPvRmT2_T3_mT4_P12ihipStream_tbEUlT_E_NS1_11comp_targetILNS1_3genE5ELNS1_11target_archE942ELNS1_3gpuE9ELNS1_3repE0EEENS1_30default_config_static_selectorELNS0_4arch9wavefront6targetE1EEEvT1_.uses_vcc, 0
	.set _ZN7rocprim17ROCPRIM_400000_NS6detail17trampoline_kernelINS0_14default_configENS1_35adjacent_difference_config_selectorILb0EsEEZNS1_24adjacent_difference_implIS3_Lb0ELb0EPsS7_N6thrust23THRUST_200600_302600_NS4plusIsEEEE10hipError_tPvRmT2_T3_mT4_P12ihipStream_tbEUlT_E_NS1_11comp_targetILNS1_3genE5ELNS1_11target_archE942ELNS1_3gpuE9ELNS1_3repE0EEENS1_30default_config_static_selectorELNS0_4arch9wavefront6targetE1EEEvT1_.uses_flat_scratch, 0
	.set _ZN7rocprim17ROCPRIM_400000_NS6detail17trampoline_kernelINS0_14default_configENS1_35adjacent_difference_config_selectorILb0EsEEZNS1_24adjacent_difference_implIS3_Lb0ELb0EPsS7_N6thrust23THRUST_200600_302600_NS4plusIsEEEE10hipError_tPvRmT2_T3_mT4_P12ihipStream_tbEUlT_E_NS1_11comp_targetILNS1_3genE5ELNS1_11target_archE942ELNS1_3gpuE9ELNS1_3repE0EEENS1_30default_config_static_selectorELNS0_4arch9wavefront6targetE1EEEvT1_.has_dyn_sized_stack, 0
	.set _ZN7rocprim17ROCPRIM_400000_NS6detail17trampoline_kernelINS0_14default_configENS1_35adjacent_difference_config_selectorILb0EsEEZNS1_24adjacent_difference_implIS3_Lb0ELb0EPsS7_N6thrust23THRUST_200600_302600_NS4plusIsEEEE10hipError_tPvRmT2_T3_mT4_P12ihipStream_tbEUlT_E_NS1_11comp_targetILNS1_3genE5ELNS1_11target_archE942ELNS1_3gpuE9ELNS1_3repE0EEENS1_30default_config_static_selectorELNS0_4arch9wavefront6targetE1EEEvT1_.has_recursion, 0
	.set _ZN7rocprim17ROCPRIM_400000_NS6detail17trampoline_kernelINS0_14default_configENS1_35adjacent_difference_config_selectorILb0EsEEZNS1_24adjacent_difference_implIS3_Lb0ELb0EPsS7_N6thrust23THRUST_200600_302600_NS4plusIsEEEE10hipError_tPvRmT2_T3_mT4_P12ihipStream_tbEUlT_E_NS1_11comp_targetILNS1_3genE5ELNS1_11target_archE942ELNS1_3gpuE9ELNS1_3repE0EEENS1_30default_config_static_selectorELNS0_4arch9wavefront6targetE1EEEvT1_.has_indirect_call, 0
	.section	.AMDGPU.csdata,"",@progbits
; Kernel info:
; codeLenInByte = 0
; TotalNumSgprs: 4
; NumVgprs: 0
; ScratchSize: 0
; MemoryBound: 0
; FloatMode: 240
; IeeeMode: 1
; LDSByteSize: 0 bytes/workgroup (compile time only)
; SGPRBlocks: 0
; VGPRBlocks: 0
; NumSGPRsForWavesPerEU: 4
; NumVGPRsForWavesPerEU: 1
; Occupancy: 10
; WaveLimiterHint : 0
; COMPUTE_PGM_RSRC2:SCRATCH_EN: 0
; COMPUTE_PGM_RSRC2:USER_SGPR: 6
; COMPUTE_PGM_RSRC2:TRAP_HANDLER: 0
; COMPUTE_PGM_RSRC2:TGID_X_EN: 1
; COMPUTE_PGM_RSRC2:TGID_Y_EN: 0
; COMPUTE_PGM_RSRC2:TGID_Z_EN: 0
; COMPUTE_PGM_RSRC2:TIDIG_COMP_CNT: 0
	.section	.text._ZN7rocprim17ROCPRIM_400000_NS6detail17trampoline_kernelINS0_14default_configENS1_35adjacent_difference_config_selectorILb0EsEEZNS1_24adjacent_difference_implIS3_Lb0ELb0EPsS7_N6thrust23THRUST_200600_302600_NS4plusIsEEEE10hipError_tPvRmT2_T3_mT4_P12ihipStream_tbEUlT_E_NS1_11comp_targetILNS1_3genE4ELNS1_11target_archE910ELNS1_3gpuE8ELNS1_3repE0EEENS1_30default_config_static_selectorELNS0_4arch9wavefront6targetE1EEEvT1_,"axG",@progbits,_ZN7rocprim17ROCPRIM_400000_NS6detail17trampoline_kernelINS0_14default_configENS1_35adjacent_difference_config_selectorILb0EsEEZNS1_24adjacent_difference_implIS3_Lb0ELb0EPsS7_N6thrust23THRUST_200600_302600_NS4plusIsEEEE10hipError_tPvRmT2_T3_mT4_P12ihipStream_tbEUlT_E_NS1_11comp_targetILNS1_3genE4ELNS1_11target_archE910ELNS1_3gpuE8ELNS1_3repE0EEENS1_30default_config_static_selectorELNS0_4arch9wavefront6targetE1EEEvT1_,comdat
	.protected	_ZN7rocprim17ROCPRIM_400000_NS6detail17trampoline_kernelINS0_14default_configENS1_35adjacent_difference_config_selectorILb0EsEEZNS1_24adjacent_difference_implIS3_Lb0ELb0EPsS7_N6thrust23THRUST_200600_302600_NS4plusIsEEEE10hipError_tPvRmT2_T3_mT4_P12ihipStream_tbEUlT_E_NS1_11comp_targetILNS1_3genE4ELNS1_11target_archE910ELNS1_3gpuE8ELNS1_3repE0EEENS1_30default_config_static_selectorELNS0_4arch9wavefront6targetE1EEEvT1_ ; -- Begin function _ZN7rocprim17ROCPRIM_400000_NS6detail17trampoline_kernelINS0_14default_configENS1_35adjacent_difference_config_selectorILb0EsEEZNS1_24adjacent_difference_implIS3_Lb0ELb0EPsS7_N6thrust23THRUST_200600_302600_NS4plusIsEEEE10hipError_tPvRmT2_T3_mT4_P12ihipStream_tbEUlT_E_NS1_11comp_targetILNS1_3genE4ELNS1_11target_archE910ELNS1_3gpuE8ELNS1_3repE0EEENS1_30default_config_static_selectorELNS0_4arch9wavefront6targetE1EEEvT1_
	.globl	_ZN7rocprim17ROCPRIM_400000_NS6detail17trampoline_kernelINS0_14default_configENS1_35adjacent_difference_config_selectorILb0EsEEZNS1_24adjacent_difference_implIS3_Lb0ELb0EPsS7_N6thrust23THRUST_200600_302600_NS4plusIsEEEE10hipError_tPvRmT2_T3_mT4_P12ihipStream_tbEUlT_E_NS1_11comp_targetILNS1_3genE4ELNS1_11target_archE910ELNS1_3gpuE8ELNS1_3repE0EEENS1_30default_config_static_selectorELNS0_4arch9wavefront6targetE1EEEvT1_
	.p2align	8
	.type	_ZN7rocprim17ROCPRIM_400000_NS6detail17trampoline_kernelINS0_14default_configENS1_35adjacent_difference_config_selectorILb0EsEEZNS1_24adjacent_difference_implIS3_Lb0ELb0EPsS7_N6thrust23THRUST_200600_302600_NS4plusIsEEEE10hipError_tPvRmT2_T3_mT4_P12ihipStream_tbEUlT_E_NS1_11comp_targetILNS1_3genE4ELNS1_11target_archE910ELNS1_3gpuE8ELNS1_3repE0EEENS1_30default_config_static_selectorELNS0_4arch9wavefront6targetE1EEEvT1_,@function
_ZN7rocprim17ROCPRIM_400000_NS6detail17trampoline_kernelINS0_14default_configENS1_35adjacent_difference_config_selectorILb0EsEEZNS1_24adjacent_difference_implIS3_Lb0ELb0EPsS7_N6thrust23THRUST_200600_302600_NS4plusIsEEEE10hipError_tPvRmT2_T3_mT4_P12ihipStream_tbEUlT_E_NS1_11comp_targetILNS1_3genE4ELNS1_11target_archE910ELNS1_3gpuE8ELNS1_3repE0EEENS1_30default_config_static_selectorELNS0_4arch9wavefront6targetE1EEEvT1_: ; @_ZN7rocprim17ROCPRIM_400000_NS6detail17trampoline_kernelINS0_14default_configENS1_35adjacent_difference_config_selectorILb0EsEEZNS1_24adjacent_difference_implIS3_Lb0ELb0EPsS7_N6thrust23THRUST_200600_302600_NS4plusIsEEEE10hipError_tPvRmT2_T3_mT4_P12ihipStream_tbEUlT_E_NS1_11comp_targetILNS1_3genE4ELNS1_11target_archE910ELNS1_3gpuE8ELNS1_3repE0EEENS1_30default_config_static_selectorELNS0_4arch9wavefront6targetE1EEEvT1_
; %bb.0:
	.section	.rodata,"a",@progbits
	.p2align	6, 0x0
	.amdhsa_kernel _ZN7rocprim17ROCPRIM_400000_NS6detail17trampoline_kernelINS0_14default_configENS1_35adjacent_difference_config_selectorILb0EsEEZNS1_24adjacent_difference_implIS3_Lb0ELb0EPsS7_N6thrust23THRUST_200600_302600_NS4plusIsEEEE10hipError_tPvRmT2_T3_mT4_P12ihipStream_tbEUlT_E_NS1_11comp_targetILNS1_3genE4ELNS1_11target_archE910ELNS1_3gpuE8ELNS1_3repE0EEENS1_30default_config_static_selectorELNS0_4arch9wavefront6targetE1EEEvT1_
		.amdhsa_group_segment_fixed_size 0
		.amdhsa_private_segment_fixed_size 0
		.amdhsa_kernarg_size 56
		.amdhsa_user_sgpr_count 6
		.amdhsa_user_sgpr_private_segment_buffer 1
		.amdhsa_user_sgpr_dispatch_ptr 0
		.amdhsa_user_sgpr_queue_ptr 0
		.amdhsa_user_sgpr_kernarg_segment_ptr 1
		.amdhsa_user_sgpr_dispatch_id 0
		.amdhsa_user_sgpr_flat_scratch_init 0
		.amdhsa_user_sgpr_private_segment_size 0
		.amdhsa_uses_dynamic_stack 0
		.amdhsa_system_sgpr_private_segment_wavefront_offset 0
		.amdhsa_system_sgpr_workgroup_id_x 1
		.amdhsa_system_sgpr_workgroup_id_y 0
		.amdhsa_system_sgpr_workgroup_id_z 0
		.amdhsa_system_sgpr_workgroup_info 0
		.amdhsa_system_vgpr_workitem_id 0
		.amdhsa_next_free_vgpr 1
		.amdhsa_next_free_sgpr 0
		.amdhsa_reserve_vcc 0
		.amdhsa_reserve_flat_scratch 0
		.amdhsa_float_round_mode_32 0
		.amdhsa_float_round_mode_16_64 0
		.amdhsa_float_denorm_mode_32 3
		.amdhsa_float_denorm_mode_16_64 3
		.amdhsa_dx10_clamp 1
		.amdhsa_ieee_mode 1
		.amdhsa_fp16_overflow 0
		.amdhsa_exception_fp_ieee_invalid_op 0
		.amdhsa_exception_fp_denorm_src 0
		.amdhsa_exception_fp_ieee_div_zero 0
		.amdhsa_exception_fp_ieee_overflow 0
		.amdhsa_exception_fp_ieee_underflow 0
		.amdhsa_exception_fp_ieee_inexact 0
		.amdhsa_exception_int_div_zero 0
	.end_amdhsa_kernel
	.section	.text._ZN7rocprim17ROCPRIM_400000_NS6detail17trampoline_kernelINS0_14default_configENS1_35adjacent_difference_config_selectorILb0EsEEZNS1_24adjacent_difference_implIS3_Lb0ELb0EPsS7_N6thrust23THRUST_200600_302600_NS4plusIsEEEE10hipError_tPvRmT2_T3_mT4_P12ihipStream_tbEUlT_E_NS1_11comp_targetILNS1_3genE4ELNS1_11target_archE910ELNS1_3gpuE8ELNS1_3repE0EEENS1_30default_config_static_selectorELNS0_4arch9wavefront6targetE1EEEvT1_,"axG",@progbits,_ZN7rocprim17ROCPRIM_400000_NS6detail17trampoline_kernelINS0_14default_configENS1_35adjacent_difference_config_selectorILb0EsEEZNS1_24adjacent_difference_implIS3_Lb0ELb0EPsS7_N6thrust23THRUST_200600_302600_NS4plusIsEEEE10hipError_tPvRmT2_T3_mT4_P12ihipStream_tbEUlT_E_NS1_11comp_targetILNS1_3genE4ELNS1_11target_archE910ELNS1_3gpuE8ELNS1_3repE0EEENS1_30default_config_static_selectorELNS0_4arch9wavefront6targetE1EEEvT1_,comdat
.Lfunc_end386:
	.size	_ZN7rocprim17ROCPRIM_400000_NS6detail17trampoline_kernelINS0_14default_configENS1_35adjacent_difference_config_selectorILb0EsEEZNS1_24adjacent_difference_implIS3_Lb0ELb0EPsS7_N6thrust23THRUST_200600_302600_NS4plusIsEEEE10hipError_tPvRmT2_T3_mT4_P12ihipStream_tbEUlT_E_NS1_11comp_targetILNS1_3genE4ELNS1_11target_archE910ELNS1_3gpuE8ELNS1_3repE0EEENS1_30default_config_static_selectorELNS0_4arch9wavefront6targetE1EEEvT1_, .Lfunc_end386-_ZN7rocprim17ROCPRIM_400000_NS6detail17trampoline_kernelINS0_14default_configENS1_35adjacent_difference_config_selectorILb0EsEEZNS1_24adjacent_difference_implIS3_Lb0ELb0EPsS7_N6thrust23THRUST_200600_302600_NS4plusIsEEEE10hipError_tPvRmT2_T3_mT4_P12ihipStream_tbEUlT_E_NS1_11comp_targetILNS1_3genE4ELNS1_11target_archE910ELNS1_3gpuE8ELNS1_3repE0EEENS1_30default_config_static_selectorELNS0_4arch9wavefront6targetE1EEEvT1_
                                        ; -- End function
	.set _ZN7rocprim17ROCPRIM_400000_NS6detail17trampoline_kernelINS0_14default_configENS1_35adjacent_difference_config_selectorILb0EsEEZNS1_24adjacent_difference_implIS3_Lb0ELb0EPsS7_N6thrust23THRUST_200600_302600_NS4plusIsEEEE10hipError_tPvRmT2_T3_mT4_P12ihipStream_tbEUlT_E_NS1_11comp_targetILNS1_3genE4ELNS1_11target_archE910ELNS1_3gpuE8ELNS1_3repE0EEENS1_30default_config_static_selectorELNS0_4arch9wavefront6targetE1EEEvT1_.num_vgpr, 0
	.set _ZN7rocprim17ROCPRIM_400000_NS6detail17trampoline_kernelINS0_14default_configENS1_35adjacent_difference_config_selectorILb0EsEEZNS1_24adjacent_difference_implIS3_Lb0ELb0EPsS7_N6thrust23THRUST_200600_302600_NS4plusIsEEEE10hipError_tPvRmT2_T3_mT4_P12ihipStream_tbEUlT_E_NS1_11comp_targetILNS1_3genE4ELNS1_11target_archE910ELNS1_3gpuE8ELNS1_3repE0EEENS1_30default_config_static_selectorELNS0_4arch9wavefront6targetE1EEEvT1_.num_agpr, 0
	.set _ZN7rocprim17ROCPRIM_400000_NS6detail17trampoline_kernelINS0_14default_configENS1_35adjacent_difference_config_selectorILb0EsEEZNS1_24adjacent_difference_implIS3_Lb0ELb0EPsS7_N6thrust23THRUST_200600_302600_NS4plusIsEEEE10hipError_tPvRmT2_T3_mT4_P12ihipStream_tbEUlT_E_NS1_11comp_targetILNS1_3genE4ELNS1_11target_archE910ELNS1_3gpuE8ELNS1_3repE0EEENS1_30default_config_static_selectorELNS0_4arch9wavefront6targetE1EEEvT1_.numbered_sgpr, 0
	.set _ZN7rocprim17ROCPRIM_400000_NS6detail17trampoline_kernelINS0_14default_configENS1_35adjacent_difference_config_selectorILb0EsEEZNS1_24adjacent_difference_implIS3_Lb0ELb0EPsS7_N6thrust23THRUST_200600_302600_NS4plusIsEEEE10hipError_tPvRmT2_T3_mT4_P12ihipStream_tbEUlT_E_NS1_11comp_targetILNS1_3genE4ELNS1_11target_archE910ELNS1_3gpuE8ELNS1_3repE0EEENS1_30default_config_static_selectorELNS0_4arch9wavefront6targetE1EEEvT1_.num_named_barrier, 0
	.set _ZN7rocprim17ROCPRIM_400000_NS6detail17trampoline_kernelINS0_14default_configENS1_35adjacent_difference_config_selectorILb0EsEEZNS1_24adjacent_difference_implIS3_Lb0ELb0EPsS7_N6thrust23THRUST_200600_302600_NS4plusIsEEEE10hipError_tPvRmT2_T3_mT4_P12ihipStream_tbEUlT_E_NS1_11comp_targetILNS1_3genE4ELNS1_11target_archE910ELNS1_3gpuE8ELNS1_3repE0EEENS1_30default_config_static_selectorELNS0_4arch9wavefront6targetE1EEEvT1_.private_seg_size, 0
	.set _ZN7rocprim17ROCPRIM_400000_NS6detail17trampoline_kernelINS0_14default_configENS1_35adjacent_difference_config_selectorILb0EsEEZNS1_24adjacent_difference_implIS3_Lb0ELb0EPsS7_N6thrust23THRUST_200600_302600_NS4plusIsEEEE10hipError_tPvRmT2_T3_mT4_P12ihipStream_tbEUlT_E_NS1_11comp_targetILNS1_3genE4ELNS1_11target_archE910ELNS1_3gpuE8ELNS1_3repE0EEENS1_30default_config_static_selectorELNS0_4arch9wavefront6targetE1EEEvT1_.uses_vcc, 0
	.set _ZN7rocprim17ROCPRIM_400000_NS6detail17trampoline_kernelINS0_14default_configENS1_35adjacent_difference_config_selectorILb0EsEEZNS1_24adjacent_difference_implIS3_Lb0ELb0EPsS7_N6thrust23THRUST_200600_302600_NS4plusIsEEEE10hipError_tPvRmT2_T3_mT4_P12ihipStream_tbEUlT_E_NS1_11comp_targetILNS1_3genE4ELNS1_11target_archE910ELNS1_3gpuE8ELNS1_3repE0EEENS1_30default_config_static_selectorELNS0_4arch9wavefront6targetE1EEEvT1_.uses_flat_scratch, 0
	.set _ZN7rocprim17ROCPRIM_400000_NS6detail17trampoline_kernelINS0_14default_configENS1_35adjacent_difference_config_selectorILb0EsEEZNS1_24adjacent_difference_implIS3_Lb0ELb0EPsS7_N6thrust23THRUST_200600_302600_NS4plusIsEEEE10hipError_tPvRmT2_T3_mT4_P12ihipStream_tbEUlT_E_NS1_11comp_targetILNS1_3genE4ELNS1_11target_archE910ELNS1_3gpuE8ELNS1_3repE0EEENS1_30default_config_static_selectorELNS0_4arch9wavefront6targetE1EEEvT1_.has_dyn_sized_stack, 0
	.set _ZN7rocprim17ROCPRIM_400000_NS6detail17trampoline_kernelINS0_14default_configENS1_35adjacent_difference_config_selectorILb0EsEEZNS1_24adjacent_difference_implIS3_Lb0ELb0EPsS7_N6thrust23THRUST_200600_302600_NS4plusIsEEEE10hipError_tPvRmT2_T3_mT4_P12ihipStream_tbEUlT_E_NS1_11comp_targetILNS1_3genE4ELNS1_11target_archE910ELNS1_3gpuE8ELNS1_3repE0EEENS1_30default_config_static_selectorELNS0_4arch9wavefront6targetE1EEEvT1_.has_recursion, 0
	.set _ZN7rocprim17ROCPRIM_400000_NS6detail17trampoline_kernelINS0_14default_configENS1_35adjacent_difference_config_selectorILb0EsEEZNS1_24adjacent_difference_implIS3_Lb0ELb0EPsS7_N6thrust23THRUST_200600_302600_NS4plusIsEEEE10hipError_tPvRmT2_T3_mT4_P12ihipStream_tbEUlT_E_NS1_11comp_targetILNS1_3genE4ELNS1_11target_archE910ELNS1_3gpuE8ELNS1_3repE0EEENS1_30default_config_static_selectorELNS0_4arch9wavefront6targetE1EEEvT1_.has_indirect_call, 0
	.section	.AMDGPU.csdata,"",@progbits
; Kernel info:
; codeLenInByte = 0
; TotalNumSgprs: 4
; NumVgprs: 0
; ScratchSize: 0
; MemoryBound: 0
; FloatMode: 240
; IeeeMode: 1
; LDSByteSize: 0 bytes/workgroup (compile time only)
; SGPRBlocks: 0
; VGPRBlocks: 0
; NumSGPRsForWavesPerEU: 4
; NumVGPRsForWavesPerEU: 1
; Occupancy: 10
; WaveLimiterHint : 0
; COMPUTE_PGM_RSRC2:SCRATCH_EN: 0
; COMPUTE_PGM_RSRC2:USER_SGPR: 6
; COMPUTE_PGM_RSRC2:TRAP_HANDLER: 0
; COMPUTE_PGM_RSRC2:TGID_X_EN: 1
; COMPUTE_PGM_RSRC2:TGID_Y_EN: 0
; COMPUTE_PGM_RSRC2:TGID_Z_EN: 0
; COMPUTE_PGM_RSRC2:TIDIG_COMP_CNT: 0
	.section	.text._ZN7rocprim17ROCPRIM_400000_NS6detail17trampoline_kernelINS0_14default_configENS1_35adjacent_difference_config_selectorILb0EsEEZNS1_24adjacent_difference_implIS3_Lb0ELb0EPsS7_N6thrust23THRUST_200600_302600_NS4plusIsEEEE10hipError_tPvRmT2_T3_mT4_P12ihipStream_tbEUlT_E_NS1_11comp_targetILNS1_3genE3ELNS1_11target_archE908ELNS1_3gpuE7ELNS1_3repE0EEENS1_30default_config_static_selectorELNS0_4arch9wavefront6targetE1EEEvT1_,"axG",@progbits,_ZN7rocprim17ROCPRIM_400000_NS6detail17trampoline_kernelINS0_14default_configENS1_35adjacent_difference_config_selectorILb0EsEEZNS1_24adjacent_difference_implIS3_Lb0ELb0EPsS7_N6thrust23THRUST_200600_302600_NS4plusIsEEEE10hipError_tPvRmT2_T3_mT4_P12ihipStream_tbEUlT_E_NS1_11comp_targetILNS1_3genE3ELNS1_11target_archE908ELNS1_3gpuE7ELNS1_3repE0EEENS1_30default_config_static_selectorELNS0_4arch9wavefront6targetE1EEEvT1_,comdat
	.protected	_ZN7rocprim17ROCPRIM_400000_NS6detail17trampoline_kernelINS0_14default_configENS1_35adjacent_difference_config_selectorILb0EsEEZNS1_24adjacent_difference_implIS3_Lb0ELb0EPsS7_N6thrust23THRUST_200600_302600_NS4plusIsEEEE10hipError_tPvRmT2_T3_mT4_P12ihipStream_tbEUlT_E_NS1_11comp_targetILNS1_3genE3ELNS1_11target_archE908ELNS1_3gpuE7ELNS1_3repE0EEENS1_30default_config_static_selectorELNS0_4arch9wavefront6targetE1EEEvT1_ ; -- Begin function _ZN7rocprim17ROCPRIM_400000_NS6detail17trampoline_kernelINS0_14default_configENS1_35adjacent_difference_config_selectorILb0EsEEZNS1_24adjacent_difference_implIS3_Lb0ELb0EPsS7_N6thrust23THRUST_200600_302600_NS4plusIsEEEE10hipError_tPvRmT2_T3_mT4_P12ihipStream_tbEUlT_E_NS1_11comp_targetILNS1_3genE3ELNS1_11target_archE908ELNS1_3gpuE7ELNS1_3repE0EEENS1_30default_config_static_selectorELNS0_4arch9wavefront6targetE1EEEvT1_
	.globl	_ZN7rocprim17ROCPRIM_400000_NS6detail17trampoline_kernelINS0_14default_configENS1_35adjacent_difference_config_selectorILb0EsEEZNS1_24adjacent_difference_implIS3_Lb0ELb0EPsS7_N6thrust23THRUST_200600_302600_NS4plusIsEEEE10hipError_tPvRmT2_T3_mT4_P12ihipStream_tbEUlT_E_NS1_11comp_targetILNS1_3genE3ELNS1_11target_archE908ELNS1_3gpuE7ELNS1_3repE0EEENS1_30default_config_static_selectorELNS0_4arch9wavefront6targetE1EEEvT1_
	.p2align	8
	.type	_ZN7rocprim17ROCPRIM_400000_NS6detail17trampoline_kernelINS0_14default_configENS1_35adjacent_difference_config_selectorILb0EsEEZNS1_24adjacent_difference_implIS3_Lb0ELb0EPsS7_N6thrust23THRUST_200600_302600_NS4plusIsEEEE10hipError_tPvRmT2_T3_mT4_P12ihipStream_tbEUlT_E_NS1_11comp_targetILNS1_3genE3ELNS1_11target_archE908ELNS1_3gpuE7ELNS1_3repE0EEENS1_30default_config_static_selectorELNS0_4arch9wavefront6targetE1EEEvT1_,@function
_ZN7rocprim17ROCPRIM_400000_NS6detail17trampoline_kernelINS0_14default_configENS1_35adjacent_difference_config_selectorILb0EsEEZNS1_24adjacent_difference_implIS3_Lb0ELb0EPsS7_N6thrust23THRUST_200600_302600_NS4plusIsEEEE10hipError_tPvRmT2_T3_mT4_P12ihipStream_tbEUlT_E_NS1_11comp_targetILNS1_3genE3ELNS1_11target_archE908ELNS1_3gpuE7ELNS1_3repE0EEENS1_30default_config_static_selectorELNS0_4arch9wavefront6targetE1EEEvT1_: ; @_ZN7rocprim17ROCPRIM_400000_NS6detail17trampoline_kernelINS0_14default_configENS1_35adjacent_difference_config_selectorILb0EsEEZNS1_24adjacent_difference_implIS3_Lb0ELb0EPsS7_N6thrust23THRUST_200600_302600_NS4plusIsEEEE10hipError_tPvRmT2_T3_mT4_P12ihipStream_tbEUlT_E_NS1_11comp_targetILNS1_3genE3ELNS1_11target_archE908ELNS1_3gpuE7ELNS1_3repE0EEENS1_30default_config_static_selectorELNS0_4arch9wavefront6targetE1EEEvT1_
; %bb.0:
	.section	.rodata,"a",@progbits
	.p2align	6, 0x0
	.amdhsa_kernel _ZN7rocprim17ROCPRIM_400000_NS6detail17trampoline_kernelINS0_14default_configENS1_35adjacent_difference_config_selectorILb0EsEEZNS1_24adjacent_difference_implIS3_Lb0ELb0EPsS7_N6thrust23THRUST_200600_302600_NS4plusIsEEEE10hipError_tPvRmT2_T3_mT4_P12ihipStream_tbEUlT_E_NS1_11comp_targetILNS1_3genE3ELNS1_11target_archE908ELNS1_3gpuE7ELNS1_3repE0EEENS1_30default_config_static_selectorELNS0_4arch9wavefront6targetE1EEEvT1_
		.amdhsa_group_segment_fixed_size 0
		.amdhsa_private_segment_fixed_size 0
		.amdhsa_kernarg_size 56
		.amdhsa_user_sgpr_count 6
		.amdhsa_user_sgpr_private_segment_buffer 1
		.amdhsa_user_sgpr_dispatch_ptr 0
		.amdhsa_user_sgpr_queue_ptr 0
		.amdhsa_user_sgpr_kernarg_segment_ptr 1
		.amdhsa_user_sgpr_dispatch_id 0
		.amdhsa_user_sgpr_flat_scratch_init 0
		.amdhsa_user_sgpr_private_segment_size 0
		.amdhsa_uses_dynamic_stack 0
		.amdhsa_system_sgpr_private_segment_wavefront_offset 0
		.amdhsa_system_sgpr_workgroup_id_x 1
		.amdhsa_system_sgpr_workgroup_id_y 0
		.amdhsa_system_sgpr_workgroup_id_z 0
		.amdhsa_system_sgpr_workgroup_info 0
		.amdhsa_system_vgpr_workitem_id 0
		.amdhsa_next_free_vgpr 1
		.amdhsa_next_free_sgpr 0
		.amdhsa_reserve_vcc 0
		.amdhsa_reserve_flat_scratch 0
		.amdhsa_float_round_mode_32 0
		.amdhsa_float_round_mode_16_64 0
		.amdhsa_float_denorm_mode_32 3
		.amdhsa_float_denorm_mode_16_64 3
		.amdhsa_dx10_clamp 1
		.amdhsa_ieee_mode 1
		.amdhsa_fp16_overflow 0
		.amdhsa_exception_fp_ieee_invalid_op 0
		.amdhsa_exception_fp_denorm_src 0
		.amdhsa_exception_fp_ieee_div_zero 0
		.amdhsa_exception_fp_ieee_overflow 0
		.amdhsa_exception_fp_ieee_underflow 0
		.amdhsa_exception_fp_ieee_inexact 0
		.amdhsa_exception_int_div_zero 0
	.end_amdhsa_kernel
	.section	.text._ZN7rocprim17ROCPRIM_400000_NS6detail17trampoline_kernelINS0_14default_configENS1_35adjacent_difference_config_selectorILb0EsEEZNS1_24adjacent_difference_implIS3_Lb0ELb0EPsS7_N6thrust23THRUST_200600_302600_NS4plusIsEEEE10hipError_tPvRmT2_T3_mT4_P12ihipStream_tbEUlT_E_NS1_11comp_targetILNS1_3genE3ELNS1_11target_archE908ELNS1_3gpuE7ELNS1_3repE0EEENS1_30default_config_static_selectorELNS0_4arch9wavefront6targetE1EEEvT1_,"axG",@progbits,_ZN7rocprim17ROCPRIM_400000_NS6detail17trampoline_kernelINS0_14default_configENS1_35adjacent_difference_config_selectorILb0EsEEZNS1_24adjacent_difference_implIS3_Lb0ELb0EPsS7_N6thrust23THRUST_200600_302600_NS4plusIsEEEE10hipError_tPvRmT2_T3_mT4_P12ihipStream_tbEUlT_E_NS1_11comp_targetILNS1_3genE3ELNS1_11target_archE908ELNS1_3gpuE7ELNS1_3repE0EEENS1_30default_config_static_selectorELNS0_4arch9wavefront6targetE1EEEvT1_,comdat
.Lfunc_end387:
	.size	_ZN7rocprim17ROCPRIM_400000_NS6detail17trampoline_kernelINS0_14default_configENS1_35adjacent_difference_config_selectorILb0EsEEZNS1_24adjacent_difference_implIS3_Lb0ELb0EPsS7_N6thrust23THRUST_200600_302600_NS4plusIsEEEE10hipError_tPvRmT2_T3_mT4_P12ihipStream_tbEUlT_E_NS1_11comp_targetILNS1_3genE3ELNS1_11target_archE908ELNS1_3gpuE7ELNS1_3repE0EEENS1_30default_config_static_selectorELNS0_4arch9wavefront6targetE1EEEvT1_, .Lfunc_end387-_ZN7rocprim17ROCPRIM_400000_NS6detail17trampoline_kernelINS0_14default_configENS1_35adjacent_difference_config_selectorILb0EsEEZNS1_24adjacent_difference_implIS3_Lb0ELb0EPsS7_N6thrust23THRUST_200600_302600_NS4plusIsEEEE10hipError_tPvRmT2_T3_mT4_P12ihipStream_tbEUlT_E_NS1_11comp_targetILNS1_3genE3ELNS1_11target_archE908ELNS1_3gpuE7ELNS1_3repE0EEENS1_30default_config_static_selectorELNS0_4arch9wavefront6targetE1EEEvT1_
                                        ; -- End function
	.set _ZN7rocprim17ROCPRIM_400000_NS6detail17trampoline_kernelINS0_14default_configENS1_35adjacent_difference_config_selectorILb0EsEEZNS1_24adjacent_difference_implIS3_Lb0ELb0EPsS7_N6thrust23THRUST_200600_302600_NS4plusIsEEEE10hipError_tPvRmT2_T3_mT4_P12ihipStream_tbEUlT_E_NS1_11comp_targetILNS1_3genE3ELNS1_11target_archE908ELNS1_3gpuE7ELNS1_3repE0EEENS1_30default_config_static_selectorELNS0_4arch9wavefront6targetE1EEEvT1_.num_vgpr, 0
	.set _ZN7rocprim17ROCPRIM_400000_NS6detail17trampoline_kernelINS0_14default_configENS1_35adjacent_difference_config_selectorILb0EsEEZNS1_24adjacent_difference_implIS3_Lb0ELb0EPsS7_N6thrust23THRUST_200600_302600_NS4plusIsEEEE10hipError_tPvRmT2_T3_mT4_P12ihipStream_tbEUlT_E_NS1_11comp_targetILNS1_3genE3ELNS1_11target_archE908ELNS1_3gpuE7ELNS1_3repE0EEENS1_30default_config_static_selectorELNS0_4arch9wavefront6targetE1EEEvT1_.num_agpr, 0
	.set _ZN7rocprim17ROCPRIM_400000_NS6detail17trampoline_kernelINS0_14default_configENS1_35adjacent_difference_config_selectorILb0EsEEZNS1_24adjacent_difference_implIS3_Lb0ELb0EPsS7_N6thrust23THRUST_200600_302600_NS4plusIsEEEE10hipError_tPvRmT2_T3_mT4_P12ihipStream_tbEUlT_E_NS1_11comp_targetILNS1_3genE3ELNS1_11target_archE908ELNS1_3gpuE7ELNS1_3repE0EEENS1_30default_config_static_selectorELNS0_4arch9wavefront6targetE1EEEvT1_.numbered_sgpr, 0
	.set _ZN7rocprim17ROCPRIM_400000_NS6detail17trampoline_kernelINS0_14default_configENS1_35adjacent_difference_config_selectorILb0EsEEZNS1_24adjacent_difference_implIS3_Lb0ELb0EPsS7_N6thrust23THRUST_200600_302600_NS4plusIsEEEE10hipError_tPvRmT2_T3_mT4_P12ihipStream_tbEUlT_E_NS1_11comp_targetILNS1_3genE3ELNS1_11target_archE908ELNS1_3gpuE7ELNS1_3repE0EEENS1_30default_config_static_selectorELNS0_4arch9wavefront6targetE1EEEvT1_.num_named_barrier, 0
	.set _ZN7rocprim17ROCPRIM_400000_NS6detail17trampoline_kernelINS0_14default_configENS1_35adjacent_difference_config_selectorILb0EsEEZNS1_24adjacent_difference_implIS3_Lb0ELb0EPsS7_N6thrust23THRUST_200600_302600_NS4plusIsEEEE10hipError_tPvRmT2_T3_mT4_P12ihipStream_tbEUlT_E_NS1_11comp_targetILNS1_3genE3ELNS1_11target_archE908ELNS1_3gpuE7ELNS1_3repE0EEENS1_30default_config_static_selectorELNS0_4arch9wavefront6targetE1EEEvT1_.private_seg_size, 0
	.set _ZN7rocprim17ROCPRIM_400000_NS6detail17trampoline_kernelINS0_14default_configENS1_35adjacent_difference_config_selectorILb0EsEEZNS1_24adjacent_difference_implIS3_Lb0ELb0EPsS7_N6thrust23THRUST_200600_302600_NS4plusIsEEEE10hipError_tPvRmT2_T3_mT4_P12ihipStream_tbEUlT_E_NS1_11comp_targetILNS1_3genE3ELNS1_11target_archE908ELNS1_3gpuE7ELNS1_3repE0EEENS1_30default_config_static_selectorELNS0_4arch9wavefront6targetE1EEEvT1_.uses_vcc, 0
	.set _ZN7rocprim17ROCPRIM_400000_NS6detail17trampoline_kernelINS0_14default_configENS1_35adjacent_difference_config_selectorILb0EsEEZNS1_24adjacent_difference_implIS3_Lb0ELb0EPsS7_N6thrust23THRUST_200600_302600_NS4plusIsEEEE10hipError_tPvRmT2_T3_mT4_P12ihipStream_tbEUlT_E_NS1_11comp_targetILNS1_3genE3ELNS1_11target_archE908ELNS1_3gpuE7ELNS1_3repE0EEENS1_30default_config_static_selectorELNS0_4arch9wavefront6targetE1EEEvT1_.uses_flat_scratch, 0
	.set _ZN7rocprim17ROCPRIM_400000_NS6detail17trampoline_kernelINS0_14default_configENS1_35adjacent_difference_config_selectorILb0EsEEZNS1_24adjacent_difference_implIS3_Lb0ELb0EPsS7_N6thrust23THRUST_200600_302600_NS4plusIsEEEE10hipError_tPvRmT2_T3_mT4_P12ihipStream_tbEUlT_E_NS1_11comp_targetILNS1_3genE3ELNS1_11target_archE908ELNS1_3gpuE7ELNS1_3repE0EEENS1_30default_config_static_selectorELNS0_4arch9wavefront6targetE1EEEvT1_.has_dyn_sized_stack, 0
	.set _ZN7rocprim17ROCPRIM_400000_NS6detail17trampoline_kernelINS0_14default_configENS1_35adjacent_difference_config_selectorILb0EsEEZNS1_24adjacent_difference_implIS3_Lb0ELb0EPsS7_N6thrust23THRUST_200600_302600_NS4plusIsEEEE10hipError_tPvRmT2_T3_mT4_P12ihipStream_tbEUlT_E_NS1_11comp_targetILNS1_3genE3ELNS1_11target_archE908ELNS1_3gpuE7ELNS1_3repE0EEENS1_30default_config_static_selectorELNS0_4arch9wavefront6targetE1EEEvT1_.has_recursion, 0
	.set _ZN7rocprim17ROCPRIM_400000_NS6detail17trampoline_kernelINS0_14default_configENS1_35adjacent_difference_config_selectorILb0EsEEZNS1_24adjacent_difference_implIS3_Lb0ELb0EPsS7_N6thrust23THRUST_200600_302600_NS4plusIsEEEE10hipError_tPvRmT2_T3_mT4_P12ihipStream_tbEUlT_E_NS1_11comp_targetILNS1_3genE3ELNS1_11target_archE908ELNS1_3gpuE7ELNS1_3repE0EEENS1_30default_config_static_selectorELNS0_4arch9wavefront6targetE1EEEvT1_.has_indirect_call, 0
	.section	.AMDGPU.csdata,"",@progbits
; Kernel info:
; codeLenInByte = 0
; TotalNumSgprs: 4
; NumVgprs: 0
; ScratchSize: 0
; MemoryBound: 0
; FloatMode: 240
; IeeeMode: 1
; LDSByteSize: 0 bytes/workgroup (compile time only)
; SGPRBlocks: 0
; VGPRBlocks: 0
; NumSGPRsForWavesPerEU: 4
; NumVGPRsForWavesPerEU: 1
; Occupancy: 10
; WaveLimiterHint : 0
; COMPUTE_PGM_RSRC2:SCRATCH_EN: 0
; COMPUTE_PGM_RSRC2:USER_SGPR: 6
; COMPUTE_PGM_RSRC2:TRAP_HANDLER: 0
; COMPUTE_PGM_RSRC2:TGID_X_EN: 1
; COMPUTE_PGM_RSRC2:TGID_Y_EN: 0
; COMPUTE_PGM_RSRC2:TGID_Z_EN: 0
; COMPUTE_PGM_RSRC2:TIDIG_COMP_CNT: 0
	.section	.text._ZN7rocprim17ROCPRIM_400000_NS6detail17trampoline_kernelINS0_14default_configENS1_35adjacent_difference_config_selectorILb0EsEEZNS1_24adjacent_difference_implIS3_Lb0ELb0EPsS7_N6thrust23THRUST_200600_302600_NS4plusIsEEEE10hipError_tPvRmT2_T3_mT4_P12ihipStream_tbEUlT_E_NS1_11comp_targetILNS1_3genE2ELNS1_11target_archE906ELNS1_3gpuE6ELNS1_3repE0EEENS1_30default_config_static_selectorELNS0_4arch9wavefront6targetE1EEEvT1_,"axG",@progbits,_ZN7rocprim17ROCPRIM_400000_NS6detail17trampoline_kernelINS0_14default_configENS1_35adjacent_difference_config_selectorILb0EsEEZNS1_24adjacent_difference_implIS3_Lb0ELb0EPsS7_N6thrust23THRUST_200600_302600_NS4plusIsEEEE10hipError_tPvRmT2_T3_mT4_P12ihipStream_tbEUlT_E_NS1_11comp_targetILNS1_3genE2ELNS1_11target_archE906ELNS1_3gpuE6ELNS1_3repE0EEENS1_30default_config_static_selectorELNS0_4arch9wavefront6targetE1EEEvT1_,comdat
	.protected	_ZN7rocprim17ROCPRIM_400000_NS6detail17trampoline_kernelINS0_14default_configENS1_35adjacent_difference_config_selectorILb0EsEEZNS1_24adjacent_difference_implIS3_Lb0ELb0EPsS7_N6thrust23THRUST_200600_302600_NS4plusIsEEEE10hipError_tPvRmT2_T3_mT4_P12ihipStream_tbEUlT_E_NS1_11comp_targetILNS1_3genE2ELNS1_11target_archE906ELNS1_3gpuE6ELNS1_3repE0EEENS1_30default_config_static_selectorELNS0_4arch9wavefront6targetE1EEEvT1_ ; -- Begin function _ZN7rocprim17ROCPRIM_400000_NS6detail17trampoline_kernelINS0_14default_configENS1_35adjacent_difference_config_selectorILb0EsEEZNS1_24adjacent_difference_implIS3_Lb0ELb0EPsS7_N6thrust23THRUST_200600_302600_NS4plusIsEEEE10hipError_tPvRmT2_T3_mT4_P12ihipStream_tbEUlT_E_NS1_11comp_targetILNS1_3genE2ELNS1_11target_archE906ELNS1_3gpuE6ELNS1_3repE0EEENS1_30default_config_static_selectorELNS0_4arch9wavefront6targetE1EEEvT1_
	.globl	_ZN7rocprim17ROCPRIM_400000_NS6detail17trampoline_kernelINS0_14default_configENS1_35adjacent_difference_config_selectorILb0EsEEZNS1_24adjacent_difference_implIS3_Lb0ELb0EPsS7_N6thrust23THRUST_200600_302600_NS4plusIsEEEE10hipError_tPvRmT2_T3_mT4_P12ihipStream_tbEUlT_E_NS1_11comp_targetILNS1_3genE2ELNS1_11target_archE906ELNS1_3gpuE6ELNS1_3repE0EEENS1_30default_config_static_selectorELNS0_4arch9wavefront6targetE1EEEvT1_
	.p2align	8
	.type	_ZN7rocprim17ROCPRIM_400000_NS6detail17trampoline_kernelINS0_14default_configENS1_35adjacent_difference_config_selectorILb0EsEEZNS1_24adjacent_difference_implIS3_Lb0ELb0EPsS7_N6thrust23THRUST_200600_302600_NS4plusIsEEEE10hipError_tPvRmT2_T3_mT4_P12ihipStream_tbEUlT_E_NS1_11comp_targetILNS1_3genE2ELNS1_11target_archE906ELNS1_3gpuE6ELNS1_3repE0EEENS1_30default_config_static_selectorELNS0_4arch9wavefront6targetE1EEEvT1_,@function
_ZN7rocprim17ROCPRIM_400000_NS6detail17trampoline_kernelINS0_14default_configENS1_35adjacent_difference_config_selectorILb0EsEEZNS1_24adjacent_difference_implIS3_Lb0ELb0EPsS7_N6thrust23THRUST_200600_302600_NS4plusIsEEEE10hipError_tPvRmT2_T3_mT4_P12ihipStream_tbEUlT_E_NS1_11comp_targetILNS1_3genE2ELNS1_11target_archE906ELNS1_3gpuE6ELNS1_3repE0EEENS1_30default_config_static_selectorELNS0_4arch9wavefront6targetE1EEEvT1_: ; @_ZN7rocprim17ROCPRIM_400000_NS6detail17trampoline_kernelINS0_14default_configENS1_35adjacent_difference_config_selectorILb0EsEEZNS1_24adjacent_difference_implIS3_Lb0ELb0EPsS7_N6thrust23THRUST_200600_302600_NS4plusIsEEEE10hipError_tPvRmT2_T3_mT4_P12ihipStream_tbEUlT_E_NS1_11comp_targetILNS1_3genE2ELNS1_11target_archE906ELNS1_3gpuE6ELNS1_3repE0EEENS1_30default_config_static_selectorELNS0_4arch9wavefront6targetE1EEEvT1_
; %bb.0:
	s_load_dwordx8 s[8:15], s[4:5], 0x0
	s_load_dwordx2 s[0:1], s[4:5], 0x30
	s_mul_i32 s16, s6, 0x1c0
	s_mov_b32 s17, 0
	s_waitcnt lgkmcnt(0)
	s_lshl_b64 s[10:11], s[10:11], 1
	s_add_u32 s20, s8, s10
	s_addc_u32 s21, s9, s11
	s_lshr_b64 s[2:3], s[14:15], 6
	s_lshr_b32 s5, s15, 6
	s_mul_hi_u32 s3, s2, 0x24924924
	s_mul_i32 s4, s2, 0x24924924
	s_mul_i32 s8, s5, 0x92492493
	s_mul_hi_u32 s2, s2, 0x92492493
	s_mul_hi_u32 s7, s5, 0x92492493
	s_add_u32 s2, s8, s2
	s_addc_u32 s7, s7, 0
	s_add_u32 s2, s4, s2
	s_addc_u32 s2, s3, 0
	;; [unrolled: 2-line block ×3, first 2 shown]
	s_mul_hi_u32 s4, s5, 0x24924924
	s_mul_i32 s5, s5, 0x24924924
	s_add_u32 s5, s5, s2
	s_addc_u32 s4, s4, s3
	s_mul_i32 s2, s4, 0x1c0
	s_mul_hi_u32 s3, s5, 0x1c0
	s_add_i32 s3, s3, s2
	s_mul_i32 s2, s5, 0x1c0
	s_sub_u32 s2, s14, s2
	s_subb_u32 s3, s15, s3
	s_cmp_lg_u64 s[2:3], 0
	s_cselect_b64 s[2:3], -1, 0
	v_cndmask_b32_e64 v1, 0, 1, s[2:3]
	v_readfirstlane_b32 s2, v1
	s_add_u32 s2, s5, s2
	s_addc_u32 s3, s4, 0
	s_add_u32 s4, s0, s6
	s_addc_u32 s5, s1, 0
	s_add_u32 s6, s2, -1
	s_addc_u32 s7, s3, -1
	v_mov_b32_e32 v1, s6
	v_mov_b32_e32 v2, s7
	v_cmp_ge_u64_e64 s[0:1], s[4:5], v[1:2]
	s_mov_b64 s[8:9], -1
	s_and_b64 vcc, exec, s[0:1]
	s_mul_i32 s15, s6, 0xfffffe40
	s_cbranch_vccz .LBB388_16
; %bb.1:
	s_add_i32 s22, s15, s14
	s_lshl_b64 s[8:9], s[16:17], 1
	s_add_u32 s8, s20, s8
	v_mov_b32_e32 v1, 0
	s_addc_u32 s9, s21, s9
	v_cmp_gt_u32_e32 vcc, s22, v0
	v_mov_b32_e32 v2, v1
	v_mov_b32_e32 v3, v1
	;; [unrolled: 1-line block ×3, first 2 shown]
	s_and_saveexec_b64 s[18:19], vcc
	s_cbranch_execz .LBB388_3
; %bb.2:
	v_lshlrev_b32_e32 v2, 1, v0
	global_load_ushort v2, v2, s[8:9]
	v_mov_b32_e32 v3, v1
	v_mov_b32_e32 v4, v1
	;; [unrolled: 1-line block ×3, first 2 shown]
	s_waitcnt vmcnt(0)
	v_and_b32_e32 v2, 0xffff, v2
	v_mov_b32_e32 v1, v2
	v_mov_b32_e32 v2, v3
	;; [unrolled: 1-line block ×4, first 2 shown]
.LBB388_3:
	s_or_b64 exec, exec, s[18:19]
	v_or_b32_e32 v5, 64, v0
	v_cmp_gt_u32_e32 vcc, s22, v5
	s_and_saveexec_b64 s[18:19], vcc
	s_cbranch_execz .LBB388_5
; %bb.4:
	v_lshlrev_b32_e32 v5, 1, v0
	global_load_ushort v5, v5, s[8:9] offset:128
	s_mov_b32 s17, 0x5040100
	s_waitcnt vmcnt(0)
	v_perm_b32 v1, v5, v1, s17
.LBB388_5:
	s_or_b64 exec, exec, s[18:19]
	v_or_b32_e32 v5, 0x80, v0
	v_cmp_gt_u32_e32 vcc, s22, v5
	s_and_saveexec_b64 s[18:19], vcc
	s_cbranch_execz .LBB388_7
; %bb.6:
	v_lshlrev_b32_e32 v5, 1, v0
	global_load_ushort v5, v5, s[8:9] offset:256
	s_mov_b32 s17, 0xffff
	s_waitcnt vmcnt(0)
	v_bfi_b32 v2, s17, v5, v2
.LBB388_7:
	s_or_b64 exec, exec, s[18:19]
	v_or_b32_e32 v5, 0xc0, v0
	v_cmp_gt_u32_e32 vcc, s22, v5
	s_and_saveexec_b64 s[18:19], vcc
	s_cbranch_execz .LBB388_9
; %bb.8:
	v_lshlrev_b32_e32 v5, 1, v0
	global_load_ushort v5, v5, s[8:9] offset:384
	s_mov_b32 s17, 0x5040100
	s_waitcnt vmcnt(0)
	v_perm_b32 v2, v5, v2, s17
.LBB388_9:
	s_or_b64 exec, exec, s[18:19]
	v_or_b32_e32 v5, 0x100, v0
	v_cmp_gt_u32_e32 vcc, s22, v5
	s_and_saveexec_b64 s[18:19], vcc
	s_cbranch_execz .LBB388_11
; %bb.10:
	v_lshlrev_b32_e32 v5, 1, v0
	global_load_ushort v5, v5, s[8:9] offset:512
	s_mov_b32 s17, 0xffff
	s_waitcnt vmcnt(0)
	v_bfi_b32 v3, s17, v5, v3
.LBB388_11:
	s_or_b64 exec, exec, s[18:19]
	v_or_b32_e32 v5, 0x140, v0
	v_cmp_gt_u32_e32 vcc, s22, v5
	s_and_saveexec_b64 s[18:19], vcc
	s_cbranch_execz .LBB388_13
; %bb.12:
	v_lshlrev_b32_e32 v5, 1, v0
	global_load_ushort v5, v5, s[8:9] offset:640
	s_mov_b32 s17, 0x5040100
	s_waitcnt vmcnt(0)
	v_perm_b32 v3, v5, v3, s17
.LBB388_13:
	s_or_b64 exec, exec, s[18:19]
	v_or_b32_e32 v5, 0x180, v0
	v_cmp_gt_u32_e32 vcc, s22, v5
	s_and_saveexec_b64 s[18:19], vcc
	s_cbranch_execz .LBB388_15
; %bb.14:
	v_lshlrev_b32_e32 v4, 1, v0
	global_load_ushort v4, v4, s[8:9] offset:768
.LBB388_15:
	s_or_b64 exec, exec, s[18:19]
	v_lshlrev_b32_e32 v5, 1, v0
	s_mov_b64 s[8:9], 0
	ds_write_b16 v5, v1
	ds_write_b16_d16_hi v5, v1 offset:128
	ds_write_b16 v5, v2 offset:256
	ds_write_b16_d16_hi v5, v2 offset:384
	ds_write_b16 v5, v3 offset:512
	ds_write_b16_d16_hi v5, v3 offset:640
	s_waitcnt vmcnt(0)
	ds_write_b16 v5, v4 offset:768
	s_waitcnt lgkmcnt(0)
	; wave barrier
.LBB388_16:
	s_and_b64 vcc, exec, s[8:9]
	v_lshlrev_b32_e32 v7, 1, v0
	s_cbranch_vccz .LBB388_18
; %bb.17:
	s_mov_b32 s17, 0
	s_lshl_b64 s[8:9], s[16:17], 1
	s_add_u32 s8, s20, s8
	s_addc_u32 s9, s21, s9
	global_load_ushort v1, v7, s[8:9]
	global_load_ushort v2, v7, s[8:9] offset:128
	global_load_ushort v3, v7, s[8:9] offset:256
	;; [unrolled: 1-line block ×6, first 2 shown]
	s_waitcnt vmcnt(6)
	ds_write_b16 v7, v1
	s_waitcnt vmcnt(5)
	ds_write_b16 v7, v2 offset:128
	s_waitcnt vmcnt(4)
	ds_write_b16 v7, v3 offset:256
	;; [unrolled: 2-line block ×6, first 2 shown]
	s_waitcnt lgkmcnt(0)
	; wave barrier
.LBB388_18:
	v_mul_u32_u24_e32 v8, 14, v0
	ds_read_b96 v[4:6], v8 offset:2
	ds_read_b32 v9, v8
	s_cmp_eq_u64 s[4:5], 0
	s_waitcnt lgkmcnt(0)
	; wave barrier
	v_lshrrev_b32_e32 v11, 16, v4
	v_lshrrev_b32_e32 v12, 16, v5
	;; [unrolled: 1-line block ×3, first 2 shown]
	s_cbranch_scc1 .LBB388_23
; %bb.19:
	s_mov_b32 s17, 0
	s_lshl_b64 s[8:9], s[16:17], 1
	s_add_u32 s8, s20, s8
	s_addc_u32 s9, s21, s9
	v_mov_b32_e32 v1, 0
	global_load_ushort v15, v1, s[8:9] offset:-2
	s_cmp_eq_u64 s[4:5], s[6:7]
	s_cbranch_scc1 .LBB388_24
; %bb.20:
	v_alignbit_b32 v1, v6, v5, 16
	v_pk_add_u16 v10, v6, v1
	v_alignbit_b32 v1, v5, v4, 16
	s_mov_b32 s5, 0xffff
	v_pk_add_u16 v3, v5, v1
	v_bfi_b32 v1, s5, v9, v4
	v_pk_add_u16 v2, v4, v1 op_sel_hi:[0,1]
	v_cmp_ne_u32_e32 vcc, 0, v0
	s_waitcnt vmcnt(0)
	v_mov_b32_e32 v14, v15
	ds_write_b16 v7, v13
	s_waitcnt lgkmcnt(0)
	; wave barrier
	s_and_saveexec_b64 s[6:7], vcc
; %bb.21:
	v_add_u32_e32 v1, -2, v7
	ds_read_u16 v14, v1
; %bb.22:
	s_or_b64 exec, exec, s[6:7]
	v_lshlrev_b32_e32 v1, 16, v2
	v_alignbit_b32 v2, v3, v2, 16
	v_alignbit_b32 v3, v10, v3, 16
	v_lshrrev_b32_e32 v10, 16, v10
	s_cbranch_execz .LBB388_25
	s_branch .LBB388_28
.LBB388_23:
	s_mov_b64 s[18:19], 0
                                        ; implicit-def: $vgpr3
                                        ; implicit-def: $vgpr14
                                        ; implicit-def: $vgpr10
	s_branch .LBB388_29
.LBB388_24:
                                        ; implicit-def: $vgpr10
                                        ; implicit-def: $vgpr3
                                        ; implicit-def: $vgpr14
.LBB388_25:
	s_waitcnt lgkmcnt(0)
	v_mul_u32_u24_e32 v14, 7, v0
	v_cmp_ne_u32_e32 vcc, 0, v0
	ds_write_b16 v7, v13
	s_waitcnt lgkmcnt(0)
	; wave barrier
	s_and_saveexec_b64 s[6:7], vcc
	s_cbranch_execz .LBB388_27
; %bb.26:
	v_add_u32_e32 v1, -2, v7
	s_waitcnt vmcnt(0)
	ds_read_u16 v15, v1
.LBB388_27:
	s_or_b64 exec, exec, s[6:7]
	s_mulk_i32 s4, 0xfe40
	s_add_i32 s4, s4, s14
	v_add_u32_e32 v1, 6, v14
	v_alignbit_b32 v3, s0, v6, 16
	v_alignbit_b32 v2, s0, v6, 16
	v_pk_add_u16 v3, v3, v6
	v_cmp_gt_u32_e32 vcc, s4, v1
	v_cndmask_b32_e32 v10, v2, v3, vcc
	v_alignbit_b32 v3, s0, v5, 16
	v_add_u32_e32 v1, 5, v14
	v_pk_add_u16 v16, v6, v3
	v_lshlrev_b32_e32 v2, 16, v6
	v_lshlrev_b32_e32 v16, 16, v16
	v_cmp_gt_u32_e32 vcc, s4, v1
	v_cndmask_b32_e32 v1, v2, v16, vcc
	v_add_u32_e32 v2, 4, v14
	s_mov_b32 s5, 0xffff
	v_pk_add_u16 v3, v3, v5
	v_bfi_b32 v16, s5, v12, v1
	v_bfi_b32 v1, s5, v3, v1
	v_cmp_gt_u32_e32 vcc, s4, v2
	v_cndmask_b32_e32 v3, v16, v1, vcc
	v_alignbit_b32 v16, s0, v4, 16
	v_add_u32_e32 v1, 3, v14
	v_pk_add_u16 v17, v5, v16
	v_lshlrev_b32_e32 v2, 16, v5
	v_lshlrev_b32_e32 v17, 16, v17
	v_cmp_gt_u32_e32 vcc, s4, v1
	v_cndmask_b32_e32 v1, v2, v17, vcc
	v_add_u32_e32 v2, 2, v14
	v_pk_add_u16 v16, v16, v4
	v_bfi_b32 v17, s5, v11, v1
	v_bfi_b32 v1, s5, v16, v1
	v_cmp_gt_u32_e32 vcc, s4, v2
	v_cndmask_b32_e32 v2, v17, v1, vcc
	v_add_u32_e32 v1, 1, v14
	s_mov_b32 s5, 0x5040100
	v_pk_add_u16 v17, v4, v9
	v_perm_b32 v16, v4, 0, s5
	v_perm_b32 v17, v17, 0, s5
	v_cmp_gt_u32_e32 vcc, s4, v1
	v_cndmask_b32_e32 v1, v16, v17, vcc
	v_cmp_gt_u32_e32 vcc, s4, v14
	s_waitcnt vmcnt(0) lgkmcnt(0)
	v_cndmask_b32_e32 v14, 0, v15, vcc
.LBB388_28:
	s_mov_b64 s[18:19], -1
	s_cbranch_execnz .LBB388_37
.LBB388_29:
	s_cmp_lg_u64 s[2:3], 1
	s_waitcnt vmcnt(0)
	v_pk_add_u16 v15, v4, v9
	v_cmp_ne_u32_e32 vcc, 0, v0
	s_cbranch_scc0 .LBB388_33
; %bb.30:
	v_alignbit_b32 v1, v6, v5, 16
	v_pk_add_u16 v10, v6, v1
	v_alignbit_b32 v1, v5, v4, 16
	v_pk_add_u16 v3, v5, v1
	s_mov_b32 s4, 0x5040100
	ds_write_b16 v7, v13
	s_waitcnt lgkmcnt(0)
	; wave barrier
                                        ; implicit-def: $vgpr14
	s_and_saveexec_b64 s[2:3], vcc
; %bb.31:
	v_add_u32_e32 v1, -2, v7
	ds_read_u16 v14, v1
	s_or_b64 s[18:19], s[18:19], exec
; %bb.32:
	s_or_b64 exec, exec, s[2:3]
	v_perm_b32 v1, v15, v9, s4
	v_alignbit_b32 v2, v3, v15, 16
	v_alignbit_b32 v3, v10, v3, 16
	v_lshrrev_b32_e32 v10, 16, v10
	s_branch .LBB388_37
.LBB388_33:
                                        ; implicit-def: $vgpr10
                                        ; implicit-def: $vgpr3
                                        ; implicit-def: $vgpr14
	s_cbranch_execz .LBB388_37
; %bb.34:
	v_mul_u32_u24_e32 v10, 7, v0
	v_add_u32_e32 v2, 6, v10
	v_cmp_gt_u32_e32 vcc, s14, v2
	v_alignbit_b32 v2, s0, v6, 16
	s_waitcnt lgkmcnt(0)
	v_alignbit_b32 v14, s0, v5, 16
	ds_write_b16 v7, v13
	v_alignbit_b32 v1, s0, v6, 16
	v_pk_add_u16 v2, v2, v6
	v_add_u32_e32 v3, 5, v10
	v_lshlrev_b32_e32 v13, 16, v6
	v_pk_add_u16 v6, v6, v14
	v_lshlrev_b32_e32 v6, 16, v6
	v_cmp_gt_u32_e64 s[2:3], s14, v3
	v_cndmask_b32_e64 v6, v13, v6, s[2:3]
	s_mov_b32 s17, 0xffff
	v_add_u32_e32 v13, 4, v10
	v_bfi_b32 v3, s17, v12, v6
	v_pk_add_u16 v12, v14, v5
	v_alignbit_b32 v14, s0, v4, 16
	v_cmp_gt_u32_e64 s[2:3], s14, v13
	v_bfi_b32 v6, s17, v12, v6
	v_add_u32_e32 v12, 3, v10
	v_lshlrev_b32_e32 v13, 16, v5
	v_pk_add_u16 v5, v5, v14
	v_lshlrev_b32_e32 v5, 16, v5
	v_cmp_gt_u32_e64 s[4:5], s14, v12
	v_cndmask_b32_e64 v12, v13, v5, s[4:5]
	v_bfi_b32 v5, s17, v11, v12
	v_pk_add_u16 v11, v14, v4
	v_add_u32_e32 v13, 2, v10
	v_bfi_b32 v11, s17, v11, v12
	v_add_u32_e32 v12, 1, v10
	s_mov_b32 s6, 0x5040100
	v_cmp_gt_u32_e64 s[4:5], s14, v13
	v_perm_b32 v4, v4, 0, s6
	v_lshlrev_b32_e32 v13, 16, v15
	v_cmp_gt_u32_e64 s[6:7], s14, v12
	v_cndmask_b32_e64 v4, v4, v13, s[6:7]
	v_cmp_ne_u32_e64 s[6:7], 0, v0
	v_cmp_gt_u32_e64 s[8:9], s14, v10
	s_and_b64 s[8:9], s[6:7], s[8:9]
	s_waitcnt lgkmcnt(0)
	; wave barrier
                                        ; implicit-def: $vgpr14
	s_and_saveexec_b64 s[6:7], s[8:9]
; %bb.35:
	v_add_u32_e32 v10, -2, v7
	ds_read_u16 v14, v10
	s_or_b64 s[18:19], s[18:19], exec
; %bb.36:
	s_or_b64 exec, exec, s[6:7]
	v_cndmask_b32_e32 v10, v1, v2, vcc
	v_cndmask_b32_e64 v3, v3, v6, s[2:3]
	v_cndmask_b32_e64 v2, v5, v11, s[4:5]
	v_bfi_b32 v1, s17, v9, v4
.LBB388_37:
	s_and_saveexec_b64 s[2:3], s[18:19]
	s_cbranch_execz .LBB388_39
; %bb.38:
	s_waitcnt lgkmcnt(0)
	v_add_u16_e32 v4, v14, v9
	s_mov_b32 s4, 0xffff
	v_bfi_b32 v1, s4, v4, v1
.LBB388_39:
	s_or_b64 exec, exec, s[2:3]
	s_add_u32 s4, s12, s10
	s_addc_u32 s5, s13, s11
	s_and_b64 vcc, exec, s[0:1]
	v_mul_i32_i24_e32 v6, -12, v0
	s_waitcnt lgkmcnt(0)
	; wave barrier
	s_cbranch_vccz .LBB388_53
; %bb.40:
	v_mad_u32_u24 v4, v0, 14, v6
	ds_write_b96 v8, v[1:3]
	ds_write_b16 v8, v10 offset:12
	s_waitcnt vmcnt(0) lgkmcnt(0)
	; wave barrier
	ds_read_u16 v15, v4 offset:128
	ds_read_u16 v14, v4 offset:256
	;; [unrolled: 1-line block ×6, first 2 shown]
	s_mov_b32 s17, 0
	s_add_i32 s15, s15, s14
	s_lshl_b64 s[0:1], s[16:17], 1
	s_add_u32 s0, s4, s0
	s_addc_u32 s1, s5, s1
	v_mov_b32_e32 v5, s1
	v_add_co_u32_e32 v4, vcc, s0, v7
	v_addc_co_u32_e32 v5, vcc, 0, v5, vcc
	v_cmp_gt_u32_e32 vcc, s15, v0
	s_and_saveexec_b64 s[0:1], vcc
	s_cbranch_execz .LBB388_42
; %bb.41:
	v_add_u32_e32 v16, v8, v6
	ds_read_u16 v16, v16
	s_waitcnt lgkmcnt(0)
	global_store_short v[4:5], v16, off
.LBB388_42:
	s_or_b64 exec, exec, s[0:1]
	v_or_b32_e32 v16, 64, v0
	v_cmp_gt_u32_e32 vcc, s15, v16
	s_and_saveexec_b64 s[0:1], vcc
	s_cbranch_execz .LBB388_44
; %bb.43:
	s_waitcnt lgkmcnt(5)
	global_store_short v[4:5], v15, off offset:128
.LBB388_44:
	s_or_b64 exec, exec, s[0:1]
	s_waitcnt lgkmcnt(5)
	v_or_b32_e32 v15, 0x80, v0
	v_cmp_gt_u32_e32 vcc, s15, v15
	s_and_saveexec_b64 s[0:1], vcc
	s_cbranch_execz .LBB388_46
; %bb.45:
	s_waitcnt lgkmcnt(4)
	global_store_short v[4:5], v14, off offset:256
.LBB388_46:
	s_or_b64 exec, exec, s[0:1]
	s_waitcnt lgkmcnt(4)
	;; [unrolled: 10-line block ×5, first 2 shown]
	v_or_b32_e32 v11, 0x180, v0
	v_cmp_gt_u32_e64 s[0:1], s15, v11
	s_branch .LBB388_55
.LBB388_53:
	s_mov_b64 s[0:1], 0
                                        ; implicit-def: $vgpr9
                                        ; implicit-def: $vgpr4_vgpr5
	s_cbranch_execz .LBB388_55
; %bb.54:
	s_mov_b32 s17, 0
	s_lshl_b64 s[2:3], s[16:17], 1
	v_mad_u32_u24 v0, v0, 14, v6
	s_add_u32 s2, s4, s2
	ds_write_b96 v8, v[1:3]
	ds_write_b16 v8, v10 offset:12
	s_waitcnt lgkmcnt(0)
	; wave barrier
	ds_read_u16 v1, v0
	ds_read_u16 v2, v0 offset:128
	ds_read_u16 v3, v0 offset:256
	;; [unrolled: 1-line block ×6, first 2 shown]
	s_addc_u32 s3, s5, s3
	v_mov_b32_e32 v0, s3
	v_add_co_u32_e32 v4, vcc, s2, v7
	v_addc_co_u32_e32 v5, vcc, 0, v0, vcc
	s_or_b64 s[0:1], s[0:1], exec
	s_waitcnt lgkmcnt(6)
	global_store_short v7, v1, s[2:3]
	s_waitcnt lgkmcnt(5)
	global_store_short v7, v2, s[2:3] offset:128
	s_waitcnt lgkmcnt(4)
	global_store_short v7, v3, s[2:3] offset:256
	;; [unrolled: 2-line block ×5, first 2 shown]
.LBB388_55:
	s_and_saveexec_b64 s[2:3], s[0:1]
	s_cbranch_execnz .LBB388_57
; %bb.56:
	s_endpgm
.LBB388_57:
	s_waitcnt lgkmcnt(0)
	global_store_short v[4:5], v9, off offset:768
	s_endpgm
	.section	.rodata,"a",@progbits
	.p2align	6, 0x0
	.amdhsa_kernel _ZN7rocprim17ROCPRIM_400000_NS6detail17trampoline_kernelINS0_14default_configENS1_35adjacent_difference_config_selectorILb0EsEEZNS1_24adjacent_difference_implIS3_Lb0ELb0EPsS7_N6thrust23THRUST_200600_302600_NS4plusIsEEEE10hipError_tPvRmT2_T3_mT4_P12ihipStream_tbEUlT_E_NS1_11comp_targetILNS1_3genE2ELNS1_11target_archE906ELNS1_3gpuE6ELNS1_3repE0EEENS1_30default_config_static_selectorELNS0_4arch9wavefront6targetE1EEEvT1_
		.amdhsa_group_segment_fixed_size 896
		.amdhsa_private_segment_fixed_size 0
		.amdhsa_kernarg_size 56
		.amdhsa_user_sgpr_count 6
		.amdhsa_user_sgpr_private_segment_buffer 1
		.amdhsa_user_sgpr_dispatch_ptr 0
		.amdhsa_user_sgpr_queue_ptr 0
		.amdhsa_user_sgpr_kernarg_segment_ptr 1
		.amdhsa_user_sgpr_dispatch_id 0
		.amdhsa_user_sgpr_flat_scratch_init 0
		.amdhsa_user_sgpr_private_segment_size 0
		.amdhsa_uses_dynamic_stack 0
		.amdhsa_system_sgpr_private_segment_wavefront_offset 0
		.amdhsa_system_sgpr_workgroup_id_x 1
		.amdhsa_system_sgpr_workgroup_id_y 0
		.amdhsa_system_sgpr_workgroup_id_z 0
		.amdhsa_system_sgpr_workgroup_info 0
		.amdhsa_system_vgpr_workitem_id 0
		.amdhsa_next_free_vgpr 18
		.amdhsa_next_free_sgpr 23
		.amdhsa_reserve_vcc 1
		.amdhsa_reserve_flat_scratch 0
		.amdhsa_float_round_mode_32 0
		.amdhsa_float_round_mode_16_64 0
		.amdhsa_float_denorm_mode_32 3
		.amdhsa_float_denorm_mode_16_64 3
		.amdhsa_dx10_clamp 1
		.amdhsa_ieee_mode 1
		.amdhsa_fp16_overflow 0
		.amdhsa_exception_fp_ieee_invalid_op 0
		.amdhsa_exception_fp_denorm_src 0
		.amdhsa_exception_fp_ieee_div_zero 0
		.amdhsa_exception_fp_ieee_overflow 0
		.amdhsa_exception_fp_ieee_underflow 0
		.amdhsa_exception_fp_ieee_inexact 0
		.amdhsa_exception_int_div_zero 0
	.end_amdhsa_kernel
	.section	.text._ZN7rocprim17ROCPRIM_400000_NS6detail17trampoline_kernelINS0_14default_configENS1_35adjacent_difference_config_selectorILb0EsEEZNS1_24adjacent_difference_implIS3_Lb0ELb0EPsS7_N6thrust23THRUST_200600_302600_NS4plusIsEEEE10hipError_tPvRmT2_T3_mT4_P12ihipStream_tbEUlT_E_NS1_11comp_targetILNS1_3genE2ELNS1_11target_archE906ELNS1_3gpuE6ELNS1_3repE0EEENS1_30default_config_static_selectorELNS0_4arch9wavefront6targetE1EEEvT1_,"axG",@progbits,_ZN7rocprim17ROCPRIM_400000_NS6detail17trampoline_kernelINS0_14default_configENS1_35adjacent_difference_config_selectorILb0EsEEZNS1_24adjacent_difference_implIS3_Lb0ELb0EPsS7_N6thrust23THRUST_200600_302600_NS4plusIsEEEE10hipError_tPvRmT2_T3_mT4_P12ihipStream_tbEUlT_E_NS1_11comp_targetILNS1_3genE2ELNS1_11target_archE906ELNS1_3gpuE6ELNS1_3repE0EEENS1_30default_config_static_selectorELNS0_4arch9wavefront6targetE1EEEvT1_,comdat
.Lfunc_end388:
	.size	_ZN7rocprim17ROCPRIM_400000_NS6detail17trampoline_kernelINS0_14default_configENS1_35adjacent_difference_config_selectorILb0EsEEZNS1_24adjacent_difference_implIS3_Lb0ELb0EPsS7_N6thrust23THRUST_200600_302600_NS4plusIsEEEE10hipError_tPvRmT2_T3_mT4_P12ihipStream_tbEUlT_E_NS1_11comp_targetILNS1_3genE2ELNS1_11target_archE906ELNS1_3gpuE6ELNS1_3repE0EEENS1_30default_config_static_selectorELNS0_4arch9wavefront6targetE1EEEvT1_, .Lfunc_end388-_ZN7rocprim17ROCPRIM_400000_NS6detail17trampoline_kernelINS0_14default_configENS1_35adjacent_difference_config_selectorILb0EsEEZNS1_24adjacent_difference_implIS3_Lb0ELb0EPsS7_N6thrust23THRUST_200600_302600_NS4plusIsEEEE10hipError_tPvRmT2_T3_mT4_P12ihipStream_tbEUlT_E_NS1_11comp_targetILNS1_3genE2ELNS1_11target_archE906ELNS1_3gpuE6ELNS1_3repE0EEENS1_30default_config_static_selectorELNS0_4arch9wavefront6targetE1EEEvT1_
                                        ; -- End function
	.set _ZN7rocprim17ROCPRIM_400000_NS6detail17trampoline_kernelINS0_14default_configENS1_35adjacent_difference_config_selectorILb0EsEEZNS1_24adjacent_difference_implIS3_Lb0ELb0EPsS7_N6thrust23THRUST_200600_302600_NS4plusIsEEEE10hipError_tPvRmT2_T3_mT4_P12ihipStream_tbEUlT_E_NS1_11comp_targetILNS1_3genE2ELNS1_11target_archE906ELNS1_3gpuE6ELNS1_3repE0EEENS1_30default_config_static_selectorELNS0_4arch9wavefront6targetE1EEEvT1_.num_vgpr, 18
	.set _ZN7rocprim17ROCPRIM_400000_NS6detail17trampoline_kernelINS0_14default_configENS1_35adjacent_difference_config_selectorILb0EsEEZNS1_24adjacent_difference_implIS3_Lb0ELb0EPsS7_N6thrust23THRUST_200600_302600_NS4plusIsEEEE10hipError_tPvRmT2_T3_mT4_P12ihipStream_tbEUlT_E_NS1_11comp_targetILNS1_3genE2ELNS1_11target_archE906ELNS1_3gpuE6ELNS1_3repE0EEENS1_30default_config_static_selectorELNS0_4arch9wavefront6targetE1EEEvT1_.num_agpr, 0
	.set _ZN7rocprim17ROCPRIM_400000_NS6detail17trampoline_kernelINS0_14default_configENS1_35adjacent_difference_config_selectorILb0EsEEZNS1_24adjacent_difference_implIS3_Lb0ELb0EPsS7_N6thrust23THRUST_200600_302600_NS4plusIsEEEE10hipError_tPvRmT2_T3_mT4_P12ihipStream_tbEUlT_E_NS1_11comp_targetILNS1_3genE2ELNS1_11target_archE906ELNS1_3gpuE6ELNS1_3repE0EEENS1_30default_config_static_selectorELNS0_4arch9wavefront6targetE1EEEvT1_.numbered_sgpr, 23
	.set _ZN7rocprim17ROCPRIM_400000_NS6detail17trampoline_kernelINS0_14default_configENS1_35adjacent_difference_config_selectorILb0EsEEZNS1_24adjacent_difference_implIS3_Lb0ELb0EPsS7_N6thrust23THRUST_200600_302600_NS4plusIsEEEE10hipError_tPvRmT2_T3_mT4_P12ihipStream_tbEUlT_E_NS1_11comp_targetILNS1_3genE2ELNS1_11target_archE906ELNS1_3gpuE6ELNS1_3repE0EEENS1_30default_config_static_selectorELNS0_4arch9wavefront6targetE1EEEvT1_.num_named_barrier, 0
	.set _ZN7rocprim17ROCPRIM_400000_NS6detail17trampoline_kernelINS0_14default_configENS1_35adjacent_difference_config_selectorILb0EsEEZNS1_24adjacent_difference_implIS3_Lb0ELb0EPsS7_N6thrust23THRUST_200600_302600_NS4plusIsEEEE10hipError_tPvRmT2_T3_mT4_P12ihipStream_tbEUlT_E_NS1_11comp_targetILNS1_3genE2ELNS1_11target_archE906ELNS1_3gpuE6ELNS1_3repE0EEENS1_30default_config_static_selectorELNS0_4arch9wavefront6targetE1EEEvT1_.private_seg_size, 0
	.set _ZN7rocprim17ROCPRIM_400000_NS6detail17trampoline_kernelINS0_14default_configENS1_35adjacent_difference_config_selectorILb0EsEEZNS1_24adjacent_difference_implIS3_Lb0ELb0EPsS7_N6thrust23THRUST_200600_302600_NS4plusIsEEEE10hipError_tPvRmT2_T3_mT4_P12ihipStream_tbEUlT_E_NS1_11comp_targetILNS1_3genE2ELNS1_11target_archE906ELNS1_3gpuE6ELNS1_3repE0EEENS1_30default_config_static_selectorELNS0_4arch9wavefront6targetE1EEEvT1_.uses_vcc, 1
	.set _ZN7rocprim17ROCPRIM_400000_NS6detail17trampoline_kernelINS0_14default_configENS1_35adjacent_difference_config_selectorILb0EsEEZNS1_24adjacent_difference_implIS3_Lb0ELb0EPsS7_N6thrust23THRUST_200600_302600_NS4plusIsEEEE10hipError_tPvRmT2_T3_mT4_P12ihipStream_tbEUlT_E_NS1_11comp_targetILNS1_3genE2ELNS1_11target_archE906ELNS1_3gpuE6ELNS1_3repE0EEENS1_30default_config_static_selectorELNS0_4arch9wavefront6targetE1EEEvT1_.uses_flat_scratch, 0
	.set _ZN7rocprim17ROCPRIM_400000_NS6detail17trampoline_kernelINS0_14default_configENS1_35adjacent_difference_config_selectorILb0EsEEZNS1_24adjacent_difference_implIS3_Lb0ELb0EPsS7_N6thrust23THRUST_200600_302600_NS4plusIsEEEE10hipError_tPvRmT2_T3_mT4_P12ihipStream_tbEUlT_E_NS1_11comp_targetILNS1_3genE2ELNS1_11target_archE906ELNS1_3gpuE6ELNS1_3repE0EEENS1_30default_config_static_selectorELNS0_4arch9wavefront6targetE1EEEvT1_.has_dyn_sized_stack, 0
	.set _ZN7rocprim17ROCPRIM_400000_NS6detail17trampoline_kernelINS0_14default_configENS1_35adjacent_difference_config_selectorILb0EsEEZNS1_24adjacent_difference_implIS3_Lb0ELb0EPsS7_N6thrust23THRUST_200600_302600_NS4plusIsEEEE10hipError_tPvRmT2_T3_mT4_P12ihipStream_tbEUlT_E_NS1_11comp_targetILNS1_3genE2ELNS1_11target_archE906ELNS1_3gpuE6ELNS1_3repE0EEENS1_30default_config_static_selectorELNS0_4arch9wavefront6targetE1EEEvT1_.has_recursion, 0
	.set _ZN7rocprim17ROCPRIM_400000_NS6detail17trampoline_kernelINS0_14default_configENS1_35adjacent_difference_config_selectorILb0EsEEZNS1_24adjacent_difference_implIS3_Lb0ELb0EPsS7_N6thrust23THRUST_200600_302600_NS4plusIsEEEE10hipError_tPvRmT2_T3_mT4_P12ihipStream_tbEUlT_E_NS1_11comp_targetILNS1_3genE2ELNS1_11target_archE906ELNS1_3gpuE6ELNS1_3repE0EEENS1_30default_config_static_selectorELNS0_4arch9wavefront6targetE1EEEvT1_.has_indirect_call, 0
	.section	.AMDGPU.csdata,"",@progbits
; Kernel info:
; codeLenInByte = 2560
; TotalNumSgprs: 27
; NumVgprs: 18
; ScratchSize: 0
; MemoryBound: 0
; FloatMode: 240
; IeeeMode: 1
; LDSByteSize: 896 bytes/workgroup (compile time only)
; SGPRBlocks: 3
; VGPRBlocks: 4
; NumSGPRsForWavesPerEU: 27
; NumVGPRsForWavesPerEU: 18
; Occupancy: 10
; WaveLimiterHint : 1
; COMPUTE_PGM_RSRC2:SCRATCH_EN: 0
; COMPUTE_PGM_RSRC2:USER_SGPR: 6
; COMPUTE_PGM_RSRC2:TRAP_HANDLER: 0
; COMPUTE_PGM_RSRC2:TGID_X_EN: 1
; COMPUTE_PGM_RSRC2:TGID_Y_EN: 0
; COMPUTE_PGM_RSRC2:TGID_Z_EN: 0
; COMPUTE_PGM_RSRC2:TIDIG_COMP_CNT: 0
	.section	.text._ZN7rocprim17ROCPRIM_400000_NS6detail17trampoline_kernelINS0_14default_configENS1_35adjacent_difference_config_selectorILb0EsEEZNS1_24adjacent_difference_implIS3_Lb0ELb0EPsS7_N6thrust23THRUST_200600_302600_NS4plusIsEEEE10hipError_tPvRmT2_T3_mT4_P12ihipStream_tbEUlT_E_NS1_11comp_targetILNS1_3genE9ELNS1_11target_archE1100ELNS1_3gpuE3ELNS1_3repE0EEENS1_30default_config_static_selectorELNS0_4arch9wavefront6targetE1EEEvT1_,"axG",@progbits,_ZN7rocprim17ROCPRIM_400000_NS6detail17trampoline_kernelINS0_14default_configENS1_35adjacent_difference_config_selectorILb0EsEEZNS1_24adjacent_difference_implIS3_Lb0ELb0EPsS7_N6thrust23THRUST_200600_302600_NS4plusIsEEEE10hipError_tPvRmT2_T3_mT4_P12ihipStream_tbEUlT_E_NS1_11comp_targetILNS1_3genE9ELNS1_11target_archE1100ELNS1_3gpuE3ELNS1_3repE0EEENS1_30default_config_static_selectorELNS0_4arch9wavefront6targetE1EEEvT1_,comdat
	.protected	_ZN7rocprim17ROCPRIM_400000_NS6detail17trampoline_kernelINS0_14default_configENS1_35adjacent_difference_config_selectorILb0EsEEZNS1_24adjacent_difference_implIS3_Lb0ELb0EPsS7_N6thrust23THRUST_200600_302600_NS4plusIsEEEE10hipError_tPvRmT2_T3_mT4_P12ihipStream_tbEUlT_E_NS1_11comp_targetILNS1_3genE9ELNS1_11target_archE1100ELNS1_3gpuE3ELNS1_3repE0EEENS1_30default_config_static_selectorELNS0_4arch9wavefront6targetE1EEEvT1_ ; -- Begin function _ZN7rocprim17ROCPRIM_400000_NS6detail17trampoline_kernelINS0_14default_configENS1_35adjacent_difference_config_selectorILb0EsEEZNS1_24adjacent_difference_implIS3_Lb0ELb0EPsS7_N6thrust23THRUST_200600_302600_NS4plusIsEEEE10hipError_tPvRmT2_T3_mT4_P12ihipStream_tbEUlT_E_NS1_11comp_targetILNS1_3genE9ELNS1_11target_archE1100ELNS1_3gpuE3ELNS1_3repE0EEENS1_30default_config_static_selectorELNS0_4arch9wavefront6targetE1EEEvT1_
	.globl	_ZN7rocprim17ROCPRIM_400000_NS6detail17trampoline_kernelINS0_14default_configENS1_35adjacent_difference_config_selectorILb0EsEEZNS1_24adjacent_difference_implIS3_Lb0ELb0EPsS7_N6thrust23THRUST_200600_302600_NS4plusIsEEEE10hipError_tPvRmT2_T3_mT4_P12ihipStream_tbEUlT_E_NS1_11comp_targetILNS1_3genE9ELNS1_11target_archE1100ELNS1_3gpuE3ELNS1_3repE0EEENS1_30default_config_static_selectorELNS0_4arch9wavefront6targetE1EEEvT1_
	.p2align	8
	.type	_ZN7rocprim17ROCPRIM_400000_NS6detail17trampoline_kernelINS0_14default_configENS1_35adjacent_difference_config_selectorILb0EsEEZNS1_24adjacent_difference_implIS3_Lb0ELb0EPsS7_N6thrust23THRUST_200600_302600_NS4plusIsEEEE10hipError_tPvRmT2_T3_mT4_P12ihipStream_tbEUlT_E_NS1_11comp_targetILNS1_3genE9ELNS1_11target_archE1100ELNS1_3gpuE3ELNS1_3repE0EEENS1_30default_config_static_selectorELNS0_4arch9wavefront6targetE1EEEvT1_,@function
_ZN7rocprim17ROCPRIM_400000_NS6detail17trampoline_kernelINS0_14default_configENS1_35adjacent_difference_config_selectorILb0EsEEZNS1_24adjacent_difference_implIS3_Lb0ELb0EPsS7_N6thrust23THRUST_200600_302600_NS4plusIsEEEE10hipError_tPvRmT2_T3_mT4_P12ihipStream_tbEUlT_E_NS1_11comp_targetILNS1_3genE9ELNS1_11target_archE1100ELNS1_3gpuE3ELNS1_3repE0EEENS1_30default_config_static_selectorELNS0_4arch9wavefront6targetE1EEEvT1_: ; @_ZN7rocprim17ROCPRIM_400000_NS6detail17trampoline_kernelINS0_14default_configENS1_35adjacent_difference_config_selectorILb0EsEEZNS1_24adjacent_difference_implIS3_Lb0ELb0EPsS7_N6thrust23THRUST_200600_302600_NS4plusIsEEEE10hipError_tPvRmT2_T3_mT4_P12ihipStream_tbEUlT_E_NS1_11comp_targetILNS1_3genE9ELNS1_11target_archE1100ELNS1_3gpuE3ELNS1_3repE0EEENS1_30default_config_static_selectorELNS0_4arch9wavefront6targetE1EEEvT1_
; %bb.0:
	.section	.rodata,"a",@progbits
	.p2align	6, 0x0
	.amdhsa_kernel _ZN7rocprim17ROCPRIM_400000_NS6detail17trampoline_kernelINS0_14default_configENS1_35adjacent_difference_config_selectorILb0EsEEZNS1_24adjacent_difference_implIS3_Lb0ELb0EPsS7_N6thrust23THRUST_200600_302600_NS4plusIsEEEE10hipError_tPvRmT2_T3_mT4_P12ihipStream_tbEUlT_E_NS1_11comp_targetILNS1_3genE9ELNS1_11target_archE1100ELNS1_3gpuE3ELNS1_3repE0EEENS1_30default_config_static_selectorELNS0_4arch9wavefront6targetE1EEEvT1_
		.amdhsa_group_segment_fixed_size 0
		.amdhsa_private_segment_fixed_size 0
		.amdhsa_kernarg_size 56
		.amdhsa_user_sgpr_count 6
		.amdhsa_user_sgpr_private_segment_buffer 1
		.amdhsa_user_sgpr_dispatch_ptr 0
		.amdhsa_user_sgpr_queue_ptr 0
		.amdhsa_user_sgpr_kernarg_segment_ptr 1
		.amdhsa_user_sgpr_dispatch_id 0
		.amdhsa_user_sgpr_flat_scratch_init 0
		.amdhsa_user_sgpr_private_segment_size 0
		.amdhsa_uses_dynamic_stack 0
		.amdhsa_system_sgpr_private_segment_wavefront_offset 0
		.amdhsa_system_sgpr_workgroup_id_x 1
		.amdhsa_system_sgpr_workgroup_id_y 0
		.amdhsa_system_sgpr_workgroup_id_z 0
		.amdhsa_system_sgpr_workgroup_info 0
		.amdhsa_system_vgpr_workitem_id 0
		.amdhsa_next_free_vgpr 1
		.amdhsa_next_free_sgpr 0
		.amdhsa_reserve_vcc 0
		.amdhsa_reserve_flat_scratch 0
		.amdhsa_float_round_mode_32 0
		.amdhsa_float_round_mode_16_64 0
		.amdhsa_float_denorm_mode_32 3
		.amdhsa_float_denorm_mode_16_64 3
		.amdhsa_dx10_clamp 1
		.amdhsa_ieee_mode 1
		.amdhsa_fp16_overflow 0
		.amdhsa_exception_fp_ieee_invalid_op 0
		.amdhsa_exception_fp_denorm_src 0
		.amdhsa_exception_fp_ieee_div_zero 0
		.amdhsa_exception_fp_ieee_overflow 0
		.amdhsa_exception_fp_ieee_underflow 0
		.amdhsa_exception_fp_ieee_inexact 0
		.amdhsa_exception_int_div_zero 0
	.end_amdhsa_kernel
	.section	.text._ZN7rocprim17ROCPRIM_400000_NS6detail17trampoline_kernelINS0_14default_configENS1_35adjacent_difference_config_selectorILb0EsEEZNS1_24adjacent_difference_implIS3_Lb0ELb0EPsS7_N6thrust23THRUST_200600_302600_NS4plusIsEEEE10hipError_tPvRmT2_T3_mT4_P12ihipStream_tbEUlT_E_NS1_11comp_targetILNS1_3genE9ELNS1_11target_archE1100ELNS1_3gpuE3ELNS1_3repE0EEENS1_30default_config_static_selectorELNS0_4arch9wavefront6targetE1EEEvT1_,"axG",@progbits,_ZN7rocprim17ROCPRIM_400000_NS6detail17trampoline_kernelINS0_14default_configENS1_35adjacent_difference_config_selectorILb0EsEEZNS1_24adjacent_difference_implIS3_Lb0ELb0EPsS7_N6thrust23THRUST_200600_302600_NS4plusIsEEEE10hipError_tPvRmT2_T3_mT4_P12ihipStream_tbEUlT_E_NS1_11comp_targetILNS1_3genE9ELNS1_11target_archE1100ELNS1_3gpuE3ELNS1_3repE0EEENS1_30default_config_static_selectorELNS0_4arch9wavefront6targetE1EEEvT1_,comdat
.Lfunc_end389:
	.size	_ZN7rocprim17ROCPRIM_400000_NS6detail17trampoline_kernelINS0_14default_configENS1_35adjacent_difference_config_selectorILb0EsEEZNS1_24adjacent_difference_implIS3_Lb0ELb0EPsS7_N6thrust23THRUST_200600_302600_NS4plusIsEEEE10hipError_tPvRmT2_T3_mT4_P12ihipStream_tbEUlT_E_NS1_11comp_targetILNS1_3genE9ELNS1_11target_archE1100ELNS1_3gpuE3ELNS1_3repE0EEENS1_30default_config_static_selectorELNS0_4arch9wavefront6targetE1EEEvT1_, .Lfunc_end389-_ZN7rocprim17ROCPRIM_400000_NS6detail17trampoline_kernelINS0_14default_configENS1_35adjacent_difference_config_selectorILb0EsEEZNS1_24adjacent_difference_implIS3_Lb0ELb0EPsS7_N6thrust23THRUST_200600_302600_NS4plusIsEEEE10hipError_tPvRmT2_T3_mT4_P12ihipStream_tbEUlT_E_NS1_11comp_targetILNS1_3genE9ELNS1_11target_archE1100ELNS1_3gpuE3ELNS1_3repE0EEENS1_30default_config_static_selectorELNS0_4arch9wavefront6targetE1EEEvT1_
                                        ; -- End function
	.set _ZN7rocprim17ROCPRIM_400000_NS6detail17trampoline_kernelINS0_14default_configENS1_35adjacent_difference_config_selectorILb0EsEEZNS1_24adjacent_difference_implIS3_Lb0ELb0EPsS7_N6thrust23THRUST_200600_302600_NS4plusIsEEEE10hipError_tPvRmT2_T3_mT4_P12ihipStream_tbEUlT_E_NS1_11comp_targetILNS1_3genE9ELNS1_11target_archE1100ELNS1_3gpuE3ELNS1_3repE0EEENS1_30default_config_static_selectorELNS0_4arch9wavefront6targetE1EEEvT1_.num_vgpr, 0
	.set _ZN7rocprim17ROCPRIM_400000_NS6detail17trampoline_kernelINS0_14default_configENS1_35adjacent_difference_config_selectorILb0EsEEZNS1_24adjacent_difference_implIS3_Lb0ELb0EPsS7_N6thrust23THRUST_200600_302600_NS4plusIsEEEE10hipError_tPvRmT2_T3_mT4_P12ihipStream_tbEUlT_E_NS1_11comp_targetILNS1_3genE9ELNS1_11target_archE1100ELNS1_3gpuE3ELNS1_3repE0EEENS1_30default_config_static_selectorELNS0_4arch9wavefront6targetE1EEEvT1_.num_agpr, 0
	.set _ZN7rocprim17ROCPRIM_400000_NS6detail17trampoline_kernelINS0_14default_configENS1_35adjacent_difference_config_selectorILb0EsEEZNS1_24adjacent_difference_implIS3_Lb0ELb0EPsS7_N6thrust23THRUST_200600_302600_NS4plusIsEEEE10hipError_tPvRmT2_T3_mT4_P12ihipStream_tbEUlT_E_NS1_11comp_targetILNS1_3genE9ELNS1_11target_archE1100ELNS1_3gpuE3ELNS1_3repE0EEENS1_30default_config_static_selectorELNS0_4arch9wavefront6targetE1EEEvT1_.numbered_sgpr, 0
	.set _ZN7rocprim17ROCPRIM_400000_NS6detail17trampoline_kernelINS0_14default_configENS1_35adjacent_difference_config_selectorILb0EsEEZNS1_24adjacent_difference_implIS3_Lb0ELb0EPsS7_N6thrust23THRUST_200600_302600_NS4plusIsEEEE10hipError_tPvRmT2_T3_mT4_P12ihipStream_tbEUlT_E_NS1_11comp_targetILNS1_3genE9ELNS1_11target_archE1100ELNS1_3gpuE3ELNS1_3repE0EEENS1_30default_config_static_selectorELNS0_4arch9wavefront6targetE1EEEvT1_.num_named_barrier, 0
	.set _ZN7rocprim17ROCPRIM_400000_NS6detail17trampoline_kernelINS0_14default_configENS1_35adjacent_difference_config_selectorILb0EsEEZNS1_24adjacent_difference_implIS3_Lb0ELb0EPsS7_N6thrust23THRUST_200600_302600_NS4plusIsEEEE10hipError_tPvRmT2_T3_mT4_P12ihipStream_tbEUlT_E_NS1_11comp_targetILNS1_3genE9ELNS1_11target_archE1100ELNS1_3gpuE3ELNS1_3repE0EEENS1_30default_config_static_selectorELNS0_4arch9wavefront6targetE1EEEvT1_.private_seg_size, 0
	.set _ZN7rocprim17ROCPRIM_400000_NS6detail17trampoline_kernelINS0_14default_configENS1_35adjacent_difference_config_selectorILb0EsEEZNS1_24adjacent_difference_implIS3_Lb0ELb0EPsS7_N6thrust23THRUST_200600_302600_NS4plusIsEEEE10hipError_tPvRmT2_T3_mT4_P12ihipStream_tbEUlT_E_NS1_11comp_targetILNS1_3genE9ELNS1_11target_archE1100ELNS1_3gpuE3ELNS1_3repE0EEENS1_30default_config_static_selectorELNS0_4arch9wavefront6targetE1EEEvT1_.uses_vcc, 0
	.set _ZN7rocprim17ROCPRIM_400000_NS6detail17trampoline_kernelINS0_14default_configENS1_35adjacent_difference_config_selectorILb0EsEEZNS1_24adjacent_difference_implIS3_Lb0ELb0EPsS7_N6thrust23THRUST_200600_302600_NS4plusIsEEEE10hipError_tPvRmT2_T3_mT4_P12ihipStream_tbEUlT_E_NS1_11comp_targetILNS1_3genE9ELNS1_11target_archE1100ELNS1_3gpuE3ELNS1_3repE0EEENS1_30default_config_static_selectorELNS0_4arch9wavefront6targetE1EEEvT1_.uses_flat_scratch, 0
	.set _ZN7rocprim17ROCPRIM_400000_NS6detail17trampoline_kernelINS0_14default_configENS1_35adjacent_difference_config_selectorILb0EsEEZNS1_24adjacent_difference_implIS3_Lb0ELb0EPsS7_N6thrust23THRUST_200600_302600_NS4plusIsEEEE10hipError_tPvRmT2_T3_mT4_P12ihipStream_tbEUlT_E_NS1_11comp_targetILNS1_3genE9ELNS1_11target_archE1100ELNS1_3gpuE3ELNS1_3repE0EEENS1_30default_config_static_selectorELNS0_4arch9wavefront6targetE1EEEvT1_.has_dyn_sized_stack, 0
	.set _ZN7rocprim17ROCPRIM_400000_NS6detail17trampoline_kernelINS0_14default_configENS1_35adjacent_difference_config_selectorILb0EsEEZNS1_24adjacent_difference_implIS3_Lb0ELb0EPsS7_N6thrust23THRUST_200600_302600_NS4plusIsEEEE10hipError_tPvRmT2_T3_mT4_P12ihipStream_tbEUlT_E_NS1_11comp_targetILNS1_3genE9ELNS1_11target_archE1100ELNS1_3gpuE3ELNS1_3repE0EEENS1_30default_config_static_selectorELNS0_4arch9wavefront6targetE1EEEvT1_.has_recursion, 0
	.set _ZN7rocprim17ROCPRIM_400000_NS6detail17trampoline_kernelINS0_14default_configENS1_35adjacent_difference_config_selectorILb0EsEEZNS1_24adjacent_difference_implIS3_Lb0ELb0EPsS7_N6thrust23THRUST_200600_302600_NS4plusIsEEEE10hipError_tPvRmT2_T3_mT4_P12ihipStream_tbEUlT_E_NS1_11comp_targetILNS1_3genE9ELNS1_11target_archE1100ELNS1_3gpuE3ELNS1_3repE0EEENS1_30default_config_static_selectorELNS0_4arch9wavefront6targetE1EEEvT1_.has_indirect_call, 0
	.section	.AMDGPU.csdata,"",@progbits
; Kernel info:
; codeLenInByte = 0
; TotalNumSgprs: 4
; NumVgprs: 0
; ScratchSize: 0
; MemoryBound: 0
; FloatMode: 240
; IeeeMode: 1
; LDSByteSize: 0 bytes/workgroup (compile time only)
; SGPRBlocks: 0
; VGPRBlocks: 0
; NumSGPRsForWavesPerEU: 4
; NumVGPRsForWavesPerEU: 1
; Occupancy: 10
; WaveLimiterHint : 0
; COMPUTE_PGM_RSRC2:SCRATCH_EN: 0
; COMPUTE_PGM_RSRC2:USER_SGPR: 6
; COMPUTE_PGM_RSRC2:TRAP_HANDLER: 0
; COMPUTE_PGM_RSRC2:TGID_X_EN: 1
; COMPUTE_PGM_RSRC2:TGID_Y_EN: 0
; COMPUTE_PGM_RSRC2:TGID_Z_EN: 0
; COMPUTE_PGM_RSRC2:TIDIG_COMP_CNT: 0
	.section	.text._ZN7rocprim17ROCPRIM_400000_NS6detail17trampoline_kernelINS0_14default_configENS1_35adjacent_difference_config_selectorILb0EsEEZNS1_24adjacent_difference_implIS3_Lb0ELb0EPsS7_N6thrust23THRUST_200600_302600_NS4plusIsEEEE10hipError_tPvRmT2_T3_mT4_P12ihipStream_tbEUlT_E_NS1_11comp_targetILNS1_3genE8ELNS1_11target_archE1030ELNS1_3gpuE2ELNS1_3repE0EEENS1_30default_config_static_selectorELNS0_4arch9wavefront6targetE1EEEvT1_,"axG",@progbits,_ZN7rocprim17ROCPRIM_400000_NS6detail17trampoline_kernelINS0_14default_configENS1_35adjacent_difference_config_selectorILb0EsEEZNS1_24adjacent_difference_implIS3_Lb0ELb0EPsS7_N6thrust23THRUST_200600_302600_NS4plusIsEEEE10hipError_tPvRmT2_T3_mT4_P12ihipStream_tbEUlT_E_NS1_11comp_targetILNS1_3genE8ELNS1_11target_archE1030ELNS1_3gpuE2ELNS1_3repE0EEENS1_30default_config_static_selectorELNS0_4arch9wavefront6targetE1EEEvT1_,comdat
	.protected	_ZN7rocprim17ROCPRIM_400000_NS6detail17trampoline_kernelINS0_14default_configENS1_35adjacent_difference_config_selectorILb0EsEEZNS1_24adjacent_difference_implIS3_Lb0ELb0EPsS7_N6thrust23THRUST_200600_302600_NS4plusIsEEEE10hipError_tPvRmT2_T3_mT4_P12ihipStream_tbEUlT_E_NS1_11comp_targetILNS1_3genE8ELNS1_11target_archE1030ELNS1_3gpuE2ELNS1_3repE0EEENS1_30default_config_static_selectorELNS0_4arch9wavefront6targetE1EEEvT1_ ; -- Begin function _ZN7rocprim17ROCPRIM_400000_NS6detail17trampoline_kernelINS0_14default_configENS1_35adjacent_difference_config_selectorILb0EsEEZNS1_24adjacent_difference_implIS3_Lb0ELb0EPsS7_N6thrust23THRUST_200600_302600_NS4plusIsEEEE10hipError_tPvRmT2_T3_mT4_P12ihipStream_tbEUlT_E_NS1_11comp_targetILNS1_3genE8ELNS1_11target_archE1030ELNS1_3gpuE2ELNS1_3repE0EEENS1_30default_config_static_selectorELNS0_4arch9wavefront6targetE1EEEvT1_
	.globl	_ZN7rocprim17ROCPRIM_400000_NS6detail17trampoline_kernelINS0_14default_configENS1_35adjacent_difference_config_selectorILb0EsEEZNS1_24adjacent_difference_implIS3_Lb0ELb0EPsS7_N6thrust23THRUST_200600_302600_NS4plusIsEEEE10hipError_tPvRmT2_T3_mT4_P12ihipStream_tbEUlT_E_NS1_11comp_targetILNS1_3genE8ELNS1_11target_archE1030ELNS1_3gpuE2ELNS1_3repE0EEENS1_30default_config_static_selectorELNS0_4arch9wavefront6targetE1EEEvT1_
	.p2align	8
	.type	_ZN7rocprim17ROCPRIM_400000_NS6detail17trampoline_kernelINS0_14default_configENS1_35adjacent_difference_config_selectorILb0EsEEZNS1_24adjacent_difference_implIS3_Lb0ELb0EPsS7_N6thrust23THRUST_200600_302600_NS4plusIsEEEE10hipError_tPvRmT2_T3_mT4_P12ihipStream_tbEUlT_E_NS1_11comp_targetILNS1_3genE8ELNS1_11target_archE1030ELNS1_3gpuE2ELNS1_3repE0EEENS1_30default_config_static_selectorELNS0_4arch9wavefront6targetE1EEEvT1_,@function
_ZN7rocprim17ROCPRIM_400000_NS6detail17trampoline_kernelINS0_14default_configENS1_35adjacent_difference_config_selectorILb0EsEEZNS1_24adjacent_difference_implIS3_Lb0ELb0EPsS7_N6thrust23THRUST_200600_302600_NS4plusIsEEEE10hipError_tPvRmT2_T3_mT4_P12ihipStream_tbEUlT_E_NS1_11comp_targetILNS1_3genE8ELNS1_11target_archE1030ELNS1_3gpuE2ELNS1_3repE0EEENS1_30default_config_static_selectorELNS0_4arch9wavefront6targetE1EEEvT1_: ; @_ZN7rocprim17ROCPRIM_400000_NS6detail17trampoline_kernelINS0_14default_configENS1_35adjacent_difference_config_selectorILb0EsEEZNS1_24adjacent_difference_implIS3_Lb0ELb0EPsS7_N6thrust23THRUST_200600_302600_NS4plusIsEEEE10hipError_tPvRmT2_T3_mT4_P12ihipStream_tbEUlT_E_NS1_11comp_targetILNS1_3genE8ELNS1_11target_archE1030ELNS1_3gpuE2ELNS1_3repE0EEENS1_30default_config_static_selectorELNS0_4arch9wavefront6targetE1EEEvT1_
; %bb.0:
	.section	.rodata,"a",@progbits
	.p2align	6, 0x0
	.amdhsa_kernel _ZN7rocprim17ROCPRIM_400000_NS6detail17trampoline_kernelINS0_14default_configENS1_35adjacent_difference_config_selectorILb0EsEEZNS1_24adjacent_difference_implIS3_Lb0ELb0EPsS7_N6thrust23THRUST_200600_302600_NS4plusIsEEEE10hipError_tPvRmT2_T3_mT4_P12ihipStream_tbEUlT_E_NS1_11comp_targetILNS1_3genE8ELNS1_11target_archE1030ELNS1_3gpuE2ELNS1_3repE0EEENS1_30default_config_static_selectorELNS0_4arch9wavefront6targetE1EEEvT1_
		.amdhsa_group_segment_fixed_size 0
		.amdhsa_private_segment_fixed_size 0
		.amdhsa_kernarg_size 56
		.amdhsa_user_sgpr_count 6
		.amdhsa_user_sgpr_private_segment_buffer 1
		.amdhsa_user_sgpr_dispatch_ptr 0
		.amdhsa_user_sgpr_queue_ptr 0
		.amdhsa_user_sgpr_kernarg_segment_ptr 1
		.amdhsa_user_sgpr_dispatch_id 0
		.amdhsa_user_sgpr_flat_scratch_init 0
		.amdhsa_user_sgpr_private_segment_size 0
		.amdhsa_uses_dynamic_stack 0
		.amdhsa_system_sgpr_private_segment_wavefront_offset 0
		.amdhsa_system_sgpr_workgroup_id_x 1
		.amdhsa_system_sgpr_workgroup_id_y 0
		.amdhsa_system_sgpr_workgroup_id_z 0
		.amdhsa_system_sgpr_workgroup_info 0
		.amdhsa_system_vgpr_workitem_id 0
		.amdhsa_next_free_vgpr 1
		.amdhsa_next_free_sgpr 0
		.amdhsa_reserve_vcc 0
		.amdhsa_reserve_flat_scratch 0
		.amdhsa_float_round_mode_32 0
		.amdhsa_float_round_mode_16_64 0
		.amdhsa_float_denorm_mode_32 3
		.amdhsa_float_denorm_mode_16_64 3
		.amdhsa_dx10_clamp 1
		.amdhsa_ieee_mode 1
		.amdhsa_fp16_overflow 0
		.amdhsa_exception_fp_ieee_invalid_op 0
		.amdhsa_exception_fp_denorm_src 0
		.amdhsa_exception_fp_ieee_div_zero 0
		.amdhsa_exception_fp_ieee_overflow 0
		.amdhsa_exception_fp_ieee_underflow 0
		.amdhsa_exception_fp_ieee_inexact 0
		.amdhsa_exception_int_div_zero 0
	.end_amdhsa_kernel
	.section	.text._ZN7rocprim17ROCPRIM_400000_NS6detail17trampoline_kernelINS0_14default_configENS1_35adjacent_difference_config_selectorILb0EsEEZNS1_24adjacent_difference_implIS3_Lb0ELb0EPsS7_N6thrust23THRUST_200600_302600_NS4plusIsEEEE10hipError_tPvRmT2_T3_mT4_P12ihipStream_tbEUlT_E_NS1_11comp_targetILNS1_3genE8ELNS1_11target_archE1030ELNS1_3gpuE2ELNS1_3repE0EEENS1_30default_config_static_selectorELNS0_4arch9wavefront6targetE1EEEvT1_,"axG",@progbits,_ZN7rocprim17ROCPRIM_400000_NS6detail17trampoline_kernelINS0_14default_configENS1_35adjacent_difference_config_selectorILb0EsEEZNS1_24adjacent_difference_implIS3_Lb0ELb0EPsS7_N6thrust23THRUST_200600_302600_NS4plusIsEEEE10hipError_tPvRmT2_T3_mT4_P12ihipStream_tbEUlT_E_NS1_11comp_targetILNS1_3genE8ELNS1_11target_archE1030ELNS1_3gpuE2ELNS1_3repE0EEENS1_30default_config_static_selectorELNS0_4arch9wavefront6targetE1EEEvT1_,comdat
.Lfunc_end390:
	.size	_ZN7rocprim17ROCPRIM_400000_NS6detail17trampoline_kernelINS0_14default_configENS1_35adjacent_difference_config_selectorILb0EsEEZNS1_24adjacent_difference_implIS3_Lb0ELb0EPsS7_N6thrust23THRUST_200600_302600_NS4plusIsEEEE10hipError_tPvRmT2_T3_mT4_P12ihipStream_tbEUlT_E_NS1_11comp_targetILNS1_3genE8ELNS1_11target_archE1030ELNS1_3gpuE2ELNS1_3repE0EEENS1_30default_config_static_selectorELNS0_4arch9wavefront6targetE1EEEvT1_, .Lfunc_end390-_ZN7rocprim17ROCPRIM_400000_NS6detail17trampoline_kernelINS0_14default_configENS1_35adjacent_difference_config_selectorILb0EsEEZNS1_24adjacent_difference_implIS3_Lb0ELb0EPsS7_N6thrust23THRUST_200600_302600_NS4plusIsEEEE10hipError_tPvRmT2_T3_mT4_P12ihipStream_tbEUlT_E_NS1_11comp_targetILNS1_3genE8ELNS1_11target_archE1030ELNS1_3gpuE2ELNS1_3repE0EEENS1_30default_config_static_selectorELNS0_4arch9wavefront6targetE1EEEvT1_
                                        ; -- End function
	.set _ZN7rocprim17ROCPRIM_400000_NS6detail17trampoline_kernelINS0_14default_configENS1_35adjacent_difference_config_selectorILb0EsEEZNS1_24adjacent_difference_implIS3_Lb0ELb0EPsS7_N6thrust23THRUST_200600_302600_NS4plusIsEEEE10hipError_tPvRmT2_T3_mT4_P12ihipStream_tbEUlT_E_NS1_11comp_targetILNS1_3genE8ELNS1_11target_archE1030ELNS1_3gpuE2ELNS1_3repE0EEENS1_30default_config_static_selectorELNS0_4arch9wavefront6targetE1EEEvT1_.num_vgpr, 0
	.set _ZN7rocprim17ROCPRIM_400000_NS6detail17trampoline_kernelINS0_14default_configENS1_35adjacent_difference_config_selectorILb0EsEEZNS1_24adjacent_difference_implIS3_Lb0ELb0EPsS7_N6thrust23THRUST_200600_302600_NS4plusIsEEEE10hipError_tPvRmT2_T3_mT4_P12ihipStream_tbEUlT_E_NS1_11comp_targetILNS1_3genE8ELNS1_11target_archE1030ELNS1_3gpuE2ELNS1_3repE0EEENS1_30default_config_static_selectorELNS0_4arch9wavefront6targetE1EEEvT1_.num_agpr, 0
	.set _ZN7rocprim17ROCPRIM_400000_NS6detail17trampoline_kernelINS0_14default_configENS1_35adjacent_difference_config_selectorILb0EsEEZNS1_24adjacent_difference_implIS3_Lb0ELb0EPsS7_N6thrust23THRUST_200600_302600_NS4plusIsEEEE10hipError_tPvRmT2_T3_mT4_P12ihipStream_tbEUlT_E_NS1_11comp_targetILNS1_3genE8ELNS1_11target_archE1030ELNS1_3gpuE2ELNS1_3repE0EEENS1_30default_config_static_selectorELNS0_4arch9wavefront6targetE1EEEvT1_.numbered_sgpr, 0
	.set _ZN7rocprim17ROCPRIM_400000_NS6detail17trampoline_kernelINS0_14default_configENS1_35adjacent_difference_config_selectorILb0EsEEZNS1_24adjacent_difference_implIS3_Lb0ELb0EPsS7_N6thrust23THRUST_200600_302600_NS4plusIsEEEE10hipError_tPvRmT2_T3_mT4_P12ihipStream_tbEUlT_E_NS1_11comp_targetILNS1_3genE8ELNS1_11target_archE1030ELNS1_3gpuE2ELNS1_3repE0EEENS1_30default_config_static_selectorELNS0_4arch9wavefront6targetE1EEEvT1_.num_named_barrier, 0
	.set _ZN7rocprim17ROCPRIM_400000_NS6detail17trampoline_kernelINS0_14default_configENS1_35adjacent_difference_config_selectorILb0EsEEZNS1_24adjacent_difference_implIS3_Lb0ELb0EPsS7_N6thrust23THRUST_200600_302600_NS4plusIsEEEE10hipError_tPvRmT2_T3_mT4_P12ihipStream_tbEUlT_E_NS1_11comp_targetILNS1_3genE8ELNS1_11target_archE1030ELNS1_3gpuE2ELNS1_3repE0EEENS1_30default_config_static_selectorELNS0_4arch9wavefront6targetE1EEEvT1_.private_seg_size, 0
	.set _ZN7rocprim17ROCPRIM_400000_NS6detail17trampoline_kernelINS0_14default_configENS1_35adjacent_difference_config_selectorILb0EsEEZNS1_24adjacent_difference_implIS3_Lb0ELb0EPsS7_N6thrust23THRUST_200600_302600_NS4plusIsEEEE10hipError_tPvRmT2_T3_mT4_P12ihipStream_tbEUlT_E_NS1_11comp_targetILNS1_3genE8ELNS1_11target_archE1030ELNS1_3gpuE2ELNS1_3repE0EEENS1_30default_config_static_selectorELNS0_4arch9wavefront6targetE1EEEvT1_.uses_vcc, 0
	.set _ZN7rocprim17ROCPRIM_400000_NS6detail17trampoline_kernelINS0_14default_configENS1_35adjacent_difference_config_selectorILb0EsEEZNS1_24adjacent_difference_implIS3_Lb0ELb0EPsS7_N6thrust23THRUST_200600_302600_NS4plusIsEEEE10hipError_tPvRmT2_T3_mT4_P12ihipStream_tbEUlT_E_NS1_11comp_targetILNS1_3genE8ELNS1_11target_archE1030ELNS1_3gpuE2ELNS1_3repE0EEENS1_30default_config_static_selectorELNS0_4arch9wavefront6targetE1EEEvT1_.uses_flat_scratch, 0
	.set _ZN7rocprim17ROCPRIM_400000_NS6detail17trampoline_kernelINS0_14default_configENS1_35adjacent_difference_config_selectorILb0EsEEZNS1_24adjacent_difference_implIS3_Lb0ELb0EPsS7_N6thrust23THRUST_200600_302600_NS4plusIsEEEE10hipError_tPvRmT2_T3_mT4_P12ihipStream_tbEUlT_E_NS1_11comp_targetILNS1_3genE8ELNS1_11target_archE1030ELNS1_3gpuE2ELNS1_3repE0EEENS1_30default_config_static_selectorELNS0_4arch9wavefront6targetE1EEEvT1_.has_dyn_sized_stack, 0
	.set _ZN7rocprim17ROCPRIM_400000_NS6detail17trampoline_kernelINS0_14default_configENS1_35adjacent_difference_config_selectorILb0EsEEZNS1_24adjacent_difference_implIS3_Lb0ELb0EPsS7_N6thrust23THRUST_200600_302600_NS4plusIsEEEE10hipError_tPvRmT2_T3_mT4_P12ihipStream_tbEUlT_E_NS1_11comp_targetILNS1_3genE8ELNS1_11target_archE1030ELNS1_3gpuE2ELNS1_3repE0EEENS1_30default_config_static_selectorELNS0_4arch9wavefront6targetE1EEEvT1_.has_recursion, 0
	.set _ZN7rocprim17ROCPRIM_400000_NS6detail17trampoline_kernelINS0_14default_configENS1_35adjacent_difference_config_selectorILb0EsEEZNS1_24adjacent_difference_implIS3_Lb0ELb0EPsS7_N6thrust23THRUST_200600_302600_NS4plusIsEEEE10hipError_tPvRmT2_T3_mT4_P12ihipStream_tbEUlT_E_NS1_11comp_targetILNS1_3genE8ELNS1_11target_archE1030ELNS1_3gpuE2ELNS1_3repE0EEENS1_30default_config_static_selectorELNS0_4arch9wavefront6targetE1EEEvT1_.has_indirect_call, 0
	.section	.AMDGPU.csdata,"",@progbits
; Kernel info:
; codeLenInByte = 0
; TotalNumSgprs: 4
; NumVgprs: 0
; ScratchSize: 0
; MemoryBound: 0
; FloatMode: 240
; IeeeMode: 1
; LDSByteSize: 0 bytes/workgroup (compile time only)
; SGPRBlocks: 0
; VGPRBlocks: 0
; NumSGPRsForWavesPerEU: 4
; NumVGPRsForWavesPerEU: 1
; Occupancy: 10
; WaveLimiterHint : 0
; COMPUTE_PGM_RSRC2:SCRATCH_EN: 0
; COMPUTE_PGM_RSRC2:USER_SGPR: 6
; COMPUTE_PGM_RSRC2:TRAP_HANDLER: 0
; COMPUTE_PGM_RSRC2:TGID_X_EN: 1
; COMPUTE_PGM_RSRC2:TGID_Y_EN: 0
; COMPUTE_PGM_RSRC2:TGID_Z_EN: 0
; COMPUTE_PGM_RSRC2:TIDIG_COMP_CNT: 0
	.section	.text._ZN7rocprim17ROCPRIM_400000_NS6detail17trampoline_kernelINS0_14default_configENS1_25transform_config_selectorIsLb0EEEZNS1_14transform_implILb0ES3_S5_NS0_18transform_iteratorINS0_17counting_iteratorImlEEZNS1_24adjacent_difference_implIS3_Lb1ELb0EPsSB_N6thrust23THRUST_200600_302600_NS4plusIsEEEE10hipError_tPvRmT2_T3_mT4_P12ihipStream_tbEUlmE_sEESB_NS0_8identityIvEEEESG_SJ_SK_mSL_SN_bEUlT_E_NS1_11comp_targetILNS1_3genE0ELNS1_11target_archE4294967295ELNS1_3gpuE0ELNS1_3repE0EEENS1_30default_config_static_selectorELNS0_4arch9wavefront6targetE1EEEvT1_,"axG",@progbits,_ZN7rocprim17ROCPRIM_400000_NS6detail17trampoline_kernelINS0_14default_configENS1_25transform_config_selectorIsLb0EEEZNS1_14transform_implILb0ES3_S5_NS0_18transform_iteratorINS0_17counting_iteratorImlEEZNS1_24adjacent_difference_implIS3_Lb1ELb0EPsSB_N6thrust23THRUST_200600_302600_NS4plusIsEEEE10hipError_tPvRmT2_T3_mT4_P12ihipStream_tbEUlmE_sEESB_NS0_8identityIvEEEESG_SJ_SK_mSL_SN_bEUlT_E_NS1_11comp_targetILNS1_3genE0ELNS1_11target_archE4294967295ELNS1_3gpuE0ELNS1_3repE0EEENS1_30default_config_static_selectorELNS0_4arch9wavefront6targetE1EEEvT1_,comdat
	.protected	_ZN7rocprim17ROCPRIM_400000_NS6detail17trampoline_kernelINS0_14default_configENS1_25transform_config_selectorIsLb0EEEZNS1_14transform_implILb0ES3_S5_NS0_18transform_iteratorINS0_17counting_iteratorImlEEZNS1_24adjacent_difference_implIS3_Lb1ELb0EPsSB_N6thrust23THRUST_200600_302600_NS4plusIsEEEE10hipError_tPvRmT2_T3_mT4_P12ihipStream_tbEUlmE_sEESB_NS0_8identityIvEEEESG_SJ_SK_mSL_SN_bEUlT_E_NS1_11comp_targetILNS1_3genE0ELNS1_11target_archE4294967295ELNS1_3gpuE0ELNS1_3repE0EEENS1_30default_config_static_selectorELNS0_4arch9wavefront6targetE1EEEvT1_ ; -- Begin function _ZN7rocprim17ROCPRIM_400000_NS6detail17trampoline_kernelINS0_14default_configENS1_25transform_config_selectorIsLb0EEEZNS1_14transform_implILb0ES3_S5_NS0_18transform_iteratorINS0_17counting_iteratorImlEEZNS1_24adjacent_difference_implIS3_Lb1ELb0EPsSB_N6thrust23THRUST_200600_302600_NS4plusIsEEEE10hipError_tPvRmT2_T3_mT4_P12ihipStream_tbEUlmE_sEESB_NS0_8identityIvEEEESG_SJ_SK_mSL_SN_bEUlT_E_NS1_11comp_targetILNS1_3genE0ELNS1_11target_archE4294967295ELNS1_3gpuE0ELNS1_3repE0EEENS1_30default_config_static_selectorELNS0_4arch9wavefront6targetE1EEEvT1_
	.globl	_ZN7rocprim17ROCPRIM_400000_NS6detail17trampoline_kernelINS0_14default_configENS1_25transform_config_selectorIsLb0EEEZNS1_14transform_implILb0ES3_S5_NS0_18transform_iteratorINS0_17counting_iteratorImlEEZNS1_24adjacent_difference_implIS3_Lb1ELb0EPsSB_N6thrust23THRUST_200600_302600_NS4plusIsEEEE10hipError_tPvRmT2_T3_mT4_P12ihipStream_tbEUlmE_sEESB_NS0_8identityIvEEEESG_SJ_SK_mSL_SN_bEUlT_E_NS1_11comp_targetILNS1_3genE0ELNS1_11target_archE4294967295ELNS1_3gpuE0ELNS1_3repE0EEENS1_30default_config_static_selectorELNS0_4arch9wavefront6targetE1EEEvT1_
	.p2align	8
	.type	_ZN7rocprim17ROCPRIM_400000_NS6detail17trampoline_kernelINS0_14default_configENS1_25transform_config_selectorIsLb0EEEZNS1_14transform_implILb0ES3_S5_NS0_18transform_iteratorINS0_17counting_iteratorImlEEZNS1_24adjacent_difference_implIS3_Lb1ELb0EPsSB_N6thrust23THRUST_200600_302600_NS4plusIsEEEE10hipError_tPvRmT2_T3_mT4_P12ihipStream_tbEUlmE_sEESB_NS0_8identityIvEEEESG_SJ_SK_mSL_SN_bEUlT_E_NS1_11comp_targetILNS1_3genE0ELNS1_11target_archE4294967295ELNS1_3gpuE0ELNS1_3repE0EEENS1_30default_config_static_selectorELNS0_4arch9wavefront6targetE1EEEvT1_,@function
_ZN7rocprim17ROCPRIM_400000_NS6detail17trampoline_kernelINS0_14default_configENS1_25transform_config_selectorIsLb0EEEZNS1_14transform_implILb0ES3_S5_NS0_18transform_iteratorINS0_17counting_iteratorImlEEZNS1_24adjacent_difference_implIS3_Lb1ELb0EPsSB_N6thrust23THRUST_200600_302600_NS4plusIsEEEE10hipError_tPvRmT2_T3_mT4_P12ihipStream_tbEUlmE_sEESB_NS0_8identityIvEEEESG_SJ_SK_mSL_SN_bEUlT_E_NS1_11comp_targetILNS1_3genE0ELNS1_11target_archE4294967295ELNS1_3gpuE0ELNS1_3repE0EEENS1_30default_config_static_selectorELNS0_4arch9wavefront6targetE1EEEvT1_: ; @_ZN7rocprim17ROCPRIM_400000_NS6detail17trampoline_kernelINS0_14default_configENS1_25transform_config_selectorIsLb0EEEZNS1_14transform_implILb0ES3_S5_NS0_18transform_iteratorINS0_17counting_iteratorImlEEZNS1_24adjacent_difference_implIS3_Lb1ELb0EPsSB_N6thrust23THRUST_200600_302600_NS4plusIsEEEE10hipError_tPvRmT2_T3_mT4_P12ihipStream_tbEUlmE_sEESB_NS0_8identityIvEEEESG_SJ_SK_mSL_SN_bEUlT_E_NS1_11comp_targetILNS1_3genE0ELNS1_11target_archE4294967295ELNS1_3gpuE0ELNS1_3repE0EEENS1_30default_config_static_selectorELNS0_4arch9wavefront6targetE1EEEvT1_
; %bb.0:
	.section	.rodata,"a",@progbits
	.p2align	6, 0x0
	.amdhsa_kernel _ZN7rocprim17ROCPRIM_400000_NS6detail17trampoline_kernelINS0_14default_configENS1_25transform_config_selectorIsLb0EEEZNS1_14transform_implILb0ES3_S5_NS0_18transform_iteratorINS0_17counting_iteratorImlEEZNS1_24adjacent_difference_implIS3_Lb1ELb0EPsSB_N6thrust23THRUST_200600_302600_NS4plusIsEEEE10hipError_tPvRmT2_T3_mT4_P12ihipStream_tbEUlmE_sEESB_NS0_8identityIvEEEESG_SJ_SK_mSL_SN_bEUlT_E_NS1_11comp_targetILNS1_3genE0ELNS1_11target_archE4294967295ELNS1_3gpuE0ELNS1_3repE0EEENS1_30default_config_static_selectorELNS0_4arch9wavefront6targetE1EEEvT1_
		.amdhsa_group_segment_fixed_size 0
		.amdhsa_private_segment_fixed_size 0
		.amdhsa_kernarg_size 56
		.amdhsa_user_sgpr_count 6
		.amdhsa_user_sgpr_private_segment_buffer 1
		.amdhsa_user_sgpr_dispatch_ptr 0
		.amdhsa_user_sgpr_queue_ptr 0
		.amdhsa_user_sgpr_kernarg_segment_ptr 1
		.amdhsa_user_sgpr_dispatch_id 0
		.amdhsa_user_sgpr_flat_scratch_init 0
		.amdhsa_user_sgpr_private_segment_size 0
		.amdhsa_uses_dynamic_stack 0
		.amdhsa_system_sgpr_private_segment_wavefront_offset 0
		.amdhsa_system_sgpr_workgroup_id_x 1
		.amdhsa_system_sgpr_workgroup_id_y 0
		.amdhsa_system_sgpr_workgroup_id_z 0
		.amdhsa_system_sgpr_workgroup_info 0
		.amdhsa_system_vgpr_workitem_id 0
		.amdhsa_next_free_vgpr 1
		.amdhsa_next_free_sgpr 0
		.amdhsa_reserve_vcc 0
		.amdhsa_reserve_flat_scratch 0
		.amdhsa_float_round_mode_32 0
		.amdhsa_float_round_mode_16_64 0
		.amdhsa_float_denorm_mode_32 3
		.amdhsa_float_denorm_mode_16_64 3
		.amdhsa_dx10_clamp 1
		.amdhsa_ieee_mode 1
		.amdhsa_fp16_overflow 0
		.amdhsa_exception_fp_ieee_invalid_op 0
		.amdhsa_exception_fp_denorm_src 0
		.amdhsa_exception_fp_ieee_div_zero 0
		.amdhsa_exception_fp_ieee_overflow 0
		.amdhsa_exception_fp_ieee_underflow 0
		.amdhsa_exception_fp_ieee_inexact 0
		.amdhsa_exception_int_div_zero 0
	.end_amdhsa_kernel
	.section	.text._ZN7rocprim17ROCPRIM_400000_NS6detail17trampoline_kernelINS0_14default_configENS1_25transform_config_selectorIsLb0EEEZNS1_14transform_implILb0ES3_S5_NS0_18transform_iteratorINS0_17counting_iteratorImlEEZNS1_24adjacent_difference_implIS3_Lb1ELb0EPsSB_N6thrust23THRUST_200600_302600_NS4plusIsEEEE10hipError_tPvRmT2_T3_mT4_P12ihipStream_tbEUlmE_sEESB_NS0_8identityIvEEEESG_SJ_SK_mSL_SN_bEUlT_E_NS1_11comp_targetILNS1_3genE0ELNS1_11target_archE4294967295ELNS1_3gpuE0ELNS1_3repE0EEENS1_30default_config_static_selectorELNS0_4arch9wavefront6targetE1EEEvT1_,"axG",@progbits,_ZN7rocprim17ROCPRIM_400000_NS6detail17trampoline_kernelINS0_14default_configENS1_25transform_config_selectorIsLb0EEEZNS1_14transform_implILb0ES3_S5_NS0_18transform_iteratorINS0_17counting_iteratorImlEEZNS1_24adjacent_difference_implIS3_Lb1ELb0EPsSB_N6thrust23THRUST_200600_302600_NS4plusIsEEEE10hipError_tPvRmT2_T3_mT4_P12ihipStream_tbEUlmE_sEESB_NS0_8identityIvEEEESG_SJ_SK_mSL_SN_bEUlT_E_NS1_11comp_targetILNS1_3genE0ELNS1_11target_archE4294967295ELNS1_3gpuE0ELNS1_3repE0EEENS1_30default_config_static_selectorELNS0_4arch9wavefront6targetE1EEEvT1_,comdat
.Lfunc_end391:
	.size	_ZN7rocprim17ROCPRIM_400000_NS6detail17trampoline_kernelINS0_14default_configENS1_25transform_config_selectorIsLb0EEEZNS1_14transform_implILb0ES3_S5_NS0_18transform_iteratorINS0_17counting_iteratorImlEEZNS1_24adjacent_difference_implIS3_Lb1ELb0EPsSB_N6thrust23THRUST_200600_302600_NS4plusIsEEEE10hipError_tPvRmT2_T3_mT4_P12ihipStream_tbEUlmE_sEESB_NS0_8identityIvEEEESG_SJ_SK_mSL_SN_bEUlT_E_NS1_11comp_targetILNS1_3genE0ELNS1_11target_archE4294967295ELNS1_3gpuE0ELNS1_3repE0EEENS1_30default_config_static_selectorELNS0_4arch9wavefront6targetE1EEEvT1_, .Lfunc_end391-_ZN7rocprim17ROCPRIM_400000_NS6detail17trampoline_kernelINS0_14default_configENS1_25transform_config_selectorIsLb0EEEZNS1_14transform_implILb0ES3_S5_NS0_18transform_iteratorINS0_17counting_iteratorImlEEZNS1_24adjacent_difference_implIS3_Lb1ELb0EPsSB_N6thrust23THRUST_200600_302600_NS4plusIsEEEE10hipError_tPvRmT2_T3_mT4_P12ihipStream_tbEUlmE_sEESB_NS0_8identityIvEEEESG_SJ_SK_mSL_SN_bEUlT_E_NS1_11comp_targetILNS1_3genE0ELNS1_11target_archE4294967295ELNS1_3gpuE0ELNS1_3repE0EEENS1_30default_config_static_selectorELNS0_4arch9wavefront6targetE1EEEvT1_
                                        ; -- End function
	.set _ZN7rocprim17ROCPRIM_400000_NS6detail17trampoline_kernelINS0_14default_configENS1_25transform_config_selectorIsLb0EEEZNS1_14transform_implILb0ES3_S5_NS0_18transform_iteratorINS0_17counting_iteratorImlEEZNS1_24adjacent_difference_implIS3_Lb1ELb0EPsSB_N6thrust23THRUST_200600_302600_NS4plusIsEEEE10hipError_tPvRmT2_T3_mT4_P12ihipStream_tbEUlmE_sEESB_NS0_8identityIvEEEESG_SJ_SK_mSL_SN_bEUlT_E_NS1_11comp_targetILNS1_3genE0ELNS1_11target_archE4294967295ELNS1_3gpuE0ELNS1_3repE0EEENS1_30default_config_static_selectorELNS0_4arch9wavefront6targetE1EEEvT1_.num_vgpr, 0
	.set _ZN7rocprim17ROCPRIM_400000_NS6detail17trampoline_kernelINS0_14default_configENS1_25transform_config_selectorIsLb0EEEZNS1_14transform_implILb0ES3_S5_NS0_18transform_iteratorINS0_17counting_iteratorImlEEZNS1_24adjacent_difference_implIS3_Lb1ELb0EPsSB_N6thrust23THRUST_200600_302600_NS4plusIsEEEE10hipError_tPvRmT2_T3_mT4_P12ihipStream_tbEUlmE_sEESB_NS0_8identityIvEEEESG_SJ_SK_mSL_SN_bEUlT_E_NS1_11comp_targetILNS1_3genE0ELNS1_11target_archE4294967295ELNS1_3gpuE0ELNS1_3repE0EEENS1_30default_config_static_selectorELNS0_4arch9wavefront6targetE1EEEvT1_.num_agpr, 0
	.set _ZN7rocprim17ROCPRIM_400000_NS6detail17trampoline_kernelINS0_14default_configENS1_25transform_config_selectorIsLb0EEEZNS1_14transform_implILb0ES3_S5_NS0_18transform_iteratorINS0_17counting_iteratorImlEEZNS1_24adjacent_difference_implIS3_Lb1ELb0EPsSB_N6thrust23THRUST_200600_302600_NS4plusIsEEEE10hipError_tPvRmT2_T3_mT4_P12ihipStream_tbEUlmE_sEESB_NS0_8identityIvEEEESG_SJ_SK_mSL_SN_bEUlT_E_NS1_11comp_targetILNS1_3genE0ELNS1_11target_archE4294967295ELNS1_3gpuE0ELNS1_3repE0EEENS1_30default_config_static_selectorELNS0_4arch9wavefront6targetE1EEEvT1_.numbered_sgpr, 0
	.set _ZN7rocprim17ROCPRIM_400000_NS6detail17trampoline_kernelINS0_14default_configENS1_25transform_config_selectorIsLb0EEEZNS1_14transform_implILb0ES3_S5_NS0_18transform_iteratorINS0_17counting_iteratorImlEEZNS1_24adjacent_difference_implIS3_Lb1ELb0EPsSB_N6thrust23THRUST_200600_302600_NS4plusIsEEEE10hipError_tPvRmT2_T3_mT4_P12ihipStream_tbEUlmE_sEESB_NS0_8identityIvEEEESG_SJ_SK_mSL_SN_bEUlT_E_NS1_11comp_targetILNS1_3genE0ELNS1_11target_archE4294967295ELNS1_3gpuE0ELNS1_3repE0EEENS1_30default_config_static_selectorELNS0_4arch9wavefront6targetE1EEEvT1_.num_named_barrier, 0
	.set _ZN7rocprim17ROCPRIM_400000_NS6detail17trampoline_kernelINS0_14default_configENS1_25transform_config_selectorIsLb0EEEZNS1_14transform_implILb0ES3_S5_NS0_18transform_iteratorINS0_17counting_iteratorImlEEZNS1_24adjacent_difference_implIS3_Lb1ELb0EPsSB_N6thrust23THRUST_200600_302600_NS4plusIsEEEE10hipError_tPvRmT2_T3_mT4_P12ihipStream_tbEUlmE_sEESB_NS0_8identityIvEEEESG_SJ_SK_mSL_SN_bEUlT_E_NS1_11comp_targetILNS1_3genE0ELNS1_11target_archE4294967295ELNS1_3gpuE0ELNS1_3repE0EEENS1_30default_config_static_selectorELNS0_4arch9wavefront6targetE1EEEvT1_.private_seg_size, 0
	.set _ZN7rocprim17ROCPRIM_400000_NS6detail17trampoline_kernelINS0_14default_configENS1_25transform_config_selectorIsLb0EEEZNS1_14transform_implILb0ES3_S5_NS0_18transform_iteratorINS0_17counting_iteratorImlEEZNS1_24adjacent_difference_implIS3_Lb1ELb0EPsSB_N6thrust23THRUST_200600_302600_NS4plusIsEEEE10hipError_tPvRmT2_T3_mT4_P12ihipStream_tbEUlmE_sEESB_NS0_8identityIvEEEESG_SJ_SK_mSL_SN_bEUlT_E_NS1_11comp_targetILNS1_3genE0ELNS1_11target_archE4294967295ELNS1_3gpuE0ELNS1_3repE0EEENS1_30default_config_static_selectorELNS0_4arch9wavefront6targetE1EEEvT1_.uses_vcc, 0
	.set _ZN7rocprim17ROCPRIM_400000_NS6detail17trampoline_kernelINS0_14default_configENS1_25transform_config_selectorIsLb0EEEZNS1_14transform_implILb0ES3_S5_NS0_18transform_iteratorINS0_17counting_iteratorImlEEZNS1_24adjacent_difference_implIS3_Lb1ELb0EPsSB_N6thrust23THRUST_200600_302600_NS4plusIsEEEE10hipError_tPvRmT2_T3_mT4_P12ihipStream_tbEUlmE_sEESB_NS0_8identityIvEEEESG_SJ_SK_mSL_SN_bEUlT_E_NS1_11comp_targetILNS1_3genE0ELNS1_11target_archE4294967295ELNS1_3gpuE0ELNS1_3repE0EEENS1_30default_config_static_selectorELNS0_4arch9wavefront6targetE1EEEvT1_.uses_flat_scratch, 0
	.set _ZN7rocprim17ROCPRIM_400000_NS6detail17trampoline_kernelINS0_14default_configENS1_25transform_config_selectorIsLb0EEEZNS1_14transform_implILb0ES3_S5_NS0_18transform_iteratorINS0_17counting_iteratorImlEEZNS1_24adjacent_difference_implIS3_Lb1ELb0EPsSB_N6thrust23THRUST_200600_302600_NS4plusIsEEEE10hipError_tPvRmT2_T3_mT4_P12ihipStream_tbEUlmE_sEESB_NS0_8identityIvEEEESG_SJ_SK_mSL_SN_bEUlT_E_NS1_11comp_targetILNS1_3genE0ELNS1_11target_archE4294967295ELNS1_3gpuE0ELNS1_3repE0EEENS1_30default_config_static_selectorELNS0_4arch9wavefront6targetE1EEEvT1_.has_dyn_sized_stack, 0
	.set _ZN7rocprim17ROCPRIM_400000_NS6detail17trampoline_kernelINS0_14default_configENS1_25transform_config_selectorIsLb0EEEZNS1_14transform_implILb0ES3_S5_NS0_18transform_iteratorINS0_17counting_iteratorImlEEZNS1_24adjacent_difference_implIS3_Lb1ELb0EPsSB_N6thrust23THRUST_200600_302600_NS4plusIsEEEE10hipError_tPvRmT2_T3_mT4_P12ihipStream_tbEUlmE_sEESB_NS0_8identityIvEEEESG_SJ_SK_mSL_SN_bEUlT_E_NS1_11comp_targetILNS1_3genE0ELNS1_11target_archE4294967295ELNS1_3gpuE0ELNS1_3repE0EEENS1_30default_config_static_selectorELNS0_4arch9wavefront6targetE1EEEvT1_.has_recursion, 0
	.set _ZN7rocprim17ROCPRIM_400000_NS6detail17trampoline_kernelINS0_14default_configENS1_25transform_config_selectorIsLb0EEEZNS1_14transform_implILb0ES3_S5_NS0_18transform_iteratorINS0_17counting_iteratorImlEEZNS1_24adjacent_difference_implIS3_Lb1ELb0EPsSB_N6thrust23THRUST_200600_302600_NS4plusIsEEEE10hipError_tPvRmT2_T3_mT4_P12ihipStream_tbEUlmE_sEESB_NS0_8identityIvEEEESG_SJ_SK_mSL_SN_bEUlT_E_NS1_11comp_targetILNS1_3genE0ELNS1_11target_archE4294967295ELNS1_3gpuE0ELNS1_3repE0EEENS1_30default_config_static_selectorELNS0_4arch9wavefront6targetE1EEEvT1_.has_indirect_call, 0
	.section	.AMDGPU.csdata,"",@progbits
; Kernel info:
; codeLenInByte = 0
; TotalNumSgprs: 4
; NumVgprs: 0
; ScratchSize: 0
; MemoryBound: 0
; FloatMode: 240
; IeeeMode: 1
; LDSByteSize: 0 bytes/workgroup (compile time only)
; SGPRBlocks: 0
; VGPRBlocks: 0
; NumSGPRsForWavesPerEU: 4
; NumVGPRsForWavesPerEU: 1
; Occupancy: 10
; WaveLimiterHint : 0
; COMPUTE_PGM_RSRC2:SCRATCH_EN: 0
; COMPUTE_PGM_RSRC2:USER_SGPR: 6
; COMPUTE_PGM_RSRC2:TRAP_HANDLER: 0
; COMPUTE_PGM_RSRC2:TGID_X_EN: 1
; COMPUTE_PGM_RSRC2:TGID_Y_EN: 0
; COMPUTE_PGM_RSRC2:TGID_Z_EN: 0
; COMPUTE_PGM_RSRC2:TIDIG_COMP_CNT: 0
	.section	.text._ZN7rocprim17ROCPRIM_400000_NS6detail17trampoline_kernelINS0_14default_configENS1_25transform_config_selectorIsLb0EEEZNS1_14transform_implILb0ES3_S5_NS0_18transform_iteratorINS0_17counting_iteratorImlEEZNS1_24adjacent_difference_implIS3_Lb1ELb0EPsSB_N6thrust23THRUST_200600_302600_NS4plusIsEEEE10hipError_tPvRmT2_T3_mT4_P12ihipStream_tbEUlmE_sEESB_NS0_8identityIvEEEESG_SJ_SK_mSL_SN_bEUlT_E_NS1_11comp_targetILNS1_3genE5ELNS1_11target_archE942ELNS1_3gpuE9ELNS1_3repE0EEENS1_30default_config_static_selectorELNS0_4arch9wavefront6targetE1EEEvT1_,"axG",@progbits,_ZN7rocprim17ROCPRIM_400000_NS6detail17trampoline_kernelINS0_14default_configENS1_25transform_config_selectorIsLb0EEEZNS1_14transform_implILb0ES3_S5_NS0_18transform_iteratorINS0_17counting_iteratorImlEEZNS1_24adjacent_difference_implIS3_Lb1ELb0EPsSB_N6thrust23THRUST_200600_302600_NS4plusIsEEEE10hipError_tPvRmT2_T3_mT4_P12ihipStream_tbEUlmE_sEESB_NS0_8identityIvEEEESG_SJ_SK_mSL_SN_bEUlT_E_NS1_11comp_targetILNS1_3genE5ELNS1_11target_archE942ELNS1_3gpuE9ELNS1_3repE0EEENS1_30default_config_static_selectorELNS0_4arch9wavefront6targetE1EEEvT1_,comdat
	.protected	_ZN7rocprim17ROCPRIM_400000_NS6detail17trampoline_kernelINS0_14default_configENS1_25transform_config_selectorIsLb0EEEZNS1_14transform_implILb0ES3_S5_NS0_18transform_iteratorINS0_17counting_iteratorImlEEZNS1_24adjacent_difference_implIS3_Lb1ELb0EPsSB_N6thrust23THRUST_200600_302600_NS4plusIsEEEE10hipError_tPvRmT2_T3_mT4_P12ihipStream_tbEUlmE_sEESB_NS0_8identityIvEEEESG_SJ_SK_mSL_SN_bEUlT_E_NS1_11comp_targetILNS1_3genE5ELNS1_11target_archE942ELNS1_3gpuE9ELNS1_3repE0EEENS1_30default_config_static_selectorELNS0_4arch9wavefront6targetE1EEEvT1_ ; -- Begin function _ZN7rocprim17ROCPRIM_400000_NS6detail17trampoline_kernelINS0_14default_configENS1_25transform_config_selectorIsLb0EEEZNS1_14transform_implILb0ES3_S5_NS0_18transform_iteratorINS0_17counting_iteratorImlEEZNS1_24adjacent_difference_implIS3_Lb1ELb0EPsSB_N6thrust23THRUST_200600_302600_NS4plusIsEEEE10hipError_tPvRmT2_T3_mT4_P12ihipStream_tbEUlmE_sEESB_NS0_8identityIvEEEESG_SJ_SK_mSL_SN_bEUlT_E_NS1_11comp_targetILNS1_3genE5ELNS1_11target_archE942ELNS1_3gpuE9ELNS1_3repE0EEENS1_30default_config_static_selectorELNS0_4arch9wavefront6targetE1EEEvT1_
	.globl	_ZN7rocprim17ROCPRIM_400000_NS6detail17trampoline_kernelINS0_14default_configENS1_25transform_config_selectorIsLb0EEEZNS1_14transform_implILb0ES3_S5_NS0_18transform_iteratorINS0_17counting_iteratorImlEEZNS1_24adjacent_difference_implIS3_Lb1ELb0EPsSB_N6thrust23THRUST_200600_302600_NS4plusIsEEEE10hipError_tPvRmT2_T3_mT4_P12ihipStream_tbEUlmE_sEESB_NS0_8identityIvEEEESG_SJ_SK_mSL_SN_bEUlT_E_NS1_11comp_targetILNS1_3genE5ELNS1_11target_archE942ELNS1_3gpuE9ELNS1_3repE0EEENS1_30default_config_static_selectorELNS0_4arch9wavefront6targetE1EEEvT1_
	.p2align	8
	.type	_ZN7rocprim17ROCPRIM_400000_NS6detail17trampoline_kernelINS0_14default_configENS1_25transform_config_selectorIsLb0EEEZNS1_14transform_implILb0ES3_S5_NS0_18transform_iteratorINS0_17counting_iteratorImlEEZNS1_24adjacent_difference_implIS3_Lb1ELb0EPsSB_N6thrust23THRUST_200600_302600_NS4plusIsEEEE10hipError_tPvRmT2_T3_mT4_P12ihipStream_tbEUlmE_sEESB_NS0_8identityIvEEEESG_SJ_SK_mSL_SN_bEUlT_E_NS1_11comp_targetILNS1_3genE5ELNS1_11target_archE942ELNS1_3gpuE9ELNS1_3repE0EEENS1_30default_config_static_selectorELNS0_4arch9wavefront6targetE1EEEvT1_,@function
_ZN7rocprim17ROCPRIM_400000_NS6detail17trampoline_kernelINS0_14default_configENS1_25transform_config_selectorIsLb0EEEZNS1_14transform_implILb0ES3_S5_NS0_18transform_iteratorINS0_17counting_iteratorImlEEZNS1_24adjacent_difference_implIS3_Lb1ELb0EPsSB_N6thrust23THRUST_200600_302600_NS4plusIsEEEE10hipError_tPvRmT2_T3_mT4_P12ihipStream_tbEUlmE_sEESB_NS0_8identityIvEEEESG_SJ_SK_mSL_SN_bEUlT_E_NS1_11comp_targetILNS1_3genE5ELNS1_11target_archE942ELNS1_3gpuE9ELNS1_3repE0EEENS1_30default_config_static_selectorELNS0_4arch9wavefront6targetE1EEEvT1_: ; @_ZN7rocprim17ROCPRIM_400000_NS6detail17trampoline_kernelINS0_14default_configENS1_25transform_config_selectorIsLb0EEEZNS1_14transform_implILb0ES3_S5_NS0_18transform_iteratorINS0_17counting_iteratorImlEEZNS1_24adjacent_difference_implIS3_Lb1ELb0EPsSB_N6thrust23THRUST_200600_302600_NS4plusIsEEEE10hipError_tPvRmT2_T3_mT4_P12ihipStream_tbEUlmE_sEESB_NS0_8identityIvEEEESG_SJ_SK_mSL_SN_bEUlT_E_NS1_11comp_targetILNS1_3genE5ELNS1_11target_archE942ELNS1_3gpuE9ELNS1_3repE0EEENS1_30default_config_static_selectorELNS0_4arch9wavefront6targetE1EEEvT1_
; %bb.0:
	.section	.rodata,"a",@progbits
	.p2align	6, 0x0
	.amdhsa_kernel _ZN7rocprim17ROCPRIM_400000_NS6detail17trampoline_kernelINS0_14default_configENS1_25transform_config_selectorIsLb0EEEZNS1_14transform_implILb0ES3_S5_NS0_18transform_iteratorINS0_17counting_iteratorImlEEZNS1_24adjacent_difference_implIS3_Lb1ELb0EPsSB_N6thrust23THRUST_200600_302600_NS4plusIsEEEE10hipError_tPvRmT2_T3_mT4_P12ihipStream_tbEUlmE_sEESB_NS0_8identityIvEEEESG_SJ_SK_mSL_SN_bEUlT_E_NS1_11comp_targetILNS1_3genE5ELNS1_11target_archE942ELNS1_3gpuE9ELNS1_3repE0EEENS1_30default_config_static_selectorELNS0_4arch9wavefront6targetE1EEEvT1_
		.amdhsa_group_segment_fixed_size 0
		.amdhsa_private_segment_fixed_size 0
		.amdhsa_kernarg_size 56
		.amdhsa_user_sgpr_count 6
		.amdhsa_user_sgpr_private_segment_buffer 1
		.amdhsa_user_sgpr_dispatch_ptr 0
		.amdhsa_user_sgpr_queue_ptr 0
		.amdhsa_user_sgpr_kernarg_segment_ptr 1
		.amdhsa_user_sgpr_dispatch_id 0
		.amdhsa_user_sgpr_flat_scratch_init 0
		.amdhsa_user_sgpr_private_segment_size 0
		.amdhsa_uses_dynamic_stack 0
		.amdhsa_system_sgpr_private_segment_wavefront_offset 0
		.amdhsa_system_sgpr_workgroup_id_x 1
		.amdhsa_system_sgpr_workgroup_id_y 0
		.amdhsa_system_sgpr_workgroup_id_z 0
		.amdhsa_system_sgpr_workgroup_info 0
		.amdhsa_system_vgpr_workitem_id 0
		.amdhsa_next_free_vgpr 1
		.amdhsa_next_free_sgpr 0
		.amdhsa_reserve_vcc 0
		.amdhsa_reserve_flat_scratch 0
		.amdhsa_float_round_mode_32 0
		.amdhsa_float_round_mode_16_64 0
		.amdhsa_float_denorm_mode_32 3
		.amdhsa_float_denorm_mode_16_64 3
		.amdhsa_dx10_clamp 1
		.amdhsa_ieee_mode 1
		.amdhsa_fp16_overflow 0
		.amdhsa_exception_fp_ieee_invalid_op 0
		.amdhsa_exception_fp_denorm_src 0
		.amdhsa_exception_fp_ieee_div_zero 0
		.amdhsa_exception_fp_ieee_overflow 0
		.amdhsa_exception_fp_ieee_underflow 0
		.amdhsa_exception_fp_ieee_inexact 0
		.amdhsa_exception_int_div_zero 0
	.end_amdhsa_kernel
	.section	.text._ZN7rocprim17ROCPRIM_400000_NS6detail17trampoline_kernelINS0_14default_configENS1_25transform_config_selectorIsLb0EEEZNS1_14transform_implILb0ES3_S5_NS0_18transform_iteratorINS0_17counting_iteratorImlEEZNS1_24adjacent_difference_implIS3_Lb1ELb0EPsSB_N6thrust23THRUST_200600_302600_NS4plusIsEEEE10hipError_tPvRmT2_T3_mT4_P12ihipStream_tbEUlmE_sEESB_NS0_8identityIvEEEESG_SJ_SK_mSL_SN_bEUlT_E_NS1_11comp_targetILNS1_3genE5ELNS1_11target_archE942ELNS1_3gpuE9ELNS1_3repE0EEENS1_30default_config_static_selectorELNS0_4arch9wavefront6targetE1EEEvT1_,"axG",@progbits,_ZN7rocprim17ROCPRIM_400000_NS6detail17trampoline_kernelINS0_14default_configENS1_25transform_config_selectorIsLb0EEEZNS1_14transform_implILb0ES3_S5_NS0_18transform_iteratorINS0_17counting_iteratorImlEEZNS1_24adjacent_difference_implIS3_Lb1ELb0EPsSB_N6thrust23THRUST_200600_302600_NS4plusIsEEEE10hipError_tPvRmT2_T3_mT4_P12ihipStream_tbEUlmE_sEESB_NS0_8identityIvEEEESG_SJ_SK_mSL_SN_bEUlT_E_NS1_11comp_targetILNS1_3genE5ELNS1_11target_archE942ELNS1_3gpuE9ELNS1_3repE0EEENS1_30default_config_static_selectorELNS0_4arch9wavefront6targetE1EEEvT1_,comdat
.Lfunc_end392:
	.size	_ZN7rocprim17ROCPRIM_400000_NS6detail17trampoline_kernelINS0_14default_configENS1_25transform_config_selectorIsLb0EEEZNS1_14transform_implILb0ES3_S5_NS0_18transform_iteratorINS0_17counting_iteratorImlEEZNS1_24adjacent_difference_implIS3_Lb1ELb0EPsSB_N6thrust23THRUST_200600_302600_NS4plusIsEEEE10hipError_tPvRmT2_T3_mT4_P12ihipStream_tbEUlmE_sEESB_NS0_8identityIvEEEESG_SJ_SK_mSL_SN_bEUlT_E_NS1_11comp_targetILNS1_3genE5ELNS1_11target_archE942ELNS1_3gpuE9ELNS1_3repE0EEENS1_30default_config_static_selectorELNS0_4arch9wavefront6targetE1EEEvT1_, .Lfunc_end392-_ZN7rocprim17ROCPRIM_400000_NS6detail17trampoline_kernelINS0_14default_configENS1_25transform_config_selectorIsLb0EEEZNS1_14transform_implILb0ES3_S5_NS0_18transform_iteratorINS0_17counting_iteratorImlEEZNS1_24adjacent_difference_implIS3_Lb1ELb0EPsSB_N6thrust23THRUST_200600_302600_NS4plusIsEEEE10hipError_tPvRmT2_T3_mT4_P12ihipStream_tbEUlmE_sEESB_NS0_8identityIvEEEESG_SJ_SK_mSL_SN_bEUlT_E_NS1_11comp_targetILNS1_3genE5ELNS1_11target_archE942ELNS1_3gpuE9ELNS1_3repE0EEENS1_30default_config_static_selectorELNS0_4arch9wavefront6targetE1EEEvT1_
                                        ; -- End function
	.set _ZN7rocprim17ROCPRIM_400000_NS6detail17trampoline_kernelINS0_14default_configENS1_25transform_config_selectorIsLb0EEEZNS1_14transform_implILb0ES3_S5_NS0_18transform_iteratorINS0_17counting_iteratorImlEEZNS1_24adjacent_difference_implIS3_Lb1ELb0EPsSB_N6thrust23THRUST_200600_302600_NS4plusIsEEEE10hipError_tPvRmT2_T3_mT4_P12ihipStream_tbEUlmE_sEESB_NS0_8identityIvEEEESG_SJ_SK_mSL_SN_bEUlT_E_NS1_11comp_targetILNS1_3genE5ELNS1_11target_archE942ELNS1_3gpuE9ELNS1_3repE0EEENS1_30default_config_static_selectorELNS0_4arch9wavefront6targetE1EEEvT1_.num_vgpr, 0
	.set _ZN7rocprim17ROCPRIM_400000_NS6detail17trampoline_kernelINS0_14default_configENS1_25transform_config_selectorIsLb0EEEZNS1_14transform_implILb0ES3_S5_NS0_18transform_iteratorINS0_17counting_iteratorImlEEZNS1_24adjacent_difference_implIS3_Lb1ELb0EPsSB_N6thrust23THRUST_200600_302600_NS4plusIsEEEE10hipError_tPvRmT2_T3_mT4_P12ihipStream_tbEUlmE_sEESB_NS0_8identityIvEEEESG_SJ_SK_mSL_SN_bEUlT_E_NS1_11comp_targetILNS1_3genE5ELNS1_11target_archE942ELNS1_3gpuE9ELNS1_3repE0EEENS1_30default_config_static_selectorELNS0_4arch9wavefront6targetE1EEEvT1_.num_agpr, 0
	.set _ZN7rocprim17ROCPRIM_400000_NS6detail17trampoline_kernelINS0_14default_configENS1_25transform_config_selectorIsLb0EEEZNS1_14transform_implILb0ES3_S5_NS0_18transform_iteratorINS0_17counting_iteratorImlEEZNS1_24adjacent_difference_implIS3_Lb1ELb0EPsSB_N6thrust23THRUST_200600_302600_NS4plusIsEEEE10hipError_tPvRmT2_T3_mT4_P12ihipStream_tbEUlmE_sEESB_NS0_8identityIvEEEESG_SJ_SK_mSL_SN_bEUlT_E_NS1_11comp_targetILNS1_3genE5ELNS1_11target_archE942ELNS1_3gpuE9ELNS1_3repE0EEENS1_30default_config_static_selectorELNS0_4arch9wavefront6targetE1EEEvT1_.numbered_sgpr, 0
	.set _ZN7rocprim17ROCPRIM_400000_NS6detail17trampoline_kernelINS0_14default_configENS1_25transform_config_selectorIsLb0EEEZNS1_14transform_implILb0ES3_S5_NS0_18transform_iteratorINS0_17counting_iteratorImlEEZNS1_24adjacent_difference_implIS3_Lb1ELb0EPsSB_N6thrust23THRUST_200600_302600_NS4plusIsEEEE10hipError_tPvRmT2_T3_mT4_P12ihipStream_tbEUlmE_sEESB_NS0_8identityIvEEEESG_SJ_SK_mSL_SN_bEUlT_E_NS1_11comp_targetILNS1_3genE5ELNS1_11target_archE942ELNS1_3gpuE9ELNS1_3repE0EEENS1_30default_config_static_selectorELNS0_4arch9wavefront6targetE1EEEvT1_.num_named_barrier, 0
	.set _ZN7rocprim17ROCPRIM_400000_NS6detail17trampoline_kernelINS0_14default_configENS1_25transform_config_selectorIsLb0EEEZNS1_14transform_implILb0ES3_S5_NS0_18transform_iteratorINS0_17counting_iteratorImlEEZNS1_24adjacent_difference_implIS3_Lb1ELb0EPsSB_N6thrust23THRUST_200600_302600_NS4plusIsEEEE10hipError_tPvRmT2_T3_mT4_P12ihipStream_tbEUlmE_sEESB_NS0_8identityIvEEEESG_SJ_SK_mSL_SN_bEUlT_E_NS1_11comp_targetILNS1_3genE5ELNS1_11target_archE942ELNS1_3gpuE9ELNS1_3repE0EEENS1_30default_config_static_selectorELNS0_4arch9wavefront6targetE1EEEvT1_.private_seg_size, 0
	.set _ZN7rocprim17ROCPRIM_400000_NS6detail17trampoline_kernelINS0_14default_configENS1_25transform_config_selectorIsLb0EEEZNS1_14transform_implILb0ES3_S5_NS0_18transform_iteratorINS0_17counting_iteratorImlEEZNS1_24adjacent_difference_implIS3_Lb1ELb0EPsSB_N6thrust23THRUST_200600_302600_NS4plusIsEEEE10hipError_tPvRmT2_T3_mT4_P12ihipStream_tbEUlmE_sEESB_NS0_8identityIvEEEESG_SJ_SK_mSL_SN_bEUlT_E_NS1_11comp_targetILNS1_3genE5ELNS1_11target_archE942ELNS1_3gpuE9ELNS1_3repE0EEENS1_30default_config_static_selectorELNS0_4arch9wavefront6targetE1EEEvT1_.uses_vcc, 0
	.set _ZN7rocprim17ROCPRIM_400000_NS6detail17trampoline_kernelINS0_14default_configENS1_25transform_config_selectorIsLb0EEEZNS1_14transform_implILb0ES3_S5_NS0_18transform_iteratorINS0_17counting_iteratorImlEEZNS1_24adjacent_difference_implIS3_Lb1ELb0EPsSB_N6thrust23THRUST_200600_302600_NS4plusIsEEEE10hipError_tPvRmT2_T3_mT4_P12ihipStream_tbEUlmE_sEESB_NS0_8identityIvEEEESG_SJ_SK_mSL_SN_bEUlT_E_NS1_11comp_targetILNS1_3genE5ELNS1_11target_archE942ELNS1_3gpuE9ELNS1_3repE0EEENS1_30default_config_static_selectorELNS0_4arch9wavefront6targetE1EEEvT1_.uses_flat_scratch, 0
	.set _ZN7rocprim17ROCPRIM_400000_NS6detail17trampoline_kernelINS0_14default_configENS1_25transform_config_selectorIsLb0EEEZNS1_14transform_implILb0ES3_S5_NS0_18transform_iteratorINS0_17counting_iteratorImlEEZNS1_24adjacent_difference_implIS3_Lb1ELb0EPsSB_N6thrust23THRUST_200600_302600_NS4plusIsEEEE10hipError_tPvRmT2_T3_mT4_P12ihipStream_tbEUlmE_sEESB_NS0_8identityIvEEEESG_SJ_SK_mSL_SN_bEUlT_E_NS1_11comp_targetILNS1_3genE5ELNS1_11target_archE942ELNS1_3gpuE9ELNS1_3repE0EEENS1_30default_config_static_selectorELNS0_4arch9wavefront6targetE1EEEvT1_.has_dyn_sized_stack, 0
	.set _ZN7rocprim17ROCPRIM_400000_NS6detail17trampoline_kernelINS0_14default_configENS1_25transform_config_selectorIsLb0EEEZNS1_14transform_implILb0ES3_S5_NS0_18transform_iteratorINS0_17counting_iteratorImlEEZNS1_24adjacent_difference_implIS3_Lb1ELb0EPsSB_N6thrust23THRUST_200600_302600_NS4plusIsEEEE10hipError_tPvRmT2_T3_mT4_P12ihipStream_tbEUlmE_sEESB_NS0_8identityIvEEEESG_SJ_SK_mSL_SN_bEUlT_E_NS1_11comp_targetILNS1_3genE5ELNS1_11target_archE942ELNS1_3gpuE9ELNS1_3repE0EEENS1_30default_config_static_selectorELNS0_4arch9wavefront6targetE1EEEvT1_.has_recursion, 0
	.set _ZN7rocprim17ROCPRIM_400000_NS6detail17trampoline_kernelINS0_14default_configENS1_25transform_config_selectorIsLb0EEEZNS1_14transform_implILb0ES3_S5_NS0_18transform_iteratorINS0_17counting_iteratorImlEEZNS1_24adjacent_difference_implIS3_Lb1ELb0EPsSB_N6thrust23THRUST_200600_302600_NS4plusIsEEEE10hipError_tPvRmT2_T3_mT4_P12ihipStream_tbEUlmE_sEESB_NS0_8identityIvEEEESG_SJ_SK_mSL_SN_bEUlT_E_NS1_11comp_targetILNS1_3genE5ELNS1_11target_archE942ELNS1_3gpuE9ELNS1_3repE0EEENS1_30default_config_static_selectorELNS0_4arch9wavefront6targetE1EEEvT1_.has_indirect_call, 0
	.section	.AMDGPU.csdata,"",@progbits
; Kernel info:
; codeLenInByte = 0
; TotalNumSgprs: 4
; NumVgprs: 0
; ScratchSize: 0
; MemoryBound: 0
; FloatMode: 240
; IeeeMode: 1
; LDSByteSize: 0 bytes/workgroup (compile time only)
; SGPRBlocks: 0
; VGPRBlocks: 0
; NumSGPRsForWavesPerEU: 4
; NumVGPRsForWavesPerEU: 1
; Occupancy: 10
; WaveLimiterHint : 0
; COMPUTE_PGM_RSRC2:SCRATCH_EN: 0
; COMPUTE_PGM_RSRC2:USER_SGPR: 6
; COMPUTE_PGM_RSRC2:TRAP_HANDLER: 0
; COMPUTE_PGM_RSRC2:TGID_X_EN: 1
; COMPUTE_PGM_RSRC2:TGID_Y_EN: 0
; COMPUTE_PGM_RSRC2:TGID_Z_EN: 0
; COMPUTE_PGM_RSRC2:TIDIG_COMP_CNT: 0
	.section	.text._ZN7rocprim17ROCPRIM_400000_NS6detail17trampoline_kernelINS0_14default_configENS1_25transform_config_selectorIsLb0EEEZNS1_14transform_implILb0ES3_S5_NS0_18transform_iteratorINS0_17counting_iteratorImlEEZNS1_24adjacent_difference_implIS3_Lb1ELb0EPsSB_N6thrust23THRUST_200600_302600_NS4plusIsEEEE10hipError_tPvRmT2_T3_mT4_P12ihipStream_tbEUlmE_sEESB_NS0_8identityIvEEEESG_SJ_SK_mSL_SN_bEUlT_E_NS1_11comp_targetILNS1_3genE4ELNS1_11target_archE910ELNS1_3gpuE8ELNS1_3repE0EEENS1_30default_config_static_selectorELNS0_4arch9wavefront6targetE1EEEvT1_,"axG",@progbits,_ZN7rocprim17ROCPRIM_400000_NS6detail17trampoline_kernelINS0_14default_configENS1_25transform_config_selectorIsLb0EEEZNS1_14transform_implILb0ES3_S5_NS0_18transform_iteratorINS0_17counting_iteratorImlEEZNS1_24adjacent_difference_implIS3_Lb1ELb0EPsSB_N6thrust23THRUST_200600_302600_NS4plusIsEEEE10hipError_tPvRmT2_T3_mT4_P12ihipStream_tbEUlmE_sEESB_NS0_8identityIvEEEESG_SJ_SK_mSL_SN_bEUlT_E_NS1_11comp_targetILNS1_3genE4ELNS1_11target_archE910ELNS1_3gpuE8ELNS1_3repE0EEENS1_30default_config_static_selectorELNS0_4arch9wavefront6targetE1EEEvT1_,comdat
	.protected	_ZN7rocprim17ROCPRIM_400000_NS6detail17trampoline_kernelINS0_14default_configENS1_25transform_config_selectorIsLb0EEEZNS1_14transform_implILb0ES3_S5_NS0_18transform_iteratorINS0_17counting_iteratorImlEEZNS1_24adjacent_difference_implIS3_Lb1ELb0EPsSB_N6thrust23THRUST_200600_302600_NS4plusIsEEEE10hipError_tPvRmT2_T3_mT4_P12ihipStream_tbEUlmE_sEESB_NS0_8identityIvEEEESG_SJ_SK_mSL_SN_bEUlT_E_NS1_11comp_targetILNS1_3genE4ELNS1_11target_archE910ELNS1_3gpuE8ELNS1_3repE0EEENS1_30default_config_static_selectorELNS0_4arch9wavefront6targetE1EEEvT1_ ; -- Begin function _ZN7rocprim17ROCPRIM_400000_NS6detail17trampoline_kernelINS0_14default_configENS1_25transform_config_selectorIsLb0EEEZNS1_14transform_implILb0ES3_S5_NS0_18transform_iteratorINS0_17counting_iteratorImlEEZNS1_24adjacent_difference_implIS3_Lb1ELb0EPsSB_N6thrust23THRUST_200600_302600_NS4plusIsEEEE10hipError_tPvRmT2_T3_mT4_P12ihipStream_tbEUlmE_sEESB_NS0_8identityIvEEEESG_SJ_SK_mSL_SN_bEUlT_E_NS1_11comp_targetILNS1_3genE4ELNS1_11target_archE910ELNS1_3gpuE8ELNS1_3repE0EEENS1_30default_config_static_selectorELNS0_4arch9wavefront6targetE1EEEvT1_
	.globl	_ZN7rocprim17ROCPRIM_400000_NS6detail17trampoline_kernelINS0_14default_configENS1_25transform_config_selectorIsLb0EEEZNS1_14transform_implILb0ES3_S5_NS0_18transform_iteratorINS0_17counting_iteratorImlEEZNS1_24adjacent_difference_implIS3_Lb1ELb0EPsSB_N6thrust23THRUST_200600_302600_NS4plusIsEEEE10hipError_tPvRmT2_T3_mT4_P12ihipStream_tbEUlmE_sEESB_NS0_8identityIvEEEESG_SJ_SK_mSL_SN_bEUlT_E_NS1_11comp_targetILNS1_3genE4ELNS1_11target_archE910ELNS1_3gpuE8ELNS1_3repE0EEENS1_30default_config_static_selectorELNS0_4arch9wavefront6targetE1EEEvT1_
	.p2align	8
	.type	_ZN7rocprim17ROCPRIM_400000_NS6detail17trampoline_kernelINS0_14default_configENS1_25transform_config_selectorIsLb0EEEZNS1_14transform_implILb0ES3_S5_NS0_18transform_iteratorINS0_17counting_iteratorImlEEZNS1_24adjacent_difference_implIS3_Lb1ELb0EPsSB_N6thrust23THRUST_200600_302600_NS4plusIsEEEE10hipError_tPvRmT2_T3_mT4_P12ihipStream_tbEUlmE_sEESB_NS0_8identityIvEEEESG_SJ_SK_mSL_SN_bEUlT_E_NS1_11comp_targetILNS1_3genE4ELNS1_11target_archE910ELNS1_3gpuE8ELNS1_3repE0EEENS1_30default_config_static_selectorELNS0_4arch9wavefront6targetE1EEEvT1_,@function
_ZN7rocprim17ROCPRIM_400000_NS6detail17trampoline_kernelINS0_14default_configENS1_25transform_config_selectorIsLb0EEEZNS1_14transform_implILb0ES3_S5_NS0_18transform_iteratorINS0_17counting_iteratorImlEEZNS1_24adjacent_difference_implIS3_Lb1ELb0EPsSB_N6thrust23THRUST_200600_302600_NS4plusIsEEEE10hipError_tPvRmT2_T3_mT4_P12ihipStream_tbEUlmE_sEESB_NS0_8identityIvEEEESG_SJ_SK_mSL_SN_bEUlT_E_NS1_11comp_targetILNS1_3genE4ELNS1_11target_archE910ELNS1_3gpuE8ELNS1_3repE0EEENS1_30default_config_static_selectorELNS0_4arch9wavefront6targetE1EEEvT1_: ; @_ZN7rocprim17ROCPRIM_400000_NS6detail17trampoline_kernelINS0_14default_configENS1_25transform_config_selectorIsLb0EEEZNS1_14transform_implILb0ES3_S5_NS0_18transform_iteratorINS0_17counting_iteratorImlEEZNS1_24adjacent_difference_implIS3_Lb1ELb0EPsSB_N6thrust23THRUST_200600_302600_NS4plusIsEEEE10hipError_tPvRmT2_T3_mT4_P12ihipStream_tbEUlmE_sEESB_NS0_8identityIvEEEESG_SJ_SK_mSL_SN_bEUlT_E_NS1_11comp_targetILNS1_3genE4ELNS1_11target_archE910ELNS1_3gpuE8ELNS1_3repE0EEENS1_30default_config_static_selectorELNS0_4arch9wavefront6targetE1EEEvT1_
; %bb.0:
	.section	.rodata,"a",@progbits
	.p2align	6, 0x0
	.amdhsa_kernel _ZN7rocprim17ROCPRIM_400000_NS6detail17trampoline_kernelINS0_14default_configENS1_25transform_config_selectorIsLb0EEEZNS1_14transform_implILb0ES3_S5_NS0_18transform_iteratorINS0_17counting_iteratorImlEEZNS1_24adjacent_difference_implIS3_Lb1ELb0EPsSB_N6thrust23THRUST_200600_302600_NS4plusIsEEEE10hipError_tPvRmT2_T3_mT4_P12ihipStream_tbEUlmE_sEESB_NS0_8identityIvEEEESG_SJ_SK_mSL_SN_bEUlT_E_NS1_11comp_targetILNS1_3genE4ELNS1_11target_archE910ELNS1_3gpuE8ELNS1_3repE0EEENS1_30default_config_static_selectorELNS0_4arch9wavefront6targetE1EEEvT1_
		.amdhsa_group_segment_fixed_size 0
		.amdhsa_private_segment_fixed_size 0
		.amdhsa_kernarg_size 56
		.amdhsa_user_sgpr_count 6
		.amdhsa_user_sgpr_private_segment_buffer 1
		.amdhsa_user_sgpr_dispatch_ptr 0
		.amdhsa_user_sgpr_queue_ptr 0
		.amdhsa_user_sgpr_kernarg_segment_ptr 1
		.amdhsa_user_sgpr_dispatch_id 0
		.amdhsa_user_sgpr_flat_scratch_init 0
		.amdhsa_user_sgpr_private_segment_size 0
		.amdhsa_uses_dynamic_stack 0
		.amdhsa_system_sgpr_private_segment_wavefront_offset 0
		.amdhsa_system_sgpr_workgroup_id_x 1
		.amdhsa_system_sgpr_workgroup_id_y 0
		.amdhsa_system_sgpr_workgroup_id_z 0
		.amdhsa_system_sgpr_workgroup_info 0
		.amdhsa_system_vgpr_workitem_id 0
		.amdhsa_next_free_vgpr 1
		.amdhsa_next_free_sgpr 0
		.amdhsa_reserve_vcc 0
		.amdhsa_reserve_flat_scratch 0
		.amdhsa_float_round_mode_32 0
		.amdhsa_float_round_mode_16_64 0
		.amdhsa_float_denorm_mode_32 3
		.amdhsa_float_denorm_mode_16_64 3
		.amdhsa_dx10_clamp 1
		.amdhsa_ieee_mode 1
		.amdhsa_fp16_overflow 0
		.amdhsa_exception_fp_ieee_invalid_op 0
		.amdhsa_exception_fp_denorm_src 0
		.amdhsa_exception_fp_ieee_div_zero 0
		.amdhsa_exception_fp_ieee_overflow 0
		.amdhsa_exception_fp_ieee_underflow 0
		.amdhsa_exception_fp_ieee_inexact 0
		.amdhsa_exception_int_div_zero 0
	.end_amdhsa_kernel
	.section	.text._ZN7rocprim17ROCPRIM_400000_NS6detail17trampoline_kernelINS0_14default_configENS1_25transform_config_selectorIsLb0EEEZNS1_14transform_implILb0ES3_S5_NS0_18transform_iteratorINS0_17counting_iteratorImlEEZNS1_24adjacent_difference_implIS3_Lb1ELb0EPsSB_N6thrust23THRUST_200600_302600_NS4plusIsEEEE10hipError_tPvRmT2_T3_mT4_P12ihipStream_tbEUlmE_sEESB_NS0_8identityIvEEEESG_SJ_SK_mSL_SN_bEUlT_E_NS1_11comp_targetILNS1_3genE4ELNS1_11target_archE910ELNS1_3gpuE8ELNS1_3repE0EEENS1_30default_config_static_selectorELNS0_4arch9wavefront6targetE1EEEvT1_,"axG",@progbits,_ZN7rocprim17ROCPRIM_400000_NS6detail17trampoline_kernelINS0_14default_configENS1_25transform_config_selectorIsLb0EEEZNS1_14transform_implILb0ES3_S5_NS0_18transform_iteratorINS0_17counting_iteratorImlEEZNS1_24adjacent_difference_implIS3_Lb1ELb0EPsSB_N6thrust23THRUST_200600_302600_NS4plusIsEEEE10hipError_tPvRmT2_T3_mT4_P12ihipStream_tbEUlmE_sEESB_NS0_8identityIvEEEESG_SJ_SK_mSL_SN_bEUlT_E_NS1_11comp_targetILNS1_3genE4ELNS1_11target_archE910ELNS1_3gpuE8ELNS1_3repE0EEENS1_30default_config_static_selectorELNS0_4arch9wavefront6targetE1EEEvT1_,comdat
.Lfunc_end393:
	.size	_ZN7rocprim17ROCPRIM_400000_NS6detail17trampoline_kernelINS0_14default_configENS1_25transform_config_selectorIsLb0EEEZNS1_14transform_implILb0ES3_S5_NS0_18transform_iteratorINS0_17counting_iteratorImlEEZNS1_24adjacent_difference_implIS3_Lb1ELb0EPsSB_N6thrust23THRUST_200600_302600_NS4plusIsEEEE10hipError_tPvRmT2_T3_mT4_P12ihipStream_tbEUlmE_sEESB_NS0_8identityIvEEEESG_SJ_SK_mSL_SN_bEUlT_E_NS1_11comp_targetILNS1_3genE4ELNS1_11target_archE910ELNS1_3gpuE8ELNS1_3repE0EEENS1_30default_config_static_selectorELNS0_4arch9wavefront6targetE1EEEvT1_, .Lfunc_end393-_ZN7rocprim17ROCPRIM_400000_NS6detail17trampoline_kernelINS0_14default_configENS1_25transform_config_selectorIsLb0EEEZNS1_14transform_implILb0ES3_S5_NS0_18transform_iteratorINS0_17counting_iteratorImlEEZNS1_24adjacent_difference_implIS3_Lb1ELb0EPsSB_N6thrust23THRUST_200600_302600_NS4plusIsEEEE10hipError_tPvRmT2_T3_mT4_P12ihipStream_tbEUlmE_sEESB_NS0_8identityIvEEEESG_SJ_SK_mSL_SN_bEUlT_E_NS1_11comp_targetILNS1_3genE4ELNS1_11target_archE910ELNS1_3gpuE8ELNS1_3repE0EEENS1_30default_config_static_selectorELNS0_4arch9wavefront6targetE1EEEvT1_
                                        ; -- End function
	.set _ZN7rocprim17ROCPRIM_400000_NS6detail17trampoline_kernelINS0_14default_configENS1_25transform_config_selectorIsLb0EEEZNS1_14transform_implILb0ES3_S5_NS0_18transform_iteratorINS0_17counting_iteratorImlEEZNS1_24adjacent_difference_implIS3_Lb1ELb0EPsSB_N6thrust23THRUST_200600_302600_NS4plusIsEEEE10hipError_tPvRmT2_T3_mT4_P12ihipStream_tbEUlmE_sEESB_NS0_8identityIvEEEESG_SJ_SK_mSL_SN_bEUlT_E_NS1_11comp_targetILNS1_3genE4ELNS1_11target_archE910ELNS1_3gpuE8ELNS1_3repE0EEENS1_30default_config_static_selectorELNS0_4arch9wavefront6targetE1EEEvT1_.num_vgpr, 0
	.set _ZN7rocprim17ROCPRIM_400000_NS6detail17trampoline_kernelINS0_14default_configENS1_25transform_config_selectorIsLb0EEEZNS1_14transform_implILb0ES3_S5_NS0_18transform_iteratorINS0_17counting_iteratorImlEEZNS1_24adjacent_difference_implIS3_Lb1ELb0EPsSB_N6thrust23THRUST_200600_302600_NS4plusIsEEEE10hipError_tPvRmT2_T3_mT4_P12ihipStream_tbEUlmE_sEESB_NS0_8identityIvEEEESG_SJ_SK_mSL_SN_bEUlT_E_NS1_11comp_targetILNS1_3genE4ELNS1_11target_archE910ELNS1_3gpuE8ELNS1_3repE0EEENS1_30default_config_static_selectorELNS0_4arch9wavefront6targetE1EEEvT1_.num_agpr, 0
	.set _ZN7rocprim17ROCPRIM_400000_NS6detail17trampoline_kernelINS0_14default_configENS1_25transform_config_selectorIsLb0EEEZNS1_14transform_implILb0ES3_S5_NS0_18transform_iteratorINS0_17counting_iteratorImlEEZNS1_24adjacent_difference_implIS3_Lb1ELb0EPsSB_N6thrust23THRUST_200600_302600_NS4plusIsEEEE10hipError_tPvRmT2_T3_mT4_P12ihipStream_tbEUlmE_sEESB_NS0_8identityIvEEEESG_SJ_SK_mSL_SN_bEUlT_E_NS1_11comp_targetILNS1_3genE4ELNS1_11target_archE910ELNS1_3gpuE8ELNS1_3repE0EEENS1_30default_config_static_selectorELNS0_4arch9wavefront6targetE1EEEvT1_.numbered_sgpr, 0
	.set _ZN7rocprim17ROCPRIM_400000_NS6detail17trampoline_kernelINS0_14default_configENS1_25transform_config_selectorIsLb0EEEZNS1_14transform_implILb0ES3_S5_NS0_18transform_iteratorINS0_17counting_iteratorImlEEZNS1_24adjacent_difference_implIS3_Lb1ELb0EPsSB_N6thrust23THRUST_200600_302600_NS4plusIsEEEE10hipError_tPvRmT2_T3_mT4_P12ihipStream_tbEUlmE_sEESB_NS0_8identityIvEEEESG_SJ_SK_mSL_SN_bEUlT_E_NS1_11comp_targetILNS1_3genE4ELNS1_11target_archE910ELNS1_3gpuE8ELNS1_3repE0EEENS1_30default_config_static_selectorELNS0_4arch9wavefront6targetE1EEEvT1_.num_named_barrier, 0
	.set _ZN7rocprim17ROCPRIM_400000_NS6detail17trampoline_kernelINS0_14default_configENS1_25transform_config_selectorIsLb0EEEZNS1_14transform_implILb0ES3_S5_NS0_18transform_iteratorINS0_17counting_iteratorImlEEZNS1_24adjacent_difference_implIS3_Lb1ELb0EPsSB_N6thrust23THRUST_200600_302600_NS4plusIsEEEE10hipError_tPvRmT2_T3_mT4_P12ihipStream_tbEUlmE_sEESB_NS0_8identityIvEEEESG_SJ_SK_mSL_SN_bEUlT_E_NS1_11comp_targetILNS1_3genE4ELNS1_11target_archE910ELNS1_3gpuE8ELNS1_3repE0EEENS1_30default_config_static_selectorELNS0_4arch9wavefront6targetE1EEEvT1_.private_seg_size, 0
	.set _ZN7rocprim17ROCPRIM_400000_NS6detail17trampoline_kernelINS0_14default_configENS1_25transform_config_selectorIsLb0EEEZNS1_14transform_implILb0ES3_S5_NS0_18transform_iteratorINS0_17counting_iteratorImlEEZNS1_24adjacent_difference_implIS3_Lb1ELb0EPsSB_N6thrust23THRUST_200600_302600_NS4plusIsEEEE10hipError_tPvRmT2_T3_mT4_P12ihipStream_tbEUlmE_sEESB_NS0_8identityIvEEEESG_SJ_SK_mSL_SN_bEUlT_E_NS1_11comp_targetILNS1_3genE4ELNS1_11target_archE910ELNS1_3gpuE8ELNS1_3repE0EEENS1_30default_config_static_selectorELNS0_4arch9wavefront6targetE1EEEvT1_.uses_vcc, 0
	.set _ZN7rocprim17ROCPRIM_400000_NS6detail17trampoline_kernelINS0_14default_configENS1_25transform_config_selectorIsLb0EEEZNS1_14transform_implILb0ES3_S5_NS0_18transform_iteratorINS0_17counting_iteratorImlEEZNS1_24adjacent_difference_implIS3_Lb1ELb0EPsSB_N6thrust23THRUST_200600_302600_NS4plusIsEEEE10hipError_tPvRmT2_T3_mT4_P12ihipStream_tbEUlmE_sEESB_NS0_8identityIvEEEESG_SJ_SK_mSL_SN_bEUlT_E_NS1_11comp_targetILNS1_3genE4ELNS1_11target_archE910ELNS1_3gpuE8ELNS1_3repE0EEENS1_30default_config_static_selectorELNS0_4arch9wavefront6targetE1EEEvT1_.uses_flat_scratch, 0
	.set _ZN7rocprim17ROCPRIM_400000_NS6detail17trampoline_kernelINS0_14default_configENS1_25transform_config_selectorIsLb0EEEZNS1_14transform_implILb0ES3_S5_NS0_18transform_iteratorINS0_17counting_iteratorImlEEZNS1_24adjacent_difference_implIS3_Lb1ELb0EPsSB_N6thrust23THRUST_200600_302600_NS4plusIsEEEE10hipError_tPvRmT2_T3_mT4_P12ihipStream_tbEUlmE_sEESB_NS0_8identityIvEEEESG_SJ_SK_mSL_SN_bEUlT_E_NS1_11comp_targetILNS1_3genE4ELNS1_11target_archE910ELNS1_3gpuE8ELNS1_3repE0EEENS1_30default_config_static_selectorELNS0_4arch9wavefront6targetE1EEEvT1_.has_dyn_sized_stack, 0
	.set _ZN7rocprim17ROCPRIM_400000_NS6detail17trampoline_kernelINS0_14default_configENS1_25transform_config_selectorIsLb0EEEZNS1_14transform_implILb0ES3_S5_NS0_18transform_iteratorINS0_17counting_iteratorImlEEZNS1_24adjacent_difference_implIS3_Lb1ELb0EPsSB_N6thrust23THRUST_200600_302600_NS4plusIsEEEE10hipError_tPvRmT2_T3_mT4_P12ihipStream_tbEUlmE_sEESB_NS0_8identityIvEEEESG_SJ_SK_mSL_SN_bEUlT_E_NS1_11comp_targetILNS1_3genE4ELNS1_11target_archE910ELNS1_3gpuE8ELNS1_3repE0EEENS1_30default_config_static_selectorELNS0_4arch9wavefront6targetE1EEEvT1_.has_recursion, 0
	.set _ZN7rocprim17ROCPRIM_400000_NS6detail17trampoline_kernelINS0_14default_configENS1_25transform_config_selectorIsLb0EEEZNS1_14transform_implILb0ES3_S5_NS0_18transform_iteratorINS0_17counting_iteratorImlEEZNS1_24adjacent_difference_implIS3_Lb1ELb0EPsSB_N6thrust23THRUST_200600_302600_NS4plusIsEEEE10hipError_tPvRmT2_T3_mT4_P12ihipStream_tbEUlmE_sEESB_NS0_8identityIvEEEESG_SJ_SK_mSL_SN_bEUlT_E_NS1_11comp_targetILNS1_3genE4ELNS1_11target_archE910ELNS1_3gpuE8ELNS1_3repE0EEENS1_30default_config_static_selectorELNS0_4arch9wavefront6targetE1EEEvT1_.has_indirect_call, 0
	.section	.AMDGPU.csdata,"",@progbits
; Kernel info:
; codeLenInByte = 0
; TotalNumSgprs: 4
; NumVgprs: 0
; ScratchSize: 0
; MemoryBound: 0
; FloatMode: 240
; IeeeMode: 1
; LDSByteSize: 0 bytes/workgroup (compile time only)
; SGPRBlocks: 0
; VGPRBlocks: 0
; NumSGPRsForWavesPerEU: 4
; NumVGPRsForWavesPerEU: 1
; Occupancy: 10
; WaveLimiterHint : 0
; COMPUTE_PGM_RSRC2:SCRATCH_EN: 0
; COMPUTE_PGM_RSRC2:USER_SGPR: 6
; COMPUTE_PGM_RSRC2:TRAP_HANDLER: 0
; COMPUTE_PGM_RSRC2:TGID_X_EN: 1
; COMPUTE_PGM_RSRC2:TGID_Y_EN: 0
; COMPUTE_PGM_RSRC2:TGID_Z_EN: 0
; COMPUTE_PGM_RSRC2:TIDIG_COMP_CNT: 0
	.section	.text._ZN7rocprim17ROCPRIM_400000_NS6detail17trampoline_kernelINS0_14default_configENS1_25transform_config_selectorIsLb0EEEZNS1_14transform_implILb0ES3_S5_NS0_18transform_iteratorINS0_17counting_iteratorImlEEZNS1_24adjacent_difference_implIS3_Lb1ELb0EPsSB_N6thrust23THRUST_200600_302600_NS4plusIsEEEE10hipError_tPvRmT2_T3_mT4_P12ihipStream_tbEUlmE_sEESB_NS0_8identityIvEEEESG_SJ_SK_mSL_SN_bEUlT_E_NS1_11comp_targetILNS1_3genE3ELNS1_11target_archE908ELNS1_3gpuE7ELNS1_3repE0EEENS1_30default_config_static_selectorELNS0_4arch9wavefront6targetE1EEEvT1_,"axG",@progbits,_ZN7rocprim17ROCPRIM_400000_NS6detail17trampoline_kernelINS0_14default_configENS1_25transform_config_selectorIsLb0EEEZNS1_14transform_implILb0ES3_S5_NS0_18transform_iteratorINS0_17counting_iteratorImlEEZNS1_24adjacent_difference_implIS3_Lb1ELb0EPsSB_N6thrust23THRUST_200600_302600_NS4plusIsEEEE10hipError_tPvRmT2_T3_mT4_P12ihipStream_tbEUlmE_sEESB_NS0_8identityIvEEEESG_SJ_SK_mSL_SN_bEUlT_E_NS1_11comp_targetILNS1_3genE3ELNS1_11target_archE908ELNS1_3gpuE7ELNS1_3repE0EEENS1_30default_config_static_selectorELNS0_4arch9wavefront6targetE1EEEvT1_,comdat
	.protected	_ZN7rocprim17ROCPRIM_400000_NS6detail17trampoline_kernelINS0_14default_configENS1_25transform_config_selectorIsLb0EEEZNS1_14transform_implILb0ES3_S5_NS0_18transform_iteratorINS0_17counting_iteratorImlEEZNS1_24adjacent_difference_implIS3_Lb1ELb0EPsSB_N6thrust23THRUST_200600_302600_NS4plusIsEEEE10hipError_tPvRmT2_T3_mT4_P12ihipStream_tbEUlmE_sEESB_NS0_8identityIvEEEESG_SJ_SK_mSL_SN_bEUlT_E_NS1_11comp_targetILNS1_3genE3ELNS1_11target_archE908ELNS1_3gpuE7ELNS1_3repE0EEENS1_30default_config_static_selectorELNS0_4arch9wavefront6targetE1EEEvT1_ ; -- Begin function _ZN7rocprim17ROCPRIM_400000_NS6detail17trampoline_kernelINS0_14default_configENS1_25transform_config_selectorIsLb0EEEZNS1_14transform_implILb0ES3_S5_NS0_18transform_iteratorINS0_17counting_iteratorImlEEZNS1_24adjacent_difference_implIS3_Lb1ELb0EPsSB_N6thrust23THRUST_200600_302600_NS4plusIsEEEE10hipError_tPvRmT2_T3_mT4_P12ihipStream_tbEUlmE_sEESB_NS0_8identityIvEEEESG_SJ_SK_mSL_SN_bEUlT_E_NS1_11comp_targetILNS1_3genE3ELNS1_11target_archE908ELNS1_3gpuE7ELNS1_3repE0EEENS1_30default_config_static_selectorELNS0_4arch9wavefront6targetE1EEEvT1_
	.globl	_ZN7rocprim17ROCPRIM_400000_NS6detail17trampoline_kernelINS0_14default_configENS1_25transform_config_selectorIsLb0EEEZNS1_14transform_implILb0ES3_S5_NS0_18transform_iteratorINS0_17counting_iteratorImlEEZNS1_24adjacent_difference_implIS3_Lb1ELb0EPsSB_N6thrust23THRUST_200600_302600_NS4plusIsEEEE10hipError_tPvRmT2_T3_mT4_P12ihipStream_tbEUlmE_sEESB_NS0_8identityIvEEEESG_SJ_SK_mSL_SN_bEUlT_E_NS1_11comp_targetILNS1_3genE3ELNS1_11target_archE908ELNS1_3gpuE7ELNS1_3repE0EEENS1_30default_config_static_selectorELNS0_4arch9wavefront6targetE1EEEvT1_
	.p2align	8
	.type	_ZN7rocprim17ROCPRIM_400000_NS6detail17trampoline_kernelINS0_14default_configENS1_25transform_config_selectorIsLb0EEEZNS1_14transform_implILb0ES3_S5_NS0_18transform_iteratorINS0_17counting_iteratorImlEEZNS1_24adjacent_difference_implIS3_Lb1ELb0EPsSB_N6thrust23THRUST_200600_302600_NS4plusIsEEEE10hipError_tPvRmT2_T3_mT4_P12ihipStream_tbEUlmE_sEESB_NS0_8identityIvEEEESG_SJ_SK_mSL_SN_bEUlT_E_NS1_11comp_targetILNS1_3genE3ELNS1_11target_archE908ELNS1_3gpuE7ELNS1_3repE0EEENS1_30default_config_static_selectorELNS0_4arch9wavefront6targetE1EEEvT1_,@function
_ZN7rocprim17ROCPRIM_400000_NS6detail17trampoline_kernelINS0_14default_configENS1_25transform_config_selectorIsLb0EEEZNS1_14transform_implILb0ES3_S5_NS0_18transform_iteratorINS0_17counting_iteratorImlEEZNS1_24adjacent_difference_implIS3_Lb1ELb0EPsSB_N6thrust23THRUST_200600_302600_NS4plusIsEEEE10hipError_tPvRmT2_T3_mT4_P12ihipStream_tbEUlmE_sEESB_NS0_8identityIvEEEESG_SJ_SK_mSL_SN_bEUlT_E_NS1_11comp_targetILNS1_3genE3ELNS1_11target_archE908ELNS1_3gpuE7ELNS1_3repE0EEENS1_30default_config_static_selectorELNS0_4arch9wavefront6targetE1EEEvT1_: ; @_ZN7rocprim17ROCPRIM_400000_NS6detail17trampoline_kernelINS0_14default_configENS1_25transform_config_selectorIsLb0EEEZNS1_14transform_implILb0ES3_S5_NS0_18transform_iteratorINS0_17counting_iteratorImlEEZNS1_24adjacent_difference_implIS3_Lb1ELb0EPsSB_N6thrust23THRUST_200600_302600_NS4plusIsEEEE10hipError_tPvRmT2_T3_mT4_P12ihipStream_tbEUlmE_sEESB_NS0_8identityIvEEEESG_SJ_SK_mSL_SN_bEUlT_E_NS1_11comp_targetILNS1_3genE3ELNS1_11target_archE908ELNS1_3gpuE7ELNS1_3repE0EEENS1_30default_config_static_selectorELNS0_4arch9wavefront6targetE1EEEvT1_
; %bb.0:
	.section	.rodata,"a",@progbits
	.p2align	6, 0x0
	.amdhsa_kernel _ZN7rocprim17ROCPRIM_400000_NS6detail17trampoline_kernelINS0_14default_configENS1_25transform_config_selectorIsLb0EEEZNS1_14transform_implILb0ES3_S5_NS0_18transform_iteratorINS0_17counting_iteratorImlEEZNS1_24adjacent_difference_implIS3_Lb1ELb0EPsSB_N6thrust23THRUST_200600_302600_NS4plusIsEEEE10hipError_tPvRmT2_T3_mT4_P12ihipStream_tbEUlmE_sEESB_NS0_8identityIvEEEESG_SJ_SK_mSL_SN_bEUlT_E_NS1_11comp_targetILNS1_3genE3ELNS1_11target_archE908ELNS1_3gpuE7ELNS1_3repE0EEENS1_30default_config_static_selectorELNS0_4arch9wavefront6targetE1EEEvT1_
		.amdhsa_group_segment_fixed_size 0
		.amdhsa_private_segment_fixed_size 0
		.amdhsa_kernarg_size 56
		.amdhsa_user_sgpr_count 6
		.amdhsa_user_sgpr_private_segment_buffer 1
		.amdhsa_user_sgpr_dispatch_ptr 0
		.amdhsa_user_sgpr_queue_ptr 0
		.amdhsa_user_sgpr_kernarg_segment_ptr 1
		.amdhsa_user_sgpr_dispatch_id 0
		.amdhsa_user_sgpr_flat_scratch_init 0
		.amdhsa_user_sgpr_private_segment_size 0
		.amdhsa_uses_dynamic_stack 0
		.amdhsa_system_sgpr_private_segment_wavefront_offset 0
		.amdhsa_system_sgpr_workgroup_id_x 1
		.amdhsa_system_sgpr_workgroup_id_y 0
		.amdhsa_system_sgpr_workgroup_id_z 0
		.amdhsa_system_sgpr_workgroup_info 0
		.amdhsa_system_vgpr_workitem_id 0
		.amdhsa_next_free_vgpr 1
		.amdhsa_next_free_sgpr 0
		.amdhsa_reserve_vcc 0
		.amdhsa_reserve_flat_scratch 0
		.amdhsa_float_round_mode_32 0
		.amdhsa_float_round_mode_16_64 0
		.amdhsa_float_denorm_mode_32 3
		.amdhsa_float_denorm_mode_16_64 3
		.amdhsa_dx10_clamp 1
		.amdhsa_ieee_mode 1
		.amdhsa_fp16_overflow 0
		.amdhsa_exception_fp_ieee_invalid_op 0
		.amdhsa_exception_fp_denorm_src 0
		.amdhsa_exception_fp_ieee_div_zero 0
		.amdhsa_exception_fp_ieee_overflow 0
		.amdhsa_exception_fp_ieee_underflow 0
		.amdhsa_exception_fp_ieee_inexact 0
		.amdhsa_exception_int_div_zero 0
	.end_amdhsa_kernel
	.section	.text._ZN7rocprim17ROCPRIM_400000_NS6detail17trampoline_kernelINS0_14default_configENS1_25transform_config_selectorIsLb0EEEZNS1_14transform_implILb0ES3_S5_NS0_18transform_iteratorINS0_17counting_iteratorImlEEZNS1_24adjacent_difference_implIS3_Lb1ELb0EPsSB_N6thrust23THRUST_200600_302600_NS4plusIsEEEE10hipError_tPvRmT2_T3_mT4_P12ihipStream_tbEUlmE_sEESB_NS0_8identityIvEEEESG_SJ_SK_mSL_SN_bEUlT_E_NS1_11comp_targetILNS1_3genE3ELNS1_11target_archE908ELNS1_3gpuE7ELNS1_3repE0EEENS1_30default_config_static_selectorELNS0_4arch9wavefront6targetE1EEEvT1_,"axG",@progbits,_ZN7rocprim17ROCPRIM_400000_NS6detail17trampoline_kernelINS0_14default_configENS1_25transform_config_selectorIsLb0EEEZNS1_14transform_implILb0ES3_S5_NS0_18transform_iteratorINS0_17counting_iteratorImlEEZNS1_24adjacent_difference_implIS3_Lb1ELb0EPsSB_N6thrust23THRUST_200600_302600_NS4plusIsEEEE10hipError_tPvRmT2_T3_mT4_P12ihipStream_tbEUlmE_sEESB_NS0_8identityIvEEEESG_SJ_SK_mSL_SN_bEUlT_E_NS1_11comp_targetILNS1_3genE3ELNS1_11target_archE908ELNS1_3gpuE7ELNS1_3repE0EEENS1_30default_config_static_selectorELNS0_4arch9wavefront6targetE1EEEvT1_,comdat
.Lfunc_end394:
	.size	_ZN7rocprim17ROCPRIM_400000_NS6detail17trampoline_kernelINS0_14default_configENS1_25transform_config_selectorIsLb0EEEZNS1_14transform_implILb0ES3_S5_NS0_18transform_iteratorINS0_17counting_iteratorImlEEZNS1_24adjacent_difference_implIS3_Lb1ELb0EPsSB_N6thrust23THRUST_200600_302600_NS4plusIsEEEE10hipError_tPvRmT2_T3_mT4_P12ihipStream_tbEUlmE_sEESB_NS0_8identityIvEEEESG_SJ_SK_mSL_SN_bEUlT_E_NS1_11comp_targetILNS1_3genE3ELNS1_11target_archE908ELNS1_3gpuE7ELNS1_3repE0EEENS1_30default_config_static_selectorELNS0_4arch9wavefront6targetE1EEEvT1_, .Lfunc_end394-_ZN7rocprim17ROCPRIM_400000_NS6detail17trampoline_kernelINS0_14default_configENS1_25transform_config_selectorIsLb0EEEZNS1_14transform_implILb0ES3_S5_NS0_18transform_iteratorINS0_17counting_iteratorImlEEZNS1_24adjacent_difference_implIS3_Lb1ELb0EPsSB_N6thrust23THRUST_200600_302600_NS4plusIsEEEE10hipError_tPvRmT2_T3_mT4_P12ihipStream_tbEUlmE_sEESB_NS0_8identityIvEEEESG_SJ_SK_mSL_SN_bEUlT_E_NS1_11comp_targetILNS1_3genE3ELNS1_11target_archE908ELNS1_3gpuE7ELNS1_3repE0EEENS1_30default_config_static_selectorELNS0_4arch9wavefront6targetE1EEEvT1_
                                        ; -- End function
	.set _ZN7rocprim17ROCPRIM_400000_NS6detail17trampoline_kernelINS0_14default_configENS1_25transform_config_selectorIsLb0EEEZNS1_14transform_implILb0ES3_S5_NS0_18transform_iteratorINS0_17counting_iteratorImlEEZNS1_24adjacent_difference_implIS3_Lb1ELb0EPsSB_N6thrust23THRUST_200600_302600_NS4plusIsEEEE10hipError_tPvRmT2_T3_mT4_P12ihipStream_tbEUlmE_sEESB_NS0_8identityIvEEEESG_SJ_SK_mSL_SN_bEUlT_E_NS1_11comp_targetILNS1_3genE3ELNS1_11target_archE908ELNS1_3gpuE7ELNS1_3repE0EEENS1_30default_config_static_selectorELNS0_4arch9wavefront6targetE1EEEvT1_.num_vgpr, 0
	.set _ZN7rocprim17ROCPRIM_400000_NS6detail17trampoline_kernelINS0_14default_configENS1_25transform_config_selectorIsLb0EEEZNS1_14transform_implILb0ES3_S5_NS0_18transform_iteratorINS0_17counting_iteratorImlEEZNS1_24adjacent_difference_implIS3_Lb1ELb0EPsSB_N6thrust23THRUST_200600_302600_NS4plusIsEEEE10hipError_tPvRmT2_T3_mT4_P12ihipStream_tbEUlmE_sEESB_NS0_8identityIvEEEESG_SJ_SK_mSL_SN_bEUlT_E_NS1_11comp_targetILNS1_3genE3ELNS1_11target_archE908ELNS1_3gpuE7ELNS1_3repE0EEENS1_30default_config_static_selectorELNS0_4arch9wavefront6targetE1EEEvT1_.num_agpr, 0
	.set _ZN7rocprim17ROCPRIM_400000_NS6detail17trampoline_kernelINS0_14default_configENS1_25transform_config_selectorIsLb0EEEZNS1_14transform_implILb0ES3_S5_NS0_18transform_iteratorINS0_17counting_iteratorImlEEZNS1_24adjacent_difference_implIS3_Lb1ELb0EPsSB_N6thrust23THRUST_200600_302600_NS4plusIsEEEE10hipError_tPvRmT2_T3_mT4_P12ihipStream_tbEUlmE_sEESB_NS0_8identityIvEEEESG_SJ_SK_mSL_SN_bEUlT_E_NS1_11comp_targetILNS1_3genE3ELNS1_11target_archE908ELNS1_3gpuE7ELNS1_3repE0EEENS1_30default_config_static_selectorELNS0_4arch9wavefront6targetE1EEEvT1_.numbered_sgpr, 0
	.set _ZN7rocprim17ROCPRIM_400000_NS6detail17trampoline_kernelINS0_14default_configENS1_25transform_config_selectorIsLb0EEEZNS1_14transform_implILb0ES3_S5_NS0_18transform_iteratorINS0_17counting_iteratorImlEEZNS1_24adjacent_difference_implIS3_Lb1ELb0EPsSB_N6thrust23THRUST_200600_302600_NS4plusIsEEEE10hipError_tPvRmT2_T3_mT4_P12ihipStream_tbEUlmE_sEESB_NS0_8identityIvEEEESG_SJ_SK_mSL_SN_bEUlT_E_NS1_11comp_targetILNS1_3genE3ELNS1_11target_archE908ELNS1_3gpuE7ELNS1_3repE0EEENS1_30default_config_static_selectorELNS0_4arch9wavefront6targetE1EEEvT1_.num_named_barrier, 0
	.set _ZN7rocprim17ROCPRIM_400000_NS6detail17trampoline_kernelINS0_14default_configENS1_25transform_config_selectorIsLb0EEEZNS1_14transform_implILb0ES3_S5_NS0_18transform_iteratorINS0_17counting_iteratorImlEEZNS1_24adjacent_difference_implIS3_Lb1ELb0EPsSB_N6thrust23THRUST_200600_302600_NS4plusIsEEEE10hipError_tPvRmT2_T3_mT4_P12ihipStream_tbEUlmE_sEESB_NS0_8identityIvEEEESG_SJ_SK_mSL_SN_bEUlT_E_NS1_11comp_targetILNS1_3genE3ELNS1_11target_archE908ELNS1_3gpuE7ELNS1_3repE0EEENS1_30default_config_static_selectorELNS0_4arch9wavefront6targetE1EEEvT1_.private_seg_size, 0
	.set _ZN7rocprim17ROCPRIM_400000_NS6detail17trampoline_kernelINS0_14default_configENS1_25transform_config_selectorIsLb0EEEZNS1_14transform_implILb0ES3_S5_NS0_18transform_iteratorINS0_17counting_iteratorImlEEZNS1_24adjacent_difference_implIS3_Lb1ELb0EPsSB_N6thrust23THRUST_200600_302600_NS4plusIsEEEE10hipError_tPvRmT2_T3_mT4_P12ihipStream_tbEUlmE_sEESB_NS0_8identityIvEEEESG_SJ_SK_mSL_SN_bEUlT_E_NS1_11comp_targetILNS1_3genE3ELNS1_11target_archE908ELNS1_3gpuE7ELNS1_3repE0EEENS1_30default_config_static_selectorELNS0_4arch9wavefront6targetE1EEEvT1_.uses_vcc, 0
	.set _ZN7rocprim17ROCPRIM_400000_NS6detail17trampoline_kernelINS0_14default_configENS1_25transform_config_selectorIsLb0EEEZNS1_14transform_implILb0ES3_S5_NS0_18transform_iteratorINS0_17counting_iteratorImlEEZNS1_24adjacent_difference_implIS3_Lb1ELb0EPsSB_N6thrust23THRUST_200600_302600_NS4plusIsEEEE10hipError_tPvRmT2_T3_mT4_P12ihipStream_tbEUlmE_sEESB_NS0_8identityIvEEEESG_SJ_SK_mSL_SN_bEUlT_E_NS1_11comp_targetILNS1_3genE3ELNS1_11target_archE908ELNS1_3gpuE7ELNS1_3repE0EEENS1_30default_config_static_selectorELNS0_4arch9wavefront6targetE1EEEvT1_.uses_flat_scratch, 0
	.set _ZN7rocprim17ROCPRIM_400000_NS6detail17trampoline_kernelINS0_14default_configENS1_25transform_config_selectorIsLb0EEEZNS1_14transform_implILb0ES3_S5_NS0_18transform_iteratorINS0_17counting_iteratorImlEEZNS1_24adjacent_difference_implIS3_Lb1ELb0EPsSB_N6thrust23THRUST_200600_302600_NS4plusIsEEEE10hipError_tPvRmT2_T3_mT4_P12ihipStream_tbEUlmE_sEESB_NS0_8identityIvEEEESG_SJ_SK_mSL_SN_bEUlT_E_NS1_11comp_targetILNS1_3genE3ELNS1_11target_archE908ELNS1_3gpuE7ELNS1_3repE0EEENS1_30default_config_static_selectorELNS0_4arch9wavefront6targetE1EEEvT1_.has_dyn_sized_stack, 0
	.set _ZN7rocprim17ROCPRIM_400000_NS6detail17trampoline_kernelINS0_14default_configENS1_25transform_config_selectorIsLb0EEEZNS1_14transform_implILb0ES3_S5_NS0_18transform_iteratorINS0_17counting_iteratorImlEEZNS1_24adjacent_difference_implIS3_Lb1ELb0EPsSB_N6thrust23THRUST_200600_302600_NS4plusIsEEEE10hipError_tPvRmT2_T3_mT4_P12ihipStream_tbEUlmE_sEESB_NS0_8identityIvEEEESG_SJ_SK_mSL_SN_bEUlT_E_NS1_11comp_targetILNS1_3genE3ELNS1_11target_archE908ELNS1_3gpuE7ELNS1_3repE0EEENS1_30default_config_static_selectorELNS0_4arch9wavefront6targetE1EEEvT1_.has_recursion, 0
	.set _ZN7rocprim17ROCPRIM_400000_NS6detail17trampoline_kernelINS0_14default_configENS1_25transform_config_selectorIsLb0EEEZNS1_14transform_implILb0ES3_S5_NS0_18transform_iteratorINS0_17counting_iteratorImlEEZNS1_24adjacent_difference_implIS3_Lb1ELb0EPsSB_N6thrust23THRUST_200600_302600_NS4plusIsEEEE10hipError_tPvRmT2_T3_mT4_P12ihipStream_tbEUlmE_sEESB_NS0_8identityIvEEEESG_SJ_SK_mSL_SN_bEUlT_E_NS1_11comp_targetILNS1_3genE3ELNS1_11target_archE908ELNS1_3gpuE7ELNS1_3repE0EEENS1_30default_config_static_selectorELNS0_4arch9wavefront6targetE1EEEvT1_.has_indirect_call, 0
	.section	.AMDGPU.csdata,"",@progbits
; Kernel info:
; codeLenInByte = 0
; TotalNumSgprs: 4
; NumVgprs: 0
; ScratchSize: 0
; MemoryBound: 0
; FloatMode: 240
; IeeeMode: 1
; LDSByteSize: 0 bytes/workgroup (compile time only)
; SGPRBlocks: 0
; VGPRBlocks: 0
; NumSGPRsForWavesPerEU: 4
; NumVGPRsForWavesPerEU: 1
; Occupancy: 10
; WaveLimiterHint : 0
; COMPUTE_PGM_RSRC2:SCRATCH_EN: 0
; COMPUTE_PGM_RSRC2:USER_SGPR: 6
; COMPUTE_PGM_RSRC2:TRAP_HANDLER: 0
; COMPUTE_PGM_RSRC2:TGID_X_EN: 1
; COMPUTE_PGM_RSRC2:TGID_Y_EN: 0
; COMPUTE_PGM_RSRC2:TGID_Z_EN: 0
; COMPUTE_PGM_RSRC2:TIDIG_COMP_CNT: 0
	.section	.text._ZN7rocprim17ROCPRIM_400000_NS6detail17trampoline_kernelINS0_14default_configENS1_25transform_config_selectorIsLb0EEEZNS1_14transform_implILb0ES3_S5_NS0_18transform_iteratorINS0_17counting_iteratorImlEEZNS1_24adjacent_difference_implIS3_Lb1ELb0EPsSB_N6thrust23THRUST_200600_302600_NS4plusIsEEEE10hipError_tPvRmT2_T3_mT4_P12ihipStream_tbEUlmE_sEESB_NS0_8identityIvEEEESG_SJ_SK_mSL_SN_bEUlT_E_NS1_11comp_targetILNS1_3genE2ELNS1_11target_archE906ELNS1_3gpuE6ELNS1_3repE0EEENS1_30default_config_static_selectorELNS0_4arch9wavefront6targetE1EEEvT1_,"axG",@progbits,_ZN7rocprim17ROCPRIM_400000_NS6detail17trampoline_kernelINS0_14default_configENS1_25transform_config_selectorIsLb0EEEZNS1_14transform_implILb0ES3_S5_NS0_18transform_iteratorINS0_17counting_iteratorImlEEZNS1_24adjacent_difference_implIS3_Lb1ELb0EPsSB_N6thrust23THRUST_200600_302600_NS4plusIsEEEE10hipError_tPvRmT2_T3_mT4_P12ihipStream_tbEUlmE_sEESB_NS0_8identityIvEEEESG_SJ_SK_mSL_SN_bEUlT_E_NS1_11comp_targetILNS1_3genE2ELNS1_11target_archE906ELNS1_3gpuE6ELNS1_3repE0EEENS1_30default_config_static_selectorELNS0_4arch9wavefront6targetE1EEEvT1_,comdat
	.protected	_ZN7rocprim17ROCPRIM_400000_NS6detail17trampoline_kernelINS0_14default_configENS1_25transform_config_selectorIsLb0EEEZNS1_14transform_implILb0ES3_S5_NS0_18transform_iteratorINS0_17counting_iteratorImlEEZNS1_24adjacent_difference_implIS3_Lb1ELb0EPsSB_N6thrust23THRUST_200600_302600_NS4plusIsEEEE10hipError_tPvRmT2_T3_mT4_P12ihipStream_tbEUlmE_sEESB_NS0_8identityIvEEEESG_SJ_SK_mSL_SN_bEUlT_E_NS1_11comp_targetILNS1_3genE2ELNS1_11target_archE906ELNS1_3gpuE6ELNS1_3repE0EEENS1_30default_config_static_selectorELNS0_4arch9wavefront6targetE1EEEvT1_ ; -- Begin function _ZN7rocprim17ROCPRIM_400000_NS6detail17trampoline_kernelINS0_14default_configENS1_25transform_config_selectorIsLb0EEEZNS1_14transform_implILb0ES3_S5_NS0_18transform_iteratorINS0_17counting_iteratorImlEEZNS1_24adjacent_difference_implIS3_Lb1ELb0EPsSB_N6thrust23THRUST_200600_302600_NS4plusIsEEEE10hipError_tPvRmT2_T3_mT4_P12ihipStream_tbEUlmE_sEESB_NS0_8identityIvEEEESG_SJ_SK_mSL_SN_bEUlT_E_NS1_11comp_targetILNS1_3genE2ELNS1_11target_archE906ELNS1_3gpuE6ELNS1_3repE0EEENS1_30default_config_static_selectorELNS0_4arch9wavefront6targetE1EEEvT1_
	.globl	_ZN7rocprim17ROCPRIM_400000_NS6detail17trampoline_kernelINS0_14default_configENS1_25transform_config_selectorIsLb0EEEZNS1_14transform_implILb0ES3_S5_NS0_18transform_iteratorINS0_17counting_iteratorImlEEZNS1_24adjacent_difference_implIS3_Lb1ELb0EPsSB_N6thrust23THRUST_200600_302600_NS4plusIsEEEE10hipError_tPvRmT2_T3_mT4_P12ihipStream_tbEUlmE_sEESB_NS0_8identityIvEEEESG_SJ_SK_mSL_SN_bEUlT_E_NS1_11comp_targetILNS1_3genE2ELNS1_11target_archE906ELNS1_3gpuE6ELNS1_3repE0EEENS1_30default_config_static_selectorELNS0_4arch9wavefront6targetE1EEEvT1_
	.p2align	8
	.type	_ZN7rocprim17ROCPRIM_400000_NS6detail17trampoline_kernelINS0_14default_configENS1_25transform_config_selectorIsLb0EEEZNS1_14transform_implILb0ES3_S5_NS0_18transform_iteratorINS0_17counting_iteratorImlEEZNS1_24adjacent_difference_implIS3_Lb1ELb0EPsSB_N6thrust23THRUST_200600_302600_NS4plusIsEEEE10hipError_tPvRmT2_T3_mT4_P12ihipStream_tbEUlmE_sEESB_NS0_8identityIvEEEESG_SJ_SK_mSL_SN_bEUlT_E_NS1_11comp_targetILNS1_3genE2ELNS1_11target_archE906ELNS1_3gpuE6ELNS1_3repE0EEENS1_30default_config_static_selectorELNS0_4arch9wavefront6targetE1EEEvT1_,@function
_ZN7rocprim17ROCPRIM_400000_NS6detail17trampoline_kernelINS0_14default_configENS1_25transform_config_selectorIsLb0EEEZNS1_14transform_implILb0ES3_S5_NS0_18transform_iteratorINS0_17counting_iteratorImlEEZNS1_24adjacent_difference_implIS3_Lb1ELb0EPsSB_N6thrust23THRUST_200600_302600_NS4plusIsEEEE10hipError_tPvRmT2_T3_mT4_P12ihipStream_tbEUlmE_sEESB_NS0_8identityIvEEEESG_SJ_SK_mSL_SN_bEUlT_E_NS1_11comp_targetILNS1_3genE2ELNS1_11target_archE906ELNS1_3gpuE6ELNS1_3repE0EEENS1_30default_config_static_selectorELNS0_4arch9wavefront6targetE1EEEvT1_: ; @_ZN7rocprim17ROCPRIM_400000_NS6detail17trampoline_kernelINS0_14default_configENS1_25transform_config_selectorIsLb0EEEZNS1_14transform_implILb0ES3_S5_NS0_18transform_iteratorINS0_17counting_iteratorImlEEZNS1_24adjacent_difference_implIS3_Lb1ELb0EPsSB_N6thrust23THRUST_200600_302600_NS4plusIsEEEE10hipError_tPvRmT2_T3_mT4_P12ihipStream_tbEUlmE_sEESB_NS0_8identityIvEEEESG_SJ_SK_mSL_SN_bEUlT_E_NS1_11comp_targetILNS1_3genE2ELNS1_11target_archE906ELNS1_3gpuE6ELNS1_3repE0EEENS1_30default_config_static_selectorELNS0_4arch9wavefront6targetE1EEEvT1_
; %bb.0:
	s_load_dwordx4 s[0:3], s[4:5], 0x18
	s_load_dwordx2 s[12:13], s[4:5], 0x28
	s_load_dwordx4 s[8:11], s[4:5], 0x0
	s_load_dword s14, s[4:5], 0x10
	s_waitcnt lgkmcnt(0)
	s_load_dword s3, s[4:5], 0x38
                                        ; kill: killed $sgpr4_sgpr5
	s_lshl_b64 s[4:5], s[0:1], 1
	s_add_u32 s18, s12, s4
	s_addc_u32 s19, s13, s5
	s_lshl_b32 s12, s6, 11
	s_waitcnt lgkmcnt(0)
	s_add_i32 s3, s3, -1
	s_add_u32 s4, s8, s12
	s_addc_u32 s5, s9, 0
	s_add_u32 s20, s4, s0
	s_addc_u32 s21, s5, s1
	s_mov_b32 s13, 0
	s_cmp_lg_u32 s6, s3
	v_lshlrev_b32_e32 v5, 1, v0
	s_cbranch_scc0 .LBB395_2
; %bb.1:
	v_mov_b32_e32 v1, s21
	v_add_co_u32_e32 v2, vcc, s20, v0
	v_addc_co_u32_e32 v3, vcc, 0, v1, vcc
	v_mad_u64_u32 v[1:2], s[0:1], v2, s14, 0
	s_mov_b32 s15, s13
	s_lshl_b64 s[4:5], s[12:13], 1
	v_mad_u64_u32 v[2:3], s[0:1], v3, s14, v[2:3]
	v_mov_b32_e32 v3, s11
	s_lshl_b64 s[0:1], s[14:15], 10
	v_lshlrev_b64 v[1:2], 1, v[1:2]
	v_mov_b32_e32 v8, s1
	v_add_co_u32_e32 v1, vcc, s10, v1
	v_addc_co_u32_e32 v2, vcc, v3, v2, vcc
	v_add_co_u32_e32 v3, vcc, s0, v1
	v_addc_co_u32_e32 v4, vcc, v2, v8, vcc
	;; [unrolled: 2-line block ×3, first 2 shown]
	global_load_ushort v9, v[1:2], off
	global_load_ushort v10, v[3:4], off
	;; [unrolled: 1-line block ×3, first 2 shown]
	v_add_co_u32_e32 v1, vcc, s0, v6
	v_addc_co_u32_e32 v2, vcc, v7, v8, vcc
	global_load_ushort v1, v[1:2], off
	s_add_u32 s4, s18, s4
	s_addc_u32 s5, s19, s5
	v_mov_b32_e32 v2, s5
	v_add_co_u32_e32 v3, vcc, s4, v5
	v_addc_co_u32_e32 v4, vcc, 0, v2, vcc
	s_mov_b64 s[8:9], -1
	s_waitcnt vmcnt(3)
	global_store_short v5, v9, s[4:5]
	s_waitcnt vmcnt(3)
	global_store_short v5, v10, s[4:5] offset:1024
	s_waitcnt vmcnt(3)
	global_store_short v5, v11, s[4:5] offset:2048
	s_cbranch_execz .LBB395_3
	s_branch .LBB395_17
.LBB395_2:
	s_mov_b64 s[8:9], 0
                                        ; implicit-def: $vgpr1
                                        ; implicit-def: $vgpr3_vgpr4
.LBB395_3:
	s_sub_i32 s15, s2, s12
	s_waitcnt vmcnt(3)
	v_mov_b32_e32 v1, 0
	v_cmp_gt_u32_e32 vcc, s15, v0
	v_mov_b32_e32 v2, v1
	s_and_saveexec_b64 s[2:3], vcc
	s_cbranch_execz .LBB395_5
; %bb.4:
	v_mov_b32_e32 v2, s21
	v_add_co_u32_e64 v3, s[0:1], s20, v0
	v_addc_co_u32_e64 v4, s[0:1], 0, v2, s[0:1]
	v_mad_u64_u32 v[2:3], s[0:1], v3, s14, 0
	v_mad_u64_u32 v[3:4], s[0:1], v4, s14, v[3:4]
	v_mov_b32_e32 v4, s11
	v_lshlrev_b64 v[2:3], 1, v[2:3]
	v_add_co_u32_e64 v2, s[0:1], s10, v2
	v_addc_co_u32_e64 v3, s[0:1], v4, v3, s[0:1]
	global_load_ushort v2, v[2:3], off
	v_mov_b32_e32 v3, v1
	s_waitcnt vmcnt(0)
	v_and_b32_e32 v2, 0xffff, v2
	v_mov_b32_e32 v1, v2
	v_mov_b32_e32 v2, v3
.LBB395_5:
	s_or_b64 exec, exec, s[2:3]
	v_or_b32_e32 v3, 0x200, v0
	v_cmp_gt_u32_e64 s[0:1], s15, v3
	s_and_saveexec_b64 s[4:5], s[0:1]
	s_cbranch_execz .LBB395_7
; %bb.6:
	v_mov_b32_e32 v4, s21
	v_add_co_u32_e64 v3, s[2:3], s20, v3
	v_addc_co_u32_e64 v6, s[2:3], 0, v4, s[2:3]
	v_mad_u64_u32 v[3:4], s[2:3], v3, s14, 0
	v_mad_u64_u32 v[6:7], s[2:3], v6, s14, v[4:5]
	v_mov_b32_e32 v4, v6
	v_lshlrev_b64 v[3:4], 1, v[3:4]
	v_mov_b32_e32 v6, s11
	v_add_co_u32_e64 v3, s[2:3], s10, v3
	v_addc_co_u32_e64 v4, s[2:3], v6, v4, s[2:3]
	global_load_ushort v3, v[3:4], off
	s_mov_b32 s2, 0x5040100
	s_waitcnt vmcnt(0)
	v_perm_b32 v1, v3, v1, s2
.LBB395_7:
	s_or_b64 exec, exec, s[4:5]
	v_or_b32_e32 v3, 0x400, v0
	v_cmp_gt_u32_e64 s[2:3], s15, v3
	s_and_saveexec_b64 s[6:7], s[2:3]
	s_cbranch_execz .LBB395_9
; %bb.8:
	v_mov_b32_e32 v4, s21
	v_add_co_u32_e64 v3, s[4:5], s20, v3
	v_addc_co_u32_e64 v6, s[4:5], 0, v4, s[4:5]
	v_mad_u64_u32 v[3:4], s[4:5], v3, s14, 0
	v_mad_u64_u32 v[6:7], s[4:5], v6, s14, v[4:5]
	v_mov_b32_e32 v4, v6
	v_lshlrev_b64 v[3:4], 1, v[3:4]
	v_mov_b32_e32 v6, s11
	v_add_co_u32_e64 v3, s[4:5], s10, v3
	v_addc_co_u32_e64 v4, s[4:5], v6, v4, s[4:5]
	global_load_ushort v3, v[3:4], off
	s_mov_b32 s4, 0xffff
	s_waitcnt vmcnt(0)
	v_bfi_b32 v2, s4, v3, v2
.LBB395_9:
	s_or_b64 exec, exec, s[6:7]
	v_or_b32_e32 v0, 0x600, v0
	v_cmp_gt_u32_e64 s[4:5], s15, v0
	s_and_saveexec_b64 s[16:17], s[4:5]
	s_cbranch_execz .LBB395_11
; %bb.10:
	v_mov_b32_e32 v3, s21
	v_add_co_u32_e64 v0, s[6:7], s20, v0
	v_addc_co_u32_e64 v6, s[6:7], 0, v3, s[6:7]
	v_mad_u64_u32 v[3:4], s[6:7], v0, s14, 0
	v_mov_b32_e32 v0, v4
	v_mad_u64_u32 v[6:7], s[6:7], v6, s14, v[0:1]
	v_mov_b32_e32 v0, s11
	v_mov_b32_e32 v4, v6
	v_lshlrev_b64 v[3:4], 1, v[3:4]
	v_add_co_u32_e64 v3, s[6:7], s10, v3
	v_addc_co_u32_e64 v4, s[6:7], v0, v4, s[6:7]
	global_load_ushort v0, v[3:4], off
	s_mov_b32 s6, 0x5040100
	s_waitcnt vmcnt(0)
	v_perm_b32 v2, v0, v2, s6
.LBB395_11:
	s_or_b64 exec, exec, s[16:17]
	s_lshl_b64 s[6:7], s[12:13], 1
	s_add_u32 s6, s18, s6
	s_addc_u32 s7, s19, s7
	v_mov_b32_e32 v0, 0
	v_mov_b32_e32 v4, s7
	v_add_co_u32_e64 v3, s[6:7], s6, v5
	v_cndmask_b32_sdwa v0, v0, v1, vcc dst_sel:DWORD dst_unused:UNUSED_PAD src0_sel:DWORD src1_sel:WORD_0
	v_addc_co_u32_e64 v4, s[6:7], 0, v4, s[6:7]
	s_and_saveexec_b64 s[6:7], vcc
	s_cbranch_execnz .LBB395_20
; %bb.12:
	s_or_b64 exec, exec, s[6:7]
	v_cndmask_b32_e64 v0, v0, v1, s[0:1]
	s_and_saveexec_b64 s[6:7], s[0:1]
	s_cbranch_execnz .LBB395_21
.LBB395_13:
	s_or_b64 exec, exec, s[6:7]
	s_and_saveexec_b64 s[0:1], s[2:3]
	s_cbranch_execnz .LBB395_22
.LBB395_14:
	s_or_b64 exec, exec, s[0:1]
                                        ; implicit-def: $vgpr1
	s_and_saveexec_b64 s[0:1], s[4:5]
.LBB395_15:
	v_cndmask_b32_e64 v0, 0, v2, s[4:5]
	v_lshrrev_b32_e32 v1, 16, v0
	s_or_b64 s[8:9], s[8:9], exec
.LBB395_16:
	s_or_b64 exec, exec, s[0:1]
.LBB395_17:
	s_and_saveexec_b64 s[0:1], s[8:9]
	s_cbranch_execnz .LBB395_19
; %bb.18:
	s_endpgm
.LBB395_19:
	s_waitcnt vmcnt(3)
	global_store_short v[3:4], v1, off offset:3072
	s_endpgm
.LBB395_20:
	global_store_short v[3:4], v0, off
	s_or_b64 exec, exec, s[6:7]
	v_cndmask_b32_e64 v0, v0, v1, s[0:1]
	s_and_saveexec_b64 s[6:7], s[0:1]
	s_cbranch_execz .LBB395_13
.LBB395_21:
	global_store_short_d16_hi v[3:4], v0, off offset:1024
	s_or_b64 exec, exec, s[6:7]
	s_and_saveexec_b64 s[0:1], s[2:3]
	s_cbranch_execz .LBB395_14
.LBB395_22:
	v_cndmask_b32_e64 v0, 0, v2, s[2:3]
	global_store_short v[3:4], v0, off offset:2048
	s_or_b64 exec, exec, s[0:1]
                                        ; implicit-def: $vgpr1
	s_and_saveexec_b64 s[0:1], s[4:5]
	s_cbranch_execnz .LBB395_15
	s_branch .LBB395_16
	.section	.rodata,"a",@progbits
	.p2align	6, 0x0
	.amdhsa_kernel _ZN7rocprim17ROCPRIM_400000_NS6detail17trampoline_kernelINS0_14default_configENS1_25transform_config_selectorIsLb0EEEZNS1_14transform_implILb0ES3_S5_NS0_18transform_iteratorINS0_17counting_iteratorImlEEZNS1_24adjacent_difference_implIS3_Lb1ELb0EPsSB_N6thrust23THRUST_200600_302600_NS4plusIsEEEE10hipError_tPvRmT2_T3_mT4_P12ihipStream_tbEUlmE_sEESB_NS0_8identityIvEEEESG_SJ_SK_mSL_SN_bEUlT_E_NS1_11comp_targetILNS1_3genE2ELNS1_11target_archE906ELNS1_3gpuE6ELNS1_3repE0EEENS1_30default_config_static_selectorELNS0_4arch9wavefront6targetE1EEEvT1_
		.amdhsa_group_segment_fixed_size 0
		.amdhsa_private_segment_fixed_size 0
		.amdhsa_kernarg_size 312
		.amdhsa_user_sgpr_count 6
		.amdhsa_user_sgpr_private_segment_buffer 1
		.amdhsa_user_sgpr_dispatch_ptr 0
		.amdhsa_user_sgpr_queue_ptr 0
		.amdhsa_user_sgpr_kernarg_segment_ptr 1
		.amdhsa_user_sgpr_dispatch_id 0
		.amdhsa_user_sgpr_flat_scratch_init 0
		.amdhsa_user_sgpr_private_segment_size 0
		.amdhsa_uses_dynamic_stack 0
		.amdhsa_system_sgpr_private_segment_wavefront_offset 0
		.amdhsa_system_sgpr_workgroup_id_x 1
		.amdhsa_system_sgpr_workgroup_id_y 0
		.amdhsa_system_sgpr_workgroup_id_z 0
		.amdhsa_system_sgpr_workgroup_info 0
		.amdhsa_system_vgpr_workitem_id 0
		.amdhsa_next_free_vgpr 12
		.amdhsa_next_free_sgpr 22
		.amdhsa_reserve_vcc 1
		.amdhsa_reserve_flat_scratch 0
		.amdhsa_float_round_mode_32 0
		.amdhsa_float_round_mode_16_64 0
		.amdhsa_float_denorm_mode_32 3
		.amdhsa_float_denorm_mode_16_64 3
		.amdhsa_dx10_clamp 1
		.amdhsa_ieee_mode 1
		.amdhsa_fp16_overflow 0
		.amdhsa_exception_fp_ieee_invalid_op 0
		.amdhsa_exception_fp_denorm_src 0
		.amdhsa_exception_fp_ieee_div_zero 0
		.amdhsa_exception_fp_ieee_overflow 0
		.amdhsa_exception_fp_ieee_underflow 0
		.amdhsa_exception_fp_ieee_inexact 0
		.amdhsa_exception_int_div_zero 0
	.end_amdhsa_kernel
	.section	.text._ZN7rocprim17ROCPRIM_400000_NS6detail17trampoline_kernelINS0_14default_configENS1_25transform_config_selectorIsLb0EEEZNS1_14transform_implILb0ES3_S5_NS0_18transform_iteratorINS0_17counting_iteratorImlEEZNS1_24adjacent_difference_implIS3_Lb1ELb0EPsSB_N6thrust23THRUST_200600_302600_NS4plusIsEEEE10hipError_tPvRmT2_T3_mT4_P12ihipStream_tbEUlmE_sEESB_NS0_8identityIvEEEESG_SJ_SK_mSL_SN_bEUlT_E_NS1_11comp_targetILNS1_3genE2ELNS1_11target_archE906ELNS1_3gpuE6ELNS1_3repE0EEENS1_30default_config_static_selectorELNS0_4arch9wavefront6targetE1EEEvT1_,"axG",@progbits,_ZN7rocprim17ROCPRIM_400000_NS6detail17trampoline_kernelINS0_14default_configENS1_25transform_config_selectorIsLb0EEEZNS1_14transform_implILb0ES3_S5_NS0_18transform_iteratorINS0_17counting_iteratorImlEEZNS1_24adjacent_difference_implIS3_Lb1ELb0EPsSB_N6thrust23THRUST_200600_302600_NS4plusIsEEEE10hipError_tPvRmT2_T3_mT4_P12ihipStream_tbEUlmE_sEESB_NS0_8identityIvEEEESG_SJ_SK_mSL_SN_bEUlT_E_NS1_11comp_targetILNS1_3genE2ELNS1_11target_archE906ELNS1_3gpuE6ELNS1_3repE0EEENS1_30default_config_static_selectorELNS0_4arch9wavefront6targetE1EEEvT1_,comdat
.Lfunc_end395:
	.size	_ZN7rocprim17ROCPRIM_400000_NS6detail17trampoline_kernelINS0_14default_configENS1_25transform_config_selectorIsLb0EEEZNS1_14transform_implILb0ES3_S5_NS0_18transform_iteratorINS0_17counting_iteratorImlEEZNS1_24adjacent_difference_implIS3_Lb1ELb0EPsSB_N6thrust23THRUST_200600_302600_NS4plusIsEEEE10hipError_tPvRmT2_T3_mT4_P12ihipStream_tbEUlmE_sEESB_NS0_8identityIvEEEESG_SJ_SK_mSL_SN_bEUlT_E_NS1_11comp_targetILNS1_3genE2ELNS1_11target_archE906ELNS1_3gpuE6ELNS1_3repE0EEENS1_30default_config_static_selectorELNS0_4arch9wavefront6targetE1EEEvT1_, .Lfunc_end395-_ZN7rocprim17ROCPRIM_400000_NS6detail17trampoline_kernelINS0_14default_configENS1_25transform_config_selectorIsLb0EEEZNS1_14transform_implILb0ES3_S5_NS0_18transform_iteratorINS0_17counting_iteratorImlEEZNS1_24adjacent_difference_implIS3_Lb1ELb0EPsSB_N6thrust23THRUST_200600_302600_NS4plusIsEEEE10hipError_tPvRmT2_T3_mT4_P12ihipStream_tbEUlmE_sEESB_NS0_8identityIvEEEESG_SJ_SK_mSL_SN_bEUlT_E_NS1_11comp_targetILNS1_3genE2ELNS1_11target_archE906ELNS1_3gpuE6ELNS1_3repE0EEENS1_30default_config_static_selectorELNS0_4arch9wavefront6targetE1EEEvT1_
                                        ; -- End function
	.set _ZN7rocprim17ROCPRIM_400000_NS6detail17trampoline_kernelINS0_14default_configENS1_25transform_config_selectorIsLb0EEEZNS1_14transform_implILb0ES3_S5_NS0_18transform_iteratorINS0_17counting_iteratorImlEEZNS1_24adjacent_difference_implIS3_Lb1ELb0EPsSB_N6thrust23THRUST_200600_302600_NS4plusIsEEEE10hipError_tPvRmT2_T3_mT4_P12ihipStream_tbEUlmE_sEESB_NS0_8identityIvEEEESG_SJ_SK_mSL_SN_bEUlT_E_NS1_11comp_targetILNS1_3genE2ELNS1_11target_archE906ELNS1_3gpuE6ELNS1_3repE0EEENS1_30default_config_static_selectorELNS0_4arch9wavefront6targetE1EEEvT1_.num_vgpr, 12
	.set _ZN7rocprim17ROCPRIM_400000_NS6detail17trampoline_kernelINS0_14default_configENS1_25transform_config_selectorIsLb0EEEZNS1_14transform_implILb0ES3_S5_NS0_18transform_iteratorINS0_17counting_iteratorImlEEZNS1_24adjacent_difference_implIS3_Lb1ELb0EPsSB_N6thrust23THRUST_200600_302600_NS4plusIsEEEE10hipError_tPvRmT2_T3_mT4_P12ihipStream_tbEUlmE_sEESB_NS0_8identityIvEEEESG_SJ_SK_mSL_SN_bEUlT_E_NS1_11comp_targetILNS1_3genE2ELNS1_11target_archE906ELNS1_3gpuE6ELNS1_3repE0EEENS1_30default_config_static_selectorELNS0_4arch9wavefront6targetE1EEEvT1_.num_agpr, 0
	.set _ZN7rocprim17ROCPRIM_400000_NS6detail17trampoline_kernelINS0_14default_configENS1_25transform_config_selectorIsLb0EEEZNS1_14transform_implILb0ES3_S5_NS0_18transform_iteratorINS0_17counting_iteratorImlEEZNS1_24adjacent_difference_implIS3_Lb1ELb0EPsSB_N6thrust23THRUST_200600_302600_NS4plusIsEEEE10hipError_tPvRmT2_T3_mT4_P12ihipStream_tbEUlmE_sEESB_NS0_8identityIvEEEESG_SJ_SK_mSL_SN_bEUlT_E_NS1_11comp_targetILNS1_3genE2ELNS1_11target_archE906ELNS1_3gpuE6ELNS1_3repE0EEENS1_30default_config_static_selectorELNS0_4arch9wavefront6targetE1EEEvT1_.numbered_sgpr, 22
	.set _ZN7rocprim17ROCPRIM_400000_NS6detail17trampoline_kernelINS0_14default_configENS1_25transform_config_selectorIsLb0EEEZNS1_14transform_implILb0ES3_S5_NS0_18transform_iteratorINS0_17counting_iteratorImlEEZNS1_24adjacent_difference_implIS3_Lb1ELb0EPsSB_N6thrust23THRUST_200600_302600_NS4plusIsEEEE10hipError_tPvRmT2_T3_mT4_P12ihipStream_tbEUlmE_sEESB_NS0_8identityIvEEEESG_SJ_SK_mSL_SN_bEUlT_E_NS1_11comp_targetILNS1_3genE2ELNS1_11target_archE906ELNS1_3gpuE6ELNS1_3repE0EEENS1_30default_config_static_selectorELNS0_4arch9wavefront6targetE1EEEvT1_.num_named_barrier, 0
	.set _ZN7rocprim17ROCPRIM_400000_NS6detail17trampoline_kernelINS0_14default_configENS1_25transform_config_selectorIsLb0EEEZNS1_14transform_implILb0ES3_S5_NS0_18transform_iteratorINS0_17counting_iteratorImlEEZNS1_24adjacent_difference_implIS3_Lb1ELb0EPsSB_N6thrust23THRUST_200600_302600_NS4plusIsEEEE10hipError_tPvRmT2_T3_mT4_P12ihipStream_tbEUlmE_sEESB_NS0_8identityIvEEEESG_SJ_SK_mSL_SN_bEUlT_E_NS1_11comp_targetILNS1_3genE2ELNS1_11target_archE906ELNS1_3gpuE6ELNS1_3repE0EEENS1_30default_config_static_selectorELNS0_4arch9wavefront6targetE1EEEvT1_.private_seg_size, 0
	.set _ZN7rocprim17ROCPRIM_400000_NS6detail17trampoline_kernelINS0_14default_configENS1_25transform_config_selectorIsLb0EEEZNS1_14transform_implILb0ES3_S5_NS0_18transform_iteratorINS0_17counting_iteratorImlEEZNS1_24adjacent_difference_implIS3_Lb1ELb0EPsSB_N6thrust23THRUST_200600_302600_NS4plusIsEEEE10hipError_tPvRmT2_T3_mT4_P12ihipStream_tbEUlmE_sEESB_NS0_8identityIvEEEESG_SJ_SK_mSL_SN_bEUlT_E_NS1_11comp_targetILNS1_3genE2ELNS1_11target_archE906ELNS1_3gpuE6ELNS1_3repE0EEENS1_30default_config_static_selectorELNS0_4arch9wavefront6targetE1EEEvT1_.uses_vcc, 1
	.set _ZN7rocprim17ROCPRIM_400000_NS6detail17trampoline_kernelINS0_14default_configENS1_25transform_config_selectorIsLb0EEEZNS1_14transform_implILb0ES3_S5_NS0_18transform_iteratorINS0_17counting_iteratorImlEEZNS1_24adjacent_difference_implIS3_Lb1ELb0EPsSB_N6thrust23THRUST_200600_302600_NS4plusIsEEEE10hipError_tPvRmT2_T3_mT4_P12ihipStream_tbEUlmE_sEESB_NS0_8identityIvEEEESG_SJ_SK_mSL_SN_bEUlT_E_NS1_11comp_targetILNS1_3genE2ELNS1_11target_archE906ELNS1_3gpuE6ELNS1_3repE0EEENS1_30default_config_static_selectorELNS0_4arch9wavefront6targetE1EEEvT1_.uses_flat_scratch, 0
	.set _ZN7rocprim17ROCPRIM_400000_NS6detail17trampoline_kernelINS0_14default_configENS1_25transform_config_selectorIsLb0EEEZNS1_14transform_implILb0ES3_S5_NS0_18transform_iteratorINS0_17counting_iteratorImlEEZNS1_24adjacent_difference_implIS3_Lb1ELb0EPsSB_N6thrust23THRUST_200600_302600_NS4plusIsEEEE10hipError_tPvRmT2_T3_mT4_P12ihipStream_tbEUlmE_sEESB_NS0_8identityIvEEEESG_SJ_SK_mSL_SN_bEUlT_E_NS1_11comp_targetILNS1_3genE2ELNS1_11target_archE906ELNS1_3gpuE6ELNS1_3repE0EEENS1_30default_config_static_selectorELNS0_4arch9wavefront6targetE1EEEvT1_.has_dyn_sized_stack, 0
	.set _ZN7rocprim17ROCPRIM_400000_NS6detail17trampoline_kernelINS0_14default_configENS1_25transform_config_selectorIsLb0EEEZNS1_14transform_implILb0ES3_S5_NS0_18transform_iteratorINS0_17counting_iteratorImlEEZNS1_24adjacent_difference_implIS3_Lb1ELb0EPsSB_N6thrust23THRUST_200600_302600_NS4plusIsEEEE10hipError_tPvRmT2_T3_mT4_P12ihipStream_tbEUlmE_sEESB_NS0_8identityIvEEEESG_SJ_SK_mSL_SN_bEUlT_E_NS1_11comp_targetILNS1_3genE2ELNS1_11target_archE906ELNS1_3gpuE6ELNS1_3repE0EEENS1_30default_config_static_selectorELNS0_4arch9wavefront6targetE1EEEvT1_.has_recursion, 0
	.set _ZN7rocprim17ROCPRIM_400000_NS6detail17trampoline_kernelINS0_14default_configENS1_25transform_config_selectorIsLb0EEEZNS1_14transform_implILb0ES3_S5_NS0_18transform_iteratorINS0_17counting_iteratorImlEEZNS1_24adjacent_difference_implIS3_Lb1ELb0EPsSB_N6thrust23THRUST_200600_302600_NS4plusIsEEEE10hipError_tPvRmT2_T3_mT4_P12ihipStream_tbEUlmE_sEESB_NS0_8identityIvEEEESG_SJ_SK_mSL_SN_bEUlT_E_NS1_11comp_targetILNS1_3genE2ELNS1_11target_archE906ELNS1_3gpuE6ELNS1_3repE0EEENS1_30default_config_static_selectorELNS0_4arch9wavefront6targetE1EEEvT1_.has_indirect_call, 0
	.section	.AMDGPU.csdata,"",@progbits
; Kernel info:
; codeLenInByte = 1016
; TotalNumSgprs: 26
; NumVgprs: 12
; ScratchSize: 0
; MemoryBound: 0
; FloatMode: 240
; IeeeMode: 1
; LDSByteSize: 0 bytes/workgroup (compile time only)
; SGPRBlocks: 3
; VGPRBlocks: 2
; NumSGPRsForWavesPerEU: 26
; NumVGPRsForWavesPerEU: 12
; Occupancy: 10
; WaveLimiterHint : 1
; COMPUTE_PGM_RSRC2:SCRATCH_EN: 0
; COMPUTE_PGM_RSRC2:USER_SGPR: 6
; COMPUTE_PGM_RSRC2:TRAP_HANDLER: 0
; COMPUTE_PGM_RSRC2:TGID_X_EN: 1
; COMPUTE_PGM_RSRC2:TGID_Y_EN: 0
; COMPUTE_PGM_RSRC2:TGID_Z_EN: 0
; COMPUTE_PGM_RSRC2:TIDIG_COMP_CNT: 0
	.section	.text._ZN7rocprim17ROCPRIM_400000_NS6detail17trampoline_kernelINS0_14default_configENS1_25transform_config_selectorIsLb0EEEZNS1_14transform_implILb0ES3_S5_NS0_18transform_iteratorINS0_17counting_iteratorImlEEZNS1_24adjacent_difference_implIS3_Lb1ELb0EPsSB_N6thrust23THRUST_200600_302600_NS4plusIsEEEE10hipError_tPvRmT2_T3_mT4_P12ihipStream_tbEUlmE_sEESB_NS0_8identityIvEEEESG_SJ_SK_mSL_SN_bEUlT_E_NS1_11comp_targetILNS1_3genE10ELNS1_11target_archE1201ELNS1_3gpuE5ELNS1_3repE0EEENS1_30default_config_static_selectorELNS0_4arch9wavefront6targetE1EEEvT1_,"axG",@progbits,_ZN7rocprim17ROCPRIM_400000_NS6detail17trampoline_kernelINS0_14default_configENS1_25transform_config_selectorIsLb0EEEZNS1_14transform_implILb0ES3_S5_NS0_18transform_iteratorINS0_17counting_iteratorImlEEZNS1_24adjacent_difference_implIS3_Lb1ELb0EPsSB_N6thrust23THRUST_200600_302600_NS4plusIsEEEE10hipError_tPvRmT2_T3_mT4_P12ihipStream_tbEUlmE_sEESB_NS0_8identityIvEEEESG_SJ_SK_mSL_SN_bEUlT_E_NS1_11comp_targetILNS1_3genE10ELNS1_11target_archE1201ELNS1_3gpuE5ELNS1_3repE0EEENS1_30default_config_static_selectorELNS0_4arch9wavefront6targetE1EEEvT1_,comdat
	.protected	_ZN7rocprim17ROCPRIM_400000_NS6detail17trampoline_kernelINS0_14default_configENS1_25transform_config_selectorIsLb0EEEZNS1_14transform_implILb0ES3_S5_NS0_18transform_iteratorINS0_17counting_iteratorImlEEZNS1_24adjacent_difference_implIS3_Lb1ELb0EPsSB_N6thrust23THRUST_200600_302600_NS4plusIsEEEE10hipError_tPvRmT2_T3_mT4_P12ihipStream_tbEUlmE_sEESB_NS0_8identityIvEEEESG_SJ_SK_mSL_SN_bEUlT_E_NS1_11comp_targetILNS1_3genE10ELNS1_11target_archE1201ELNS1_3gpuE5ELNS1_3repE0EEENS1_30default_config_static_selectorELNS0_4arch9wavefront6targetE1EEEvT1_ ; -- Begin function _ZN7rocprim17ROCPRIM_400000_NS6detail17trampoline_kernelINS0_14default_configENS1_25transform_config_selectorIsLb0EEEZNS1_14transform_implILb0ES3_S5_NS0_18transform_iteratorINS0_17counting_iteratorImlEEZNS1_24adjacent_difference_implIS3_Lb1ELb0EPsSB_N6thrust23THRUST_200600_302600_NS4plusIsEEEE10hipError_tPvRmT2_T3_mT4_P12ihipStream_tbEUlmE_sEESB_NS0_8identityIvEEEESG_SJ_SK_mSL_SN_bEUlT_E_NS1_11comp_targetILNS1_3genE10ELNS1_11target_archE1201ELNS1_3gpuE5ELNS1_3repE0EEENS1_30default_config_static_selectorELNS0_4arch9wavefront6targetE1EEEvT1_
	.globl	_ZN7rocprim17ROCPRIM_400000_NS6detail17trampoline_kernelINS0_14default_configENS1_25transform_config_selectorIsLb0EEEZNS1_14transform_implILb0ES3_S5_NS0_18transform_iteratorINS0_17counting_iteratorImlEEZNS1_24adjacent_difference_implIS3_Lb1ELb0EPsSB_N6thrust23THRUST_200600_302600_NS4plusIsEEEE10hipError_tPvRmT2_T3_mT4_P12ihipStream_tbEUlmE_sEESB_NS0_8identityIvEEEESG_SJ_SK_mSL_SN_bEUlT_E_NS1_11comp_targetILNS1_3genE10ELNS1_11target_archE1201ELNS1_3gpuE5ELNS1_3repE0EEENS1_30default_config_static_selectorELNS0_4arch9wavefront6targetE1EEEvT1_
	.p2align	8
	.type	_ZN7rocprim17ROCPRIM_400000_NS6detail17trampoline_kernelINS0_14default_configENS1_25transform_config_selectorIsLb0EEEZNS1_14transform_implILb0ES3_S5_NS0_18transform_iteratorINS0_17counting_iteratorImlEEZNS1_24adjacent_difference_implIS3_Lb1ELb0EPsSB_N6thrust23THRUST_200600_302600_NS4plusIsEEEE10hipError_tPvRmT2_T3_mT4_P12ihipStream_tbEUlmE_sEESB_NS0_8identityIvEEEESG_SJ_SK_mSL_SN_bEUlT_E_NS1_11comp_targetILNS1_3genE10ELNS1_11target_archE1201ELNS1_3gpuE5ELNS1_3repE0EEENS1_30default_config_static_selectorELNS0_4arch9wavefront6targetE1EEEvT1_,@function
_ZN7rocprim17ROCPRIM_400000_NS6detail17trampoline_kernelINS0_14default_configENS1_25transform_config_selectorIsLb0EEEZNS1_14transform_implILb0ES3_S5_NS0_18transform_iteratorINS0_17counting_iteratorImlEEZNS1_24adjacent_difference_implIS3_Lb1ELb0EPsSB_N6thrust23THRUST_200600_302600_NS4plusIsEEEE10hipError_tPvRmT2_T3_mT4_P12ihipStream_tbEUlmE_sEESB_NS0_8identityIvEEEESG_SJ_SK_mSL_SN_bEUlT_E_NS1_11comp_targetILNS1_3genE10ELNS1_11target_archE1201ELNS1_3gpuE5ELNS1_3repE0EEENS1_30default_config_static_selectorELNS0_4arch9wavefront6targetE1EEEvT1_: ; @_ZN7rocprim17ROCPRIM_400000_NS6detail17trampoline_kernelINS0_14default_configENS1_25transform_config_selectorIsLb0EEEZNS1_14transform_implILb0ES3_S5_NS0_18transform_iteratorINS0_17counting_iteratorImlEEZNS1_24adjacent_difference_implIS3_Lb1ELb0EPsSB_N6thrust23THRUST_200600_302600_NS4plusIsEEEE10hipError_tPvRmT2_T3_mT4_P12ihipStream_tbEUlmE_sEESB_NS0_8identityIvEEEESG_SJ_SK_mSL_SN_bEUlT_E_NS1_11comp_targetILNS1_3genE10ELNS1_11target_archE1201ELNS1_3gpuE5ELNS1_3repE0EEENS1_30default_config_static_selectorELNS0_4arch9wavefront6targetE1EEEvT1_
; %bb.0:
	.section	.rodata,"a",@progbits
	.p2align	6, 0x0
	.amdhsa_kernel _ZN7rocprim17ROCPRIM_400000_NS6detail17trampoline_kernelINS0_14default_configENS1_25transform_config_selectorIsLb0EEEZNS1_14transform_implILb0ES3_S5_NS0_18transform_iteratorINS0_17counting_iteratorImlEEZNS1_24adjacent_difference_implIS3_Lb1ELb0EPsSB_N6thrust23THRUST_200600_302600_NS4plusIsEEEE10hipError_tPvRmT2_T3_mT4_P12ihipStream_tbEUlmE_sEESB_NS0_8identityIvEEEESG_SJ_SK_mSL_SN_bEUlT_E_NS1_11comp_targetILNS1_3genE10ELNS1_11target_archE1201ELNS1_3gpuE5ELNS1_3repE0EEENS1_30default_config_static_selectorELNS0_4arch9wavefront6targetE1EEEvT1_
		.amdhsa_group_segment_fixed_size 0
		.amdhsa_private_segment_fixed_size 0
		.amdhsa_kernarg_size 56
		.amdhsa_user_sgpr_count 6
		.amdhsa_user_sgpr_private_segment_buffer 1
		.amdhsa_user_sgpr_dispatch_ptr 0
		.amdhsa_user_sgpr_queue_ptr 0
		.amdhsa_user_sgpr_kernarg_segment_ptr 1
		.amdhsa_user_sgpr_dispatch_id 0
		.amdhsa_user_sgpr_flat_scratch_init 0
		.amdhsa_user_sgpr_private_segment_size 0
		.amdhsa_uses_dynamic_stack 0
		.amdhsa_system_sgpr_private_segment_wavefront_offset 0
		.amdhsa_system_sgpr_workgroup_id_x 1
		.amdhsa_system_sgpr_workgroup_id_y 0
		.amdhsa_system_sgpr_workgroup_id_z 0
		.amdhsa_system_sgpr_workgroup_info 0
		.amdhsa_system_vgpr_workitem_id 0
		.amdhsa_next_free_vgpr 1
		.amdhsa_next_free_sgpr 0
		.amdhsa_reserve_vcc 0
		.amdhsa_reserve_flat_scratch 0
		.amdhsa_float_round_mode_32 0
		.amdhsa_float_round_mode_16_64 0
		.amdhsa_float_denorm_mode_32 3
		.amdhsa_float_denorm_mode_16_64 3
		.amdhsa_dx10_clamp 1
		.amdhsa_ieee_mode 1
		.amdhsa_fp16_overflow 0
		.amdhsa_exception_fp_ieee_invalid_op 0
		.amdhsa_exception_fp_denorm_src 0
		.amdhsa_exception_fp_ieee_div_zero 0
		.amdhsa_exception_fp_ieee_overflow 0
		.amdhsa_exception_fp_ieee_underflow 0
		.amdhsa_exception_fp_ieee_inexact 0
		.amdhsa_exception_int_div_zero 0
	.end_amdhsa_kernel
	.section	.text._ZN7rocprim17ROCPRIM_400000_NS6detail17trampoline_kernelINS0_14default_configENS1_25transform_config_selectorIsLb0EEEZNS1_14transform_implILb0ES3_S5_NS0_18transform_iteratorINS0_17counting_iteratorImlEEZNS1_24adjacent_difference_implIS3_Lb1ELb0EPsSB_N6thrust23THRUST_200600_302600_NS4plusIsEEEE10hipError_tPvRmT2_T3_mT4_P12ihipStream_tbEUlmE_sEESB_NS0_8identityIvEEEESG_SJ_SK_mSL_SN_bEUlT_E_NS1_11comp_targetILNS1_3genE10ELNS1_11target_archE1201ELNS1_3gpuE5ELNS1_3repE0EEENS1_30default_config_static_selectorELNS0_4arch9wavefront6targetE1EEEvT1_,"axG",@progbits,_ZN7rocprim17ROCPRIM_400000_NS6detail17trampoline_kernelINS0_14default_configENS1_25transform_config_selectorIsLb0EEEZNS1_14transform_implILb0ES3_S5_NS0_18transform_iteratorINS0_17counting_iteratorImlEEZNS1_24adjacent_difference_implIS3_Lb1ELb0EPsSB_N6thrust23THRUST_200600_302600_NS4plusIsEEEE10hipError_tPvRmT2_T3_mT4_P12ihipStream_tbEUlmE_sEESB_NS0_8identityIvEEEESG_SJ_SK_mSL_SN_bEUlT_E_NS1_11comp_targetILNS1_3genE10ELNS1_11target_archE1201ELNS1_3gpuE5ELNS1_3repE0EEENS1_30default_config_static_selectorELNS0_4arch9wavefront6targetE1EEEvT1_,comdat
.Lfunc_end396:
	.size	_ZN7rocprim17ROCPRIM_400000_NS6detail17trampoline_kernelINS0_14default_configENS1_25transform_config_selectorIsLb0EEEZNS1_14transform_implILb0ES3_S5_NS0_18transform_iteratorINS0_17counting_iteratorImlEEZNS1_24adjacent_difference_implIS3_Lb1ELb0EPsSB_N6thrust23THRUST_200600_302600_NS4plusIsEEEE10hipError_tPvRmT2_T3_mT4_P12ihipStream_tbEUlmE_sEESB_NS0_8identityIvEEEESG_SJ_SK_mSL_SN_bEUlT_E_NS1_11comp_targetILNS1_3genE10ELNS1_11target_archE1201ELNS1_3gpuE5ELNS1_3repE0EEENS1_30default_config_static_selectorELNS0_4arch9wavefront6targetE1EEEvT1_, .Lfunc_end396-_ZN7rocprim17ROCPRIM_400000_NS6detail17trampoline_kernelINS0_14default_configENS1_25transform_config_selectorIsLb0EEEZNS1_14transform_implILb0ES3_S5_NS0_18transform_iteratorINS0_17counting_iteratorImlEEZNS1_24adjacent_difference_implIS3_Lb1ELb0EPsSB_N6thrust23THRUST_200600_302600_NS4plusIsEEEE10hipError_tPvRmT2_T3_mT4_P12ihipStream_tbEUlmE_sEESB_NS0_8identityIvEEEESG_SJ_SK_mSL_SN_bEUlT_E_NS1_11comp_targetILNS1_3genE10ELNS1_11target_archE1201ELNS1_3gpuE5ELNS1_3repE0EEENS1_30default_config_static_selectorELNS0_4arch9wavefront6targetE1EEEvT1_
                                        ; -- End function
	.set _ZN7rocprim17ROCPRIM_400000_NS6detail17trampoline_kernelINS0_14default_configENS1_25transform_config_selectorIsLb0EEEZNS1_14transform_implILb0ES3_S5_NS0_18transform_iteratorINS0_17counting_iteratorImlEEZNS1_24adjacent_difference_implIS3_Lb1ELb0EPsSB_N6thrust23THRUST_200600_302600_NS4plusIsEEEE10hipError_tPvRmT2_T3_mT4_P12ihipStream_tbEUlmE_sEESB_NS0_8identityIvEEEESG_SJ_SK_mSL_SN_bEUlT_E_NS1_11comp_targetILNS1_3genE10ELNS1_11target_archE1201ELNS1_3gpuE5ELNS1_3repE0EEENS1_30default_config_static_selectorELNS0_4arch9wavefront6targetE1EEEvT1_.num_vgpr, 0
	.set _ZN7rocprim17ROCPRIM_400000_NS6detail17trampoline_kernelINS0_14default_configENS1_25transform_config_selectorIsLb0EEEZNS1_14transform_implILb0ES3_S5_NS0_18transform_iteratorINS0_17counting_iteratorImlEEZNS1_24adjacent_difference_implIS3_Lb1ELb0EPsSB_N6thrust23THRUST_200600_302600_NS4plusIsEEEE10hipError_tPvRmT2_T3_mT4_P12ihipStream_tbEUlmE_sEESB_NS0_8identityIvEEEESG_SJ_SK_mSL_SN_bEUlT_E_NS1_11comp_targetILNS1_3genE10ELNS1_11target_archE1201ELNS1_3gpuE5ELNS1_3repE0EEENS1_30default_config_static_selectorELNS0_4arch9wavefront6targetE1EEEvT1_.num_agpr, 0
	.set _ZN7rocprim17ROCPRIM_400000_NS6detail17trampoline_kernelINS0_14default_configENS1_25transform_config_selectorIsLb0EEEZNS1_14transform_implILb0ES3_S5_NS0_18transform_iteratorINS0_17counting_iteratorImlEEZNS1_24adjacent_difference_implIS3_Lb1ELb0EPsSB_N6thrust23THRUST_200600_302600_NS4plusIsEEEE10hipError_tPvRmT2_T3_mT4_P12ihipStream_tbEUlmE_sEESB_NS0_8identityIvEEEESG_SJ_SK_mSL_SN_bEUlT_E_NS1_11comp_targetILNS1_3genE10ELNS1_11target_archE1201ELNS1_3gpuE5ELNS1_3repE0EEENS1_30default_config_static_selectorELNS0_4arch9wavefront6targetE1EEEvT1_.numbered_sgpr, 0
	.set _ZN7rocprim17ROCPRIM_400000_NS6detail17trampoline_kernelINS0_14default_configENS1_25transform_config_selectorIsLb0EEEZNS1_14transform_implILb0ES3_S5_NS0_18transform_iteratorINS0_17counting_iteratorImlEEZNS1_24adjacent_difference_implIS3_Lb1ELb0EPsSB_N6thrust23THRUST_200600_302600_NS4plusIsEEEE10hipError_tPvRmT2_T3_mT4_P12ihipStream_tbEUlmE_sEESB_NS0_8identityIvEEEESG_SJ_SK_mSL_SN_bEUlT_E_NS1_11comp_targetILNS1_3genE10ELNS1_11target_archE1201ELNS1_3gpuE5ELNS1_3repE0EEENS1_30default_config_static_selectorELNS0_4arch9wavefront6targetE1EEEvT1_.num_named_barrier, 0
	.set _ZN7rocprim17ROCPRIM_400000_NS6detail17trampoline_kernelINS0_14default_configENS1_25transform_config_selectorIsLb0EEEZNS1_14transform_implILb0ES3_S5_NS0_18transform_iteratorINS0_17counting_iteratorImlEEZNS1_24adjacent_difference_implIS3_Lb1ELb0EPsSB_N6thrust23THRUST_200600_302600_NS4plusIsEEEE10hipError_tPvRmT2_T3_mT4_P12ihipStream_tbEUlmE_sEESB_NS0_8identityIvEEEESG_SJ_SK_mSL_SN_bEUlT_E_NS1_11comp_targetILNS1_3genE10ELNS1_11target_archE1201ELNS1_3gpuE5ELNS1_3repE0EEENS1_30default_config_static_selectorELNS0_4arch9wavefront6targetE1EEEvT1_.private_seg_size, 0
	.set _ZN7rocprim17ROCPRIM_400000_NS6detail17trampoline_kernelINS0_14default_configENS1_25transform_config_selectorIsLb0EEEZNS1_14transform_implILb0ES3_S5_NS0_18transform_iteratorINS0_17counting_iteratorImlEEZNS1_24adjacent_difference_implIS3_Lb1ELb0EPsSB_N6thrust23THRUST_200600_302600_NS4plusIsEEEE10hipError_tPvRmT2_T3_mT4_P12ihipStream_tbEUlmE_sEESB_NS0_8identityIvEEEESG_SJ_SK_mSL_SN_bEUlT_E_NS1_11comp_targetILNS1_3genE10ELNS1_11target_archE1201ELNS1_3gpuE5ELNS1_3repE0EEENS1_30default_config_static_selectorELNS0_4arch9wavefront6targetE1EEEvT1_.uses_vcc, 0
	.set _ZN7rocprim17ROCPRIM_400000_NS6detail17trampoline_kernelINS0_14default_configENS1_25transform_config_selectorIsLb0EEEZNS1_14transform_implILb0ES3_S5_NS0_18transform_iteratorINS0_17counting_iteratorImlEEZNS1_24adjacent_difference_implIS3_Lb1ELb0EPsSB_N6thrust23THRUST_200600_302600_NS4plusIsEEEE10hipError_tPvRmT2_T3_mT4_P12ihipStream_tbEUlmE_sEESB_NS0_8identityIvEEEESG_SJ_SK_mSL_SN_bEUlT_E_NS1_11comp_targetILNS1_3genE10ELNS1_11target_archE1201ELNS1_3gpuE5ELNS1_3repE0EEENS1_30default_config_static_selectorELNS0_4arch9wavefront6targetE1EEEvT1_.uses_flat_scratch, 0
	.set _ZN7rocprim17ROCPRIM_400000_NS6detail17trampoline_kernelINS0_14default_configENS1_25transform_config_selectorIsLb0EEEZNS1_14transform_implILb0ES3_S5_NS0_18transform_iteratorINS0_17counting_iteratorImlEEZNS1_24adjacent_difference_implIS3_Lb1ELb0EPsSB_N6thrust23THRUST_200600_302600_NS4plusIsEEEE10hipError_tPvRmT2_T3_mT4_P12ihipStream_tbEUlmE_sEESB_NS0_8identityIvEEEESG_SJ_SK_mSL_SN_bEUlT_E_NS1_11comp_targetILNS1_3genE10ELNS1_11target_archE1201ELNS1_3gpuE5ELNS1_3repE0EEENS1_30default_config_static_selectorELNS0_4arch9wavefront6targetE1EEEvT1_.has_dyn_sized_stack, 0
	.set _ZN7rocprim17ROCPRIM_400000_NS6detail17trampoline_kernelINS0_14default_configENS1_25transform_config_selectorIsLb0EEEZNS1_14transform_implILb0ES3_S5_NS0_18transform_iteratorINS0_17counting_iteratorImlEEZNS1_24adjacent_difference_implIS3_Lb1ELb0EPsSB_N6thrust23THRUST_200600_302600_NS4plusIsEEEE10hipError_tPvRmT2_T3_mT4_P12ihipStream_tbEUlmE_sEESB_NS0_8identityIvEEEESG_SJ_SK_mSL_SN_bEUlT_E_NS1_11comp_targetILNS1_3genE10ELNS1_11target_archE1201ELNS1_3gpuE5ELNS1_3repE0EEENS1_30default_config_static_selectorELNS0_4arch9wavefront6targetE1EEEvT1_.has_recursion, 0
	.set _ZN7rocprim17ROCPRIM_400000_NS6detail17trampoline_kernelINS0_14default_configENS1_25transform_config_selectorIsLb0EEEZNS1_14transform_implILb0ES3_S5_NS0_18transform_iteratorINS0_17counting_iteratorImlEEZNS1_24adjacent_difference_implIS3_Lb1ELb0EPsSB_N6thrust23THRUST_200600_302600_NS4plusIsEEEE10hipError_tPvRmT2_T3_mT4_P12ihipStream_tbEUlmE_sEESB_NS0_8identityIvEEEESG_SJ_SK_mSL_SN_bEUlT_E_NS1_11comp_targetILNS1_3genE10ELNS1_11target_archE1201ELNS1_3gpuE5ELNS1_3repE0EEENS1_30default_config_static_selectorELNS0_4arch9wavefront6targetE1EEEvT1_.has_indirect_call, 0
	.section	.AMDGPU.csdata,"",@progbits
; Kernel info:
; codeLenInByte = 0
; TotalNumSgprs: 4
; NumVgprs: 0
; ScratchSize: 0
; MemoryBound: 0
; FloatMode: 240
; IeeeMode: 1
; LDSByteSize: 0 bytes/workgroup (compile time only)
; SGPRBlocks: 0
; VGPRBlocks: 0
; NumSGPRsForWavesPerEU: 4
; NumVGPRsForWavesPerEU: 1
; Occupancy: 10
; WaveLimiterHint : 0
; COMPUTE_PGM_RSRC2:SCRATCH_EN: 0
; COMPUTE_PGM_RSRC2:USER_SGPR: 6
; COMPUTE_PGM_RSRC2:TRAP_HANDLER: 0
; COMPUTE_PGM_RSRC2:TGID_X_EN: 1
; COMPUTE_PGM_RSRC2:TGID_Y_EN: 0
; COMPUTE_PGM_RSRC2:TGID_Z_EN: 0
; COMPUTE_PGM_RSRC2:TIDIG_COMP_CNT: 0
	.section	.text._ZN7rocprim17ROCPRIM_400000_NS6detail17trampoline_kernelINS0_14default_configENS1_25transform_config_selectorIsLb0EEEZNS1_14transform_implILb0ES3_S5_NS0_18transform_iteratorINS0_17counting_iteratorImlEEZNS1_24adjacent_difference_implIS3_Lb1ELb0EPsSB_N6thrust23THRUST_200600_302600_NS4plusIsEEEE10hipError_tPvRmT2_T3_mT4_P12ihipStream_tbEUlmE_sEESB_NS0_8identityIvEEEESG_SJ_SK_mSL_SN_bEUlT_E_NS1_11comp_targetILNS1_3genE10ELNS1_11target_archE1200ELNS1_3gpuE4ELNS1_3repE0EEENS1_30default_config_static_selectorELNS0_4arch9wavefront6targetE1EEEvT1_,"axG",@progbits,_ZN7rocprim17ROCPRIM_400000_NS6detail17trampoline_kernelINS0_14default_configENS1_25transform_config_selectorIsLb0EEEZNS1_14transform_implILb0ES3_S5_NS0_18transform_iteratorINS0_17counting_iteratorImlEEZNS1_24adjacent_difference_implIS3_Lb1ELb0EPsSB_N6thrust23THRUST_200600_302600_NS4plusIsEEEE10hipError_tPvRmT2_T3_mT4_P12ihipStream_tbEUlmE_sEESB_NS0_8identityIvEEEESG_SJ_SK_mSL_SN_bEUlT_E_NS1_11comp_targetILNS1_3genE10ELNS1_11target_archE1200ELNS1_3gpuE4ELNS1_3repE0EEENS1_30default_config_static_selectorELNS0_4arch9wavefront6targetE1EEEvT1_,comdat
	.protected	_ZN7rocprim17ROCPRIM_400000_NS6detail17trampoline_kernelINS0_14default_configENS1_25transform_config_selectorIsLb0EEEZNS1_14transform_implILb0ES3_S5_NS0_18transform_iteratorINS0_17counting_iteratorImlEEZNS1_24adjacent_difference_implIS3_Lb1ELb0EPsSB_N6thrust23THRUST_200600_302600_NS4plusIsEEEE10hipError_tPvRmT2_T3_mT4_P12ihipStream_tbEUlmE_sEESB_NS0_8identityIvEEEESG_SJ_SK_mSL_SN_bEUlT_E_NS1_11comp_targetILNS1_3genE10ELNS1_11target_archE1200ELNS1_3gpuE4ELNS1_3repE0EEENS1_30default_config_static_selectorELNS0_4arch9wavefront6targetE1EEEvT1_ ; -- Begin function _ZN7rocprim17ROCPRIM_400000_NS6detail17trampoline_kernelINS0_14default_configENS1_25transform_config_selectorIsLb0EEEZNS1_14transform_implILb0ES3_S5_NS0_18transform_iteratorINS0_17counting_iteratorImlEEZNS1_24adjacent_difference_implIS3_Lb1ELb0EPsSB_N6thrust23THRUST_200600_302600_NS4plusIsEEEE10hipError_tPvRmT2_T3_mT4_P12ihipStream_tbEUlmE_sEESB_NS0_8identityIvEEEESG_SJ_SK_mSL_SN_bEUlT_E_NS1_11comp_targetILNS1_3genE10ELNS1_11target_archE1200ELNS1_3gpuE4ELNS1_3repE0EEENS1_30default_config_static_selectorELNS0_4arch9wavefront6targetE1EEEvT1_
	.globl	_ZN7rocprim17ROCPRIM_400000_NS6detail17trampoline_kernelINS0_14default_configENS1_25transform_config_selectorIsLb0EEEZNS1_14transform_implILb0ES3_S5_NS0_18transform_iteratorINS0_17counting_iteratorImlEEZNS1_24adjacent_difference_implIS3_Lb1ELb0EPsSB_N6thrust23THRUST_200600_302600_NS4plusIsEEEE10hipError_tPvRmT2_T3_mT4_P12ihipStream_tbEUlmE_sEESB_NS0_8identityIvEEEESG_SJ_SK_mSL_SN_bEUlT_E_NS1_11comp_targetILNS1_3genE10ELNS1_11target_archE1200ELNS1_3gpuE4ELNS1_3repE0EEENS1_30default_config_static_selectorELNS0_4arch9wavefront6targetE1EEEvT1_
	.p2align	8
	.type	_ZN7rocprim17ROCPRIM_400000_NS6detail17trampoline_kernelINS0_14default_configENS1_25transform_config_selectorIsLb0EEEZNS1_14transform_implILb0ES3_S5_NS0_18transform_iteratorINS0_17counting_iteratorImlEEZNS1_24adjacent_difference_implIS3_Lb1ELb0EPsSB_N6thrust23THRUST_200600_302600_NS4plusIsEEEE10hipError_tPvRmT2_T3_mT4_P12ihipStream_tbEUlmE_sEESB_NS0_8identityIvEEEESG_SJ_SK_mSL_SN_bEUlT_E_NS1_11comp_targetILNS1_3genE10ELNS1_11target_archE1200ELNS1_3gpuE4ELNS1_3repE0EEENS1_30default_config_static_selectorELNS0_4arch9wavefront6targetE1EEEvT1_,@function
_ZN7rocprim17ROCPRIM_400000_NS6detail17trampoline_kernelINS0_14default_configENS1_25transform_config_selectorIsLb0EEEZNS1_14transform_implILb0ES3_S5_NS0_18transform_iteratorINS0_17counting_iteratorImlEEZNS1_24adjacent_difference_implIS3_Lb1ELb0EPsSB_N6thrust23THRUST_200600_302600_NS4plusIsEEEE10hipError_tPvRmT2_T3_mT4_P12ihipStream_tbEUlmE_sEESB_NS0_8identityIvEEEESG_SJ_SK_mSL_SN_bEUlT_E_NS1_11comp_targetILNS1_3genE10ELNS1_11target_archE1200ELNS1_3gpuE4ELNS1_3repE0EEENS1_30default_config_static_selectorELNS0_4arch9wavefront6targetE1EEEvT1_: ; @_ZN7rocprim17ROCPRIM_400000_NS6detail17trampoline_kernelINS0_14default_configENS1_25transform_config_selectorIsLb0EEEZNS1_14transform_implILb0ES3_S5_NS0_18transform_iteratorINS0_17counting_iteratorImlEEZNS1_24adjacent_difference_implIS3_Lb1ELb0EPsSB_N6thrust23THRUST_200600_302600_NS4plusIsEEEE10hipError_tPvRmT2_T3_mT4_P12ihipStream_tbEUlmE_sEESB_NS0_8identityIvEEEESG_SJ_SK_mSL_SN_bEUlT_E_NS1_11comp_targetILNS1_3genE10ELNS1_11target_archE1200ELNS1_3gpuE4ELNS1_3repE0EEENS1_30default_config_static_selectorELNS0_4arch9wavefront6targetE1EEEvT1_
; %bb.0:
	.section	.rodata,"a",@progbits
	.p2align	6, 0x0
	.amdhsa_kernel _ZN7rocprim17ROCPRIM_400000_NS6detail17trampoline_kernelINS0_14default_configENS1_25transform_config_selectorIsLb0EEEZNS1_14transform_implILb0ES3_S5_NS0_18transform_iteratorINS0_17counting_iteratorImlEEZNS1_24adjacent_difference_implIS3_Lb1ELb0EPsSB_N6thrust23THRUST_200600_302600_NS4plusIsEEEE10hipError_tPvRmT2_T3_mT4_P12ihipStream_tbEUlmE_sEESB_NS0_8identityIvEEEESG_SJ_SK_mSL_SN_bEUlT_E_NS1_11comp_targetILNS1_3genE10ELNS1_11target_archE1200ELNS1_3gpuE4ELNS1_3repE0EEENS1_30default_config_static_selectorELNS0_4arch9wavefront6targetE1EEEvT1_
		.amdhsa_group_segment_fixed_size 0
		.amdhsa_private_segment_fixed_size 0
		.amdhsa_kernarg_size 56
		.amdhsa_user_sgpr_count 6
		.amdhsa_user_sgpr_private_segment_buffer 1
		.amdhsa_user_sgpr_dispatch_ptr 0
		.amdhsa_user_sgpr_queue_ptr 0
		.amdhsa_user_sgpr_kernarg_segment_ptr 1
		.amdhsa_user_sgpr_dispatch_id 0
		.amdhsa_user_sgpr_flat_scratch_init 0
		.amdhsa_user_sgpr_private_segment_size 0
		.amdhsa_uses_dynamic_stack 0
		.amdhsa_system_sgpr_private_segment_wavefront_offset 0
		.amdhsa_system_sgpr_workgroup_id_x 1
		.amdhsa_system_sgpr_workgroup_id_y 0
		.amdhsa_system_sgpr_workgroup_id_z 0
		.amdhsa_system_sgpr_workgroup_info 0
		.amdhsa_system_vgpr_workitem_id 0
		.amdhsa_next_free_vgpr 1
		.amdhsa_next_free_sgpr 0
		.amdhsa_reserve_vcc 0
		.amdhsa_reserve_flat_scratch 0
		.amdhsa_float_round_mode_32 0
		.amdhsa_float_round_mode_16_64 0
		.amdhsa_float_denorm_mode_32 3
		.amdhsa_float_denorm_mode_16_64 3
		.amdhsa_dx10_clamp 1
		.amdhsa_ieee_mode 1
		.amdhsa_fp16_overflow 0
		.amdhsa_exception_fp_ieee_invalid_op 0
		.amdhsa_exception_fp_denorm_src 0
		.amdhsa_exception_fp_ieee_div_zero 0
		.amdhsa_exception_fp_ieee_overflow 0
		.amdhsa_exception_fp_ieee_underflow 0
		.amdhsa_exception_fp_ieee_inexact 0
		.amdhsa_exception_int_div_zero 0
	.end_amdhsa_kernel
	.section	.text._ZN7rocprim17ROCPRIM_400000_NS6detail17trampoline_kernelINS0_14default_configENS1_25transform_config_selectorIsLb0EEEZNS1_14transform_implILb0ES3_S5_NS0_18transform_iteratorINS0_17counting_iteratorImlEEZNS1_24adjacent_difference_implIS3_Lb1ELb0EPsSB_N6thrust23THRUST_200600_302600_NS4plusIsEEEE10hipError_tPvRmT2_T3_mT4_P12ihipStream_tbEUlmE_sEESB_NS0_8identityIvEEEESG_SJ_SK_mSL_SN_bEUlT_E_NS1_11comp_targetILNS1_3genE10ELNS1_11target_archE1200ELNS1_3gpuE4ELNS1_3repE0EEENS1_30default_config_static_selectorELNS0_4arch9wavefront6targetE1EEEvT1_,"axG",@progbits,_ZN7rocprim17ROCPRIM_400000_NS6detail17trampoline_kernelINS0_14default_configENS1_25transform_config_selectorIsLb0EEEZNS1_14transform_implILb0ES3_S5_NS0_18transform_iteratorINS0_17counting_iteratorImlEEZNS1_24adjacent_difference_implIS3_Lb1ELb0EPsSB_N6thrust23THRUST_200600_302600_NS4plusIsEEEE10hipError_tPvRmT2_T3_mT4_P12ihipStream_tbEUlmE_sEESB_NS0_8identityIvEEEESG_SJ_SK_mSL_SN_bEUlT_E_NS1_11comp_targetILNS1_3genE10ELNS1_11target_archE1200ELNS1_3gpuE4ELNS1_3repE0EEENS1_30default_config_static_selectorELNS0_4arch9wavefront6targetE1EEEvT1_,comdat
.Lfunc_end397:
	.size	_ZN7rocprim17ROCPRIM_400000_NS6detail17trampoline_kernelINS0_14default_configENS1_25transform_config_selectorIsLb0EEEZNS1_14transform_implILb0ES3_S5_NS0_18transform_iteratorINS0_17counting_iteratorImlEEZNS1_24adjacent_difference_implIS3_Lb1ELb0EPsSB_N6thrust23THRUST_200600_302600_NS4plusIsEEEE10hipError_tPvRmT2_T3_mT4_P12ihipStream_tbEUlmE_sEESB_NS0_8identityIvEEEESG_SJ_SK_mSL_SN_bEUlT_E_NS1_11comp_targetILNS1_3genE10ELNS1_11target_archE1200ELNS1_3gpuE4ELNS1_3repE0EEENS1_30default_config_static_selectorELNS0_4arch9wavefront6targetE1EEEvT1_, .Lfunc_end397-_ZN7rocprim17ROCPRIM_400000_NS6detail17trampoline_kernelINS0_14default_configENS1_25transform_config_selectorIsLb0EEEZNS1_14transform_implILb0ES3_S5_NS0_18transform_iteratorINS0_17counting_iteratorImlEEZNS1_24adjacent_difference_implIS3_Lb1ELb0EPsSB_N6thrust23THRUST_200600_302600_NS4plusIsEEEE10hipError_tPvRmT2_T3_mT4_P12ihipStream_tbEUlmE_sEESB_NS0_8identityIvEEEESG_SJ_SK_mSL_SN_bEUlT_E_NS1_11comp_targetILNS1_3genE10ELNS1_11target_archE1200ELNS1_3gpuE4ELNS1_3repE0EEENS1_30default_config_static_selectorELNS0_4arch9wavefront6targetE1EEEvT1_
                                        ; -- End function
	.set _ZN7rocprim17ROCPRIM_400000_NS6detail17trampoline_kernelINS0_14default_configENS1_25transform_config_selectorIsLb0EEEZNS1_14transform_implILb0ES3_S5_NS0_18transform_iteratorINS0_17counting_iteratorImlEEZNS1_24adjacent_difference_implIS3_Lb1ELb0EPsSB_N6thrust23THRUST_200600_302600_NS4plusIsEEEE10hipError_tPvRmT2_T3_mT4_P12ihipStream_tbEUlmE_sEESB_NS0_8identityIvEEEESG_SJ_SK_mSL_SN_bEUlT_E_NS1_11comp_targetILNS1_3genE10ELNS1_11target_archE1200ELNS1_3gpuE4ELNS1_3repE0EEENS1_30default_config_static_selectorELNS0_4arch9wavefront6targetE1EEEvT1_.num_vgpr, 0
	.set _ZN7rocprim17ROCPRIM_400000_NS6detail17trampoline_kernelINS0_14default_configENS1_25transform_config_selectorIsLb0EEEZNS1_14transform_implILb0ES3_S5_NS0_18transform_iteratorINS0_17counting_iteratorImlEEZNS1_24adjacent_difference_implIS3_Lb1ELb0EPsSB_N6thrust23THRUST_200600_302600_NS4plusIsEEEE10hipError_tPvRmT2_T3_mT4_P12ihipStream_tbEUlmE_sEESB_NS0_8identityIvEEEESG_SJ_SK_mSL_SN_bEUlT_E_NS1_11comp_targetILNS1_3genE10ELNS1_11target_archE1200ELNS1_3gpuE4ELNS1_3repE0EEENS1_30default_config_static_selectorELNS0_4arch9wavefront6targetE1EEEvT1_.num_agpr, 0
	.set _ZN7rocprim17ROCPRIM_400000_NS6detail17trampoline_kernelINS0_14default_configENS1_25transform_config_selectorIsLb0EEEZNS1_14transform_implILb0ES3_S5_NS0_18transform_iteratorINS0_17counting_iteratorImlEEZNS1_24adjacent_difference_implIS3_Lb1ELb0EPsSB_N6thrust23THRUST_200600_302600_NS4plusIsEEEE10hipError_tPvRmT2_T3_mT4_P12ihipStream_tbEUlmE_sEESB_NS0_8identityIvEEEESG_SJ_SK_mSL_SN_bEUlT_E_NS1_11comp_targetILNS1_3genE10ELNS1_11target_archE1200ELNS1_3gpuE4ELNS1_3repE0EEENS1_30default_config_static_selectorELNS0_4arch9wavefront6targetE1EEEvT1_.numbered_sgpr, 0
	.set _ZN7rocprim17ROCPRIM_400000_NS6detail17trampoline_kernelINS0_14default_configENS1_25transform_config_selectorIsLb0EEEZNS1_14transform_implILb0ES3_S5_NS0_18transform_iteratorINS0_17counting_iteratorImlEEZNS1_24adjacent_difference_implIS3_Lb1ELb0EPsSB_N6thrust23THRUST_200600_302600_NS4plusIsEEEE10hipError_tPvRmT2_T3_mT4_P12ihipStream_tbEUlmE_sEESB_NS0_8identityIvEEEESG_SJ_SK_mSL_SN_bEUlT_E_NS1_11comp_targetILNS1_3genE10ELNS1_11target_archE1200ELNS1_3gpuE4ELNS1_3repE0EEENS1_30default_config_static_selectorELNS0_4arch9wavefront6targetE1EEEvT1_.num_named_barrier, 0
	.set _ZN7rocprim17ROCPRIM_400000_NS6detail17trampoline_kernelINS0_14default_configENS1_25transform_config_selectorIsLb0EEEZNS1_14transform_implILb0ES3_S5_NS0_18transform_iteratorINS0_17counting_iteratorImlEEZNS1_24adjacent_difference_implIS3_Lb1ELb0EPsSB_N6thrust23THRUST_200600_302600_NS4plusIsEEEE10hipError_tPvRmT2_T3_mT4_P12ihipStream_tbEUlmE_sEESB_NS0_8identityIvEEEESG_SJ_SK_mSL_SN_bEUlT_E_NS1_11comp_targetILNS1_3genE10ELNS1_11target_archE1200ELNS1_3gpuE4ELNS1_3repE0EEENS1_30default_config_static_selectorELNS0_4arch9wavefront6targetE1EEEvT1_.private_seg_size, 0
	.set _ZN7rocprim17ROCPRIM_400000_NS6detail17trampoline_kernelINS0_14default_configENS1_25transform_config_selectorIsLb0EEEZNS1_14transform_implILb0ES3_S5_NS0_18transform_iteratorINS0_17counting_iteratorImlEEZNS1_24adjacent_difference_implIS3_Lb1ELb0EPsSB_N6thrust23THRUST_200600_302600_NS4plusIsEEEE10hipError_tPvRmT2_T3_mT4_P12ihipStream_tbEUlmE_sEESB_NS0_8identityIvEEEESG_SJ_SK_mSL_SN_bEUlT_E_NS1_11comp_targetILNS1_3genE10ELNS1_11target_archE1200ELNS1_3gpuE4ELNS1_3repE0EEENS1_30default_config_static_selectorELNS0_4arch9wavefront6targetE1EEEvT1_.uses_vcc, 0
	.set _ZN7rocprim17ROCPRIM_400000_NS6detail17trampoline_kernelINS0_14default_configENS1_25transform_config_selectorIsLb0EEEZNS1_14transform_implILb0ES3_S5_NS0_18transform_iteratorINS0_17counting_iteratorImlEEZNS1_24adjacent_difference_implIS3_Lb1ELb0EPsSB_N6thrust23THRUST_200600_302600_NS4plusIsEEEE10hipError_tPvRmT2_T3_mT4_P12ihipStream_tbEUlmE_sEESB_NS0_8identityIvEEEESG_SJ_SK_mSL_SN_bEUlT_E_NS1_11comp_targetILNS1_3genE10ELNS1_11target_archE1200ELNS1_3gpuE4ELNS1_3repE0EEENS1_30default_config_static_selectorELNS0_4arch9wavefront6targetE1EEEvT1_.uses_flat_scratch, 0
	.set _ZN7rocprim17ROCPRIM_400000_NS6detail17trampoline_kernelINS0_14default_configENS1_25transform_config_selectorIsLb0EEEZNS1_14transform_implILb0ES3_S5_NS0_18transform_iteratorINS0_17counting_iteratorImlEEZNS1_24adjacent_difference_implIS3_Lb1ELb0EPsSB_N6thrust23THRUST_200600_302600_NS4plusIsEEEE10hipError_tPvRmT2_T3_mT4_P12ihipStream_tbEUlmE_sEESB_NS0_8identityIvEEEESG_SJ_SK_mSL_SN_bEUlT_E_NS1_11comp_targetILNS1_3genE10ELNS1_11target_archE1200ELNS1_3gpuE4ELNS1_3repE0EEENS1_30default_config_static_selectorELNS0_4arch9wavefront6targetE1EEEvT1_.has_dyn_sized_stack, 0
	.set _ZN7rocprim17ROCPRIM_400000_NS6detail17trampoline_kernelINS0_14default_configENS1_25transform_config_selectorIsLb0EEEZNS1_14transform_implILb0ES3_S5_NS0_18transform_iteratorINS0_17counting_iteratorImlEEZNS1_24adjacent_difference_implIS3_Lb1ELb0EPsSB_N6thrust23THRUST_200600_302600_NS4plusIsEEEE10hipError_tPvRmT2_T3_mT4_P12ihipStream_tbEUlmE_sEESB_NS0_8identityIvEEEESG_SJ_SK_mSL_SN_bEUlT_E_NS1_11comp_targetILNS1_3genE10ELNS1_11target_archE1200ELNS1_3gpuE4ELNS1_3repE0EEENS1_30default_config_static_selectorELNS0_4arch9wavefront6targetE1EEEvT1_.has_recursion, 0
	.set _ZN7rocprim17ROCPRIM_400000_NS6detail17trampoline_kernelINS0_14default_configENS1_25transform_config_selectorIsLb0EEEZNS1_14transform_implILb0ES3_S5_NS0_18transform_iteratorINS0_17counting_iteratorImlEEZNS1_24adjacent_difference_implIS3_Lb1ELb0EPsSB_N6thrust23THRUST_200600_302600_NS4plusIsEEEE10hipError_tPvRmT2_T3_mT4_P12ihipStream_tbEUlmE_sEESB_NS0_8identityIvEEEESG_SJ_SK_mSL_SN_bEUlT_E_NS1_11comp_targetILNS1_3genE10ELNS1_11target_archE1200ELNS1_3gpuE4ELNS1_3repE0EEENS1_30default_config_static_selectorELNS0_4arch9wavefront6targetE1EEEvT1_.has_indirect_call, 0
	.section	.AMDGPU.csdata,"",@progbits
; Kernel info:
; codeLenInByte = 0
; TotalNumSgprs: 4
; NumVgprs: 0
; ScratchSize: 0
; MemoryBound: 0
; FloatMode: 240
; IeeeMode: 1
; LDSByteSize: 0 bytes/workgroup (compile time only)
; SGPRBlocks: 0
; VGPRBlocks: 0
; NumSGPRsForWavesPerEU: 4
; NumVGPRsForWavesPerEU: 1
; Occupancy: 10
; WaveLimiterHint : 0
; COMPUTE_PGM_RSRC2:SCRATCH_EN: 0
; COMPUTE_PGM_RSRC2:USER_SGPR: 6
; COMPUTE_PGM_RSRC2:TRAP_HANDLER: 0
; COMPUTE_PGM_RSRC2:TGID_X_EN: 1
; COMPUTE_PGM_RSRC2:TGID_Y_EN: 0
; COMPUTE_PGM_RSRC2:TGID_Z_EN: 0
; COMPUTE_PGM_RSRC2:TIDIG_COMP_CNT: 0
	.section	.text._ZN7rocprim17ROCPRIM_400000_NS6detail17trampoline_kernelINS0_14default_configENS1_25transform_config_selectorIsLb0EEEZNS1_14transform_implILb0ES3_S5_NS0_18transform_iteratorINS0_17counting_iteratorImlEEZNS1_24adjacent_difference_implIS3_Lb1ELb0EPsSB_N6thrust23THRUST_200600_302600_NS4plusIsEEEE10hipError_tPvRmT2_T3_mT4_P12ihipStream_tbEUlmE_sEESB_NS0_8identityIvEEEESG_SJ_SK_mSL_SN_bEUlT_E_NS1_11comp_targetILNS1_3genE9ELNS1_11target_archE1100ELNS1_3gpuE3ELNS1_3repE0EEENS1_30default_config_static_selectorELNS0_4arch9wavefront6targetE1EEEvT1_,"axG",@progbits,_ZN7rocprim17ROCPRIM_400000_NS6detail17trampoline_kernelINS0_14default_configENS1_25transform_config_selectorIsLb0EEEZNS1_14transform_implILb0ES3_S5_NS0_18transform_iteratorINS0_17counting_iteratorImlEEZNS1_24adjacent_difference_implIS3_Lb1ELb0EPsSB_N6thrust23THRUST_200600_302600_NS4plusIsEEEE10hipError_tPvRmT2_T3_mT4_P12ihipStream_tbEUlmE_sEESB_NS0_8identityIvEEEESG_SJ_SK_mSL_SN_bEUlT_E_NS1_11comp_targetILNS1_3genE9ELNS1_11target_archE1100ELNS1_3gpuE3ELNS1_3repE0EEENS1_30default_config_static_selectorELNS0_4arch9wavefront6targetE1EEEvT1_,comdat
	.protected	_ZN7rocprim17ROCPRIM_400000_NS6detail17trampoline_kernelINS0_14default_configENS1_25transform_config_selectorIsLb0EEEZNS1_14transform_implILb0ES3_S5_NS0_18transform_iteratorINS0_17counting_iteratorImlEEZNS1_24adjacent_difference_implIS3_Lb1ELb0EPsSB_N6thrust23THRUST_200600_302600_NS4plusIsEEEE10hipError_tPvRmT2_T3_mT4_P12ihipStream_tbEUlmE_sEESB_NS0_8identityIvEEEESG_SJ_SK_mSL_SN_bEUlT_E_NS1_11comp_targetILNS1_3genE9ELNS1_11target_archE1100ELNS1_3gpuE3ELNS1_3repE0EEENS1_30default_config_static_selectorELNS0_4arch9wavefront6targetE1EEEvT1_ ; -- Begin function _ZN7rocprim17ROCPRIM_400000_NS6detail17trampoline_kernelINS0_14default_configENS1_25transform_config_selectorIsLb0EEEZNS1_14transform_implILb0ES3_S5_NS0_18transform_iteratorINS0_17counting_iteratorImlEEZNS1_24adjacent_difference_implIS3_Lb1ELb0EPsSB_N6thrust23THRUST_200600_302600_NS4plusIsEEEE10hipError_tPvRmT2_T3_mT4_P12ihipStream_tbEUlmE_sEESB_NS0_8identityIvEEEESG_SJ_SK_mSL_SN_bEUlT_E_NS1_11comp_targetILNS1_3genE9ELNS1_11target_archE1100ELNS1_3gpuE3ELNS1_3repE0EEENS1_30default_config_static_selectorELNS0_4arch9wavefront6targetE1EEEvT1_
	.globl	_ZN7rocprim17ROCPRIM_400000_NS6detail17trampoline_kernelINS0_14default_configENS1_25transform_config_selectorIsLb0EEEZNS1_14transform_implILb0ES3_S5_NS0_18transform_iteratorINS0_17counting_iteratorImlEEZNS1_24adjacent_difference_implIS3_Lb1ELb0EPsSB_N6thrust23THRUST_200600_302600_NS4plusIsEEEE10hipError_tPvRmT2_T3_mT4_P12ihipStream_tbEUlmE_sEESB_NS0_8identityIvEEEESG_SJ_SK_mSL_SN_bEUlT_E_NS1_11comp_targetILNS1_3genE9ELNS1_11target_archE1100ELNS1_3gpuE3ELNS1_3repE0EEENS1_30default_config_static_selectorELNS0_4arch9wavefront6targetE1EEEvT1_
	.p2align	8
	.type	_ZN7rocprim17ROCPRIM_400000_NS6detail17trampoline_kernelINS0_14default_configENS1_25transform_config_selectorIsLb0EEEZNS1_14transform_implILb0ES3_S5_NS0_18transform_iteratorINS0_17counting_iteratorImlEEZNS1_24adjacent_difference_implIS3_Lb1ELb0EPsSB_N6thrust23THRUST_200600_302600_NS4plusIsEEEE10hipError_tPvRmT2_T3_mT4_P12ihipStream_tbEUlmE_sEESB_NS0_8identityIvEEEESG_SJ_SK_mSL_SN_bEUlT_E_NS1_11comp_targetILNS1_3genE9ELNS1_11target_archE1100ELNS1_3gpuE3ELNS1_3repE0EEENS1_30default_config_static_selectorELNS0_4arch9wavefront6targetE1EEEvT1_,@function
_ZN7rocprim17ROCPRIM_400000_NS6detail17trampoline_kernelINS0_14default_configENS1_25transform_config_selectorIsLb0EEEZNS1_14transform_implILb0ES3_S5_NS0_18transform_iteratorINS0_17counting_iteratorImlEEZNS1_24adjacent_difference_implIS3_Lb1ELb0EPsSB_N6thrust23THRUST_200600_302600_NS4plusIsEEEE10hipError_tPvRmT2_T3_mT4_P12ihipStream_tbEUlmE_sEESB_NS0_8identityIvEEEESG_SJ_SK_mSL_SN_bEUlT_E_NS1_11comp_targetILNS1_3genE9ELNS1_11target_archE1100ELNS1_3gpuE3ELNS1_3repE0EEENS1_30default_config_static_selectorELNS0_4arch9wavefront6targetE1EEEvT1_: ; @_ZN7rocprim17ROCPRIM_400000_NS6detail17trampoline_kernelINS0_14default_configENS1_25transform_config_selectorIsLb0EEEZNS1_14transform_implILb0ES3_S5_NS0_18transform_iteratorINS0_17counting_iteratorImlEEZNS1_24adjacent_difference_implIS3_Lb1ELb0EPsSB_N6thrust23THRUST_200600_302600_NS4plusIsEEEE10hipError_tPvRmT2_T3_mT4_P12ihipStream_tbEUlmE_sEESB_NS0_8identityIvEEEESG_SJ_SK_mSL_SN_bEUlT_E_NS1_11comp_targetILNS1_3genE9ELNS1_11target_archE1100ELNS1_3gpuE3ELNS1_3repE0EEENS1_30default_config_static_selectorELNS0_4arch9wavefront6targetE1EEEvT1_
; %bb.0:
	.section	.rodata,"a",@progbits
	.p2align	6, 0x0
	.amdhsa_kernel _ZN7rocprim17ROCPRIM_400000_NS6detail17trampoline_kernelINS0_14default_configENS1_25transform_config_selectorIsLb0EEEZNS1_14transform_implILb0ES3_S5_NS0_18transform_iteratorINS0_17counting_iteratorImlEEZNS1_24adjacent_difference_implIS3_Lb1ELb0EPsSB_N6thrust23THRUST_200600_302600_NS4plusIsEEEE10hipError_tPvRmT2_T3_mT4_P12ihipStream_tbEUlmE_sEESB_NS0_8identityIvEEEESG_SJ_SK_mSL_SN_bEUlT_E_NS1_11comp_targetILNS1_3genE9ELNS1_11target_archE1100ELNS1_3gpuE3ELNS1_3repE0EEENS1_30default_config_static_selectorELNS0_4arch9wavefront6targetE1EEEvT1_
		.amdhsa_group_segment_fixed_size 0
		.amdhsa_private_segment_fixed_size 0
		.amdhsa_kernarg_size 56
		.amdhsa_user_sgpr_count 6
		.amdhsa_user_sgpr_private_segment_buffer 1
		.amdhsa_user_sgpr_dispatch_ptr 0
		.amdhsa_user_sgpr_queue_ptr 0
		.amdhsa_user_sgpr_kernarg_segment_ptr 1
		.amdhsa_user_sgpr_dispatch_id 0
		.amdhsa_user_sgpr_flat_scratch_init 0
		.amdhsa_user_sgpr_private_segment_size 0
		.amdhsa_uses_dynamic_stack 0
		.amdhsa_system_sgpr_private_segment_wavefront_offset 0
		.amdhsa_system_sgpr_workgroup_id_x 1
		.amdhsa_system_sgpr_workgroup_id_y 0
		.amdhsa_system_sgpr_workgroup_id_z 0
		.amdhsa_system_sgpr_workgroup_info 0
		.amdhsa_system_vgpr_workitem_id 0
		.amdhsa_next_free_vgpr 1
		.amdhsa_next_free_sgpr 0
		.amdhsa_reserve_vcc 0
		.amdhsa_reserve_flat_scratch 0
		.amdhsa_float_round_mode_32 0
		.amdhsa_float_round_mode_16_64 0
		.amdhsa_float_denorm_mode_32 3
		.amdhsa_float_denorm_mode_16_64 3
		.amdhsa_dx10_clamp 1
		.amdhsa_ieee_mode 1
		.amdhsa_fp16_overflow 0
		.amdhsa_exception_fp_ieee_invalid_op 0
		.amdhsa_exception_fp_denorm_src 0
		.amdhsa_exception_fp_ieee_div_zero 0
		.amdhsa_exception_fp_ieee_overflow 0
		.amdhsa_exception_fp_ieee_underflow 0
		.amdhsa_exception_fp_ieee_inexact 0
		.amdhsa_exception_int_div_zero 0
	.end_amdhsa_kernel
	.section	.text._ZN7rocprim17ROCPRIM_400000_NS6detail17trampoline_kernelINS0_14default_configENS1_25transform_config_selectorIsLb0EEEZNS1_14transform_implILb0ES3_S5_NS0_18transform_iteratorINS0_17counting_iteratorImlEEZNS1_24adjacent_difference_implIS3_Lb1ELb0EPsSB_N6thrust23THRUST_200600_302600_NS4plusIsEEEE10hipError_tPvRmT2_T3_mT4_P12ihipStream_tbEUlmE_sEESB_NS0_8identityIvEEEESG_SJ_SK_mSL_SN_bEUlT_E_NS1_11comp_targetILNS1_3genE9ELNS1_11target_archE1100ELNS1_3gpuE3ELNS1_3repE0EEENS1_30default_config_static_selectorELNS0_4arch9wavefront6targetE1EEEvT1_,"axG",@progbits,_ZN7rocprim17ROCPRIM_400000_NS6detail17trampoline_kernelINS0_14default_configENS1_25transform_config_selectorIsLb0EEEZNS1_14transform_implILb0ES3_S5_NS0_18transform_iteratorINS0_17counting_iteratorImlEEZNS1_24adjacent_difference_implIS3_Lb1ELb0EPsSB_N6thrust23THRUST_200600_302600_NS4plusIsEEEE10hipError_tPvRmT2_T3_mT4_P12ihipStream_tbEUlmE_sEESB_NS0_8identityIvEEEESG_SJ_SK_mSL_SN_bEUlT_E_NS1_11comp_targetILNS1_3genE9ELNS1_11target_archE1100ELNS1_3gpuE3ELNS1_3repE0EEENS1_30default_config_static_selectorELNS0_4arch9wavefront6targetE1EEEvT1_,comdat
.Lfunc_end398:
	.size	_ZN7rocprim17ROCPRIM_400000_NS6detail17trampoline_kernelINS0_14default_configENS1_25transform_config_selectorIsLb0EEEZNS1_14transform_implILb0ES3_S5_NS0_18transform_iteratorINS0_17counting_iteratorImlEEZNS1_24adjacent_difference_implIS3_Lb1ELb0EPsSB_N6thrust23THRUST_200600_302600_NS4plusIsEEEE10hipError_tPvRmT2_T3_mT4_P12ihipStream_tbEUlmE_sEESB_NS0_8identityIvEEEESG_SJ_SK_mSL_SN_bEUlT_E_NS1_11comp_targetILNS1_3genE9ELNS1_11target_archE1100ELNS1_3gpuE3ELNS1_3repE0EEENS1_30default_config_static_selectorELNS0_4arch9wavefront6targetE1EEEvT1_, .Lfunc_end398-_ZN7rocprim17ROCPRIM_400000_NS6detail17trampoline_kernelINS0_14default_configENS1_25transform_config_selectorIsLb0EEEZNS1_14transform_implILb0ES3_S5_NS0_18transform_iteratorINS0_17counting_iteratorImlEEZNS1_24adjacent_difference_implIS3_Lb1ELb0EPsSB_N6thrust23THRUST_200600_302600_NS4plusIsEEEE10hipError_tPvRmT2_T3_mT4_P12ihipStream_tbEUlmE_sEESB_NS0_8identityIvEEEESG_SJ_SK_mSL_SN_bEUlT_E_NS1_11comp_targetILNS1_3genE9ELNS1_11target_archE1100ELNS1_3gpuE3ELNS1_3repE0EEENS1_30default_config_static_selectorELNS0_4arch9wavefront6targetE1EEEvT1_
                                        ; -- End function
	.set _ZN7rocprim17ROCPRIM_400000_NS6detail17trampoline_kernelINS0_14default_configENS1_25transform_config_selectorIsLb0EEEZNS1_14transform_implILb0ES3_S5_NS0_18transform_iteratorINS0_17counting_iteratorImlEEZNS1_24adjacent_difference_implIS3_Lb1ELb0EPsSB_N6thrust23THRUST_200600_302600_NS4plusIsEEEE10hipError_tPvRmT2_T3_mT4_P12ihipStream_tbEUlmE_sEESB_NS0_8identityIvEEEESG_SJ_SK_mSL_SN_bEUlT_E_NS1_11comp_targetILNS1_3genE9ELNS1_11target_archE1100ELNS1_3gpuE3ELNS1_3repE0EEENS1_30default_config_static_selectorELNS0_4arch9wavefront6targetE1EEEvT1_.num_vgpr, 0
	.set _ZN7rocprim17ROCPRIM_400000_NS6detail17trampoline_kernelINS0_14default_configENS1_25transform_config_selectorIsLb0EEEZNS1_14transform_implILb0ES3_S5_NS0_18transform_iteratorINS0_17counting_iteratorImlEEZNS1_24adjacent_difference_implIS3_Lb1ELb0EPsSB_N6thrust23THRUST_200600_302600_NS4plusIsEEEE10hipError_tPvRmT2_T3_mT4_P12ihipStream_tbEUlmE_sEESB_NS0_8identityIvEEEESG_SJ_SK_mSL_SN_bEUlT_E_NS1_11comp_targetILNS1_3genE9ELNS1_11target_archE1100ELNS1_3gpuE3ELNS1_3repE0EEENS1_30default_config_static_selectorELNS0_4arch9wavefront6targetE1EEEvT1_.num_agpr, 0
	.set _ZN7rocprim17ROCPRIM_400000_NS6detail17trampoline_kernelINS0_14default_configENS1_25transform_config_selectorIsLb0EEEZNS1_14transform_implILb0ES3_S5_NS0_18transform_iteratorINS0_17counting_iteratorImlEEZNS1_24adjacent_difference_implIS3_Lb1ELb0EPsSB_N6thrust23THRUST_200600_302600_NS4plusIsEEEE10hipError_tPvRmT2_T3_mT4_P12ihipStream_tbEUlmE_sEESB_NS0_8identityIvEEEESG_SJ_SK_mSL_SN_bEUlT_E_NS1_11comp_targetILNS1_3genE9ELNS1_11target_archE1100ELNS1_3gpuE3ELNS1_3repE0EEENS1_30default_config_static_selectorELNS0_4arch9wavefront6targetE1EEEvT1_.numbered_sgpr, 0
	.set _ZN7rocprim17ROCPRIM_400000_NS6detail17trampoline_kernelINS0_14default_configENS1_25transform_config_selectorIsLb0EEEZNS1_14transform_implILb0ES3_S5_NS0_18transform_iteratorINS0_17counting_iteratorImlEEZNS1_24adjacent_difference_implIS3_Lb1ELb0EPsSB_N6thrust23THRUST_200600_302600_NS4plusIsEEEE10hipError_tPvRmT2_T3_mT4_P12ihipStream_tbEUlmE_sEESB_NS0_8identityIvEEEESG_SJ_SK_mSL_SN_bEUlT_E_NS1_11comp_targetILNS1_3genE9ELNS1_11target_archE1100ELNS1_3gpuE3ELNS1_3repE0EEENS1_30default_config_static_selectorELNS0_4arch9wavefront6targetE1EEEvT1_.num_named_barrier, 0
	.set _ZN7rocprim17ROCPRIM_400000_NS6detail17trampoline_kernelINS0_14default_configENS1_25transform_config_selectorIsLb0EEEZNS1_14transform_implILb0ES3_S5_NS0_18transform_iteratorINS0_17counting_iteratorImlEEZNS1_24adjacent_difference_implIS3_Lb1ELb0EPsSB_N6thrust23THRUST_200600_302600_NS4plusIsEEEE10hipError_tPvRmT2_T3_mT4_P12ihipStream_tbEUlmE_sEESB_NS0_8identityIvEEEESG_SJ_SK_mSL_SN_bEUlT_E_NS1_11comp_targetILNS1_3genE9ELNS1_11target_archE1100ELNS1_3gpuE3ELNS1_3repE0EEENS1_30default_config_static_selectorELNS0_4arch9wavefront6targetE1EEEvT1_.private_seg_size, 0
	.set _ZN7rocprim17ROCPRIM_400000_NS6detail17trampoline_kernelINS0_14default_configENS1_25transform_config_selectorIsLb0EEEZNS1_14transform_implILb0ES3_S5_NS0_18transform_iteratorINS0_17counting_iteratorImlEEZNS1_24adjacent_difference_implIS3_Lb1ELb0EPsSB_N6thrust23THRUST_200600_302600_NS4plusIsEEEE10hipError_tPvRmT2_T3_mT4_P12ihipStream_tbEUlmE_sEESB_NS0_8identityIvEEEESG_SJ_SK_mSL_SN_bEUlT_E_NS1_11comp_targetILNS1_3genE9ELNS1_11target_archE1100ELNS1_3gpuE3ELNS1_3repE0EEENS1_30default_config_static_selectorELNS0_4arch9wavefront6targetE1EEEvT1_.uses_vcc, 0
	.set _ZN7rocprim17ROCPRIM_400000_NS6detail17trampoline_kernelINS0_14default_configENS1_25transform_config_selectorIsLb0EEEZNS1_14transform_implILb0ES3_S5_NS0_18transform_iteratorINS0_17counting_iteratorImlEEZNS1_24adjacent_difference_implIS3_Lb1ELb0EPsSB_N6thrust23THRUST_200600_302600_NS4plusIsEEEE10hipError_tPvRmT2_T3_mT4_P12ihipStream_tbEUlmE_sEESB_NS0_8identityIvEEEESG_SJ_SK_mSL_SN_bEUlT_E_NS1_11comp_targetILNS1_3genE9ELNS1_11target_archE1100ELNS1_3gpuE3ELNS1_3repE0EEENS1_30default_config_static_selectorELNS0_4arch9wavefront6targetE1EEEvT1_.uses_flat_scratch, 0
	.set _ZN7rocprim17ROCPRIM_400000_NS6detail17trampoline_kernelINS0_14default_configENS1_25transform_config_selectorIsLb0EEEZNS1_14transform_implILb0ES3_S5_NS0_18transform_iteratorINS0_17counting_iteratorImlEEZNS1_24adjacent_difference_implIS3_Lb1ELb0EPsSB_N6thrust23THRUST_200600_302600_NS4plusIsEEEE10hipError_tPvRmT2_T3_mT4_P12ihipStream_tbEUlmE_sEESB_NS0_8identityIvEEEESG_SJ_SK_mSL_SN_bEUlT_E_NS1_11comp_targetILNS1_3genE9ELNS1_11target_archE1100ELNS1_3gpuE3ELNS1_3repE0EEENS1_30default_config_static_selectorELNS0_4arch9wavefront6targetE1EEEvT1_.has_dyn_sized_stack, 0
	.set _ZN7rocprim17ROCPRIM_400000_NS6detail17trampoline_kernelINS0_14default_configENS1_25transform_config_selectorIsLb0EEEZNS1_14transform_implILb0ES3_S5_NS0_18transform_iteratorINS0_17counting_iteratorImlEEZNS1_24adjacent_difference_implIS3_Lb1ELb0EPsSB_N6thrust23THRUST_200600_302600_NS4plusIsEEEE10hipError_tPvRmT2_T3_mT4_P12ihipStream_tbEUlmE_sEESB_NS0_8identityIvEEEESG_SJ_SK_mSL_SN_bEUlT_E_NS1_11comp_targetILNS1_3genE9ELNS1_11target_archE1100ELNS1_3gpuE3ELNS1_3repE0EEENS1_30default_config_static_selectorELNS0_4arch9wavefront6targetE1EEEvT1_.has_recursion, 0
	.set _ZN7rocprim17ROCPRIM_400000_NS6detail17trampoline_kernelINS0_14default_configENS1_25transform_config_selectorIsLb0EEEZNS1_14transform_implILb0ES3_S5_NS0_18transform_iteratorINS0_17counting_iteratorImlEEZNS1_24adjacent_difference_implIS3_Lb1ELb0EPsSB_N6thrust23THRUST_200600_302600_NS4plusIsEEEE10hipError_tPvRmT2_T3_mT4_P12ihipStream_tbEUlmE_sEESB_NS0_8identityIvEEEESG_SJ_SK_mSL_SN_bEUlT_E_NS1_11comp_targetILNS1_3genE9ELNS1_11target_archE1100ELNS1_3gpuE3ELNS1_3repE0EEENS1_30default_config_static_selectorELNS0_4arch9wavefront6targetE1EEEvT1_.has_indirect_call, 0
	.section	.AMDGPU.csdata,"",@progbits
; Kernel info:
; codeLenInByte = 0
; TotalNumSgprs: 4
; NumVgprs: 0
; ScratchSize: 0
; MemoryBound: 0
; FloatMode: 240
; IeeeMode: 1
; LDSByteSize: 0 bytes/workgroup (compile time only)
; SGPRBlocks: 0
; VGPRBlocks: 0
; NumSGPRsForWavesPerEU: 4
; NumVGPRsForWavesPerEU: 1
; Occupancy: 10
; WaveLimiterHint : 0
; COMPUTE_PGM_RSRC2:SCRATCH_EN: 0
; COMPUTE_PGM_RSRC2:USER_SGPR: 6
; COMPUTE_PGM_RSRC2:TRAP_HANDLER: 0
; COMPUTE_PGM_RSRC2:TGID_X_EN: 1
; COMPUTE_PGM_RSRC2:TGID_Y_EN: 0
; COMPUTE_PGM_RSRC2:TGID_Z_EN: 0
; COMPUTE_PGM_RSRC2:TIDIG_COMP_CNT: 0
	.section	.text._ZN7rocprim17ROCPRIM_400000_NS6detail17trampoline_kernelINS0_14default_configENS1_25transform_config_selectorIsLb0EEEZNS1_14transform_implILb0ES3_S5_NS0_18transform_iteratorINS0_17counting_iteratorImlEEZNS1_24adjacent_difference_implIS3_Lb1ELb0EPsSB_N6thrust23THRUST_200600_302600_NS4plusIsEEEE10hipError_tPvRmT2_T3_mT4_P12ihipStream_tbEUlmE_sEESB_NS0_8identityIvEEEESG_SJ_SK_mSL_SN_bEUlT_E_NS1_11comp_targetILNS1_3genE8ELNS1_11target_archE1030ELNS1_3gpuE2ELNS1_3repE0EEENS1_30default_config_static_selectorELNS0_4arch9wavefront6targetE1EEEvT1_,"axG",@progbits,_ZN7rocprim17ROCPRIM_400000_NS6detail17trampoline_kernelINS0_14default_configENS1_25transform_config_selectorIsLb0EEEZNS1_14transform_implILb0ES3_S5_NS0_18transform_iteratorINS0_17counting_iteratorImlEEZNS1_24adjacent_difference_implIS3_Lb1ELb0EPsSB_N6thrust23THRUST_200600_302600_NS4plusIsEEEE10hipError_tPvRmT2_T3_mT4_P12ihipStream_tbEUlmE_sEESB_NS0_8identityIvEEEESG_SJ_SK_mSL_SN_bEUlT_E_NS1_11comp_targetILNS1_3genE8ELNS1_11target_archE1030ELNS1_3gpuE2ELNS1_3repE0EEENS1_30default_config_static_selectorELNS0_4arch9wavefront6targetE1EEEvT1_,comdat
	.protected	_ZN7rocprim17ROCPRIM_400000_NS6detail17trampoline_kernelINS0_14default_configENS1_25transform_config_selectorIsLb0EEEZNS1_14transform_implILb0ES3_S5_NS0_18transform_iteratorINS0_17counting_iteratorImlEEZNS1_24adjacent_difference_implIS3_Lb1ELb0EPsSB_N6thrust23THRUST_200600_302600_NS4plusIsEEEE10hipError_tPvRmT2_T3_mT4_P12ihipStream_tbEUlmE_sEESB_NS0_8identityIvEEEESG_SJ_SK_mSL_SN_bEUlT_E_NS1_11comp_targetILNS1_3genE8ELNS1_11target_archE1030ELNS1_3gpuE2ELNS1_3repE0EEENS1_30default_config_static_selectorELNS0_4arch9wavefront6targetE1EEEvT1_ ; -- Begin function _ZN7rocprim17ROCPRIM_400000_NS6detail17trampoline_kernelINS0_14default_configENS1_25transform_config_selectorIsLb0EEEZNS1_14transform_implILb0ES3_S5_NS0_18transform_iteratorINS0_17counting_iteratorImlEEZNS1_24adjacent_difference_implIS3_Lb1ELb0EPsSB_N6thrust23THRUST_200600_302600_NS4plusIsEEEE10hipError_tPvRmT2_T3_mT4_P12ihipStream_tbEUlmE_sEESB_NS0_8identityIvEEEESG_SJ_SK_mSL_SN_bEUlT_E_NS1_11comp_targetILNS1_3genE8ELNS1_11target_archE1030ELNS1_3gpuE2ELNS1_3repE0EEENS1_30default_config_static_selectorELNS0_4arch9wavefront6targetE1EEEvT1_
	.globl	_ZN7rocprim17ROCPRIM_400000_NS6detail17trampoline_kernelINS0_14default_configENS1_25transform_config_selectorIsLb0EEEZNS1_14transform_implILb0ES3_S5_NS0_18transform_iteratorINS0_17counting_iteratorImlEEZNS1_24adjacent_difference_implIS3_Lb1ELb0EPsSB_N6thrust23THRUST_200600_302600_NS4plusIsEEEE10hipError_tPvRmT2_T3_mT4_P12ihipStream_tbEUlmE_sEESB_NS0_8identityIvEEEESG_SJ_SK_mSL_SN_bEUlT_E_NS1_11comp_targetILNS1_3genE8ELNS1_11target_archE1030ELNS1_3gpuE2ELNS1_3repE0EEENS1_30default_config_static_selectorELNS0_4arch9wavefront6targetE1EEEvT1_
	.p2align	8
	.type	_ZN7rocprim17ROCPRIM_400000_NS6detail17trampoline_kernelINS0_14default_configENS1_25transform_config_selectorIsLb0EEEZNS1_14transform_implILb0ES3_S5_NS0_18transform_iteratorINS0_17counting_iteratorImlEEZNS1_24adjacent_difference_implIS3_Lb1ELb0EPsSB_N6thrust23THRUST_200600_302600_NS4plusIsEEEE10hipError_tPvRmT2_T3_mT4_P12ihipStream_tbEUlmE_sEESB_NS0_8identityIvEEEESG_SJ_SK_mSL_SN_bEUlT_E_NS1_11comp_targetILNS1_3genE8ELNS1_11target_archE1030ELNS1_3gpuE2ELNS1_3repE0EEENS1_30default_config_static_selectorELNS0_4arch9wavefront6targetE1EEEvT1_,@function
_ZN7rocprim17ROCPRIM_400000_NS6detail17trampoline_kernelINS0_14default_configENS1_25transform_config_selectorIsLb0EEEZNS1_14transform_implILb0ES3_S5_NS0_18transform_iteratorINS0_17counting_iteratorImlEEZNS1_24adjacent_difference_implIS3_Lb1ELb0EPsSB_N6thrust23THRUST_200600_302600_NS4plusIsEEEE10hipError_tPvRmT2_T3_mT4_P12ihipStream_tbEUlmE_sEESB_NS0_8identityIvEEEESG_SJ_SK_mSL_SN_bEUlT_E_NS1_11comp_targetILNS1_3genE8ELNS1_11target_archE1030ELNS1_3gpuE2ELNS1_3repE0EEENS1_30default_config_static_selectorELNS0_4arch9wavefront6targetE1EEEvT1_: ; @_ZN7rocprim17ROCPRIM_400000_NS6detail17trampoline_kernelINS0_14default_configENS1_25transform_config_selectorIsLb0EEEZNS1_14transform_implILb0ES3_S5_NS0_18transform_iteratorINS0_17counting_iteratorImlEEZNS1_24adjacent_difference_implIS3_Lb1ELb0EPsSB_N6thrust23THRUST_200600_302600_NS4plusIsEEEE10hipError_tPvRmT2_T3_mT4_P12ihipStream_tbEUlmE_sEESB_NS0_8identityIvEEEESG_SJ_SK_mSL_SN_bEUlT_E_NS1_11comp_targetILNS1_3genE8ELNS1_11target_archE1030ELNS1_3gpuE2ELNS1_3repE0EEENS1_30default_config_static_selectorELNS0_4arch9wavefront6targetE1EEEvT1_
; %bb.0:
	.section	.rodata,"a",@progbits
	.p2align	6, 0x0
	.amdhsa_kernel _ZN7rocprim17ROCPRIM_400000_NS6detail17trampoline_kernelINS0_14default_configENS1_25transform_config_selectorIsLb0EEEZNS1_14transform_implILb0ES3_S5_NS0_18transform_iteratorINS0_17counting_iteratorImlEEZNS1_24adjacent_difference_implIS3_Lb1ELb0EPsSB_N6thrust23THRUST_200600_302600_NS4plusIsEEEE10hipError_tPvRmT2_T3_mT4_P12ihipStream_tbEUlmE_sEESB_NS0_8identityIvEEEESG_SJ_SK_mSL_SN_bEUlT_E_NS1_11comp_targetILNS1_3genE8ELNS1_11target_archE1030ELNS1_3gpuE2ELNS1_3repE0EEENS1_30default_config_static_selectorELNS0_4arch9wavefront6targetE1EEEvT1_
		.amdhsa_group_segment_fixed_size 0
		.amdhsa_private_segment_fixed_size 0
		.amdhsa_kernarg_size 56
		.amdhsa_user_sgpr_count 6
		.amdhsa_user_sgpr_private_segment_buffer 1
		.amdhsa_user_sgpr_dispatch_ptr 0
		.amdhsa_user_sgpr_queue_ptr 0
		.amdhsa_user_sgpr_kernarg_segment_ptr 1
		.amdhsa_user_sgpr_dispatch_id 0
		.amdhsa_user_sgpr_flat_scratch_init 0
		.amdhsa_user_sgpr_private_segment_size 0
		.amdhsa_uses_dynamic_stack 0
		.amdhsa_system_sgpr_private_segment_wavefront_offset 0
		.amdhsa_system_sgpr_workgroup_id_x 1
		.amdhsa_system_sgpr_workgroup_id_y 0
		.amdhsa_system_sgpr_workgroup_id_z 0
		.amdhsa_system_sgpr_workgroup_info 0
		.amdhsa_system_vgpr_workitem_id 0
		.amdhsa_next_free_vgpr 1
		.amdhsa_next_free_sgpr 0
		.amdhsa_reserve_vcc 0
		.amdhsa_reserve_flat_scratch 0
		.amdhsa_float_round_mode_32 0
		.amdhsa_float_round_mode_16_64 0
		.amdhsa_float_denorm_mode_32 3
		.amdhsa_float_denorm_mode_16_64 3
		.amdhsa_dx10_clamp 1
		.amdhsa_ieee_mode 1
		.amdhsa_fp16_overflow 0
		.amdhsa_exception_fp_ieee_invalid_op 0
		.amdhsa_exception_fp_denorm_src 0
		.amdhsa_exception_fp_ieee_div_zero 0
		.amdhsa_exception_fp_ieee_overflow 0
		.amdhsa_exception_fp_ieee_underflow 0
		.amdhsa_exception_fp_ieee_inexact 0
		.amdhsa_exception_int_div_zero 0
	.end_amdhsa_kernel
	.section	.text._ZN7rocprim17ROCPRIM_400000_NS6detail17trampoline_kernelINS0_14default_configENS1_25transform_config_selectorIsLb0EEEZNS1_14transform_implILb0ES3_S5_NS0_18transform_iteratorINS0_17counting_iteratorImlEEZNS1_24adjacent_difference_implIS3_Lb1ELb0EPsSB_N6thrust23THRUST_200600_302600_NS4plusIsEEEE10hipError_tPvRmT2_T3_mT4_P12ihipStream_tbEUlmE_sEESB_NS0_8identityIvEEEESG_SJ_SK_mSL_SN_bEUlT_E_NS1_11comp_targetILNS1_3genE8ELNS1_11target_archE1030ELNS1_3gpuE2ELNS1_3repE0EEENS1_30default_config_static_selectorELNS0_4arch9wavefront6targetE1EEEvT1_,"axG",@progbits,_ZN7rocprim17ROCPRIM_400000_NS6detail17trampoline_kernelINS0_14default_configENS1_25transform_config_selectorIsLb0EEEZNS1_14transform_implILb0ES3_S5_NS0_18transform_iteratorINS0_17counting_iteratorImlEEZNS1_24adjacent_difference_implIS3_Lb1ELb0EPsSB_N6thrust23THRUST_200600_302600_NS4plusIsEEEE10hipError_tPvRmT2_T3_mT4_P12ihipStream_tbEUlmE_sEESB_NS0_8identityIvEEEESG_SJ_SK_mSL_SN_bEUlT_E_NS1_11comp_targetILNS1_3genE8ELNS1_11target_archE1030ELNS1_3gpuE2ELNS1_3repE0EEENS1_30default_config_static_selectorELNS0_4arch9wavefront6targetE1EEEvT1_,comdat
.Lfunc_end399:
	.size	_ZN7rocprim17ROCPRIM_400000_NS6detail17trampoline_kernelINS0_14default_configENS1_25transform_config_selectorIsLb0EEEZNS1_14transform_implILb0ES3_S5_NS0_18transform_iteratorINS0_17counting_iteratorImlEEZNS1_24adjacent_difference_implIS3_Lb1ELb0EPsSB_N6thrust23THRUST_200600_302600_NS4plusIsEEEE10hipError_tPvRmT2_T3_mT4_P12ihipStream_tbEUlmE_sEESB_NS0_8identityIvEEEESG_SJ_SK_mSL_SN_bEUlT_E_NS1_11comp_targetILNS1_3genE8ELNS1_11target_archE1030ELNS1_3gpuE2ELNS1_3repE0EEENS1_30default_config_static_selectorELNS0_4arch9wavefront6targetE1EEEvT1_, .Lfunc_end399-_ZN7rocprim17ROCPRIM_400000_NS6detail17trampoline_kernelINS0_14default_configENS1_25transform_config_selectorIsLb0EEEZNS1_14transform_implILb0ES3_S5_NS0_18transform_iteratorINS0_17counting_iteratorImlEEZNS1_24adjacent_difference_implIS3_Lb1ELb0EPsSB_N6thrust23THRUST_200600_302600_NS4plusIsEEEE10hipError_tPvRmT2_T3_mT4_P12ihipStream_tbEUlmE_sEESB_NS0_8identityIvEEEESG_SJ_SK_mSL_SN_bEUlT_E_NS1_11comp_targetILNS1_3genE8ELNS1_11target_archE1030ELNS1_3gpuE2ELNS1_3repE0EEENS1_30default_config_static_selectorELNS0_4arch9wavefront6targetE1EEEvT1_
                                        ; -- End function
	.set _ZN7rocprim17ROCPRIM_400000_NS6detail17trampoline_kernelINS0_14default_configENS1_25transform_config_selectorIsLb0EEEZNS1_14transform_implILb0ES3_S5_NS0_18transform_iteratorINS0_17counting_iteratorImlEEZNS1_24adjacent_difference_implIS3_Lb1ELb0EPsSB_N6thrust23THRUST_200600_302600_NS4plusIsEEEE10hipError_tPvRmT2_T3_mT4_P12ihipStream_tbEUlmE_sEESB_NS0_8identityIvEEEESG_SJ_SK_mSL_SN_bEUlT_E_NS1_11comp_targetILNS1_3genE8ELNS1_11target_archE1030ELNS1_3gpuE2ELNS1_3repE0EEENS1_30default_config_static_selectorELNS0_4arch9wavefront6targetE1EEEvT1_.num_vgpr, 0
	.set _ZN7rocprim17ROCPRIM_400000_NS6detail17trampoline_kernelINS0_14default_configENS1_25transform_config_selectorIsLb0EEEZNS1_14transform_implILb0ES3_S5_NS0_18transform_iteratorINS0_17counting_iteratorImlEEZNS1_24adjacent_difference_implIS3_Lb1ELb0EPsSB_N6thrust23THRUST_200600_302600_NS4plusIsEEEE10hipError_tPvRmT2_T3_mT4_P12ihipStream_tbEUlmE_sEESB_NS0_8identityIvEEEESG_SJ_SK_mSL_SN_bEUlT_E_NS1_11comp_targetILNS1_3genE8ELNS1_11target_archE1030ELNS1_3gpuE2ELNS1_3repE0EEENS1_30default_config_static_selectorELNS0_4arch9wavefront6targetE1EEEvT1_.num_agpr, 0
	.set _ZN7rocprim17ROCPRIM_400000_NS6detail17trampoline_kernelINS0_14default_configENS1_25transform_config_selectorIsLb0EEEZNS1_14transform_implILb0ES3_S5_NS0_18transform_iteratorINS0_17counting_iteratorImlEEZNS1_24adjacent_difference_implIS3_Lb1ELb0EPsSB_N6thrust23THRUST_200600_302600_NS4plusIsEEEE10hipError_tPvRmT2_T3_mT4_P12ihipStream_tbEUlmE_sEESB_NS0_8identityIvEEEESG_SJ_SK_mSL_SN_bEUlT_E_NS1_11comp_targetILNS1_3genE8ELNS1_11target_archE1030ELNS1_3gpuE2ELNS1_3repE0EEENS1_30default_config_static_selectorELNS0_4arch9wavefront6targetE1EEEvT1_.numbered_sgpr, 0
	.set _ZN7rocprim17ROCPRIM_400000_NS6detail17trampoline_kernelINS0_14default_configENS1_25transform_config_selectorIsLb0EEEZNS1_14transform_implILb0ES3_S5_NS0_18transform_iteratorINS0_17counting_iteratorImlEEZNS1_24adjacent_difference_implIS3_Lb1ELb0EPsSB_N6thrust23THRUST_200600_302600_NS4plusIsEEEE10hipError_tPvRmT2_T3_mT4_P12ihipStream_tbEUlmE_sEESB_NS0_8identityIvEEEESG_SJ_SK_mSL_SN_bEUlT_E_NS1_11comp_targetILNS1_3genE8ELNS1_11target_archE1030ELNS1_3gpuE2ELNS1_3repE0EEENS1_30default_config_static_selectorELNS0_4arch9wavefront6targetE1EEEvT1_.num_named_barrier, 0
	.set _ZN7rocprim17ROCPRIM_400000_NS6detail17trampoline_kernelINS0_14default_configENS1_25transform_config_selectorIsLb0EEEZNS1_14transform_implILb0ES3_S5_NS0_18transform_iteratorINS0_17counting_iteratorImlEEZNS1_24adjacent_difference_implIS3_Lb1ELb0EPsSB_N6thrust23THRUST_200600_302600_NS4plusIsEEEE10hipError_tPvRmT2_T3_mT4_P12ihipStream_tbEUlmE_sEESB_NS0_8identityIvEEEESG_SJ_SK_mSL_SN_bEUlT_E_NS1_11comp_targetILNS1_3genE8ELNS1_11target_archE1030ELNS1_3gpuE2ELNS1_3repE0EEENS1_30default_config_static_selectorELNS0_4arch9wavefront6targetE1EEEvT1_.private_seg_size, 0
	.set _ZN7rocprim17ROCPRIM_400000_NS6detail17trampoline_kernelINS0_14default_configENS1_25transform_config_selectorIsLb0EEEZNS1_14transform_implILb0ES3_S5_NS0_18transform_iteratorINS0_17counting_iteratorImlEEZNS1_24adjacent_difference_implIS3_Lb1ELb0EPsSB_N6thrust23THRUST_200600_302600_NS4plusIsEEEE10hipError_tPvRmT2_T3_mT4_P12ihipStream_tbEUlmE_sEESB_NS0_8identityIvEEEESG_SJ_SK_mSL_SN_bEUlT_E_NS1_11comp_targetILNS1_3genE8ELNS1_11target_archE1030ELNS1_3gpuE2ELNS1_3repE0EEENS1_30default_config_static_selectorELNS0_4arch9wavefront6targetE1EEEvT1_.uses_vcc, 0
	.set _ZN7rocprim17ROCPRIM_400000_NS6detail17trampoline_kernelINS0_14default_configENS1_25transform_config_selectorIsLb0EEEZNS1_14transform_implILb0ES3_S5_NS0_18transform_iteratorINS0_17counting_iteratorImlEEZNS1_24adjacent_difference_implIS3_Lb1ELb0EPsSB_N6thrust23THRUST_200600_302600_NS4plusIsEEEE10hipError_tPvRmT2_T3_mT4_P12ihipStream_tbEUlmE_sEESB_NS0_8identityIvEEEESG_SJ_SK_mSL_SN_bEUlT_E_NS1_11comp_targetILNS1_3genE8ELNS1_11target_archE1030ELNS1_3gpuE2ELNS1_3repE0EEENS1_30default_config_static_selectorELNS0_4arch9wavefront6targetE1EEEvT1_.uses_flat_scratch, 0
	.set _ZN7rocprim17ROCPRIM_400000_NS6detail17trampoline_kernelINS0_14default_configENS1_25transform_config_selectorIsLb0EEEZNS1_14transform_implILb0ES3_S5_NS0_18transform_iteratorINS0_17counting_iteratorImlEEZNS1_24adjacent_difference_implIS3_Lb1ELb0EPsSB_N6thrust23THRUST_200600_302600_NS4plusIsEEEE10hipError_tPvRmT2_T3_mT4_P12ihipStream_tbEUlmE_sEESB_NS0_8identityIvEEEESG_SJ_SK_mSL_SN_bEUlT_E_NS1_11comp_targetILNS1_3genE8ELNS1_11target_archE1030ELNS1_3gpuE2ELNS1_3repE0EEENS1_30default_config_static_selectorELNS0_4arch9wavefront6targetE1EEEvT1_.has_dyn_sized_stack, 0
	.set _ZN7rocprim17ROCPRIM_400000_NS6detail17trampoline_kernelINS0_14default_configENS1_25transform_config_selectorIsLb0EEEZNS1_14transform_implILb0ES3_S5_NS0_18transform_iteratorINS0_17counting_iteratorImlEEZNS1_24adjacent_difference_implIS3_Lb1ELb0EPsSB_N6thrust23THRUST_200600_302600_NS4plusIsEEEE10hipError_tPvRmT2_T3_mT4_P12ihipStream_tbEUlmE_sEESB_NS0_8identityIvEEEESG_SJ_SK_mSL_SN_bEUlT_E_NS1_11comp_targetILNS1_3genE8ELNS1_11target_archE1030ELNS1_3gpuE2ELNS1_3repE0EEENS1_30default_config_static_selectorELNS0_4arch9wavefront6targetE1EEEvT1_.has_recursion, 0
	.set _ZN7rocprim17ROCPRIM_400000_NS6detail17trampoline_kernelINS0_14default_configENS1_25transform_config_selectorIsLb0EEEZNS1_14transform_implILb0ES3_S5_NS0_18transform_iteratorINS0_17counting_iteratorImlEEZNS1_24adjacent_difference_implIS3_Lb1ELb0EPsSB_N6thrust23THRUST_200600_302600_NS4plusIsEEEE10hipError_tPvRmT2_T3_mT4_P12ihipStream_tbEUlmE_sEESB_NS0_8identityIvEEEESG_SJ_SK_mSL_SN_bEUlT_E_NS1_11comp_targetILNS1_3genE8ELNS1_11target_archE1030ELNS1_3gpuE2ELNS1_3repE0EEENS1_30default_config_static_selectorELNS0_4arch9wavefront6targetE1EEEvT1_.has_indirect_call, 0
	.section	.AMDGPU.csdata,"",@progbits
; Kernel info:
; codeLenInByte = 0
; TotalNumSgprs: 4
; NumVgprs: 0
; ScratchSize: 0
; MemoryBound: 0
; FloatMode: 240
; IeeeMode: 1
; LDSByteSize: 0 bytes/workgroup (compile time only)
; SGPRBlocks: 0
; VGPRBlocks: 0
; NumSGPRsForWavesPerEU: 4
; NumVGPRsForWavesPerEU: 1
; Occupancy: 10
; WaveLimiterHint : 0
; COMPUTE_PGM_RSRC2:SCRATCH_EN: 0
; COMPUTE_PGM_RSRC2:USER_SGPR: 6
; COMPUTE_PGM_RSRC2:TRAP_HANDLER: 0
; COMPUTE_PGM_RSRC2:TGID_X_EN: 1
; COMPUTE_PGM_RSRC2:TGID_Y_EN: 0
; COMPUTE_PGM_RSRC2:TGID_Z_EN: 0
; COMPUTE_PGM_RSRC2:TIDIG_COMP_CNT: 0
	.section	.text._ZN7rocprim17ROCPRIM_400000_NS6detail17trampoline_kernelINS0_14default_configENS1_35adjacent_difference_config_selectorILb1EsEEZNS1_24adjacent_difference_implIS3_Lb1ELb0EPsS7_N6thrust23THRUST_200600_302600_NS4plusIsEEEE10hipError_tPvRmT2_T3_mT4_P12ihipStream_tbEUlT_E_NS1_11comp_targetILNS1_3genE0ELNS1_11target_archE4294967295ELNS1_3gpuE0ELNS1_3repE0EEENS1_30default_config_static_selectorELNS0_4arch9wavefront6targetE1EEEvT1_,"axG",@progbits,_ZN7rocprim17ROCPRIM_400000_NS6detail17trampoline_kernelINS0_14default_configENS1_35adjacent_difference_config_selectorILb1EsEEZNS1_24adjacent_difference_implIS3_Lb1ELb0EPsS7_N6thrust23THRUST_200600_302600_NS4plusIsEEEE10hipError_tPvRmT2_T3_mT4_P12ihipStream_tbEUlT_E_NS1_11comp_targetILNS1_3genE0ELNS1_11target_archE4294967295ELNS1_3gpuE0ELNS1_3repE0EEENS1_30default_config_static_selectorELNS0_4arch9wavefront6targetE1EEEvT1_,comdat
	.protected	_ZN7rocprim17ROCPRIM_400000_NS6detail17trampoline_kernelINS0_14default_configENS1_35adjacent_difference_config_selectorILb1EsEEZNS1_24adjacent_difference_implIS3_Lb1ELb0EPsS7_N6thrust23THRUST_200600_302600_NS4plusIsEEEE10hipError_tPvRmT2_T3_mT4_P12ihipStream_tbEUlT_E_NS1_11comp_targetILNS1_3genE0ELNS1_11target_archE4294967295ELNS1_3gpuE0ELNS1_3repE0EEENS1_30default_config_static_selectorELNS0_4arch9wavefront6targetE1EEEvT1_ ; -- Begin function _ZN7rocprim17ROCPRIM_400000_NS6detail17trampoline_kernelINS0_14default_configENS1_35adjacent_difference_config_selectorILb1EsEEZNS1_24adjacent_difference_implIS3_Lb1ELb0EPsS7_N6thrust23THRUST_200600_302600_NS4plusIsEEEE10hipError_tPvRmT2_T3_mT4_P12ihipStream_tbEUlT_E_NS1_11comp_targetILNS1_3genE0ELNS1_11target_archE4294967295ELNS1_3gpuE0ELNS1_3repE0EEENS1_30default_config_static_selectorELNS0_4arch9wavefront6targetE1EEEvT1_
	.globl	_ZN7rocprim17ROCPRIM_400000_NS6detail17trampoline_kernelINS0_14default_configENS1_35adjacent_difference_config_selectorILb1EsEEZNS1_24adjacent_difference_implIS3_Lb1ELb0EPsS7_N6thrust23THRUST_200600_302600_NS4plusIsEEEE10hipError_tPvRmT2_T3_mT4_P12ihipStream_tbEUlT_E_NS1_11comp_targetILNS1_3genE0ELNS1_11target_archE4294967295ELNS1_3gpuE0ELNS1_3repE0EEENS1_30default_config_static_selectorELNS0_4arch9wavefront6targetE1EEEvT1_
	.p2align	8
	.type	_ZN7rocprim17ROCPRIM_400000_NS6detail17trampoline_kernelINS0_14default_configENS1_35adjacent_difference_config_selectorILb1EsEEZNS1_24adjacent_difference_implIS3_Lb1ELb0EPsS7_N6thrust23THRUST_200600_302600_NS4plusIsEEEE10hipError_tPvRmT2_T3_mT4_P12ihipStream_tbEUlT_E_NS1_11comp_targetILNS1_3genE0ELNS1_11target_archE4294967295ELNS1_3gpuE0ELNS1_3repE0EEENS1_30default_config_static_selectorELNS0_4arch9wavefront6targetE1EEEvT1_,@function
_ZN7rocprim17ROCPRIM_400000_NS6detail17trampoline_kernelINS0_14default_configENS1_35adjacent_difference_config_selectorILb1EsEEZNS1_24adjacent_difference_implIS3_Lb1ELb0EPsS7_N6thrust23THRUST_200600_302600_NS4plusIsEEEE10hipError_tPvRmT2_T3_mT4_P12ihipStream_tbEUlT_E_NS1_11comp_targetILNS1_3genE0ELNS1_11target_archE4294967295ELNS1_3gpuE0ELNS1_3repE0EEENS1_30default_config_static_selectorELNS0_4arch9wavefront6targetE1EEEvT1_: ; @_ZN7rocprim17ROCPRIM_400000_NS6detail17trampoline_kernelINS0_14default_configENS1_35adjacent_difference_config_selectorILb1EsEEZNS1_24adjacent_difference_implIS3_Lb1ELb0EPsS7_N6thrust23THRUST_200600_302600_NS4plusIsEEEE10hipError_tPvRmT2_T3_mT4_P12ihipStream_tbEUlT_E_NS1_11comp_targetILNS1_3genE0ELNS1_11target_archE4294967295ELNS1_3gpuE0ELNS1_3repE0EEENS1_30default_config_static_selectorELNS0_4arch9wavefront6targetE1EEEvT1_
; %bb.0:
	.section	.rodata,"a",@progbits
	.p2align	6, 0x0
	.amdhsa_kernel _ZN7rocprim17ROCPRIM_400000_NS6detail17trampoline_kernelINS0_14default_configENS1_35adjacent_difference_config_selectorILb1EsEEZNS1_24adjacent_difference_implIS3_Lb1ELb0EPsS7_N6thrust23THRUST_200600_302600_NS4plusIsEEEE10hipError_tPvRmT2_T3_mT4_P12ihipStream_tbEUlT_E_NS1_11comp_targetILNS1_3genE0ELNS1_11target_archE4294967295ELNS1_3gpuE0ELNS1_3repE0EEENS1_30default_config_static_selectorELNS0_4arch9wavefront6targetE1EEEvT1_
		.amdhsa_group_segment_fixed_size 0
		.amdhsa_private_segment_fixed_size 0
		.amdhsa_kernarg_size 56
		.amdhsa_user_sgpr_count 6
		.amdhsa_user_sgpr_private_segment_buffer 1
		.amdhsa_user_sgpr_dispatch_ptr 0
		.amdhsa_user_sgpr_queue_ptr 0
		.amdhsa_user_sgpr_kernarg_segment_ptr 1
		.amdhsa_user_sgpr_dispatch_id 0
		.amdhsa_user_sgpr_flat_scratch_init 0
		.amdhsa_user_sgpr_private_segment_size 0
		.amdhsa_uses_dynamic_stack 0
		.amdhsa_system_sgpr_private_segment_wavefront_offset 0
		.amdhsa_system_sgpr_workgroup_id_x 1
		.amdhsa_system_sgpr_workgroup_id_y 0
		.amdhsa_system_sgpr_workgroup_id_z 0
		.amdhsa_system_sgpr_workgroup_info 0
		.amdhsa_system_vgpr_workitem_id 0
		.amdhsa_next_free_vgpr 1
		.amdhsa_next_free_sgpr 0
		.amdhsa_reserve_vcc 0
		.amdhsa_reserve_flat_scratch 0
		.amdhsa_float_round_mode_32 0
		.amdhsa_float_round_mode_16_64 0
		.amdhsa_float_denorm_mode_32 3
		.amdhsa_float_denorm_mode_16_64 3
		.amdhsa_dx10_clamp 1
		.amdhsa_ieee_mode 1
		.amdhsa_fp16_overflow 0
		.amdhsa_exception_fp_ieee_invalid_op 0
		.amdhsa_exception_fp_denorm_src 0
		.amdhsa_exception_fp_ieee_div_zero 0
		.amdhsa_exception_fp_ieee_overflow 0
		.amdhsa_exception_fp_ieee_underflow 0
		.amdhsa_exception_fp_ieee_inexact 0
		.amdhsa_exception_int_div_zero 0
	.end_amdhsa_kernel
	.section	.text._ZN7rocprim17ROCPRIM_400000_NS6detail17trampoline_kernelINS0_14default_configENS1_35adjacent_difference_config_selectorILb1EsEEZNS1_24adjacent_difference_implIS3_Lb1ELb0EPsS7_N6thrust23THRUST_200600_302600_NS4plusIsEEEE10hipError_tPvRmT2_T3_mT4_P12ihipStream_tbEUlT_E_NS1_11comp_targetILNS1_3genE0ELNS1_11target_archE4294967295ELNS1_3gpuE0ELNS1_3repE0EEENS1_30default_config_static_selectorELNS0_4arch9wavefront6targetE1EEEvT1_,"axG",@progbits,_ZN7rocprim17ROCPRIM_400000_NS6detail17trampoline_kernelINS0_14default_configENS1_35adjacent_difference_config_selectorILb1EsEEZNS1_24adjacent_difference_implIS3_Lb1ELb0EPsS7_N6thrust23THRUST_200600_302600_NS4plusIsEEEE10hipError_tPvRmT2_T3_mT4_P12ihipStream_tbEUlT_E_NS1_11comp_targetILNS1_3genE0ELNS1_11target_archE4294967295ELNS1_3gpuE0ELNS1_3repE0EEENS1_30default_config_static_selectorELNS0_4arch9wavefront6targetE1EEEvT1_,comdat
.Lfunc_end400:
	.size	_ZN7rocprim17ROCPRIM_400000_NS6detail17trampoline_kernelINS0_14default_configENS1_35adjacent_difference_config_selectorILb1EsEEZNS1_24adjacent_difference_implIS3_Lb1ELb0EPsS7_N6thrust23THRUST_200600_302600_NS4plusIsEEEE10hipError_tPvRmT2_T3_mT4_P12ihipStream_tbEUlT_E_NS1_11comp_targetILNS1_3genE0ELNS1_11target_archE4294967295ELNS1_3gpuE0ELNS1_3repE0EEENS1_30default_config_static_selectorELNS0_4arch9wavefront6targetE1EEEvT1_, .Lfunc_end400-_ZN7rocprim17ROCPRIM_400000_NS6detail17trampoline_kernelINS0_14default_configENS1_35adjacent_difference_config_selectorILb1EsEEZNS1_24adjacent_difference_implIS3_Lb1ELb0EPsS7_N6thrust23THRUST_200600_302600_NS4plusIsEEEE10hipError_tPvRmT2_T3_mT4_P12ihipStream_tbEUlT_E_NS1_11comp_targetILNS1_3genE0ELNS1_11target_archE4294967295ELNS1_3gpuE0ELNS1_3repE0EEENS1_30default_config_static_selectorELNS0_4arch9wavefront6targetE1EEEvT1_
                                        ; -- End function
	.set _ZN7rocprim17ROCPRIM_400000_NS6detail17trampoline_kernelINS0_14default_configENS1_35adjacent_difference_config_selectorILb1EsEEZNS1_24adjacent_difference_implIS3_Lb1ELb0EPsS7_N6thrust23THRUST_200600_302600_NS4plusIsEEEE10hipError_tPvRmT2_T3_mT4_P12ihipStream_tbEUlT_E_NS1_11comp_targetILNS1_3genE0ELNS1_11target_archE4294967295ELNS1_3gpuE0ELNS1_3repE0EEENS1_30default_config_static_selectorELNS0_4arch9wavefront6targetE1EEEvT1_.num_vgpr, 0
	.set _ZN7rocprim17ROCPRIM_400000_NS6detail17trampoline_kernelINS0_14default_configENS1_35adjacent_difference_config_selectorILb1EsEEZNS1_24adjacent_difference_implIS3_Lb1ELb0EPsS7_N6thrust23THRUST_200600_302600_NS4plusIsEEEE10hipError_tPvRmT2_T3_mT4_P12ihipStream_tbEUlT_E_NS1_11comp_targetILNS1_3genE0ELNS1_11target_archE4294967295ELNS1_3gpuE0ELNS1_3repE0EEENS1_30default_config_static_selectorELNS0_4arch9wavefront6targetE1EEEvT1_.num_agpr, 0
	.set _ZN7rocprim17ROCPRIM_400000_NS6detail17trampoline_kernelINS0_14default_configENS1_35adjacent_difference_config_selectorILb1EsEEZNS1_24adjacent_difference_implIS3_Lb1ELb0EPsS7_N6thrust23THRUST_200600_302600_NS4plusIsEEEE10hipError_tPvRmT2_T3_mT4_P12ihipStream_tbEUlT_E_NS1_11comp_targetILNS1_3genE0ELNS1_11target_archE4294967295ELNS1_3gpuE0ELNS1_3repE0EEENS1_30default_config_static_selectorELNS0_4arch9wavefront6targetE1EEEvT1_.numbered_sgpr, 0
	.set _ZN7rocprim17ROCPRIM_400000_NS6detail17trampoline_kernelINS0_14default_configENS1_35adjacent_difference_config_selectorILb1EsEEZNS1_24adjacent_difference_implIS3_Lb1ELb0EPsS7_N6thrust23THRUST_200600_302600_NS4plusIsEEEE10hipError_tPvRmT2_T3_mT4_P12ihipStream_tbEUlT_E_NS1_11comp_targetILNS1_3genE0ELNS1_11target_archE4294967295ELNS1_3gpuE0ELNS1_3repE0EEENS1_30default_config_static_selectorELNS0_4arch9wavefront6targetE1EEEvT1_.num_named_barrier, 0
	.set _ZN7rocprim17ROCPRIM_400000_NS6detail17trampoline_kernelINS0_14default_configENS1_35adjacent_difference_config_selectorILb1EsEEZNS1_24adjacent_difference_implIS3_Lb1ELb0EPsS7_N6thrust23THRUST_200600_302600_NS4plusIsEEEE10hipError_tPvRmT2_T3_mT4_P12ihipStream_tbEUlT_E_NS1_11comp_targetILNS1_3genE0ELNS1_11target_archE4294967295ELNS1_3gpuE0ELNS1_3repE0EEENS1_30default_config_static_selectorELNS0_4arch9wavefront6targetE1EEEvT1_.private_seg_size, 0
	.set _ZN7rocprim17ROCPRIM_400000_NS6detail17trampoline_kernelINS0_14default_configENS1_35adjacent_difference_config_selectorILb1EsEEZNS1_24adjacent_difference_implIS3_Lb1ELb0EPsS7_N6thrust23THRUST_200600_302600_NS4plusIsEEEE10hipError_tPvRmT2_T3_mT4_P12ihipStream_tbEUlT_E_NS1_11comp_targetILNS1_3genE0ELNS1_11target_archE4294967295ELNS1_3gpuE0ELNS1_3repE0EEENS1_30default_config_static_selectorELNS0_4arch9wavefront6targetE1EEEvT1_.uses_vcc, 0
	.set _ZN7rocprim17ROCPRIM_400000_NS6detail17trampoline_kernelINS0_14default_configENS1_35adjacent_difference_config_selectorILb1EsEEZNS1_24adjacent_difference_implIS3_Lb1ELb0EPsS7_N6thrust23THRUST_200600_302600_NS4plusIsEEEE10hipError_tPvRmT2_T3_mT4_P12ihipStream_tbEUlT_E_NS1_11comp_targetILNS1_3genE0ELNS1_11target_archE4294967295ELNS1_3gpuE0ELNS1_3repE0EEENS1_30default_config_static_selectorELNS0_4arch9wavefront6targetE1EEEvT1_.uses_flat_scratch, 0
	.set _ZN7rocprim17ROCPRIM_400000_NS6detail17trampoline_kernelINS0_14default_configENS1_35adjacent_difference_config_selectorILb1EsEEZNS1_24adjacent_difference_implIS3_Lb1ELb0EPsS7_N6thrust23THRUST_200600_302600_NS4plusIsEEEE10hipError_tPvRmT2_T3_mT4_P12ihipStream_tbEUlT_E_NS1_11comp_targetILNS1_3genE0ELNS1_11target_archE4294967295ELNS1_3gpuE0ELNS1_3repE0EEENS1_30default_config_static_selectorELNS0_4arch9wavefront6targetE1EEEvT1_.has_dyn_sized_stack, 0
	.set _ZN7rocprim17ROCPRIM_400000_NS6detail17trampoline_kernelINS0_14default_configENS1_35adjacent_difference_config_selectorILb1EsEEZNS1_24adjacent_difference_implIS3_Lb1ELb0EPsS7_N6thrust23THRUST_200600_302600_NS4plusIsEEEE10hipError_tPvRmT2_T3_mT4_P12ihipStream_tbEUlT_E_NS1_11comp_targetILNS1_3genE0ELNS1_11target_archE4294967295ELNS1_3gpuE0ELNS1_3repE0EEENS1_30default_config_static_selectorELNS0_4arch9wavefront6targetE1EEEvT1_.has_recursion, 0
	.set _ZN7rocprim17ROCPRIM_400000_NS6detail17trampoline_kernelINS0_14default_configENS1_35adjacent_difference_config_selectorILb1EsEEZNS1_24adjacent_difference_implIS3_Lb1ELb0EPsS7_N6thrust23THRUST_200600_302600_NS4plusIsEEEE10hipError_tPvRmT2_T3_mT4_P12ihipStream_tbEUlT_E_NS1_11comp_targetILNS1_3genE0ELNS1_11target_archE4294967295ELNS1_3gpuE0ELNS1_3repE0EEENS1_30default_config_static_selectorELNS0_4arch9wavefront6targetE1EEEvT1_.has_indirect_call, 0
	.section	.AMDGPU.csdata,"",@progbits
; Kernel info:
; codeLenInByte = 0
; TotalNumSgprs: 4
; NumVgprs: 0
; ScratchSize: 0
; MemoryBound: 0
; FloatMode: 240
; IeeeMode: 1
; LDSByteSize: 0 bytes/workgroup (compile time only)
; SGPRBlocks: 0
; VGPRBlocks: 0
; NumSGPRsForWavesPerEU: 4
; NumVGPRsForWavesPerEU: 1
; Occupancy: 10
; WaveLimiterHint : 0
; COMPUTE_PGM_RSRC2:SCRATCH_EN: 0
; COMPUTE_PGM_RSRC2:USER_SGPR: 6
; COMPUTE_PGM_RSRC2:TRAP_HANDLER: 0
; COMPUTE_PGM_RSRC2:TGID_X_EN: 1
; COMPUTE_PGM_RSRC2:TGID_Y_EN: 0
; COMPUTE_PGM_RSRC2:TGID_Z_EN: 0
; COMPUTE_PGM_RSRC2:TIDIG_COMP_CNT: 0
	.section	.text._ZN7rocprim17ROCPRIM_400000_NS6detail17trampoline_kernelINS0_14default_configENS1_35adjacent_difference_config_selectorILb1EsEEZNS1_24adjacent_difference_implIS3_Lb1ELb0EPsS7_N6thrust23THRUST_200600_302600_NS4plusIsEEEE10hipError_tPvRmT2_T3_mT4_P12ihipStream_tbEUlT_E_NS1_11comp_targetILNS1_3genE10ELNS1_11target_archE1201ELNS1_3gpuE5ELNS1_3repE0EEENS1_30default_config_static_selectorELNS0_4arch9wavefront6targetE1EEEvT1_,"axG",@progbits,_ZN7rocprim17ROCPRIM_400000_NS6detail17trampoline_kernelINS0_14default_configENS1_35adjacent_difference_config_selectorILb1EsEEZNS1_24adjacent_difference_implIS3_Lb1ELb0EPsS7_N6thrust23THRUST_200600_302600_NS4plusIsEEEE10hipError_tPvRmT2_T3_mT4_P12ihipStream_tbEUlT_E_NS1_11comp_targetILNS1_3genE10ELNS1_11target_archE1201ELNS1_3gpuE5ELNS1_3repE0EEENS1_30default_config_static_selectorELNS0_4arch9wavefront6targetE1EEEvT1_,comdat
	.protected	_ZN7rocprim17ROCPRIM_400000_NS6detail17trampoline_kernelINS0_14default_configENS1_35adjacent_difference_config_selectorILb1EsEEZNS1_24adjacent_difference_implIS3_Lb1ELb0EPsS7_N6thrust23THRUST_200600_302600_NS4plusIsEEEE10hipError_tPvRmT2_T3_mT4_P12ihipStream_tbEUlT_E_NS1_11comp_targetILNS1_3genE10ELNS1_11target_archE1201ELNS1_3gpuE5ELNS1_3repE0EEENS1_30default_config_static_selectorELNS0_4arch9wavefront6targetE1EEEvT1_ ; -- Begin function _ZN7rocprim17ROCPRIM_400000_NS6detail17trampoline_kernelINS0_14default_configENS1_35adjacent_difference_config_selectorILb1EsEEZNS1_24adjacent_difference_implIS3_Lb1ELb0EPsS7_N6thrust23THRUST_200600_302600_NS4plusIsEEEE10hipError_tPvRmT2_T3_mT4_P12ihipStream_tbEUlT_E_NS1_11comp_targetILNS1_3genE10ELNS1_11target_archE1201ELNS1_3gpuE5ELNS1_3repE0EEENS1_30default_config_static_selectorELNS0_4arch9wavefront6targetE1EEEvT1_
	.globl	_ZN7rocprim17ROCPRIM_400000_NS6detail17trampoline_kernelINS0_14default_configENS1_35adjacent_difference_config_selectorILb1EsEEZNS1_24adjacent_difference_implIS3_Lb1ELb0EPsS7_N6thrust23THRUST_200600_302600_NS4plusIsEEEE10hipError_tPvRmT2_T3_mT4_P12ihipStream_tbEUlT_E_NS1_11comp_targetILNS1_3genE10ELNS1_11target_archE1201ELNS1_3gpuE5ELNS1_3repE0EEENS1_30default_config_static_selectorELNS0_4arch9wavefront6targetE1EEEvT1_
	.p2align	8
	.type	_ZN7rocprim17ROCPRIM_400000_NS6detail17trampoline_kernelINS0_14default_configENS1_35adjacent_difference_config_selectorILb1EsEEZNS1_24adjacent_difference_implIS3_Lb1ELb0EPsS7_N6thrust23THRUST_200600_302600_NS4plusIsEEEE10hipError_tPvRmT2_T3_mT4_P12ihipStream_tbEUlT_E_NS1_11comp_targetILNS1_3genE10ELNS1_11target_archE1201ELNS1_3gpuE5ELNS1_3repE0EEENS1_30default_config_static_selectorELNS0_4arch9wavefront6targetE1EEEvT1_,@function
_ZN7rocprim17ROCPRIM_400000_NS6detail17trampoline_kernelINS0_14default_configENS1_35adjacent_difference_config_selectorILb1EsEEZNS1_24adjacent_difference_implIS3_Lb1ELb0EPsS7_N6thrust23THRUST_200600_302600_NS4plusIsEEEE10hipError_tPvRmT2_T3_mT4_P12ihipStream_tbEUlT_E_NS1_11comp_targetILNS1_3genE10ELNS1_11target_archE1201ELNS1_3gpuE5ELNS1_3repE0EEENS1_30default_config_static_selectorELNS0_4arch9wavefront6targetE1EEEvT1_: ; @_ZN7rocprim17ROCPRIM_400000_NS6detail17trampoline_kernelINS0_14default_configENS1_35adjacent_difference_config_selectorILb1EsEEZNS1_24adjacent_difference_implIS3_Lb1ELb0EPsS7_N6thrust23THRUST_200600_302600_NS4plusIsEEEE10hipError_tPvRmT2_T3_mT4_P12ihipStream_tbEUlT_E_NS1_11comp_targetILNS1_3genE10ELNS1_11target_archE1201ELNS1_3gpuE5ELNS1_3repE0EEENS1_30default_config_static_selectorELNS0_4arch9wavefront6targetE1EEEvT1_
; %bb.0:
	.section	.rodata,"a",@progbits
	.p2align	6, 0x0
	.amdhsa_kernel _ZN7rocprim17ROCPRIM_400000_NS6detail17trampoline_kernelINS0_14default_configENS1_35adjacent_difference_config_selectorILb1EsEEZNS1_24adjacent_difference_implIS3_Lb1ELb0EPsS7_N6thrust23THRUST_200600_302600_NS4plusIsEEEE10hipError_tPvRmT2_T3_mT4_P12ihipStream_tbEUlT_E_NS1_11comp_targetILNS1_3genE10ELNS1_11target_archE1201ELNS1_3gpuE5ELNS1_3repE0EEENS1_30default_config_static_selectorELNS0_4arch9wavefront6targetE1EEEvT1_
		.amdhsa_group_segment_fixed_size 0
		.amdhsa_private_segment_fixed_size 0
		.amdhsa_kernarg_size 56
		.amdhsa_user_sgpr_count 6
		.amdhsa_user_sgpr_private_segment_buffer 1
		.amdhsa_user_sgpr_dispatch_ptr 0
		.amdhsa_user_sgpr_queue_ptr 0
		.amdhsa_user_sgpr_kernarg_segment_ptr 1
		.amdhsa_user_sgpr_dispatch_id 0
		.amdhsa_user_sgpr_flat_scratch_init 0
		.amdhsa_user_sgpr_private_segment_size 0
		.amdhsa_uses_dynamic_stack 0
		.amdhsa_system_sgpr_private_segment_wavefront_offset 0
		.amdhsa_system_sgpr_workgroup_id_x 1
		.amdhsa_system_sgpr_workgroup_id_y 0
		.amdhsa_system_sgpr_workgroup_id_z 0
		.amdhsa_system_sgpr_workgroup_info 0
		.amdhsa_system_vgpr_workitem_id 0
		.amdhsa_next_free_vgpr 1
		.amdhsa_next_free_sgpr 0
		.amdhsa_reserve_vcc 0
		.amdhsa_reserve_flat_scratch 0
		.amdhsa_float_round_mode_32 0
		.amdhsa_float_round_mode_16_64 0
		.amdhsa_float_denorm_mode_32 3
		.amdhsa_float_denorm_mode_16_64 3
		.amdhsa_dx10_clamp 1
		.amdhsa_ieee_mode 1
		.amdhsa_fp16_overflow 0
		.amdhsa_exception_fp_ieee_invalid_op 0
		.amdhsa_exception_fp_denorm_src 0
		.amdhsa_exception_fp_ieee_div_zero 0
		.amdhsa_exception_fp_ieee_overflow 0
		.amdhsa_exception_fp_ieee_underflow 0
		.amdhsa_exception_fp_ieee_inexact 0
		.amdhsa_exception_int_div_zero 0
	.end_amdhsa_kernel
	.section	.text._ZN7rocprim17ROCPRIM_400000_NS6detail17trampoline_kernelINS0_14default_configENS1_35adjacent_difference_config_selectorILb1EsEEZNS1_24adjacent_difference_implIS3_Lb1ELb0EPsS7_N6thrust23THRUST_200600_302600_NS4plusIsEEEE10hipError_tPvRmT2_T3_mT4_P12ihipStream_tbEUlT_E_NS1_11comp_targetILNS1_3genE10ELNS1_11target_archE1201ELNS1_3gpuE5ELNS1_3repE0EEENS1_30default_config_static_selectorELNS0_4arch9wavefront6targetE1EEEvT1_,"axG",@progbits,_ZN7rocprim17ROCPRIM_400000_NS6detail17trampoline_kernelINS0_14default_configENS1_35adjacent_difference_config_selectorILb1EsEEZNS1_24adjacent_difference_implIS3_Lb1ELb0EPsS7_N6thrust23THRUST_200600_302600_NS4plusIsEEEE10hipError_tPvRmT2_T3_mT4_P12ihipStream_tbEUlT_E_NS1_11comp_targetILNS1_3genE10ELNS1_11target_archE1201ELNS1_3gpuE5ELNS1_3repE0EEENS1_30default_config_static_selectorELNS0_4arch9wavefront6targetE1EEEvT1_,comdat
.Lfunc_end401:
	.size	_ZN7rocprim17ROCPRIM_400000_NS6detail17trampoline_kernelINS0_14default_configENS1_35adjacent_difference_config_selectorILb1EsEEZNS1_24adjacent_difference_implIS3_Lb1ELb0EPsS7_N6thrust23THRUST_200600_302600_NS4plusIsEEEE10hipError_tPvRmT2_T3_mT4_P12ihipStream_tbEUlT_E_NS1_11comp_targetILNS1_3genE10ELNS1_11target_archE1201ELNS1_3gpuE5ELNS1_3repE0EEENS1_30default_config_static_selectorELNS0_4arch9wavefront6targetE1EEEvT1_, .Lfunc_end401-_ZN7rocprim17ROCPRIM_400000_NS6detail17trampoline_kernelINS0_14default_configENS1_35adjacent_difference_config_selectorILb1EsEEZNS1_24adjacent_difference_implIS3_Lb1ELb0EPsS7_N6thrust23THRUST_200600_302600_NS4plusIsEEEE10hipError_tPvRmT2_T3_mT4_P12ihipStream_tbEUlT_E_NS1_11comp_targetILNS1_3genE10ELNS1_11target_archE1201ELNS1_3gpuE5ELNS1_3repE0EEENS1_30default_config_static_selectorELNS0_4arch9wavefront6targetE1EEEvT1_
                                        ; -- End function
	.set _ZN7rocprim17ROCPRIM_400000_NS6detail17trampoline_kernelINS0_14default_configENS1_35adjacent_difference_config_selectorILb1EsEEZNS1_24adjacent_difference_implIS3_Lb1ELb0EPsS7_N6thrust23THRUST_200600_302600_NS4plusIsEEEE10hipError_tPvRmT2_T3_mT4_P12ihipStream_tbEUlT_E_NS1_11comp_targetILNS1_3genE10ELNS1_11target_archE1201ELNS1_3gpuE5ELNS1_3repE0EEENS1_30default_config_static_selectorELNS0_4arch9wavefront6targetE1EEEvT1_.num_vgpr, 0
	.set _ZN7rocprim17ROCPRIM_400000_NS6detail17trampoline_kernelINS0_14default_configENS1_35adjacent_difference_config_selectorILb1EsEEZNS1_24adjacent_difference_implIS3_Lb1ELb0EPsS7_N6thrust23THRUST_200600_302600_NS4plusIsEEEE10hipError_tPvRmT2_T3_mT4_P12ihipStream_tbEUlT_E_NS1_11comp_targetILNS1_3genE10ELNS1_11target_archE1201ELNS1_3gpuE5ELNS1_3repE0EEENS1_30default_config_static_selectorELNS0_4arch9wavefront6targetE1EEEvT1_.num_agpr, 0
	.set _ZN7rocprim17ROCPRIM_400000_NS6detail17trampoline_kernelINS0_14default_configENS1_35adjacent_difference_config_selectorILb1EsEEZNS1_24adjacent_difference_implIS3_Lb1ELb0EPsS7_N6thrust23THRUST_200600_302600_NS4plusIsEEEE10hipError_tPvRmT2_T3_mT4_P12ihipStream_tbEUlT_E_NS1_11comp_targetILNS1_3genE10ELNS1_11target_archE1201ELNS1_3gpuE5ELNS1_3repE0EEENS1_30default_config_static_selectorELNS0_4arch9wavefront6targetE1EEEvT1_.numbered_sgpr, 0
	.set _ZN7rocprim17ROCPRIM_400000_NS6detail17trampoline_kernelINS0_14default_configENS1_35adjacent_difference_config_selectorILb1EsEEZNS1_24adjacent_difference_implIS3_Lb1ELb0EPsS7_N6thrust23THRUST_200600_302600_NS4plusIsEEEE10hipError_tPvRmT2_T3_mT4_P12ihipStream_tbEUlT_E_NS1_11comp_targetILNS1_3genE10ELNS1_11target_archE1201ELNS1_3gpuE5ELNS1_3repE0EEENS1_30default_config_static_selectorELNS0_4arch9wavefront6targetE1EEEvT1_.num_named_barrier, 0
	.set _ZN7rocprim17ROCPRIM_400000_NS6detail17trampoline_kernelINS0_14default_configENS1_35adjacent_difference_config_selectorILb1EsEEZNS1_24adjacent_difference_implIS3_Lb1ELb0EPsS7_N6thrust23THRUST_200600_302600_NS4plusIsEEEE10hipError_tPvRmT2_T3_mT4_P12ihipStream_tbEUlT_E_NS1_11comp_targetILNS1_3genE10ELNS1_11target_archE1201ELNS1_3gpuE5ELNS1_3repE0EEENS1_30default_config_static_selectorELNS0_4arch9wavefront6targetE1EEEvT1_.private_seg_size, 0
	.set _ZN7rocprim17ROCPRIM_400000_NS6detail17trampoline_kernelINS0_14default_configENS1_35adjacent_difference_config_selectorILb1EsEEZNS1_24adjacent_difference_implIS3_Lb1ELb0EPsS7_N6thrust23THRUST_200600_302600_NS4plusIsEEEE10hipError_tPvRmT2_T3_mT4_P12ihipStream_tbEUlT_E_NS1_11comp_targetILNS1_3genE10ELNS1_11target_archE1201ELNS1_3gpuE5ELNS1_3repE0EEENS1_30default_config_static_selectorELNS0_4arch9wavefront6targetE1EEEvT1_.uses_vcc, 0
	.set _ZN7rocprim17ROCPRIM_400000_NS6detail17trampoline_kernelINS0_14default_configENS1_35adjacent_difference_config_selectorILb1EsEEZNS1_24adjacent_difference_implIS3_Lb1ELb0EPsS7_N6thrust23THRUST_200600_302600_NS4plusIsEEEE10hipError_tPvRmT2_T3_mT4_P12ihipStream_tbEUlT_E_NS1_11comp_targetILNS1_3genE10ELNS1_11target_archE1201ELNS1_3gpuE5ELNS1_3repE0EEENS1_30default_config_static_selectorELNS0_4arch9wavefront6targetE1EEEvT1_.uses_flat_scratch, 0
	.set _ZN7rocprim17ROCPRIM_400000_NS6detail17trampoline_kernelINS0_14default_configENS1_35adjacent_difference_config_selectorILb1EsEEZNS1_24adjacent_difference_implIS3_Lb1ELb0EPsS7_N6thrust23THRUST_200600_302600_NS4plusIsEEEE10hipError_tPvRmT2_T3_mT4_P12ihipStream_tbEUlT_E_NS1_11comp_targetILNS1_3genE10ELNS1_11target_archE1201ELNS1_3gpuE5ELNS1_3repE0EEENS1_30default_config_static_selectorELNS0_4arch9wavefront6targetE1EEEvT1_.has_dyn_sized_stack, 0
	.set _ZN7rocprim17ROCPRIM_400000_NS6detail17trampoline_kernelINS0_14default_configENS1_35adjacent_difference_config_selectorILb1EsEEZNS1_24adjacent_difference_implIS3_Lb1ELb0EPsS7_N6thrust23THRUST_200600_302600_NS4plusIsEEEE10hipError_tPvRmT2_T3_mT4_P12ihipStream_tbEUlT_E_NS1_11comp_targetILNS1_3genE10ELNS1_11target_archE1201ELNS1_3gpuE5ELNS1_3repE0EEENS1_30default_config_static_selectorELNS0_4arch9wavefront6targetE1EEEvT1_.has_recursion, 0
	.set _ZN7rocprim17ROCPRIM_400000_NS6detail17trampoline_kernelINS0_14default_configENS1_35adjacent_difference_config_selectorILb1EsEEZNS1_24adjacent_difference_implIS3_Lb1ELb0EPsS7_N6thrust23THRUST_200600_302600_NS4plusIsEEEE10hipError_tPvRmT2_T3_mT4_P12ihipStream_tbEUlT_E_NS1_11comp_targetILNS1_3genE10ELNS1_11target_archE1201ELNS1_3gpuE5ELNS1_3repE0EEENS1_30default_config_static_selectorELNS0_4arch9wavefront6targetE1EEEvT1_.has_indirect_call, 0
	.section	.AMDGPU.csdata,"",@progbits
; Kernel info:
; codeLenInByte = 0
; TotalNumSgprs: 4
; NumVgprs: 0
; ScratchSize: 0
; MemoryBound: 0
; FloatMode: 240
; IeeeMode: 1
; LDSByteSize: 0 bytes/workgroup (compile time only)
; SGPRBlocks: 0
; VGPRBlocks: 0
; NumSGPRsForWavesPerEU: 4
; NumVGPRsForWavesPerEU: 1
; Occupancy: 10
; WaveLimiterHint : 0
; COMPUTE_PGM_RSRC2:SCRATCH_EN: 0
; COMPUTE_PGM_RSRC2:USER_SGPR: 6
; COMPUTE_PGM_RSRC2:TRAP_HANDLER: 0
; COMPUTE_PGM_RSRC2:TGID_X_EN: 1
; COMPUTE_PGM_RSRC2:TGID_Y_EN: 0
; COMPUTE_PGM_RSRC2:TGID_Z_EN: 0
; COMPUTE_PGM_RSRC2:TIDIG_COMP_CNT: 0
	.section	.text._ZN7rocprim17ROCPRIM_400000_NS6detail17trampoline_kernelINS0_14default_configENS1_35adjacent_difference_config_selectorILb1EsEEZNS1_24adjacent_difference_implIS3_Lb1ELb0EPsS7_N6thrust23THRUST_200600_302600_NS4plusIsEEEE10hipError_tPvRmT2_T3_mT4_P12ihipStream_tbEUlT_E_NS1_11comp_targetILNS1_3genE5ELNS1_11target_archE942ELNS1_3gpuE9ELNS1_3repE0EEENS1_30default_config_static_selectorELNS0_4arch9wavefront6targetE1EEEvT1_,"axG",@progbits,_ZN7rocprim17ROCPRIM_400000_NS6detail17trampoline_kernelINS0_14default_configENS1_35adjacent_difference_config_selectorILb1EsEEZNS1_24adjacent_difference_implIS3_Lb1ELb0EPsS7_N6thrust23THRUST_200600_302600_NS4plusIsEEEE10hipError_tPvRmT2_T3_mT4_P12ihipStream_tbEUlT_E_NS1_11comp_targetILNS1_3genE5ELNS1_11target_archE942ELNS1_3gpuE9ELNS1_3repE0EEENS1_30default_config_static_selectorELNS0_4arch9wavefront6targetE1EEEvT1_,comdat
	.protected	_ZN7rocprim17ROCPRIM_400000_NS6detail17trampoline_kernelINS0_14default_configENS1_35adjacent_difference_config_selectorILb1EsEEZNS1_24adjacent_difference_implIS3_Lb1ELb0EPsS7_N6thrust23THRUST_200600_302600_NS4plusIsEEEE10hipError_tPvRmT2_T3_mT4_P12ihipStream_tbEUlT_E_NS1_11comp_targetILNS1_3genE5ELNS1_11target_archE942ELNS1_3gpuE9ELNS1_3repE0EEENS1_30default_config_static_selectorELNS0_4arch9wavefront6targetE1EEEvT1_ ; -- Begin function _ZN7rocprim17ROCPRIM_400000_NS6detail17trampoline_kernelINS0_14default_configENS1_35adjacent_difference_config_selectorILb1EsEEZNS1_24adjacent_difference_implIS3_Lb1ELb0EPsS7_N6thrust23THRUST_200600_302600_NS4plusIsEEEE10hipError_tPvRmT2_T3_mT4_P12ihipStream_tbEUlT_E_NS1_11comp_targetILNS1_3genE5ELNS1_11target_archE942ELNS1_3gpuE9ELNS1_3repE0EEENS1_30default_config_static_selectorELNS0_4arch9wavefront6targetE1EEEvT1_
	.globl	_ZN7rocprim17ROCPRIM_400000_NS6detail17trampoline_kernelINS0_14default_configENS1_35adjacent_difference_config_selectorILb1EsEEZNS1_24adjacent_difference_implIS3_Lb1ELb0EPsS7_N6thrust23THRUST_200600_302600_NS4plusIsEEEE10hipError_tPvRmT2_T3_mT4_P12ihipStream_tbEUlT_E_NS1_11comp_targetILNS1_3genE5ELNS1_11target_archE942ELNS1_3gpuE9ELNS1_3repE0EEENS1_30default_config_static_selectorELNS0_4arch9wavefront6targetE1EEEvT1_
	.p2align	8
	.type	_ZN7rocprim17ROCPRIM_400000_NS6detail17trampoline_kernelINS0_14default_configENS1_35adjacent_difference_config_selectorILb1EsEEZNS1_24adjacent_difference_implIS3_Lb1ELb0EPsS7_N6thrust23THRUST_200600_302600_NS4plusIsEEEE10hipError_tPvRmT2_T3_mT4_P12ihipStream_tbEUlT_E_NS1_11comp_targetILNS1_3genE5ELNS1_11target_archE942ELNS1_3gpuE9ELNS1_3repE0EEENS1_30default_config_static_selectorELNS0_4arch9wavefront6targetE1EEEvT1_,@function
_ZN7rocprim17ROCPRIM_400000_NS6detail17trampoline_kernelINS0_14default_configENS1_35adjacent_difference_config_selectorILb1EsEEZNS1_24adjacent_difference_implIS3_Lb1ELb0EPsS7_N6thrust23THRUST_200600_302600_NS4plusIsEEEE10hipError_tPvRmT2_T3_mT4_P12ihipStream_tbEUlT_E_NS1_11comp_targetILNS1_3genE5ELNS1_11target_archE942ELNS1_3gpuE9ELNS1_3repE0EEENS1_30default_config_static_selectorELNS0_4arch9wavefront6targetE1EEEvT1_: ; @_ZN7rocprim17ROCPRIM_400000_NS6detail17trampoline_kernelINS0_14default_configENS1_35adjacent_difference_config_selectorILb1EsEEZNS1_24adjacent_difference_implIS3_Lb1ELb0EPsS7_N6thrust23THRUST_200600_302600_NS4plusIsEEEE10hipError_tPvRmT2_T3_mT4_P12ihipStream_tbEUlT_E_NS1_11comp_targetILNS1_3genE5ELNS1_11target_archE942ELNS1_3gpuE9ELNS1_3repE0EEENS1_30default_config_static_selectorELNS0_4arch9wavefront6targetE1EEEvT1_
; %bb.0:
	.section	.rodata,"a",@progbits
	.p2align	6, 0x0
	.amdhsa_kernel _ZN7rocprim17ROCPRIM_400000_NS6detail17trampoline_kernelINS0_14default_configENS1_35adjacent_difference_config_selectorILb1EsEEZNS1_24adjacent_difference_implIS3_Lb1ELb0EPsS7_N6thrust23THRUST_200600_302600_NS4plusIsEEEE10hipError_tPvRmT2_T3_mT4_P12ihipStream_tbEUlT_E_NS1_11comp_targetILNS1_3genE5ELNS1_11target_archE942ELNS1_3gpuE9ELNS1_3repE0EEENS1_30default_config_static_selectorELNS0_4arch9wavefront6targetE1EEEvT1_
		.amdhsa_group_segment_fixed_size 0
		.amdhsa_private_segment_fixed_size 0
		.amdhsa_kernarg_size 56
		.amdhsa_user_sgpr_count 6
		.amdhsa_user_sgpr_private_segment_buffer 1
		.amdhsa_user_sgpr_dispatch_ptr 0
		.amdhsa_user_sgpr_queue_ptr 0
		.amdhsa_user_sgpr_kernarg_segment_ptr 1
		.amdhsa_user_sgpr_dispatch_id 0
		.amdhsa_user_sgpr_flat_scratch_init 0
		.amdhsa_user_sgpr_private_segment_size 0
		.amdhsa_uses_dynamic_stack 0
		.amdhsa_system_sgpr_private_segment_wavefront_offset 0
		.amdhsa_system_sgpr_workgroup_id_x 1
		.amdhsa_system_sgpr_workgroup_id_y 0
		.amdhsa_system_sgpr_workgroup_id_z 0
		.amdhsa_system_sgpr_workgroup_info 0
		.amdhsa_system_vgpr_workitem_id 0
		.amdhsa_next_free_vgpr 1
		.amdhsa_next_free_sgpr 0
		.amdhsa_reserve_vcc 0
		.amdhsa_reserve_flat_scratch 0
		.amdhsa_float_round_mode_32 0
		.amdhsa_float_round_mode_16_64 0
		.amdhsa_float_denorm_mode_32 3
		.amdhsa_float_denorm_mode_16_64 3
		.amdhsa_dx10_clamp 1
		.amdhsa_ieee_mode 1
		.amdhsa_fp16_overflow 0
		.amdhsa_exception_fp_ieee_invalid_op 0
		.amdhsa_exception_fp_denorm_src 0
		.amdhsa_exception_fp_ieee_div_zero 0
		.amdhsa_exception_fp_ieee_overflow 0
		.amdhsa_exception_fp_ieee_underflow 0
		.amdhsa_exception_fp_ieee_inexact 0
		.amdhsa_exception_int_div_zero 0
	.end_amdhsa_kernel
	.section	.text._ZN7rocprim17ROCPRIM_400000_NS6detail17trampoline_kernelINS0_14default_configENS1_35adjacent_difference_config_selectorILb1EsEEZNS1_24adjacent_difference_implIS3_Lb1ELb0EPsS7_N6thrust23THRUST_200600_302600_NS4plusIsEEEE10hipError_tPvRmT2_T3_mT4_P12ihipStream_tbEUlT_E_NS1_11comp_targetILNS1_3genE5ELNS1_11target_archE942ELNS1_3gpuE9ELNS1_3repE0EEENS1_30default_config_static_selectorELNS0_4arch9wavefront6targetE1EEEvT1_,"axG",@progbits,_ZN7rocprim17ROCPRIM_400000_NS6detail17trampoline_kernelINS0_14default_configENS1_35adjacent_difference_config_selectorILb1EsEEZNS1_24adjacent_difference_implIS3_Lb1ELb0EPsS7_N6thrust23THRUST_200600_302600_NS4plusIsEEEE10hipError_tPvRmT2_T3_mT4_P12ihipStream_tbEUlT_E_NS1_11comp_targetILNS1_3genE5ELNS1_11target_archE942ELNS1_3gpuE9ELNS1_3repE0EEENS1_30default_config_static_selectorELNS0_4arch9wavefront6targetE1EEEvT1_,comdat
.Lfunc_end402:
	.size	_ZN7rocprim17ROCPRIM_400000_NS6detail17trampoline_kernelINS0_14default_configENS1_35adjacent_difference_config_selectorILb1EsEEZNS1_24adjacent_difference_implIS3_Lb1ELb0EPsS7_N6thrust23THRUST_200600_302600_NS4plusIsEEEE10hipError_tPvRmT2_T3_mT4_P12ihipStream_tbEUlT_E_NS1_11comp_targetILNS1_3genE5ELNS1_11target_archE942ELNS1_3gpuE9ELNS1_3repE0EEENS1_30default_config_static_selectorELNS0_4arch9wavefront6targetE1EEEvT1_, .Lfunc_end402-_ZN7rocprim17ROCPRIM_400000_NS6detail17trampoline_kernelINS0_14default_configENS1_35adjacent_difference_config_selectorILb1EsEEZNS1_24adjacent_difference_implIS3_Lb1ELb0EPsS7_N6thrust23THRUST_200600_302600_NS4plusIsEEEE10hipError_tPvRmT2_T3_mT4_P12ihipStream_tbEUlT_E_NS1_11comp_targetILNS1_3genE5ELNS1_11target_archE942ELNS1_3gpuE9ELNS1_3repE0EEENS1_30default_config_static_selectorELNS0_4arch9wavefront6targetE1EEEvT1_
                                        ; -- End function
	.set _ZN7rocprim17ROCPRIM_400000_NS6detail17trampoline_kernelINS0_14default_configENS1_35adjacent_difference_config_selectorILb1EsEEZNS1_24adjacent_difference_implIS3_Lb1ELb0EPsS7_N6thrust23THRUST_200600_302600_NS4plusIsEEEE10hipError_tPvRmT2_T3_mT4_P12ihipStream_tbEUlT_E_NS1_11comp_targetILNS1_3genE5ELNS1_11target_archE942ELNS1_3gpuE9ELNS1_3repE0EEENS1_30default_config_static_selectorELNS0_4arch9wavefront6targetE1EEEvT1_.num_vgpr, 0
	.set _ZN7rocprim17ROCPRIM_400000_NS6detail17trampoline_kernelINS0_14default_configENS1_35adjacent_difference_config_selectorILb1EsEEZNS1_24adjacent_difference_implIS3_Lb1ELb0EPsS7_N6thrust23THRUST_200600_302600_NS4plusIsEEEE10hipError_tPvRmT2_T3_mT4_P12ihipStream_tbEUlT_E_NS1_11comp_targetILNS1_3genE5ELNS1_11target_archE942ELNS1_3gpuE9ELNS1_3repE0EEENS1_30default_config_static_selectorELNS0_4arch9wavefront6targetE1EEEvT1_.num_agpr, 0
	.set _ZN7rocprim17ROCPRIM_400000_NS6detail17trampoline_kernelINS0_14default_configENS1_35adjacent_difference_config_selectorILb1EsEEZNS1_24adjacent_difference_implIS3_Lb1ELb0EPsS7_N6thrust23THRUST_200600_302600_NS4plusIsEEEE10hipError_tPvRmT2_T3_mT4_P12ihipStream_tbEUlT_E_NS1_11comp_targetILNS1_3genE5ELNS1_11target_archE942ELNS1_3gpuE9ELNS1_3repE0EEENS1_30default_config_static_selectorELNS0_4arch9wavefront6targetE1EEEvT1_.numbered_sgpr, 0
	.set _ZN7rocprim17ROCPRIM_400000_NS6detail17trampoline_kernelINS0_14default_configENS1_35adjacent_difference_config_selectorILb1EsEEZNS1_24adjacent_difference_implIS3_Lb1ELb0EPsS7_N6thrust23THRUST_200600_302600_NS4plusIsEEEE10hipError_tPvRmT2_T3_mT4_P12ihipStream_tbEUlT_E_NS1_11comp_targetILNS1_3genE5ELNS1_11target_archE942ELNS1_3gpuE9ELNS1_3repE0EEENS1_30default_config_static_selectorELNS0_4arch9wavefront6targetE1EEEvT1_.num_named_barrier, 0
	.set _ZN7rocprim17ROCPRIM_400000_NS6detail17trampoline_kernelINS0_14default_configENS1_35adjacent_difference_config_selectorILb1EsEEZNS1_24adjacent_difference_implIS3_Lb1ELb0EPsS7_N6thrust23THRUST_200600_302600_NS4plusIsEEEE10hipError_tPvRmT2_T3_mT4_P12ihipStream_tbEUlT_E_NS1_11comp_targetILNS1_3genE5ELNS1_11target_archE942ELNS1_3gpuE9ELNS1_3repE0EEENS1_30default_config_static_selectorELNS0_4arch9wavefront6targetE1EEEvT1_.private_seg_size, 0
	.set _ZN7rocprim17ROCPRIM_400000_NS6detail17trampoline_kernelINS0_14default_configENS1_35adjacent_difference_config_selectorILb1EsEEZNS1_24adjacent_difference_implIS3_Lb1ELb0EPsS7_N6thrust23THRUST_200600_302600_NS4plusIsEEEE10hipError_tPvRmT2_T3_mT4_P12ihipStream_tbEUlT_E_NS1_11comp_targetILNS1_3genE5ELNS1_11target_archE942ELNS1_3gpuE9ELNS1_3repE0EEENS1_30default_config_static_selectorELNS0_4arch9wavefront6targetE1EEEvT1_.uses_vcc, 0
	.set _ZN7rocprim17ROCPRIM_400000_NS6detail17trampoline_kernelINS0_14default_configENS1_35adjacent_difference_config_selectorILb1EsEEZNS1_24adjacent_difference_implIS3_Lb1ELb0EPsS7_N6thrust23THRUST_200600_302600_NS4plusIsEEEE10hipError_tPvRmT2_T3_mT4_P12ihipStream_tbEUlT_E_NS1_11comp_targetILNS1_3genE5ELNS1_11target_archE942ELNS1_3gpuE9ELNS1_3repE0EEENS1_30default_config_static_selectorELNS0_4arch9wavefront6targetE1EEEvT1_.uses_flat_scratch, 0
	.set _ZN7rocprim17ROCPRIM_400000_NS6detail17trampoline_kernelINS0_14default_configENS1_35adjacent_difference_config_selectorILb1EsEEZNS1_24adjacent_difference_implIS3_Lb1ELb0EPsS7_N6thrust23THRUST_200600_302600_NS4plusIsEEEE10hipError_tPvRmT2_T3_mT4_P12ihipStream_tbEUlT_E_NS1_11comp_targetILNS1_3genE5ELNS1_11target_archE942ELNS1_3gpuE9ELNS1_3repE0EEENS1_30default_config_static_selectorELNS0_4arch9wavefront6targetE1EEEvT1_.has_dyn_sized_stack, 0
	.set _ZN7rocprim17ROCPRIM_400000_NS6detail17trampoline_kernelINS0_14default_configENS1_35adjacent_difference_config_selectorILb1EsEEZNS1_24adjacent_difference_implIS3_Lb1ELb0EPsS7_N6thrust23THRUST_200600_302600_NS4plusIsEEEE10hipError_tPvRmT2_T3_mT4_P12ihipStream_tbEUlT_E_NS1_11comp_targetILNS1_3genE5ELNS1_11target_archE942ELNS1_3gpuE9ELNS1_3repE0EEENS1_30default_config_static_selectorELNS0_4arch9wavefront6targetE1EEEvT1_.has_recursion, 0
	.set _ZN7rocprim17ROCPRIM_400000_NS6detail17trampoline_kernelINS0_14default_configENS1_35adjacent_difference_config_selectorILb1EsEEZNS1_24adjacent_difference_implIS3_Lb1ELb0EPsS7_N6thrust23THRUST_200600_302600_NS4plusIsEEEE10hipError_tPvRmT2_T3_mT4_P12ihipStream_tbEUlT_E_NS1_11comp_targetILNS1_3genE5ELNS1_11target_archE942ELNS1_3gpuE9ELNS1_3repE0EEENS1_30default_config_static_selectorELNS0_4arch9wavefront6targetE1EEEvT1_.has_indirect_call, 0
	.section	.AMDGPU.csdata,"",@progbits
; Kernel info:
; codeLenInByte = 0
; TotalNumSgprs: 4
; NumVgprs: 0
; ScratchSize: 0
; MemoryBound: 0
; FloatMode: 240
; IeeeMode: 1
; LDSByteSize: 0 bytes/workgroup (compile time only)
; SGPRBlocks: 0
; VGPRBlocks: 0
; NumSGPRsForWavesPerEU: 4
; NumVGPRsForWavesPerEU: 1
; Occupancy: 10
; WaveLimiterHint : 0
; COMPUTE_PGM_RSRC2:SCRATCH_EN: 0
; COMPUTE_PGM_RSRC2:USER_SGPR: 6
; COMPUTE_PGM_RSRC2:TRAP_HANDLER: 0
; COMPUTE_PGM_RSRC2:TGID_X_EN: 1
; COMPUTE_PGM_RSRC2:TGID_Y_EN: 0
; COMPUTE_PGM_RSRC2:TGID_Z_EN: 0
; COMPUTE_PGM_RSRC2:TIDIG_COMP_CNT: 0
	.section	.text._ZN7rocprim17ROCPRIM_400000_NS6detail17trampoline_kernelINS0_14default_configENS1_35adjacent_difference_config_selectorILb1EsEEZNS1_24adjacent_difference_implIS3_Lb1ELb0EPsS7_N6thrust23THRUST_200600_302600_NS4plusIsEEEE10hipError_tPvRmT2_T3_mT4_P12ihipStream_tbEUlT_E_NS1_11comp_targetILNS1_3genE4ELNS1_11target_archE910ELNS1_3gpuE8ELNS1_3repE0EEENS1_30default_config_static_selectorELNS0_4arch9wavefront6targetE1EEEvT1_,"axG",@progbits,_ZN7rocprim17ROCPRIM_400000_NS6detail17trampoline_kernelINS0_14default_configENS1_35adjacent_difference_config_selectorILb1EsEEZNS1_24adjacent_difference_implIS3_Lb1ELb0EPsS7_N6thrust23THRUST_200600_302600_NS4plusIsEEEE10hipError_tPvRmT2_T3_mT4_P12ihipStream_tbEUlT_E_NS1_11comp_targetILNS1_3genE4ELNS1_11target_archE910ELNS1_3gpuE8ELNS1_3repE0EEENS1_30default_config_static_selectorELNS0_4arch9wavefront6targetE1EEEvT1_,comdat
	.protected	_ZN7rocprim17ROCPRIM_400000_NS6detail17trampoline_kernelINS0_14default_configENS1_35adjacent_difference_config_selectorILb1EsEEZNS1_24adjacent_difference_implIS3_Lb1ELb0EPsS7_N6thrust23THRUST_200600_302600_NS4plusIsEEEE10hipError_tPvRmT2_T3_mT4_P12ihipStream_tbEUlT_E_NS1_11comp_targetILNS1_3genE4ELNS1_11target_archE910ELNS1_3gpuE8ELNS1_3repE0EEENS1_30default_config_static_selectorELNS0_4arch9wavefront6targetE1EEEvT1_ ; -- Begin function _ZN7rocprim17ROCPRIM_400000_NS6detail17trampoline_kernelINS0_14default_configENS1_35adjacent_difference_config_selectorILb1EsEEZNS1_24adjacent_difference_implIS3_Lb1ELb0EPsS7_N6thrust23THRUST_200600_302600_NS4plusIsEEEE10hipError_tPvRmT2_T3_mT4_P12ihipStream_tbEUlT_E_NS1_11comp_targetILNS1_3genE4ELNS1_11target_archE910ELNS1_3gpuE8ELNS1_3repE0EEENS1_30default_config_static_selectorELNS0_4arch9wavefront6targetE1EEEvT1_
	.globl	_ZN7rocprim17ROCPRIM_400000_NS6detail17trampoline_kernelINS0_14default_configENS1_35adjacent_difference_config_selectorILb1EsEEZNS1_24adjacent_difference_implIS3_Lb1ELb0EPsS7_N6thrust23THRUST_200600_302600_NS4plusIsEEEE10hipError_tPvRmT2_T3_mT4_P12ihipStream_tbEUlT_E_NS1_11comp_targetILNS1_3genE4ELNS1_11target_archE910ELNS1_3gpuE8ELNS1_3repE0EEENS1_30default_config_static_selectorELNS0_4arch9wavefront6targetE1EEEvT1_
	.p2align	8
	.type	_ZN7rocprim17ROCPRIM_400000_NS6detail17trampoline_kernelINS0_14default_configENS1_35adjacent_difference_config_selectorILb1EsEEZNS1_24adjacent_difference_implIS3_Lb1ELb0EPsS7_N6thrust23THRUST_200600_302600_NS4plusIsEEEE10hipError_tPvRmT2_T3_mT4_P12ihipStream_tbEUlT_E_NS1_11comp_targetILNS1_3genE4ELNS1_11target_archE910ELNS1_3gpuE8ELNS1_3repE0EEENS1_30default_config_static_selectorELNS0_4arch9wavefront6targetE1EEEvT1_,@function
_ZN7rocprim17ROCPRIM_400000_NS6detail17trampoline_kernelINS0_14default_configENS1_35adjacent_difference_config_selectorILb1EsEEZNS1_24adjacent_difference_implIS3_Lb1ELb0EPsS7_N6thrust23THRUST_200600_302600_NS4plusIsEEEE10hipError_tPvRmT2_T3_mT4_P12ihipStream_tbEUlT_E_NS1_11comp_targetILNS1_3genE4ELNS1_11target_archE910ELNS1_3gpuE8ELNS1_3repE0EEENS1_30default_config_static_selectorELNS0_4arch9wavefront6targetE1EEEvT1_: ; @_ZN7rocprim17ROCPRIM_400000_NS6detail17trampoline_kernelINS0_14default_configENS1_35adjacent_difference_config_selectorILb1EsEEZNS1_24adjacent_difference_implIS3_Lb1ELb0EPsS7_N6thrust23THRUST_200600_302600_NS4plusIsEEEE10hipError_tPvRmT2_T3_mT4_P12ihipStream_tbEUlT_E_NS1_11comp_targetILNS1_3genE4ELNS1_11target_archE910ELNS1_3gpuE8ELNS1_3repE0EEENS1_30default_config_static_selectorELNS0_4arch9wavefront6targetE1EEEvT1_
; %bb.0:
	.section	.rodata,"a",@progbits
	.p2align	6, 0x0
	.amdhsa_kernel _ZN7rocprim17ROCPRIM_400000_NS6detail17trampoline_kernelINS0_14default_configENS1_35adjacent_difference_config_selectorILb1EsEEZNS1_24adjacent_difference_implIS3_Lb1ELb0EPsS7_N6thrust23THRUST_200600_302600_NS4plusIsEEEE10hipError_tPvRmT2_T3_mT4_P12ihipStream_tbEUlT_E_NS1_11comp_targetILNS1_3genE4ELNS1_11target_archE910ELNS1_3gpuE8ELNS1_3repE0EEENS1_30default_config_static_selectorELNS0_4arch9wavefront6targetE1EEEvT1_
		.amdhsa_group_segment_fixed_size 0
		.amdhsa_private_segment_fixed_size 0
		.amdhsa_kernarg_size 56
		.amdhsa_user_sgpr_count 6
		.amdhsa_user_sgpr_private_segment_buffer 1
		.amdhsa_user_sgpr_dispatch_ptr 0
		.amdhsa_user_sgpr_queue_ptr 0
		.amdhsa_user_sgpr_kernarg_segment_ptr 1
		.amdhsa_user_sgpr_dispatch_id 0
		.amdhsa_user_sgpr_flat_scratch_init 0
		.amdhsa_user_sgpr_private_segment_size 0
		.amdhsa_uses_dynamic_stack 0
		.amdhsa_system_sgpr_private_segment_wavefront_offset 0
		.amdhsa_system_sgpr_workgroup_id_x 1
		.amdhsa_system_sgpr_workgroup_id_y 0
		.amdhsa_system_sgpr_workgroup_id_z 0
		.amdhsa_system_sgpr_workgroup_info 0
		.amdhsa_system_vgpr_workitem_id 0
		.amdhsa_next_free_vgpr 1
		.amdhsa_next_free_sgpr 0
		.amdhsa_reserve_vcc 0
		.amdhsa_reserve_flat_scratch 0
		.amdhsa_float_round_mode_32 0
		.amdhsa_float_round_mode_16_64 0
		.amdhsa_float_denorm_mode_32 3
		.amdhsa_float_denorm_mode_16_64 3
		.amdhsa_dx10_clamp 1
		.amdhsa_ieee_mode 1
		.amdhsa_fp16_overflow 0
		.amdhsa_exception_fp_ieee_invalid_op 0
		.amdhsa_exception_fp_denorm_src 0
		.amdhsa_exception_fp_ieee_div_zero 0
		.amdhsa_exception_fp_ieee_overflow 0
		.amdhsa_exception_fp_ieee_underflow 0
		.amdhsa_exception_fp_ieee_inexact 0
		.amdhsa_exception_int_div_zero 0
	.end_amdhsa_kernel
	.section	.text._ZN7rocprim17ROCPRIM_400000_NS6detail17trampoline_kernelINS0_14default_configENS1_35adjacent_difference_config_selectorILb1EsEEZNS1_24adjacent_difference_implIS3_Lb1ELb0EPsS7_N6thrust23THRUST_200600_302600_NS4plusIsEEEE10hipError_tPvRmT2_T3_mT4_P12ihipStream_tbEUlT_E_NS1_11comp_targetILNS1_3genE4ELNS1_11target_archE910ELNS1_3gpuE8ELNS1_3repE0EEENS1_30default_config_static_selectorELNS0_4arch9wavefront6targetE1EEEvT1_,"axG",@progbits,_ZN7rocprim17ROCPRIM_400000_NS6detail17trampoline_kernelINS0_14default_configENS1_35adjacent_difference_config_selectorILb1EsEEZNS1_24adjacent_difference_implIS3_Lb1ELb0EPsS7_N6thrust23THRUST_200600_302600_NS4plusIsEEEE10hipError_tPvRmT2_T3_mT4_P12ihipStream_tbEUlT_E_NS1_11comp_targetILNS1_3genE4ELNS1_11target_archE910ELNS1_3gpuE8ELNS1_3repE0EEENS1_30default_config_static_selectorELNS0_4arch9wavefront6targetE1EEEvT1_,comdat
.Lfunc_end403:
	.size	_ZN7rocprim17ROCPRIM_400000_NS6detail17trampoline_kernelINS0_14default_configENS1_35adjacent_difference_config_selectorILb1EsEEZNS1_24adjacent_difference_implIS3_Lb1ELb0EPsS7_N6thrust23THRUST_200600_302600_NS4plusIsEEEE10hipError_tPvRmT2_T3_mT4_P12ihipStream_tbEUlT_E_NS1_11comp_targetILNS1_3genE4ELNS1_11target_archE910ELNS1_3gpuE8ELNS1_3repE0EEENS1_30default_config_static_selectorELNS0_4arch9wavefront6targetE1EEEvT1_, .Lfunc_end403-_ZN7rocprim17ROCPRIM_400000_NS6detail17trampoline_kernelINS0_14default_configENS1_35adjacent_difference_config_selectorILb1EsEEZNS1_24adjacent_difference_implIS3_Lb1ELb0EPsS7_N6thrust23THRUST_200600_302600_NS4plusIsEEEE10hipError_tPvRmT2_T3_mT4_P12ihipStream_tbEUlT_E_NS1_11comp_targetILNS1_3genE4ELNS1_11target_archE910ELNS1_3gpuE8ELNS1_3repE0EEENS1_30default_config_static_selectorELNS0_4arch9wavefront6targetE1EEEvT1_
                                        ; -- End function
	.set _ZN7rocprim17ROCPRIM_400000_NS6detail17trampoline_kernelINS0_14default_configENS1_35adjacent_difference_config_selectorILb1EsEEZNS1_24adjacent_difference_implIS3_Lb1ELb0EPsS7_N6thrust23THRUST_200600_302600_NS4plusIsEEEE10hipError_tPvRmT2_T3_mT4_P12ihipStream_tbEUlT_E_NS1_11comp_targetILNS1_3genE4ELNS1_11target_archE910ELNS1_3gpuE8ELNS1_3repE0EEENS1_30default_config_static_selectorELNS0_4arch9wavefront6targetE1EEEvT1_.num_vgpr, 0
	.set _ZN7rocprim17ROCPRIM_400000_NS6detail17trampoline_kernelINS0_14default_configENS1_35adjacent_difference_config_selectorILb1EsEEZNS1_24adjacent_difference_implIS3_Lb1ELb0EPsS7_N6thrust23THRUST_200600_302600_NS4plusIsEEEE10hipError_tPvRmT2_T3_mT4_P12ihipStream_tbEUlT_E_NS1_11comp_targetILNS1_3genE4ELNS1_11target_archE910ELNS1_3gpuE8ELNS1_3repE0EEENS1_30default_config_static_selectorELNS0_4arch9wavefront6targetE1EEEvT1_.num_agpr, 0
	.set _ZN7rocprim17ROCPRIM_400000_NS6detail17trampoline_kernelINS0_14default_configENS1_35adjacent_difference_config_selectorILb1EsEEZNS1_24adjacent_difference_implIS3_Lb1ELb0EPsS7_N6thrust23THRUST_200600_302600_NS4plusIsEEEE10hipError_tPvRmT2_T3_mT4_P12ihipStream_tbEUlT_E_NS1_11comp_targetILNS1_3genE4ELNS1_11target_archE910ELNS1_3gpuE8ELNS1_3repE0EEENS1_30default_config_static_selectorELNS0_4arch9wavefront6targetE1EEEvT1_.numbered_sgpr, 0
	.set _ZN7rocprim17ROCPRIM_400000_NS6detail17trampoline_kernelINS0_14default_configENS1_35adjacent_difference_config_selectorILb1EsEEZNS1_24adjacent_difference_implIS3_Lb1ELb0EPsS7_N6thrust23THRUST_200600_302600_NS4plusIsEEEE10hipError_tPvRmT2_T3_mT4_P12ihipStream_tbEUlT_E_NS1_11comp_targetILNS1_3genE4ELNS1_11target_archE910ELNS1_3gpuE8ELNS1_3repE0EEENS1_30default_config_static_selectorELNS0_4arch9wavefront6targetE1EEEvT1_.num_named_barrier, 0
	.set _ZN7rocprim17ROCPRIM_400000_NS6detail17trampoline_kernelINS0_14default_configENS1_35adjacent_difference_config_selectorILb1EsEEZNS1_24adjacent_difference_implIS3_Lb1ELb0EPsS7_N6thrust23THRUST_200600_302600_NS4plusIsEEEE10hipError_tPvRmT2_T3_mT4_P12ihipStream_tbEUlT_E_NS1_11comp_targetILNS1_3genE4ELNS1_11target_archE910ELNS1_3gpuE8ELNS1_3repE0EEENS1_30default_config_static_selectorELNS0_4arch9wavefront6targetE1EEEvT1_.private_seg_size, 0
	.set _ZN7rocprim17ROCPRIM_400000_NS6detail17trampoline_kernelINS0_14default_configENS1_35adjacent_difference_config_selectorILb1EsEEZNS1_24adjacent_difference_implIS3_Lb1ELb0EPsS7_N6thrust23THRUST_200600_302600_NS4plusIsEEEE10hipError_tPvRmT2_T3_mT4_P12ihipStream_tbEUlT_E_NS1_11comp_targetILNS1_3genE4ELNS1_11target_archE910ELNS1_3gpuE8ELNS1_3repE0EEENS1_30default_config_static_selectorELNS0_4arch9wavefront6targetE1EEEvT1_.uses_vcc, 0
	.set _ZN7rocprim17ROCPRIM_400000_NS6detail17trampoline_kernelINS0_14default_configENS1_35adjacent_difference_config_selectorILb1EsEEZNS1_24adjacent_difference_implIS3_Lb1ELb0EPsS7_N6thrust23THRUST_200600_302600_NS4plusIsEEEE10hipError_tPvRmT2_T3_mT4_P12ihipStream_tbEUlT_E_NS1_11comp_targetILNS1_3genE4ELNS1_11target_archE910ELNS1_3gpuE8ELNS1_3repE0EEENS1_30default_config_static_selectorELNS0_4arch9wavefront6targetE1EEEvT1_.uses_flat_scratch, 0
	.set _ZN7rocprim17ROCPRIM_400000_NS6detail17trampoline_kernelINS0_14default_configENS1_35adjacent_difference_config_selectorILb1EsEEZNS1_24adjacent_difference_implIS3_Lb1ELb0EPsS7_N6thrust23THRUST_200600_302600_NS4plusIsEEEE10hipError_tPvRmT2_T3_mT4_P12ihipStream_tbEUlT_E_NS1_11comp_targetILNS1_3genE4ELNS1_11target_archE910ELNS1_3gpuE8ELNS1_3repE0EEENS1_30default_config_static_selectorELNS0_4arch9wavefront6targetE1EEEvT1_.has_dyn_sized_stack, 0
	.set _ZN7rocprim17ROCPRIM_400000_NS6detail17trampoline_kernelINS0_14default_configENS1_35adjacent_difference_config_selectorILb1EsEEZNS1_24adjacent_difference_implIS3_Lb1ELb0EPsS7_N6thrust23THRUST_200600_302600_NS4plusIsEEEE10hipError_tPvRmT2_T3_mT4_P12ihipStream_tbEUlT_E_NS1_11comp_targetILNS1_3genE4ELNS1_11target_archE910ELNS1_3gpuE8ELNS1_3repE0EEENS1_30default_config_static_selectorELNS0_4arch9wavefront6targetE1EEEvT1_.has_recursion, 0
	.set _ZN7rocprim17ROCPRIM_400000_NS6detail17trampoline_kernelINS0_14default_configENS1_35adjacent_difference_config_selectorILb1EsEEZNS1_24adjacent_difference_implIS3_Lb1ELb0EPsS7_N6thrust23THRUST_200600_302600_NS4plusIsEEEE10hipError_tPvRmT2_T3_mT4_P12ihipStream_tbEUlT_E_NS1_11comp_targetILNS1_3genE4ELNS1_11target_archE910ELNS1_3gpuE8ELNS1_3repE0EEENS1_30default_config_static_selectorELNS0_4arch9wavefront6targetE1EEEvT1_.has_indirect_call, 0
	.section	.AMDGPU.csdata,"",@progbits
; Kernel info:
; codeLenInByte = 0
; TotalNumSgprs: 4
; NumVgprs: 0
; ScratchSize: 0
; MemoryBound: 0
; FloatMode: 240
; IeeeMode: 1
; LDSByteSize: 0 bytes/workgroup (compile time only)
; SGPRBlocks: 0
; VGPRBlocks: 0
; NumSGPRsForWavesPerEU: 4
; NumVGPRsForWavesPerEU: 1
; Occupancy: 10
; WaveLimiterHint : 0
; COMPUTE_PGM_RSRC2:SCRATCH_EN: 0
; COMPUTE_PGM_RSRC2:USER_SGPR: 6
; COMPUTE_PGM_RSRC2:TRAP_HANDLER: 0
; COMPUTE_PGM_RSRC2:TGID_X_EN: 1
; COMPUTE_PGM_RSRC2:TGID_Y_EN: 0
; COMPUTE_PGM_RSRC2:TGID_Z_EN: 0
; COMPUTE_PGM_RSRC2:TIDIG_COMP_CNT: 0
	.section	.text._ZN7rocprim17ROCPRIM_400000_NS6detail17trampoline_kernelINS0_14default_configENS1_35adjacent_difference_config_selectorILb1EsEEZNS1_24adjacent_difference_implIS3_Lb1ELb0EPsS7_N6thrust23THRUST_200600_302600_NS4plusIsEEEE10hipError_tPvRmT2_T3_mT4_P12ihipStream_tbEUlT_E_NS1_11comp_targetILNS1_3genE3ELNS1_11target_archE908ELNS1_3gpuE7ELNS1_3repE0EEENS1_30default_config_static_selectorELNS0_4arch9wavefront6targetE1EEEvT1_,"axG",@progbits,_ZN7rocprim17ROCPRIM_400000_NS6detail17trampoline_kernelINS0_14default_configENS1_35adjacent_difference_config_selectorILb1EsEEZNS1_24adjacent_difference_implIS3_Lb1ELb0EPsS7_N6thrust23THRUST_200600_302600_NS4plusIsEEEE10hipError_tPvRmT2_T3_mT4_P12ihipStream_tbEUlT_E_NS1_11comp_targetILNS1_3genE3ELNS1_11target_archE908ELNS1_3gpuE7ELNS1_3repE0EEENS1_30default_config_static_selectorELNS0_4arch9wavefront6targetE1EEEvT1_,comdat
	.protected	_ZN7rocprim17ROCPRIM_400000_NS6detail17trampoline_kernelINS0_14default_configENS1_35adjacent_difference_config_selectorILb1EsEEZNS1_24adjacent_difference_implIS3_Lb1ELb0EPsS7_N6thrust23THRUST_200600_302600_NS4plusIsEEEE10hipError_tPvRmT2_T3_mT4_P12ihipStream_tbEUlT_E_NS1_11comp_targetILNS1_3genE3ELNS1_11target_archE908ELNS1_3gpuE7ELNS1_3repE0EEENS1_30default_config_static_selectorELNS0_4arch9wavefront6targetE1EEEvT1_ ; -- Begin function _ZN7rocprim17ROCPRIM_400000_NS6detail17trampoline_kernelINS0_14default_configENS1_35adjacent_difference_config_selectorILb1EsEEZNS1_24adjacent_difference_implIS3_Lb1ELb0EPsS7_N6thrust23THRUST_200600_302600_NS4plusIsEEEE10hipError_tPvRmT2_T3_mT4_P12ihipStream_tbEUlT_E_NS1_11comp_targetILNS1_3genE3ELNS1_11target_archE908ELNS1_3gpuE7ELNS1_3repE0EEENS1_30default_config_static_selectorELNS0_4arch9wavefront6targetE1EEEvT1_
	.globl	_ZN7rocprim17ROCPRIM_400000_NS6detail17trampoline_kernelINS0_14default_configENS1_35adjacent_difference_config_selectorILb1EsEEZNS1_24adjacent_difference_implIS3_Lb1ELb0EPsS7_N6thrust23THRUST_200600_302600_NS4plusIsEEEE10hipError_tPvRmT2_T3_mT4_P12ihipStream_tbEUlT_E_NS1_11comp_targetILNS1_3genE3ELNS1_11target_archE908ELNS1_3gpuE7ELNS1_3repE0EEENS1_30default_config_static_selectorELNS0_4arch9wavefront6targetE1EEEvT1_
	.p2align	8
	.type	_ZN7rocprim17ROCPRIM_400000_NS6detail17trampoline_kernelINS0_14default_configENS1_35adjacent_difference_config_selectorILb1EsEEZNS1_24adjacent_difference_implIS3_Lb1ELb0EPsS7_N6thrust23THRUST_200600_302600_NS4plusIsEEEE10hipError_tPvRmT2_T3_mT4_P12ihipStream_tbEUlT_E_NS1_11comp_targetILNS1_3genE3ELNS1_11target_archE908ELNS1_3gpuE7ELNS1_3repE0EEENS1_30default_config_static_selectorELNS0_4arch9wavefront6targetE1EEEvT1_,@function
_ZN7rocprim17ROCPRIM_400000_NS6detail17trampoline_kernelINS0_14default_configENS1_35adjacent_difference_config_selectorILb1EsEEZNS1_24adjacent_difference_implIS3_Lb1ELb0EPsS7_N6thrust23THRUST_200600_302600_NS4plusIsEEEE10hipError_tPvRmT2_T3_mT4_P12ihipStream_tbEUlT_E_NS1_11comp_targetILNS1_3genE3ELNS1_11target_archE908ELNS1_3gpuE7ELNS1_3repE0EEENS1_30default_config_static_selectorELNS0_4arch9wavefront6targetE1EEEvT1_: ; @_ZN7rocprim17ROCPRIM_400000_NS6detail17trampoline_kernelINS0_14default_configENS1_35adjacent_difference_config_selectorILb1EsEEZNS1_24adjacent_difference_implIS3_Lb1ELb0EPsS7_N6thrust23THRUST_200600_302600_NS4plusIsEEEE10hipError_tPvRmT2_T3_mT4_P12ihipStream_tbEUlT_E_NS1_11comp_targetILNS1_3genE3ELNS1_11target_archE908ELNS1_3gpuE7ELNS1_3repE0EEENS1_30default_config_static_selectorELNS0_4arch9wavefront6targetE1EEEvT1_
; %bb.0:
	.section	.rodata,"a",@progbits
	.p2align	6, 0x0
	.amdhsa_kernel _ZN7rocprim17ROCPRIM_400000_NS6detail17trampoline_kernelINS0_14default_configENS1_35adjacent_difference_config_selectorILb1EsEEZNS1_24adjacent_difference_implIS3_Lb1ELb0EPsS7_N6thrust23THRUST_200600_302600_NS4plusIsEEEE10hipError_tPvRmT2_T3_mT4_P12ihipStream_tbEUlT_E_NS1_11comp_targetILNS1_3genE3ELNS1_11target_archE908ELNS1_3gpuE7ELNS1_3repE0EEENS1_30default_config_static_selectorELNS0_4arch9wavefront6targetE1EEEvT1_
		.amdhsa_group_segment_fixed_size 0
		.amdhsa_private_segment_fixed_size 0
		.amdhsa_kernarg_size 56
		.amdhsa_user_sgpr_count 6
		.amdhsa_user_sgpr_private_segment_buffer 1
		.amdhsa_user_sgpr_dispatch_ptr 0
		.amdhsa_user_sgpr_queue_ptr 0
		.amdhsa_user_sgpr_kernarg_segment_ptr 1
		.amdhsa_user_sgpr_dispatch_id 0
		.amdhsa_user_sgpr_flat_scratch_init 0
		.amdhsa_user_sgpr_private_segment_size 0
		.amdhsa_uses_dynamic_stack 0
		.amdhsa_system_sgpr_private_segment_wavefront_offset 0
		.amdhsa_system_sgpr_workgroup_id_x 1
		.amdhsa_system_sgpr_workgroup_id_y 0
		.amdhsa_system_sgpr_workgroup_id_z 0
		.amdhsa_system_sgpr_workgroup_info 0
		.amdhsa_system_vgpr_workitem_id 0
		.amdhsa_next_free_vgpr 1
		.amdhsa_next_free_sgpr 0
		.amdhsa_reserve_vcc 0
		.amdhsa_reserve_flat_scratch 0
		.amdhsa_float_round_mode_32 0
		.amdhsa_float_round_mode_16_64 0
		.amdhsa_float_denorm_mode_32 3
		.amdhsa_float_denorm_mode_16_64 3
		.amdhsa_dx10_clamp 1
		.amdhsa_ieee_mode 1
		.amdhsa_fp16_overflow 0
		.amdhsa_exception_fp_ieee_invalid_op 0
		.amdhsa_exception_fp_denorm_src 0
		.amdhsa_exception_fp_ieee_div_zero 0
		.amdhsa_exception_fp_ieee_overflow 0
		.amdhsa_exception_fp_ieee_underflow 0
		.amdhsa_exception_fp_ieee_inexact 0
		.amdhsa_exception_int_div_zero 0
	.end_amdhsa_kernel
	.section	.text._ZN7rocprim17ROCPRIM_400000_NS6detail17trampoline_kernelINS0_14default_configENS1_35adjacent_difference_config_selectorILb1EsEEZNS1_24adjacent_difference_implIS3_Lb1ELb0EPsS7_N6thrust23THRUST_200600_302600_NS4plusIsEEEE10hipError_tPvRmT2_T3_mT4_P12ihipStream_tbEUlT_E_NS1_11comp_targetILNS1_3genE3ELNS1_11target_archE908ELNS1_3gpuE7ELNS1_3repE0EEENS1_30default_config_static_selectorELNS0_4arch9wavefront6targetE1EEEvT1_,"axG",@progbits,_ZN7rocprim17ROCPRIM_400000_NS6detail17trampoline_kernelINS0_14default_configENS1_35adjacent_difference_config_selectorILb1EsEEZNS1_24adjacent_difference_implIS3_Lb1ELb0EPsS7_N6thrust23THRUST_200600_302600_NS4plusIsEEEE10hipError_tPvRmT2_T3_mT4_P12ihipStream_tbEUlT_E_NS1_11comp_targetILNS1_3genE3ELNS1_11target_archE908ELNS1_3gpuE7ELNS1_3repE0EEENS1_30default_config_static_selectorELNS0_4arch9wavefront6targetE1EEEvT1_,comdat
.Lfunc_end404:
	.size	_ZN7rocprim17ROCPRIM_400000_NS6detail17trampoline_kernelINS0_14default_configENS1_35adjacent_difference_config_selectorILb1EsEEZNS1_24adjacent_difference_implIS3_Lb1ELb0EPsS7_N6thrust23THRUST_200600_302600_NS4plusIsEEEE10hipError_tPvRmT2_T3_mT4_P12ihipStream_tbEUlT_E_NS1_11comp_targetILNS1_3genE3ELNS1_11target_archE908ELNS1_3gpuE7ELNS1_3repE0EEENS1_30default_config_static_selectorELNS0_4arch9wavefront6targetE1EEEvT1_, .Lfunc_end404-_ZN7rocprim17ROCPRIM_400000_NS6detail17trampoline_kernelINS0_14default_configENS1_35adjacent_difference_config_selectorILb1EsEEZNS1_24adjacent_difference_implIS3_Lb1ELb0EPsS7_N6thrust23THRUST_200600_302600_NS4plusIsEEEE10hipError_tPvRmT2_T3_mT4_P12ihipStream_tbEUlT_E_NS1_11comp_targetILNS1_3genE3ELNS1_11target_archE908ELNS1_3gpuE7ELNS1_3repE0EEENS1_30default_config_static_selectorELNS0_4arch9wavefront6targetE1EEEvT1_
                                        ; -- End function
	.set _ZN7rocprim17ROCPRIM_400000_NS6detail17trampoline_kernelINS0_14default_configENS1_35adjacent_difference_config_selectorILb1EsEEZNS1_24adjacent_difference_implIS3_Lb1ELb0EPsS7_N6thrust23THRUST_200600_302600_NS4plusIsEEEE10hipError_tPvRmT2_T3_mT4_P12ihipStream_tbEUlT_E_NS1_11comp_targetILNS1_3genE3ELNS1_11target_archE908ELNS1_3gpuE7ELNS1_3repE0EEENS1_30default_config_static_selectorELNS0_4arch9wavefront6targetE1EEEvT1_.num_vgpr, 0
	.set _ZN7rocprim17ROCPRIM_400000_NS6detail17trampoline_kernelINS0_14default_configENS1_35adjacent_difference_config_selectorILb1EsEEZNS1_24adjacent_difference_implIS3_Lb1ELb0EPsS7_N6thrust23THRUST_200600_302600_NS4plusIsEEEE10hipError_tPvRmT2_T3_mT4_P12ihipStream_tbEUlT_E_NS1_11comp_targetILNS1_3genE3ELNS1_11target_archE908ELNS1_3gpuE7ELNS1_3repE0EEENS1_30default_config_static_selectorELNS0_4arch9wavefront6targetE1EEEvT1_.num_agpr, 0
	.set _ZN7rocprim17ROCPRIM_400000_NS6detail17trampoline_kernelINS0_14default_configENS1_35adjacent_difference_config_selectorILb1EsEEZNS1_24adjacent_difference_implIS3_Lb1ELb0EPsS7_N6thrust23THRUST_200600_302600_NS4plusIsEEEE10hipError_tPvRmT2_T3_mT4_P12ihipStream_tbEUlT_E_NS1_11comp_targetILNS1_3genE3ELNS1_11target_archE908ELNS1_3gpuE7ELNS1_3repE0EEENS1_30default_config_static_selectorELNS0_4arch9wavefront6targetE1EEEvT1_.numbered_sgpr, 0
	.set _ZN7rocprim17ROCPRIM_400000_NS6detail17trampoline_kernelINS0_14default_configENS1_35adjacent_difference_config_selectorILb1EsEEZNS1_24adjacent_difference_implIS3_Lb1ELb0EPsS7_N6thrust23THRUST_200600_302600_NS4plusIsEEEE10hipError_tPvRmT2_T3_mT4_P12ihipStream_tbEUlT_E_NS1_11comp_targetILNS1_3genE3ELNS1_11target_archE908ELNS1_3gpuE7ELNS1_3repE0EEENS1_30default_config_static_selectorELNS0_4arch9wavefront6targetE1EEEvT1_.num_named_barrier, 0
	.set _ZN7rocprim17ROCPRIM_400000_NS6detail17trampoline_kernelINS0_14default_configENS1_35adjacent_difference_config_selectorILb1EsEEZNS1_24adjacent_difference_implIS3_Lb1ELb0EPsS7_N6thrust23THRUST_200600_302600_NS4plusIsEEEE10hipError_tPvRmT2_T3_mT4_P12ihipStream_tbEUlT_E_NS1_11comp_targetILNS1_3genE3ELNS1_11target_archE908ELNS1_3gpuE7ELNS1_3repE0EEENS1_30default_config_static_selectorELNS0_4arch9wavefront6targetE1EEEvT1_.private_seg_size, 0
	.set _ZN7rocprim17ROCPRIM_400000_NS6detail17trampoline_kernelINS0_14default_configENS1_35adjacent_difference_config_selectorILb1EsEEZNS1_24adjacent_difference_implIS3_Lb1ELb0EPsS7_N6thrust23THRUST_200600_302600_NS4plusIsEEEE10hipError_tPvRmT2_T3_mT4_P12ihipStream_tbEUlT_E_NS1_11comp_targetILNS1_3genE3ELNS1_11target_archE908ELNS1_3gpuE7ELNS1_3repE0EEENS1_30default_config_static_selectorELNS0_4arch9wavefront6targetE1EEEvT1_.uses_vcc, 0
	.set _ZN7rocprim17ROCPRIM_400000_NS6detail17trampoline_kernelINS0_14default_configENS1_35adjacent_difference_config_selectorILb1EsEEZNS1_24adjacent_difference_implIS3_Lb1ELb0EPsS7_N6thrust23THRUST_200600_302600_NS4plusIsEEEE10hipError_tPvRmT2_T3_mT4_P12ihipStream_tbEUlT_E_NS1_11comp_targetILNS1_3genE3ELNS1_11target_archE908ELNS1_3gpuE7ELNS1_3repE0EEENS1_30default_config_static_selectorELNS0_4arch9wavefront6targetE1EEEvT1_.uses_flat_scratch, 0
	.set _ZN7rocprim17ROCPRIM_400000_NS6detail17trampoline_kernelINS0_14default_configENS1_35adjacent_difference_config_selectorILb1EsEEZNS1_24adjacent_difference_implIS3_Lb1ELb0EPsS7_N6thrust23THRUST_200600_302600_NS4plusIsEEEE10hipError_tPvRmT2_T3_mT4_P12ihipStream_tbEUlT_E_NS1_11comp_targetILNS1_3genE3ELNS1_11target_archE908ELNS1_3gpuE7ELNS1_3repE0EEENS1_30default_config_static_selectorELNS0_4arch9wavefront6targetE1EEEvT1_.has_dyn_sized_stack, 0
	.set _ZN7rocprim17ROCPRIM_400000_NS6detail17trampoline_kernelINS0_14default_configENS1_35adjacent_difference_config_selectorILb1EsEEZNS1_24adjacent_difference_implIS3_Lb1ELb0EPsS7_N6thrust23THRUST_200600_302600_NS4plusIsEEEE10hipError_tPvRmT2_T3_mT4_P12ihipStream_tbEUlT_E_NS1_11comp_targetILNS1_3genE3ELNS1_11target_archE908ELNS1_3gpuE7ELNS1_3repE0EEENS1_30default_config_static_selectorELNS0_4arch9wavefront6targetE1EEEvT1_.has_recursion, 0
	.set _ZN7rocprim17ROCPRIM_400000_NS6detail17trampoline_kernelINS0_14default_configENS1_35adjacent_difference_config_selectorILb1EsEEZNS1_24adjacent_difference_implIS3_Lb1ELb0EPsS7_N6thrust23THRUST_200600_302600_NS4plusIsEEEE10hipError_tPvRmT2_T3_mT4_P12ihipStream_tbEUlT_E_NS1_11comp_targetILNS1_3genE3ELNS1_11target_archE908ELNS1_3gpuE7ELNS1_3repE0EEENS1_30default_config_static_selectorELNS0_4arch9wavefront6targetE1EEEvT1_.has_indirect_call, 0
	.section	.AMDGPU.csdata,"",@progbits
; Kernel info:
; codeLenInByte = 0
; TotalNumSgprs: 4
; NumVgprs: 0
; ScratchSize: 0
; MemoryBound: 0
; FloatMode: 240
; IeeeMode: 1
; LDSByteSize: 0 bytes/workgroup (compile time only)
; SGPRBlocks: 0
; VGPRBlocks: 0
; NumSGPRsForWavesPerEU: 4
; NumVGPRsForWavesPerEU: 1
; Occupancy: 10
; WaveLimiterHint : 0
; COMPUTE_PGM_RSRC2:SCRATCH_EN: 0
; COMPUTE_PGM_RSRC2:USER_SGPR: 6
; COMPUTE_PGM_RSRC2:TRAP_HANDLER: 0
; COMPUTE_PGM_RSRC2:TGID_X_EN: 1
; COMPUTE_PGM_RSRC2:TGID_Y_EN: 0
; COMPUTE_PGM_RSRC2:TGID_Z_EN: 0
; COMPUTE_PGM_RSRC2:TIDIG_COMP_CNT: 0
	.section	.text._ZN7rocprim17ROCPRIM_400000_NS6detail17trampoline_kernelINS0_14default_configENS1_35adjacent_difference_config_selectorILb1EsEEZNS1_24adjacent_difference_implIS3_Lb1ELb0EPsS7_N6thrust23THRUST_200600_302600_NS4plusIsEEEE10hipError_tPvRmT2_T3_mT4_P12ihipStream_tbEUlT_E_NS1_11comp_targetILNS1_3genE2ELNS1_11target_archE906ELNS1_3gpuE6ELNS1_3repE0EEENS1_30default_config_static_selectorELNS0_4arch9wavefront6targetE1EEEvT1_,"axG",@progbits,_ZN7rocprim17ROCPRIM_400000_NS6detail17trampoline_kernelINS0_14default_configENS1_35adjacent_difference_config_selectorILb1EsEEZNS1_24adjacent_difference_implIS3_Lb1ELb0EPsS7_N6thrust23THRUST_200600_302600_NS4plusIsEEEE10hipError_tPvRmT2_T3_mT4_P12ihipStream_tbEUlT_E_NS1_11comp_targetILNS1_3genE2ELNS1_11target_archE906ELNS1_3gpuE6ELNS1_3repE0EEENS1_30default_config_static_selectorELNS0_4arch9wavefront6targetE1EEEvT1_,comdat
	.protected	_ZN7rocprim17ROCPRIM_400000_NS6detail17trampoline_kernelINS0_14default_configENS1_35adjacent_difference_config_selectorILb1EsEEZNS1_24adjacent_difference_implIS3_Lb1ELb0EPsS7_N6thrust23THRUST_200600_302600_NS4plusIsEEEE10hipError_tPvRmT2_T3_mT4_P12ihipStream_tbEUlT_E_NS1_11comp_targetILNS1_3genE2ELNS1_11target_archE906ELNS1_3gpuE6ELNS1_3repE0EEENS1_30default_config_static_selectorELNS0_4arch9wavefront6targetE1EEEvT1_ ; -- Begin function _ZN7rocprim17ROCPRIM_400000_NS6detail17trampoline_kernelINS0_14default_configENS1_35adjacent_difference_config_selectorILb1EsEEZNS1_24adjacent_difference_implIS3_Lb1ELb0EPsS7_N6thrust23THRUST_200600_302600_NS4plusIsEEEE10hipError_tPvRmT2_T3_mT4_P12ihipStream_tbEUlT_E_NS1_11comp_targetILNS1_3genE2ELNS1_11target_archE906ELNS1_3gpuE6ELNS1_3repE0EEENS1_30default_config_static_selectorELNS0_4arch9wavefront6targetE1EEEvT1_
	.globl	_ZN7rocprim17ROCPRIM_400000_NS6detail17trampoline_kernelINS0_14default_configENS1_35adjacent_difference_config_selectorILb1EsEEZNS1_24adjacent_difference_implIS3_Lb1ELb0EPsS7_N6thrust23THRUST_200600_302600_NS4plusIsEEEE10hipError_tPvRmT2_T3_mT4_P12ihipStream_tbEUlT_E_NS1_11comp_targetILNS1_3genE2ELNS1_11target_archE906ELNS1_3gpuE6ELNS1_3repE0EEENS1_30default_config_static_selectorELNS0_4arch9wavefront6targetE1EEEvT1_
	.p2align	8
	.type	_ZN7rocprim17ROCPRIM_400000_NS6detail17trampoline_kernelINS0_14default_configENS1_35adjacent_difference_config_selectorILb1EsEEZNS1_24adjacent_difference_implIS3_Lb1ELb0EPsS7_N6thrust23THRUST_200600_302600_NS4plusIsEEEE10hipError_tPvRmT2_T3_mT4_P12ihipStream_tbEUlT_E_NS1_11comp_targetILNS1_3genE2ELNS1_11target_archE906ELNS1_3gpuE6ELNS1_3repE0EEENS1_30default_config_static_selectorELNS0_4arch9wavefront6targetE1EEEvT1_,@function
_ZN7rocprim17ROCPRIM_400000_NS6detail17trampoline_kernelINS0_14default_configENS1_35adjacent_difference_config_selectorILb1EsEEZNS1_24adjacent_difference_implIS3_Lb1ELb0EPsS7_N6thrust23THRUST_200600_302600_NS4plusIsEEEE10hipError_tPvRmT2_T3_mT4_P12ihipStream_tbEUlT_E_NS1_11comp_targetILNS1_3genE2ELNS1_11target_archE906ELNS1_3gpuE6ELNS1_3repE0EEENS1_30default_config_static_selectorELNS0_4arch9wavefront6targetE1EEEvT1_: ; @_ZN7rocprim17ROCPRIM_400000_NS6detail17trampoline_kernelINS0_14default_configENS1_35adjacent_difference_config_selectorILb1EsEEZNS1_24adjacent_difference_implIS3_Lb1ELb0EPsS7_N6thrust23THRUST_200600_302600_NS4plusIsEEEE10hipError_tPvRmT2_T3_mT4_P12ihipStream_tbEUlT_E_NS1_11comp_targetILNS1_3genE2ELNS1_11target_archE906ELNS1_3gpuE6ELNS1_3repE0EEENS1_30default_config_static_selectorELNS0_4arch9wavefront6targetE1EEEvT1_
; %bb.0:
	s_load_dwordx8 s[8:15], s[4:5], 0x0
	s_load_dwordx4 s[16:19], s[4:5], 0x28
	s_mul_i32 s20, s6, 0x440
	s_mov_b32 s7, 0
	s_mov_b64 s[22:23], -1
	s_waitcnt lgkmcnt(0)
	s_lshl_b64 s[10:11], s[10:11], 1
	s_add_u32 s26, s8, s10
	s_addc_u32 s27, s9, s11
	s_mul_i32 s3, s15, 0xf0f0f0f1
	s_mul_hi_u32 s4, s14, 0xf0f0f0f1
	s_mul_hi_u32 s2, s15, 0xf0f0f0f1
	s_add_u32 s3, s3, s4
	s_mul_i32 s1, s14, 0xf0f0f0f0
	s_addc_u32 s2, s2, 0
	s_mul_hi_u32 s0, s14, 0xf0f0f0f0
	s_add_u32 s1, s1, s3
	s_addc_u32 s0, s0, 0
	s_add_u32 s0, s2, s0
	s_addc_u32 s1, 0, 0
	s_mul_i32 s3, s15, 0xf0f0f0f0
	s_mul_hi_u32 s2, s15, 0xf0f0f0f0
	s_add_u32 s0, s3, s0
	s_addc_u32 s1, s2, s1
	s_lshr_b64 s[2:3], s[0:1], 10
	s_lshr_b32 s0, s1, 10
	s_mulk_i32 s0, 0x440
	s_mul_hi_u32 s1, s2, 0x440
	s_add_i32 s1, s1, s0
	s_mul_i32 s0, s2, 0x440
	s_sub_u32 s0, s14, s0
	s_subb_u32 s1, s15, s1
	s_cmp_lg_u64 s[0:1], 0
	s_cselect_b64 s[0:1], -1, 0
	v_cndmask_b32_e64 v1, 0, 1, s[0:1]
	v_readfirstlane_b32 s0, v1
	s_add_u32 s4, s2, s0
	s_addc_u32 s5, s3, 0
	s_add_u32 s2, s18, s6
	s_addc_u32 s3, s19, 0
	s_add_u32 s8, s4, -1
	s_addc_u32 s9, s5, -1
	v_mov_b32_e32 v1, s8
	v_mov_b32_e32 v2, s9
	v_cmp_ge_u64_e64 s[0:1], s[2:3], v[1:2]
	s_mul_i32 s15, s8, 0xfffffbc0
	s_and_b64 vcc, exec, s[0:1]
	s_cbranch_vccz .LBB405_36
; %bb.1:
	s_mov_b32 s21, s7
	s_add_i32 s28, s15, s14
	s_lshl_b64 s[22:23], s[20:21], 1
	s_add_u32 s22, s26, s22
	v_mov_b32_e32 v1, 0
	s_addc_u32 s23, s27, s23
	v_cmp_gt_u32_e32 vcc, s28, v0
	v_mov_b32_e32 v2, v1
	v_mov_b32_e32 v3, v1
	;; [unrolled: 1-line block ×8, first 2 shown]
	s_and_saveexec_b64 s[24:25], vcc
	s_cbranch_execz .LBB405_3
; %bb.2:
	v_mov_b32_e32 v2, v1
	v_mov_b32_e32 v3, v1
	;; [unrolled: 1-line block ×8, first 2 shown]
	v_lshlrev_b32_e32 v1, 1, v0
	global_load_ushort v1, v1, s[22:23]
	s_waitcnt vmcnt(0)
	v_and_b32_e32 v1, 0xffff, v1
.LBB405_3:
	s_or_b64 exec, exec, s[24:25]
	v_or_b32_e32 v10, 64, v0
	v_cmp_gt_u32_e32 vcc, s28, v10
	s_and_saveexec_b64 s[24:25], vcc
	s_cbranch_execz .LBB405_5
; %bb.4:
	v_lshlrev_b32_e32 v10, 1, v0
	global_load_ushort v10, v10, s[22:23] offset:128
	s_mov_b32 s21, 0x5040100
	s_waitcnt vmcnt(0)
	v_perm_b32 v1, v10, v1, s21
.LBB405_5:
	s_or_b64 exec, exec, s[24:25]
	v_or_b32_e32 v10, 0x80, v0
	v_cmp_gt_u32_e32 vcc, s28, v10
	s_and_saveexec_b64 s[24:25], vcc
	s_cbranch_execz .LBB405_7
; %bb.6:
	v_lshlrev_b32_e32 v10, 1, v0
	global_load_ushort v10, v10, s[22:23] offset:256
	s_mov_b32 s21, 0xffff
	s_waitcnt vmcnt(0)
	v_bfi_b32 v2, s21, v10, v2
.LBB405_7:
	s_or_b64 exec, exec, s[24:25]
	v_or_b32_e32 v10, 0xc0, v0
	v_cmp_gt_u32_e32 vcc, s28, v10
	s_and_saveexec_b64 s[24:25], vcc
	s_cbranch_execz .LBB405_9
; %bb.8:
	v_lshlrev_b32_e32 v10, 1, v0
	global_load_ushort v10, v10, s[22:23] offset:384
	s_mov_b32 s21, 0x5040100
	s_waitcnt vmcnt(0)
	v_perm_b32 v2, v10, v2, s21
.LBB405_9:
	s_or_b64 exec, exec, s[24:25]
	v_or_b32_e32 v10, 0x100, v0
	v_cmp_gt_u32_e32 vcc, s28, v10
	s_and_saveexec_b64 s[24:25], vcc
	s_cbranch_execz .LBB405_11
; %bb.10:
	v_lshlrev_b32_e32 v10, 1, v0
	global_load_ushort v10, v10, s[22:23] offset:512
	s_mov_b32 s21, 0xffff
	s_waitcnt vmcnt(0)
	v_bfi_b32 v3, s21, v10, v3
.LBB405_11:
	;; [unrolled: 24-line block ×7, first 2 shown]
	s_or_b64 exec, exec, s[24:25]
	v_or_b32_e32 v10, 0x3c0, v0
	v_cmp_gt_u32_e32 vcc, s28, v10
	s_and_saveexec_b64 s[24:25], vcc
	s_cbranch_execz .LBB405_33
; %bb.32:
	v_lshlrev_b32_e32 v10, 1, v0
	global_load_ushort v10, v10, s[22:23] offset:1920
	s_mov_b32 s21, 0x5040100
	s_waitcnt vmcnt(0)
	v_perm_b32 v8, v10, v8, s21
.LBB405_33:
	s_or_b64 exec, exec, s[24:25]
	v_or_b32_e32 v10, 0x400, v0
	v_cmp_gt_u32_e32 vcc, s28, v10
	s_and_saveexec_b64 s[24:25], vcc
	s_cbranch_execz .LBB405_35
; %bb.34:
	v_lshlrev_b32_e32 v9, 1, v0
	global_load_ushort v9, v9, s[22:23] offset:2048
.LBB405_35:
	s_or_b64 exec, exec, s[24:25]
	v_lshlrev_b32_e32 v10, 1, v0
	s_mov_b64 s[22:23], 0
	ds_write_b16 v10, v1
	ds_write_b16_d16_hi v10, v1 offset:128
	ds_write_b16 v10, v2 offset:256
	ds_write_b16_d16_hi v10, v2 offset:384
	ds_write_b16 v10, v3 offset:512
	;; [unrolled: 2-line block ×7, first 2 shown]
	ds_write_b16_d16_hi v10, v8 offset:1920
	s_waitcnt vmcnt(0)
	ds_write_b16 v10, v9 offset:2048
	s_waitcnt lgkmcnt(0)
	; wave barrier
.LBB405_36:
	s_and_b64 vcc, exec, s[22:23]
	v_lshlrev_b32_e32 v11, 1, v0
	s_cbranch_vccz .LBB405_38
; %bb.37:
	s_mov_b32 s21, 0
	s_lshl_b64 s[22:23], s[20:21], 1
	s_add_u32 s22, s26, s22
	s_addc_u32 s23, s27, s23
	global_load_ushort v1, v11, s[22:23]
	global_load_ushort v2, v11, s[22:23] offset:128
	global_load_ushort v3, v11, s[22:23] offset:256
	;; [unrolled: 1-line block ×16, first 2 shown]
	s_waitcnt vmcnt(16)
	ds_write_b16 v11, v1
	s_waitcnt vmcnt(15)
	ds_write_b16 v11, v2 offset:128
	s_waitcnt vmcnt(14)
	ds_write_b16 v11, v3 offset:256
	;; [unrolled: 2-line block ×16, first 2 shown]
	s_waitcnt lgkmcnt(0)
	; wave barrier
.LBB405_38:
	v_mul_u32_u24_e32 v12, 34, v0
	ds_read_b32 v9, v12
	ds_read_b32 v15, v12 offset:2
	ds_read_b32 v22, v12 offset:4
	;; [unrolled: 1-line block ×13, first 2 shown]
	ds_read_u16 v28, v12 offset:28
	ds_read_u16 v10, v12 offset:30
	;; [unrolled: 1-line block ×3, first 2 shown]
	s_cmp_eq_u64 s[2:3], 0
	s_waitcnt lgkmcnt(0)
	; wave barrier
	s_cbranch_scc1 .LBB405_43
; %bb.39:
	s_lshl_b64 s[18:19], s[18:19], 1
	s_add_u32 s16, s16, s18
	s_addc_u32 s17, s17, s19
	s_lshl_b64 s[6:7], s[6:7], 1
	s_add_u32 s6, s16, s6
	s_addc_u32 s7, s17, s7
	v_mov_b32_e32 v1, 0
	global_load_ushort v29, v1, s[6:7] offset:-2
	s_cmp_eq_u64 s[2:3], s[8:9]
	s_cbranch_scc1 .LBB405_44
; %bb.40:
	v_cmp_ne_u32_e32 vcc, 0, v0
	s_waitcnt vmcnt(0)
	v_mov_b32_e32 v14, v29
	ds_write_b16 v11, v4
	s_waitcnt lgkmcnt(0)
	; wave barrier
	s_and_saveexec_b64 s[6:7], vcc
; %bb.41:
	v_add_u32_e32 v1, -2, v11
	ds_read_u16 v14, v1
; %bb.42:
	s_or_b64 exec, exec, s[6:7]
	v_add_u16_e32 v13, v10, v28
	v_pk_add_u16 v3, v21, v27
	v_pk_add_u16 v2, v20, v26
	;; [unrolled: 1-line block ×7, first 2 shown]
	s_waitcnt lgkmcnt(0)
	v_add_u16_e32 v14, v14, v9
	v_mov_b32_e32 v30, v10
	s_branch .LBB405_48
.LBB405_43:
                                        ; implicit-def: $vgpr3
                                        ; implicit-def: $vgpr8
                                        ; implicit-def: $vgpr30
                                        ; implicit-def: $vgpr13
                                        ; implicit-def: $vgpr14
	s_branch .LBB405_49
.LBB405_44:
                                        ; implicit-def: $vgpr3
                                        ; implicit-def: $vgpr8
                                        ; implicit-def: $vgpr13
                                        ; implicit-def: $vgpr14
	v_mov_b32_e32 v30, v10
	s_cbranch_execz .LBB405_48
; %bb.45:
	v_mul_u32_u24_e32 v14, 17, v0
	v_cmp_ne_u32_e32 vcc, 0, v0
	ds_write_b16 v11, v4
	s_waitcnt lgkmcnt(0)
	; wave barrier
	s_and_saveexec_b64 s[6:7], vcc
	s_cbranch_execz .LBB405_47
; %bb.46:
	v_add_u32_e32 v1, -2, v11
	s_waitcnt vmcnt(0)
	ds_read_u16 v29, v1
.LBB405_47:
	s_or_b64 exec, exec, s[6:7]
	s_mulk_i32 s2, 0xfbc0
	s_add_i32 s6, s2, s14
	v_add_u32_e32 v1, 13, v14
	v_add_u32_e32 v2, 14, v14
	v_cmp_gt_u32_e32 vcc, s6, v1
	v_cndmask_b32_e32 v1, 0, v27, vcc
	v_lshrrev_b32_e32 v3, 16, v27
	v_cmp_gt_u32_e32 vcc, s6, v2
	v_cndmask_b32_e32 v2, 0, v3, vcc
	s_mov_b32 s7, 0x5040100
	v_perm_b32 v1, v2, v1, s7
	v_pk_add_u16 v3, v1, v21
	v_add_u32_e32 v1, 11, v14
	v_add_u32_e32 v2, 12, v14
	v_cmp_gt_u32_e32 vcc, s6, v2
	v_cmp_gt_u32_e64 s[2:3], s6, v1
	v_mov_b32_e32 v5, 0
	v_cndmask_b32_e64 v1, 0, v26, s[2:3]
	v_cndmask_b32_sdwa v2, v5, v26, vcc dst_sel:DWORD dst_unused:UNUSED_PAD src0_sel:DWORD src1_sel:WORD_1
	v_perm_b32 v1, v2, v1, s7
	v_pk_add_u16 v2, v1, v20
	v_add_u32_e32 v1, 9, v14
	v_add_u32_e32 v6, 10, v14
	v_cmp_gt_u32_e32 vcc, s6, v6
	v_cmp_gt_u32_e64 s[2:3], s6, v1
	v_cndmask_b32_e64 v1, 0, v25, s[2:3]
	v_cndmask_b32_sdwa v6, v5, v25, vcc dst_sel:DWORD dst_unused:UNUSED_PAD src0_sel:DWORD src1_sel:WORD_1
	v_perm_b32 v1, v6, v1, s7
	v_add_u32_e32 v6, 7, v14
	v_add_u32_e32 v7, 8, v14
	v_cmp_gt_u32_e32 vcc, s6, v7
	v_cmp_gt_u32_e64 s[2:3], s6, v6
	v_cndmask_b32_e64 v6, 0, v24, s[2:3]
	v_cndmask_b32_sdwa v7, v5, v24, vcc dst_sel:DWORD dst_unused:UNUSED_PAD src0_sel:DWORD src1_sel:WORD_1
	v_perm_b32 v6, v7, v6, s7
	;; [unrolled: 7-line block ×3, first 2 shown]
	v_pk_add_u16 v8, v6, v18
	v_add_u32_e32 v6, 4, v14
	v_cmp_gt_u32_e32 vcc, s6, v6
	v_add_u32_e32 v6, 3, v14
	v_cmp_gt_u32_e64 s[2:3], s6, v6
	v_cndmask_b32_e64 v6, 0, v22, s[2:3]
	v_cndmask_b32_sdwa v13, v5, v22, vcc dst_sel:DWORD dst_unused:UNUSED_PAD src0_sel:DWORD src1_sel:WORD_1
	v_perm_b32 v6, v13, v6, s7
	v_add_u32_e32 v13, 2, v14
	v_cmp_gt_u32_e32 vcc, s6, v13
	v_add_u32_e32 v13, 1, v14
	v_cmp_gt_u32_e64 s[2:3], s6, v13
	v_cndmask_b32_e64 v13, 0, v9, s[2:3]
	v_cndmask_b32_sdwa v5, v5, v9, vcc dst_sel:DWORD dst_unused:UNUSED_PAD src0_sel:DWORD src1_sel:WORD_1
	v_perm_b32 v5, v5, v13, s7
	v_add_u32_e32 v13, 16, v14
	v_cmp_gt_u32_e32 vcc, s6, v13
	v_add_u32_e32 v13, 15, v14
	v_cndmask_b32_e32 v30, 0, v10, vcc
	v_cmp_gt_u32_e32 vcc, s6, v13
	v_cndmask_b32_e32 v13, 0, v28, vcc
	v_cmp_gt_u32_e32 vcc, s6, v14
	s_waitcnt vmcnt(0) lgkmcnt(0)
	v_cndmask_b32_e32 v14, 0, v29, vcc
	v_pk_add_u16 v1, v1, v19
	v_pk_add_u16 v7, v7, v17
	;; [unrolled: 1-line block ×4, first 2 shown]
	v_add_u16_e32 v13, v13, v10
	v_add_u16_e32 v14, v14, v9
.LBB405_48:
	s_cbranch_execnz .LBB405_58
.LBB405_49:
	s_cmp_eq_u64 s[4:5], 1
	v_cmp_ne_u32_e32 vcc, 0, v0
	s_cbranch_scc1 .LBB405_53
; %bb.50:
	v_mov_b32_e32 v14, v9
	ds_write_b16 v11, v4
	s_waitcnt lgkmcnt(0)
	; wave barrier
	s_and_saveexec_b64 s[2:3], vcc
	s_cbranch_execz .LBB405_52
; %bb.51:
	v_add_u32_e32 v1, -2, v11
	ds_read_u16 v1, v1
	s_waitcnt lgkmcnt(0)
	v_add_u16_e32 v14, v1, v9
.LBB405_52:
	s_or_b64 exec, exec, s[2:3]
	v_add_u16_e32 v13, v10, v28
	v_pk_add_u16 v3, v21, v27
	v_pk_add_u16 v2, v20, v26
	;; [unrolled: 1-line block ×7, first 2 shown]
	s_cbranch_execz .LBB405_54
	s_branch .LBB405_57
.LBB405_53:
                                        ; implicit-def: $vgpr3
                                        ; implicit-def: $vgpr8
                                        ; implicit-def: $vgpr13
                                        ; implicit-def: $vgpr14
.LBB405_54:
	v_mad_u32_u24 v1, v0, 17, 16
	v_cmp_gt_u32_e64 s[2:3], s14, v1
	v_mad_u32_u24 v1, v0, 17, 15
	v_cmp_gt_u32_e32 vcc, s14, v1
	v_mad_u32_u24 v2, v0, 17, 13
	v_mad_u32_u24 v5, v0, 17, 14
	v_cndmask_b32_e32 v1, 0, v28, vcc
	v_cmp_gt_u32_e32 vcc, s14, v5
	v_cmp_gt_u32_e64 s[4:5], s14, v2
	v_mov_b32_e32 v8, 0
	v_cndmask_b32_e64 v2, 0, v27, s[4:5]
	v_cndmask_b32_sdwa v5, v8, v27, vcc dst_sel:DWORD dst_unused:UNUSED_PAD src0_sel:DWORD src1_sel:WORD_1
	s_mov_b32 s6, 0x5040100
	v_perm_b32 v2, v5, v2, s6
	v_mad_u32_u24 v5, v0, 17, 11
	v_mad_u32_u24 v6, v0, 17, 12
	v_cmp_gt_u32_e32 vcc, s14, v6
	v_cmp_gt_u32_e64 s[4:5], s14, v5
	v_cndmask_b32_e64 v5, 0, v26, s[4:5]
	v_cndmask_b32_sdwa v6, v8, v26, vcc dst_sel:DWORD dst_unused:UNUSED_PAD src0_sel:DWORD src1_sel:WORD_1
	v_perm_b32 v5, v6, v5, s6
	v_mad_u32_u24 v6, v0, 17, 9
	v_mad_u32_u24 v7, v0, 17, 10
	v_cmp_gt_u32_e32 vcc, s14, v7
	v_cmp_gt_u32_e64 s[4:5], s14, v6
	v_cndmask_b32_e64 v6, 0, v25, s[4:5]
	v_cndmask_b32_sdwa v7, v8, v25, vcc dst_sel:DWORD dst_unused:UNUSED_PAD src0_sel:DWORD src1_sel:WORD_1
	;; [unrolled: 7-line block ×5, first 2 shown]
	v_perm_b32 v22, v22, v13, s6
	v_mad_u32_u24 v13, v0, 17, 1
	v_mad_u32_u24 v23, v0, 17, 2
	v_mul_u32_u24_e32 v3, 17, v0
	v_cmp_gt_u32_e32 vcc, s14, v23
	v_cmp_gt_u32_e64 s[4:5], s14, v13
	v_cndmask_b32_e64 v13, 0, v9, s[4:5]
	v_cndmask_b32_sdwa v8, v8, v9, vcc dst_sel:DWORD dst_unused:UNUSED_PAD src0_sel:DWORD src1_sel:WORD_1
	v_cmp_ne_u32_e32 vcc, 0, v0
	v_cmp_gt_u32_e64 s[4:5], s14, v3
	v_perm_b32 v23, v8, v13, s6
	s_and_b64 s[6:7], vcc, s[4:5]
	ds_write_b16 v11, v4
	s_waitcnt lgkmcnt(0)
	; wave barrier
	s_and_saveexec_b64 s[4:5], s[6:7]
	s_cbranch_execz .LBB405_56
; %bb.55:
	v_add_u32_e32 v3, -2, v11
	ds_read_u16 v3, v3
	s_waitcnt lgkmcnt(0)
	v_add_u16_e32 v9, v3, v9
.LBB405_56:
	s_or_b64 exec, exec, s[4:5]
	v_cndmask_b32_e64 v24, 0, v10, s[2:3]
	v_add_u16_e32 v13, v1, v10
	v_pk_add_u16 v3, v2, v21
	v_pk_add_u16 v2, v5, v20
	;; [unrolled: 1-line block ×7, first 2 shown]
	v_mov_b32_e32 v10, v24
	v_mov_b32_e32 v14, v9
.LBB405_57:
	v_mov_b32_e32 v30, v10
.LBB405_58:
	s_add_u32 s4, s12, s10
	s_addc_u32 s5, s13, s11
	v_add_u16_e32 v16, v30, v4
	s_and_b64 vcc, exec, s[0:1]
	v_lshlrev_b32_e32 v15, 5, v0
	; wave barrier
	s_cbranch_vccz .LBB405_92
; %bb.59:
	s_mov_b32 s2, 0x5040100
	v_perm_b32 v4, v16, v13, s2
	ds_write_b16 v12, v14
	ds_write_b128 v12, v[5:8] offset:2
	ds_write_b128 v12, v[1:4] offset:18
	v_sub_u32_e32 v4, v12, v15
	s_waitcnt lgkmcnt(0)
	; wave barrier
	ds_read_u16 v31, v4 offset:128
	ds_read_u16 v30, v4 offset:256
	s_waitcnt vmcnt(0)
	ds_read_u16 v29, v4 offset:384
	ds_read_u16 v28, v4 offset:512
	ds_read_u16 v27, v4 offset:640
	ds_read_u16 v26, v4 offset:768
	ds_read_u16 v25, v4 offset:896
	ds_read_u16 v24, v4 offset:1024
	ds_read_u16 v23, v4 offset:1152
	ds_read_u16 v22, v4 offset:1280
	ds_read_u16 v21, v4 offset:1408
	ds_read_u16 v20, v4 offset:1536
	ds_read_u16 v19, v4 offset:1664
	ds_read_u16 v18, v4 offset:1792
	ds_read_u16 v17, v4 offset:1920
	ds_read_u16 v4, v4 offset:2048
	s_mov_b32 s21, 0
	s_add_i32 s15, s15, s14
	s_lshl_b64 s[0:1], s[20:21], 1
	s_add_u32 s0, s4, s0
	s_addc_u32 s1, s5, s1
	v_mov_b32_e32 v10, s1
	v_add_co_u32_e32 v9, vcc, s0, v11
	v_addc_co_u32_e32 v10, vcc, 0, v10, vcc
	v_cmp_gt_u32_e32 vcc, s15, v0
	s_and_saveexec_b64 s[0:1], vcc
	s_cbranch_execz .LBB405_61
; %bb.60:
	v_sub_u32_e32 v32, 0, v15
	v_add_u32_e32 v32, v12, v32
	ds_read_u16 v32, v32
	s_waitcnt lgkmcnt(0)
	global_store_short v[9:10], v32, off
.LBB405_61:
	s_or_b64 exec, exec, s[0:1]
	v_or_b32_e32 v32, 64, v0
	v_cmp_gt_u32_e32 vcc, s15, v32
	s_and_saveexec_b64 s[0:1], vcc
	s_cbranch_execz .LBB405_63
; %bb.62:
	s_waitcnt lgkmcnt(14)
	global_store_short v[9:10], v31, off offset:128
.LBB405_63:
	s_or_b64 exec, exec, s[0:1]
	s_waitcnt lgkmcnt(14)
	v_or_b32_e32 v31, 0x80, v0
	v_cmp_gt_u32_e32 vcc, s15, v31
	s_and_saveexec_b64 s[0:1], vcc
	s_cbranch_execz .LBB405_65
; %bb.64:
	global_store_short v[9:10], v30, off offset:256
.LBB405_65:
	s_or_b64 exec, exec, s[0:1]
	v_or_b32_e32 v30, 0xc0, v0
	v_cmp_gt_u32_e32 vcc, s15, v30
	s_and_saveexec_b64 s[0:1], vcc
	s_cbranch_execz .LBB405_67
; %bb.66:
	s_waitcnt lgkmcnt(13)
	global_store_short v[9:10], v29, off offset:384
.LBB405_67:
	s_or_b64 exec, exec, s[0:1]
	s_waitcnt lgkmcnt(13)
	v_or_b32_e32 v29, 0x100, v0
	v_cmp_gt_u32_e32 vcc, s15, v29
	s_and_saveexec_b64 s[0:1], vcc
	s_cbranch_execz .LBB405_69
; %bb.68:
	s_waitcnt lgkmcnt(12)
	global_store_short v[9:10], v28, off offset:512
.LBB405_69:
	s_or_b64 exec, exec, s[0:1]
	s_waitcnt lgkmcnt(12)
	v_or_b32_e32 v28, 0x140, v0
	v_cmp_gt_u32_e32 vcc, s15, v28
	s_and_saveexec_b64 s[0:1], vcc
	s_cbranch_execz .LBB405_71
; %bb.70:
	s_waitcnt lgkmcnt(11)
	global_store_short v[9:10], v27, off offset:640
.LBB405_71:
	s_or_b64 exec, exec, s[0:1]
	s_waitcnt lgkmcnt(11)
	v_or_b32_e32 v27, 0x180, v0
	v_cmp_gt_u32_e32 vcc, s15, v27
	s_and_saveexec_b64 s[0:1], vcc
	s_cbranch_execz .LBB405_73
; %bb.72:
	s_waitcnt lgkmcnt(10)
	global_store_short v[9:10], v26, off offset:768
.LBB405_73:
	s_or_b64 exec, exec, s[0:1]
	s_waitcnt lgkmcnt(10)
	v_or_b32_e32 v26, 0x1c0, v0
	v_cmp_gt_u32_e32 vcc, s15, v26
	s_and_saveexec_b64 s[0:1], vcc
	s_cbranch_execz .LBB405_75
; %bb.74:
	s_waitcnt lgkmcnt(9)
	global_store_short v[9:10], v25, off offset:896
.LBB405_75:
	s_or_b64 exec, exec, s[0:1]
	s_waitcnt lgkmcnt(9)
	v_or_b32_e32 v25, 0x200, v0
	v_cmp_gt_u32_e32 vcc, s15, v25
	s_and_saveexec_b64 s[0:1], vcc
	s_cbranch_execz .LBB405_77
; %bb.76:
	s_waitcnt lgkmcnt(8)
	global_store_short v[9:10], v24, off offset:1024
.LBB405_77:
	s_or_b64 exec, exec, s[0:1]
	s_waitcnt lgkmcnt(8)
	v_or_b32_e32 v24, 0x240, v0
	v_cmp_gt_u32_e32 vcc, s15, v24
	s_and_saveexec_b64 s[0:1], vcc
	s_cbranch_execz .LBB405_79
; %bb.78:
	s_waitcnt lgkmcnt(7)
	global_store_short v[9:10], v23, off offset:1152
.LBB405_79:
	s_or_b64 exec, exec, s[0:1]
	s_waitcnt lgkmcnt(7)
	v_or_b32_e32 v23, 0x280, v0
	v_cmp_gt_u32_e32 vcc, s15, v23
	s_and_saveexec_b64 s[0:1], vcc
	s_cbranch_execz .LBB405_81
; %bb.80:
	s_waitcnt lgkmcnt(6)
	global_store_short v[9:10], v22, off offset:1280
.LBB405_81:
	s_or_b64 exec, exec, s[0:1]
	s_waitcnt lgkmcnt(6)
	v_or_b32_e32 v22, 0x2c0, v0
	v_cmp_gt_u32_e32 vcc, s15, v22
	s_and_saveexec_b64 s[0:1], vcc
	s_cbranch_execz .LBB405_83
; %bb.82:
	s_waitcnt lgkmcnt(5)
	global_store_short v[9:10], v21, off offset:1408
.LBB405_83:
	s_or_b64 exec, exec, s[0:1]
	s_waitcnt lgkmcnt(5)
	v_or_b32_e32 v21, 0x300, v0
	v_cmp_gt_u32_e32 vcc, s15, v21
	s_and_saveexec_b64 s[0:1], vcc
	s_cbranch_execz .LBB405_85
; %bb.84:
	s_waitcnt lgkmcnt(4)
	global_store_short v[9:10], v20, off offset:1536
.LBB405_85:
	s_or_b64 exec, exec, s[0:1]
	s_waitcnt lgkmcnt(4)
	v_or_b32_e32 v20, 0x340, v0
	v_cmp_gt_u32_e32 vcc, s15, v20
	s_and_saveexec_b64 s[0:1], vcc
	s_cbranch_execz .LBB405_87
; %bb.86:
	s_waitcnt lgkmcnt(3)
	global_store_short v[9:10], v19, off offset:1664
.LBB405_87:
	s_or_b64 exec, exec, s[0:1]
	s_waitcnt lgkmcnt(3)
	v_or_b32_e32 v19, 0x380, v0
	v_cmp_gt_u32_e32 vcc, s15, v19
	s_and_saveexec_b64 s[0:1], vcc
	s_cbranch_execz .LBB405_89
; %bb.88:
	s_waitcnt lgkmcnt(2)
	global_store_short v[9:10], v18, off offset:1792
.LBB405_89:
	s_or_b64 exec, exec, s[0:1]
	s_waitcnt lgkmcnt(2)
	v_or_b32_e32 v18, 0x3c0, v0
	v_cmp_gt_u32_e32 vcc, s15, v18
	s_and_saveexec_b64 s[0:1], vcc
	s_cbranch_execz .LBB405_91
; %bb.90:
	s_waitcnt lgkmcnt(1)
	global_store_short v[9:10], v17, off offset:1920
.LBB405_91:
	s_or_b64 exec, exec, s[0:1]
	v_or_b32_e32 v0, 0x400, v0
	v_cmp_gt_u32_e64 s[0:1], s15, v0
	s_branch .LBB405_94
.LBB405_92:
	s_mov_b64 s[0:1], 0
                                        ; implicit-def: $vgpr4
                                        ; implicit-def: $vgpr9_vgpr10
	s_cbranch_execz .LBB405_94
; %bb.93:
	s_mov_b32 s21, 0
	s_lshl_b64 s[2:3], s[20:21], 1
	s_add_u32 s2, s4, s2
	s_mov_b32 s4, 0x5040100
	s_waitcnt lgkmcnt(0)
	v_perm_b32 v4, v16, v13, s4
	v_sub_u32_e32 v0, v12, v15
	ds_write_b16 v12, v14
	ds_write_b128 v12, v[5:8] offset:2
	ds_write_b128 v12, v[1:4] offset:18
	s_waitcnt lgkmcnt(0)
	; wave barrier
	ds_read_u16 v1, v0
	ds_read_u16 v2, v0 offset:128
	ds_read_u16 v3, v0 offset:256
	;; [unrolled: 1-line block ×16, first 2 shown]
	s_addc_u32 s3, s5, s3
	v_mov_b32_e32 v0, s3
	v_add_co_u32_e32 v9, vcc, s2, v11
	v_addc_co_u32_e32 v10, vcc, 0, v0, vcc
	s_or_b64 s[0:1], s[0:1], exec
	s_waitcnt lgkmcnt(14)
	global_store_short v11, v1, s[2:3]
	global_store_short v11, v2, s[2:3] offset:128
	global_store_short v11, v3, s[2:3] offset:256
	s_waitcnt lgkmcnt(13)
	global_store_short v11, v5, s[2:3] offset:384
	s_waitcnt lgkmcnt(12)
	;; [unrolled: 2-line block ×13, first 2 shown]
	global_store_short v11, v20, s[2:3] offset:1920
.LBB405_94:
	s_and_saveexec_b64 s[2:3], s[0:1]
	s_cbranch_execnz .LBB405_96
; %bb.95:
	s_endpgm
.LBB405_96:
	s_waitcnt lgkmcnt(0)
	global_store_short v[9:10], v4, off offset:2048
	s_endpgm
	.section	.rodata,"a",@progbits
	.p2align	6, 0x0
	.amdhsa_kernel _ZN7rocprim17ROCPRIM_400000_NS6detail17trampoline_kernelINS0_14default_configENS1_35adjacent_difference_config_selectorILb1EsEEZNS1_24adjacent_difference_implIS3_Lb1ELb0EPsS7_N6thrust23THRUST_200600_302600_NS4plusIsEEEE10hipError_tPvRmT2_T3_mT4_P12ihipStream_tbEUlT_E_NS1_11comp_targetILNS1_3genE2ELNS1_11target_archE906ELNS1_3gpuE6ELNS1_3repE0EEENS1_30default_config_static_selectorELNS0_4arch9wavefront6targetE1EEEvT1_
		.amdhsa_group_segment_fixed_size 2176
		.amdhsa_private_segment_fixed_size 0
		.amdhsa_kernarg_size 56
		.amdhsa_user_sgpr_count 6
		.amdhsa_user_sgpr_private_segment_buffer 1
		.amdhsa_user_sgpr_dispatch_ptr 0
		.amdhsa_user_sgpr_queue_ptr 0
		.amdhsa_user_sgpr_kernarg_segment_ptr 1
		.amdhsa_user_sgpr_dispatch_id 0
		.amdhsa_user_sgpr_flat_scratch_init 0
		.amdhsa_user_sgpr_private_segment_size 0
		.amdhsa_uses_dynamic_stack 0
		.amdhsa_system_sgpr_private_segment_wavefront_offset 0
		.amdhsa_system_sgpr_workgroup_id_x 1
		.amdhsa_system_sgpr_workgroup_id_y 0
		.amdhsa_system_sgpr_workgroup_id_z 0
		.amdhsa_system_sgpr_workgroup_info 0
		.amdhsa_system_vgpr_workitem_id 0
		.amdhsa_next_free_vgpr 33
		.amdhsa_next_free_sgpr 61
		.amdhsa_reserve_vcc 1
		.amdhsa_reserve_flat_scratch 0
		.amdhsa_float_round_mode_32 0
		.amdhsa_float_round_mode_16_64 0
		.amdhsa_float_denorm_mode_32 3
		.amdhsa_float_denorm_mode_16_64 3
		.amdhsa_dx10_clamp 1
		.amdhsa_ieee_mode 1
		.amdhsa_fp16_overflow 0
		.amdhsa_exception_fp_ieee_invalid_op 0
		.amdhsa_exception_fp_denorm_src 0
		.amdhsa_exception_fp_ieee_div_zero 0
		.amdhsa_exception_fp_ieee_overflow 0
		.amdhsa_exception_fp_ieee_underflow 0
		.amdhsa_exception_fp_ieee_inexact 0
		.amdhsa_exception_int_div_zero 0
	.end_amdhsa_kernel
	.section	.text._ZN7rocprim17ROCPRIM_400000_NS6detail17trampoline_kernelINS0_14default_configENS1_35adjacent_difference_config_selectorILb1EsEEZNS1_24adjacent_difference_implIS3_Lb1ELb0EPsS7_N6thrust23THRUST_200600_302600_NS4plusIsEEEE10hipError_tPvRmT2_T3_mT4_P12ihipStream_tbEUlT_E_NS1_11comp_targetILNS1_3genE2ELNS1_11target_archE906ELNS1_3gpuE6ELNS1_3repE0EEENS1_30default_config_static_selectorELNS0_4arch9wavefront6targetE1EEEvT1_,"axG",@progbits,_ZN7rocprim17ROCPRIM_400000_NS6detail17trampoline_kernelINS0_14default_configENS1_35adjacent_difference_config_selectorILb1EsEEZNS1_24adjacent_difference_implIS3_Lb1ELb0EPsS7_N6thrust23THRUST_200600_302600_NS4plusIsEEEE10hipError_tPvRmT2_T3_mT4_P12ihipStream_tbEUlT_E_NS1_11comp_targetILNS1_3genE2ELNS1_11target_archE906ELNS1_3gpuE6ELNS1_3repE0EEENS1_30default_config_static_selectorELNS0_4arch9wavefront6targetE1EEEvT1_,comdat
.Lfunc_end405:
	.size	_ZN7rocprim17ROCPRIM_400000_NS6detail17trampoline_kernelINS0_14default_configENS1_35adjacent_difference_config_selectorILb1EsEEZNS1_24adjacent_difference_implIS3_Lb1ELb0EPsS7_N6thrust23THRUST_200600_302600_NS4plusIsEEEE10hipError_tPvRmT2_T3_mT4_P12ihipStream_tbEUlT_E_NS1_11comp_targetILNS1_3genE2ELNS1_11target_archE906ELNS1_3gpuE6ELNS1_3repE0EEENS1_30default_config_static_selectorELNS0_4arch9wavefront6targetE1EEEvT1_, .Lfunc_end405-_ZN7rocprim17ROCPRIM_400000_NS6detail17trampoline_kernelINS0_14default_configENS1_35adjacent_difference_config_selectorILb1EsEEZNS1_24adjacent_difference_implIS3_Lb1ELb0EPsS7_N6thrust23THRUST_200600_302600_NS4plusIsEEEE10hipError_tPvRmT2_T3_mT4_P12ihipStream_tbEUlT_E_NS1_11comp_targetILNS1_3genE2ELNS1_11target_archE906ELNS1_3gpuE6ELNS1_3repE0EEENS1_30default_config_static_selectorELNS0_4arch9wavefront6targetE1EEEvT1_
                                        ; -- End function
	.set _ZN7rocprim17ROCPRIM_400000_NS6detail17trampoline_kernelINS0_14default_configENS1_35adjacent_difference_config_selectorILb1EsEEZNS1_24adjacent_difference_implIS3_Lb1ELb0EPsS7_N6thrust23THRUST_200600_302600_NS4plusIsEEEE10hipError_tPvRmT2_T3_mT4_P12ihipStream_tbEUlT_E_NS1_11comp_targetILNS1_3genE2ELNS1_11target_archE906ELNS1_3gpuE6ELNS1_3repE0EEENS1_30default_config_static_selectorELNS0_4arch9wavefront6targetE1EEEvT1_.num_vgpr, 33
	.set _ZN7rocprim17ROCPRIM_400000_NS6detail17trampoline_kernelINS0_14default_configENS1_35adjacent_difference_config_selectorILb1EsEEZNS1_24adjacent_difference_implIS3_Lb1ELb0EPsS7_N6thrust23THRUST_200600_302600_NS4plusIsEEEE10hipError_tPvRmT2_T3_mT4_P12ihipStream_tbEUlT_E_NS1_11comp_targetILNS1_3genE2ELNS1_11target_archE906ELNS1_3gpuE6ELNS1_3repE0EEENS1_30default_config_static_selectorELNS0_4arch9wavefront6targetE1EEEvT1_.num_agpr, 0
	.set _ZN7rocprim17ROCPRIM_400000_NS6detail17trampoline_kernelINS0_14default_configENS1_35adjacent_difference_config_selectorILb1EsEEZNS1_24adjacent_difference_implIS3_Lb1ELb0EPsS7_N6thrust23THRUST_200600_302600_NS4plusIsEEEE10hipError_tPvRmT2_T3_mT4_P12ihipStream_tbEUlT_E_NS1_11comp_targetILNS1_3genE2ELNS1_11target_archE906ELNS1_3gpuE6ELNS1_3repE0EEENS1_30default_config_static_selectorELNS0_4arch9wavefront6targetE1EEEvT1_.numbered_sgpr, 29
	.set _ZN7rocprim17ROCPRIM_400000_NS6detail17trampoline_kernelINS0_14default_configENS1_35adjacent_difference_config_selectorILb1EsEEZNS1_24adjacent_difference_implIS3_Lb1ELb0EPsS7_N6thrust23THRUST_200600_302600_NS4plusIsEEEE10hipError_tPvRmT2_T3_mT4_P12ihipStream_tbEUlT_E_NS1_11comp_targetILNS1_3genE2ELNS1_11target_archE906ELNS1_3gpuE6ELNS1_3repE0EEENS1_30default_config_static_selectorELNS0_4arch9wavefront6targetE1EEEvT1_.num_named_barrier, 0
	.set _ZN7rocprim17ROCPRIM_400000_NS6detail17trampoline_kernelINS0_14default_configENS1_35adjacent_difference_config_selectorILb1EsEEZNS1_24adjacent_difference_implIS3_Lb1ELb0EPsS7_N6thrust23THRUST_200600_302600_NS4plusIsEEEE10hipError_tPvRmT2_T3_mT4_P12ihipStream_tbEUlT_E_NS1_11comp_targetILNS1_3genE2ELNS1_11target_archE906ELNS1_3gpuE6ELNS1_3repE0EEENS1_30default_config_static_selectorELNS0_4arch9wavefront6targetE1EEEvT1_.private_seg_size, 0
	.set _ZN7rocprim17ROCPRIM_400000_NS6detail17trampoline_kernelINS0_14default_configENS1_35adjacent_difference_config_selectorILb1EsEEZNS1_24adjacent_difference_implIS3_Lb1ELb0EPsS7_N6thrust23THRUST_200600_302600_NS4plusIsEEEE10hipError_tPvRmT2_T3_mT4_P12ihipStream_tbEUlT_E_NS1_11comp_targetILNS1_3genE2ELNS1_11target_archE906ELNS1_3gpuE6ELNS1_3repE0EEENS1_30default_config_static_selectorELNS0_4arch9wavefront6targetE1EEEvT1_.uses_vcc, 1
	.set _ZN7rocprim17ROCPRIM_400000_NS6detail17trampoline_kernelINS0_14default_configENS1_35adjacent_difference_config_selectorILb1EsEEZNS1_24adjacent_difference_implIS3_Lb1ELb0EPsS7_N6thrust23THRUST_200600_302600_NS4plusIsEEEE10hipError_tPvRmT2_T3_mT4_P12ihipStream_tbEUlT_E_NS1_11comp_targetILNS1_3genE2ELNS1_11target_archE906ELNS1_3gpuE6ELNS1_3repE0EEENS1_30default_config_static_selectorELNS0_4arch9wavefront6targetE1EEEvT1_.uses_flat_scratch, 0
	.set _ZN7rocprim17ROCPRIM_400000_NS6detail17trampoline_kernelINS0_14default_configENS1_35adjacent_difference_config_selectorILb1EsEEZNS1_24adjacent_difference_implIS3_Lb1ELb0EPsS7_N6thrust23THRUST_200600_302600_NS4plusIsEEEE10hipError_tPvRmT2_T3_mT4_P12ihipStream_tbEUlT_E_NS1_11comp_targetILNS1_3genE2ELNS1_11target_archE906ELNS1_3gpuE6ELNS1_3repE0EEENS1_30default_config_static_selectorELNS0_4arch9wavefront6targetE1EEEvT1_.has_dyn_sized_stack, 0
	.set _ZN7rocprim17ROCPRIM_400000_NS6detail17trampoline_kernelINS0_14default_configENS1_35adjacent_difference_config_selectorILb1EsEEZNS1_24adjacent_difference_implIS3_Lb1ELb0EPsS7_N6thrust23THRUST_200600_302600_NS4plusIsEEEE10hipError_tPvRmT2_T3_mT4_P12ihipStream_tbEUlT_E_NS1_11comp_targetILNS1_3genE2ELNS1_11target_archE906ELNS1_3gpuE6ELNS1_3repE0EEENS1_30default_config_static_selectorELNS0_4arch9wavefront6targetE1EEEvT1_.has_recursion, 0
	.set _ZN7rocprim17ROCPRIM_400000_NS6detail17trampoline_kernelINS0_14default_configENS1_35adjacent_difference_config_selectorILb1EsEEZNS1_24adjacent_difference_implIS3_Lb1ELb0EPsS7_N6thrust23THRUST_200600_302600_NS4plusIsEEEE10hipError_tPvRmT2_T3_mT4_P12ihipStream_tbEUlT_E_NS1_11comp_targetILNS1_3genE2ELNS1_11target_archE906ELNS1_3gpuE6ELNS1_3repE0EEENS1_30default_config_static_selectorELNS0_4arch9wavefront6targetE1EEEvT1_.has_indirect_call, 0
	.section	.AMDGPU.csdata,"",@progbits
; Kernel info:
; codeLenInByte = 4580
; TotalNumSgprs: 33
; NumVgprs: 33
; ScratchSize: 0
; MemoryBound: 0
; FloatMode: 240
; IeeeMode: 1
; LDSByteSize: 2176 bytes/workgroup (compile time only)
; SGPRBlocks: 8
; VGPRBlocks: 8
; NumSGPRsForWavesPerEU: 65
; NumVGPRsForWavesPerEU: 33
; Occupancy: 7
; WaveLimiterHint : 1
; COMPUTE_PGM_RSRC2:SCRATCH_EN: 0
; COMPUTE_PGM_RSRC2:USER_SGPR: 6
; COMPUTE_PGM_RSRC2:TRAP_HANDLER: 0
; COMPUTE_PGM_RSRC2:TGID_X_EN: 1
; COMPUTE_PGM_RSRC2:TGID_Y_EN: 0
; COMPUTE_PGM_RSRC2:TGID_Z_EN: 0
; COMPUTE_PGM_RSRC2:TIDIG_COMP_CNT: 0
	.section	.text._ZN7rocprim17ROCPRIM_400000_NS6detail17trampoline_kernelINS0_14default_configENS1_35adjacent_difference_config_selectorILb1EsEEZNS1_24adjacent_difference_implIS3_Lb1ELb0EPsS7_N6thrust23THRUST_200600_302600_NS4plusIsEEEE10hipError_tPvRmT2_T3_mT4_P12ihipStream_tbEUlT_E_NS1_11comp_targetILNS1_3genE9ELNS1_11target_archE1100ELNS1_3gpuE3ELNS1_3repE0EEENS1_30default_config_static_selectorELNS0_4arch9wavefront6targetE1EEEvT1_,"axG",@progbits,_ZN7rocprim17ROCPRIM_400000_NS6detail17trampoline_kernelINS0_14default_configENS1_35adjacent_difference_config_selectorILb1EsEEZNS1_24adjacent_difference_implIS3_Lb1ELb0EPsS7_N6thrust23THRUST_200600_302600_NS4plusIsEEEE10hipError_tPvRmT2_T3_mT4_P12ihipStream_tbEUlT_E_NS1_11comp_targetILNS1_3genE9ELNS1_11target_archE1100ELNS1_3gpuE3ELNS1_3repE0EEENS1_30default_config_static_selectorELNS0_4arch9wavefront6targetE1EEEvT1_,comdat
	.protected	_ZN7rocprim17ROCPRIM_400000_NS6detail17trampoline_kernelINS0_14default_configENS1_35adjacent_difference_config_selectorILb1EsEEZNS1_24adjacent_difference_implIS3_Lb1ELb0EPsS7_N6thrust23THRUST_200600_302600_NS4plusIsEEEE10hipError_tPvRmT2_T3_mT4_P12ihipStream_tbEUlT_E_NS1_11comp_targetILNS1_3genE9ELNS1_11target_archE1100ELNS1_3gpuE3ELNS1_3repE0EEENS1_30default_config_static_selectorELNS0_4arch9wavefront6targetE1EEEvT1_ ; -- Begin function _ZN7rocprim17ROCPRIM_400000_NS6detail17trampoline_kernelINS0_14default_configENS1_35adjacent_difference_config_selectorILb1EsEEZNS1_24adjacent_difference_implIS3_Lb1ELb0EPsS7_N6thrust23THRUST_200600_302600_NS4plusIsEEEE10hipError_tPvRmT2_T3_mT4_P12ihipStream_tbEUlT_E_NS1_11comp_targetILNS1_3genE9ELNS1_11target_archE1100ELNS1_3gpuE3ELNS1_3repE0EEENS1_30default_config_static_selectorELNS0_4arch9wavefront6targetE1EEEvT1_
	.globl	_ZN7rocprim17ROCPRIM_400000_NS6detail17trampoline_kernelINS0_14default_configENS1_35adjacent_difference_config_selectorILb1EsEEZNS1_24adjacent_difference_implIS3_Lb1ELb0EPsS7_N6thrust23THRUST_200600_302600_NS4plusIsEEEE10hipError_tPvRmT2_T3_mT4_P12ihipStream_tbEUlT_E_NS1_11comp_targetILNS1_3genE9ELNS1_11target_archE1100ELNS1_3gpuE3ELNS1_3repE0EEENS1_30default_config_static_selectorELNS0_4arch9wavefront6targetE1EEEvT1_
	.p2align	8
	.type	_ZN7rocprim17ROCPRIM_400000_NS6detail17trampoline_kernelINS0_14default_configENS1_35adjacent_difference_config_selectorILb1EsEEZNS1_24adjacent_difference_implIS3_Lb1ELb0EPsS7_N6thrust23THRUST_200600_302600_NS4plusIsEEEE10hipError_tPvRmT2_T3_mT4_P12ihipStream_tbEUlT_E_NS1_11comp_targetILNS1_3genE9ELNS1_11target_archE1100ELNS1_3gpuE3ELNS1_3repE0EEENS1_30default_config_static_selectorELNS0_4arch9wavefront6targetE1EEEvT1_,@function
_ZN7rocprim17ROCPRIM_400000_NS6detail17trampoline_kernelINS0_14default_configENS1_35adjacent_difference_config_selectorILb1EsEEZNS1_24adjacent_difference_implIS3_Lb1ELb0EPsS7_N6thrust23THRUST_200600_302600_NS4plusIsEEEE10hipError_tPvRmT2_T3_mT4_P12ihipStream_tbEUlT_E_NS1_11comp_targetILNS1_3genE9ELNS1_11target_archE1100ELNS1_3gpuE3ELNS1_3repE0EEENS1_30default_config_static_selectorELNS0_4arch9wavefront6targetE1EEEvT1_: ; @_ZN7rocprim17ROCPRIM_400000_NS6detail17trampoline_kernelINS0_14default_configENS1_35adjacent_difference_config_selectorILb1EsEEZNS1_24adjacent_difference_implIS3_Lb1ELb0EPsS7_N6thrust23THRUST_200600_302600_NS4plusIsEEEE10hipError_tPvRmT2_T3_mT4_P12ihipStream_tbEUlT_E_NS1_11comp_targetILNS1_3genE9ELNS1_11target_archE1100ELNS1_3gpuE3ELNS1_3repE0EEENS1_30default_config_static_selectorELNS0_4arch9wavefront6targetE1EEEvT1_
; %bb.0:
	.section	.rodata,"a",@progbits
	.p2align	6, 0x0
	.amdhsa_kernel _ZN7rocprim17ROCPRIM_400000_NS6detail17trampoline_kernelINS0_14default_configENS1_35adjacent_difference_config_selectorILb1EsEEZNS1_24adjacent_difference_implIS3_Lb1ELb0EPsS7_N6thrust23THRUST_200600_302600_NS4plusIsEEEE10hipError_tPvRmT2_T3_mT4_P12ihipStream_tbEUlT_E_NS1_11comp_targetILNS1_3genE9ELNS1_11target_archE1100ELNS1_3gpuE3ELNS1_3repE0EEENS1_30default_config_static_selectorELNS0_4arch9wavefront6targetE1EEEvT1_
		.amdhsa_group_segment_fixed_size 0
		.amdhsa_private_segment_fixed_size 0
		.amdhsa_kernarg_size 56
		.amdhsa_user_sgpr_count 6
		.amdhsa_user_sgpr_private_segment_buffer 1
		.amdhsa_user_sgpr_dispatch_ptr 0
		.amdhsa_user_sgpr_queue_ptr 0
		.amdhsa_user_sgpr_kernarg_segment_ptr 1
		.amdhsa_user_sgpr_dispatch_id 0
		.amdhsa_user_sgpr_flat_scratch_init 0
		.amdhsa_user_sgpr_private_segment_size 0
		.amdhsa_uses_dynamic_stack 0
		.amdhsa_system_sgpr_private_segment_wavefront_offset 0
		.amdhsa_system_sgpr_workgroup_id_x 1
		.amdhsa_system_sgpr_workgroup_id_y 0
		.amdhsa_system_sgpr_workgroup_id_z 0
		.amdhsa_system_sgpr_workgroup_info 0
		.amdhsa_system_vgpr_workitem_id 0
		.amdhsa_next_free_vgpr 1
		.amdhsa_next_free_sgpr 0
		.amdhsa_reserve_vcc 0
		.amdhsa_reserve_flat_scratch 0
		.amdhsa_float_round_mode_32 0
		.amdhsa_float_round_mode_16_64 0
		.amdhsa_float_denorm_mode_32 3
		.amdhsa_float_denorm_mode_16_64 3
		.amdhsa_dx10_clamp 1
		.amdhsa_ieee_mode 1
		.amdhsa_fp16_overflow 0
		.amdhsa_exception_fp_ieee_invalid_op 0
		.amdhsa_exception_fp_denorm_src 0
		.amdhsa_exception_fp_ieee_div_zero 0
		.amdhsa_exception_fp_ieee_overflow 0
		.amdhsa_exception_fp_ieee_underflow 0
		.amdhsa_exception_fp_ieee_inexact 0
		.amdhsa_exception_int_div_zero 0
	.end_amdhsa_kernel
	.section	.text._ZN7rocprim17ROCPRIM_400000_NS6detail17trampoline_kernelINS0_14default_configENS1_35adjacent_difference_config_selectorILb1EsEEZNS1_24adjacent_difference_implIS3_Lb1ELb0EPsS7_N6thrust23THRUST_200600_302600_NS4plusIsEEEE10hipError_tPvRmT2_T3_mT4_P12ihipStream_tbEUlT_E_NS1_11comp_targetILNS1_3genE9ELNS1_11target_archE1100ELNS1_3gpuE3ELNS1_3repE0EEENS1_30default_config_static_selectorELNS0_4arch9wavefront6targetE1EEEvT1_,"axG",@progbits,_ZN7rocprim17ROCPRIM_400000_NS6detail17trampoline_kernelINS0_14default_configENS1_35adjacent_difference_config_selectorILb1EsEEZNS1_24adjacent_difference_implIS3_Lb1ELb0EPsS7_N6thrust23THRUST_200600_302600_NS4plusIsEEEE10hipError_tPvRmT2_T3_mT4_P12ihipStream_tbEUlT_E_NS1_11comp_targetILNS1_3genE9ELNS1_11target_archE1100ELNS1_3gpuE3ELNS1_3repE0EEENS1_30default_config_static_selectorELNS0_4arch9wavefront6targetE1EEEvT1_,comdat
.Lfunc_end406:
	.size	_ZN7rocprim17ROCPRIM_400000_NS6detail17trampoline_kernelINS0_14default_configENS1_35adjacent_difference_config_selectorILb1EsEEZNS1_24adjacent_difference_implIS3_Lb1ELb0EPsS7_N6thrust23THRUST_200600_302600_NS4plusIsEEEE10hipError_tPvRmT2_T3_mT4_P12ihipStream_tbEUlT_E_NS1_11comp_targetILNS1_3genE9ELNS1_11target_archE1100ELNS1_3gpuE3ELNS1_3repE0EEENS1_30default_config_static_selectorELNS0_4arch9wavefront6targetE1EEEvT1_, .Lfunc_end406-_ZN7rocprim17ROCPRIM_400000_NS6detail17trampoline_kernelINS0_14default_configENS1_35adjacent_difference_config_selectorILb1EsEEZNS1_24adjacent_difference_implIS3_Lb1ELb0EPsS7_N6thrust23THRUST_200600_302600_NS4plusIsEEEE10hipError_tPvRmT2_T3_mT4_P12ihipStream_tbEUlT_E_NS1_11comp_targetILNS1_3genE9ELNS1_11target_archE1100ELNS1_3gpuE3ELNS1_3repE0EEENS1_30default_config_static_selectorELNS0_4arch9wavefront6targetE1EEEvT1_
                                        ; -- End function
	.set _ZN7rocprim17ROCPRIM_400000_NS6detail17trampoline_kernelINS0_14default_configENS1_35adjacent_difference_config_selectorILb1EsEEZNS1_24adjacent_difference_implIS3_Lb1ELb0EPsS7_N6thrust23THRUST_200600_302600_NS4plusIsEEEE10hipError_tPvRmT2_T3_mT4_P12ihipStream_tbEUlT_E_NS1_11comp_targetILNS1_3genE9ELNS1_11target_archE1100ELNS1_3gpuE3ELNS1_3repE0EEENS1_30default_config_static_selectorELNS0_4arch9wavefront6targetE1EEEvT1_.num_vgpr, 0
	.set _ZN7rocprim17ROCPRIM_400000_NS6detail17trampoline_kernelINS0_14default_configENS1_35adjacent_difference_config_selectorILb1EsEEZNS1_24adjacent_difference_implIS3_Lb1ELb0EPsS7_N6thrust23THRUST_200600_302600_NS4plusIsEEEE10hipError_tPvRmT2_T3_mT4_P12ihipStream_tbEUlT_E_NS1_11comp_targetILNS1_3genE9ELNS1_11target_archE1100ELNS1_3gpuE3ELNS1_3repE0EEENS1_30default_config_static_selectorELNS0_4arch9wavefront6targetE1EEEvT1_.num_agpr, 0
	.set _ZN7rocprim17ROCPRIM_400000_NS6detail17trampoline_kernelINS0_14default_configENS1_35adjacent_difference_config_selectorILb1EsEEZNS1_24adjacent_difference_implIS3_Lb1ELb0EPsS7_N6thrust23THRUST_200600_302600_NS4plusIsEEEE10hipError_tPvRmT2_T3_mT4_P12ihipStream_tbEUlT_E_NS1_11comp_targetILNS1_3genE9ELNS1_11target_archE1100ELNS1_3gpuE3ELNS1_3repE0EEENS1_30default_config_static_selectorELNS0_4arch9wavefront6targetE1EEEvT1_.numbered_sgpr, 0
	.set _ZN7rocprim17ROCPRIM_400000_NS6detail17trampoline_kernelINS0_14default_configENS1_35adjacent_difference_config_selectorILb1EsEEZNS1_24adjacent_difference_implIS3_Lb1ELb0EPsS7_N6thrust23THRUST_200600_302600_NS4plusIsEEEE10hipError_tPvRmT2_T3_mT4_P12ihipStream_tbEUlT_E_NS1_11comp_targetILNS1_3genE9ELNS1_11target_archE1100ELNS1_3gpuE3ELNS1_3repE0EEENS1_30default_config_static_selectorELNS0_4arch9wavefront6targetE1EEEvT1_.num_named_barrier, 0
	.set _ZN7rocprim17ROCPRIM_400000_NS6detail17trampoline_kernelINS0_14default_configENS1_35adjacent_difference_config_selectorILb1EsEEZNS1_24adjacent_difference_implIS3_Lb1ELb0EPsS7_N6thrust23THRUST_200600_302600_NS4plusIsEEEE10hipError_tPvRmT2_T3_mT4_P12ihipStream_tbEUlT_E_NS1_11comp_targetILNS1_3genE9ELNS1_11target_archE1100ELNS1_3gpuE3ELNS1_3repE0EEENS1_30default_config_static_selectorELNS0_4arch9wavefront6targetE1EEEvT1_.private_seg_size, 0
	.set _ZN7rocprim17ROCPRIM_400000_NS6detail17trampoline_kernelINS0_14default_configENS1_35adjacent_difference_config_selectorILb1EsEEZNS1_24adjacent_difference_implIS3_Lb1ELb0EPsS7_N6thrust23THRUST_200600_302600_NS4plusIsEEEE10hipError_tPvRmT2_T3_mT4_P12ihipStream_tbEUlT_E_NS1_11comp_targetILNS1_3genE9ELNS1_11target_archE1100ELNS1_3gpuE3ELNS1_3repE0EEENS1_30default_config_static_selectorELNS0_4arch9wavefront6targetE1EEEvT1_.uses_vcc, 0
	.set _ZN7rocprim17ROCPRIM_400000_NS6detail17trampoline_kernelINS0_14default_configENS1_35adjacent_difference_config_selectorILb1EsEEZNS1_24adjacent_difference_implIS3_Lb1ELb0EPsS7_N6thrust23THRUST_200600_302600_NS4plusIsEEEE10hipError_tPvRmT2_T3_mT4_P12ihipStream_tbEUlT_E_NS1_11comp_targetILNS1_3genE9ELNS1_11target_archE1100ELNS1_3gpuE3ELNS1_3repE0EEENS1_30default_config_static_selectorELNS0_4arch9wavefront6targetE1EEEvT1_.uses_flat_scratch, 0
	.set _ZN7rocprim17ROCPRIM_400000_NS6detail17trampoline_kernelINS0_14default_configENS1_35adjacent_difference_config_selectorILb1EsEEZNS1_24adjacent_difference_implIS3_Lb1ELb0EPsS7_N6thrust23THRUST_200600_302600_NS4plusIsEEEE10hipError_tPvRmT2_T3_mT4_P12ihipStream_tbEUlT_E_NS1_11comp_targetILNS1_3genE9ELNS1_11target_archE1100ELNS1_3gpuE3ELNS1_3repE0EEENS1_30default_config_static_selectorELNS0_4arch9wavefront6targetE1EEEvT1_.has_dyn_sized_stack, 0
	.set _ZN7rocprim17ROCPRIM_400000_NS6detail17trampoline_kernelINS0_14default_configENS1_35adjacent_difference_config_selectorILb1EsEEZNS1_24adjacent_difference_implIS3_Lb1ELb0EPsS7_N6thrust23THRUST_200600_302600_NS4plusIsEEEE10hipError_tPvRmT2_T3_mT4_P12ihipStream_tbEUlT_E_NS1_11comp_targetILNS1_3genE9ELNS1_11target_archE1100ELNS1_3gpuE3ELNS1_3repE0EEENS1_30default_config_static_selectorELNS0_4arch9wavefront6targetE1EEEvT1_.has_recursion, 0
	.set _ZN7rocprim17ROCPRIM_400000_NS6detail17trampoline_kernelINS0_14default_configENS1_35adjacent_difference_config_selectorILb1EsEEZNS1_24adjacent_difference_implIS3_Lb1ELb0EPsS7_N6thrust23THRUST_200600_302600_NS4plusIsEEEE10hipError_tPvRmT2_T3_mT4_P12ihipStream_tbEUlT_E_NS1_11comp_targetILNS1_3genE9ELNS1_11target_archE1100ELNS1_3gpuE3ELNS1_3repE0EEENS1_30default_config_static_selectorELNS0_4arch9wavefront6targetE1EEEvT1_.has_indirect_call, 0
	.section	.AMDGPU.csdata,"",@progbits
; Kernel info:
; codeLenInByte = 0
; TotalNumSgprs: 4
; NumVgprs: 0
; ScratchSize: 0
; MemoryBound: 0
; FloatMode: 240
; IeeeMode: 1
; LDSByteSize: 0 bytes/workgroup (compile time only)
; SGPRBlocks: 0
; VGPRBlocks: 0
; NumSGPRsForWavesPerEU: 4
; NumVGPRsForWavesPerEU: 1
; Occupancy: 10
; WaveLimiterHint : 0
; COMPUTE_PGM_RSRC2:SCRATCH_EN: 0
; COMPUTE_PGM_RSRC2:USER_SGPR: 6
; COMPUTE_PGM_RSRC2:TRAP_HANDLER: 0
; COMPUTE_PGM_RSRC2:TGID_X_EN: 1
; COMPUTE_PGM_RSRC2:TGID_Y_EN: 0
; COMPUTE_PGM_RSRC2:TGID_Z_EN: 0
; COMPUTE_PGM_RSRC2:TIDIG_COMP_CNT: 0
	.section	.text._ZN7rocprim17ROCPRIM_400000_NS6detail17trampoline_kernelINS0_14default_configENS1_35adjacent_difference_config_selectorILb1EsEEZNS1_24adjacent_difference_implIS3_Lb1ELb0EPsS7_N6thrust23THRUST_200600_302600_NS4plusIsEEEE10hipError_tPvRmT2_T3_mT4_P12ihipStream_tbEUlT_E_NS1_11comp_targetILNS1_3genE8ELNS1_11target_archE1030ELNS1_3gpuE2ELNS1_3repE0EEENS1_30default_config_static_selectorELNS0_4arch9wavefront6targetE1EEEvT1_,"axG",@progbits,_ZN7rocprim17ROCPRIM_400000_NS6detail17trampoline_kernelINS0_14default_configENS1_35adjacent_difference_config_selectorILb1EsEEZNS1_24adjacent_difference_implIS3_Lb1ELb0EPsS7_N6thrust23THRUST_200600_302600_NS4plusIsEEEE10hipError_tPvRmT2_T3_mT4_P12ihipStream_tbEUlT_E_NS1_11comp_targetILNS1_3genE8ELNS1_11target_archE1030ELNS1_3gpuE2ELNS1_3repE0EEENS1_30default_config_static_selectorELNS0_4arch9wavefront6targetE1EEEvT1_,comdat
	.protected	_ZN7rocprim17ROCPRIM_400000_NS6detail17trampoline_kernelINS0_14default_configENS1_35adjacent_difference_config_selectorILb1EsEEZNS1_24adjacent_difference_implIS3_Lb1ELb0EPsS7_N6thrust23THRUST_200600_302600_NS4plusIsEEEE10hipError_tPvRmT2_T3_mT4_P12ihipStream_tbEUlT_E_NS1_11comp_targetILNS1_3genE8ELNS1_11target_archE1030ELNS1_3gpuE2ELNS1_3repE0EEENS1_30default_config_static_selectorELNS0_4arch9wavefront6targetE1EEEvT1_ ; -- Begin function _ZN7rocprim17ROCPRIM_400000_NS6detail17trampoline_kernelINS0_14default_configENS1_35adjacent_difference_config_selectorILb1EsEEZNS1_24adjacent_difference_implIS3_Lb1ELb0EPsS7_N6thrust23THRUST_200600_302600_NS4plusIsEEEE10hipError_tPvRmT2_T3_mT4_P12ihipStream_tbEUlT_E_NS1_11comp_targetILNS1_3genE8ELNS1_11target_archE1030ELNS1_3gpuE2ELNS1_3repE0EEENS1_30default_config_static_selectorELNS0_4arch9wavefront6targetE1EEEvT1_
	.globl	_ZN7rocprim17ROCPRIM_400000_NS6detail17trampoline_kernelINS0_14default_configENS1_35adjacent_difference_config_selectorILb1EsEEZNS1_24adjacent_difference_implIS3_Lb1ELb0EPsS7_N6thrust23THRUST_200600_302600_NS4plusIsEEEE10hipError_tPvRmT2_T3_mT4_P12ihipStream_tbEUlT_E_NS1_11comp_targetILNS1_3genE8ELNS1_11target_archE1030ELNS1_3gpuE2ELNS1_3repE0EEENS1_30default_config_static_selectorELNS0_4arch9wavefront6targetE1EEEvT1_
	.p2align	8
	.type	_ZN7rocprim17ROCPRIM_400000_NS6detail17trampoline_kernelINS0_14default_configENS1_35adjacent_difference_config_selectorILb1EsEEZNS1_24adjacent_difference_implIS3_Lb1ELb0EPsS7_N6thrust23THRUST_200600_302600_NS4plusIsEEEE10hipError_tPvRmT2_T3_mT4_P12ihipStream_tbEUlT_E_NS1_11comp_targetILNS1_3genE8ELNS1_11target_archE1030ELNS1_3gpuE2ELNS1_3repE0EEENS1_30default_config_static_selectorELNS0_4arch9wavefront6targetE1EEEvT1_,@function
_ZN7rocprim17ROCPRIM_400000_NS6detail17trampoline_kernelINS0_14default_configENS1_35adjacent_difference_config_selectorILb1EsEEZNS1_24adjacent_difference_implIS3_Lb1ELb0EPsS7_N6thrust23THRUST_200600_302600_NS4plusIsEEEE10hipError_tPvRmT2_T3_mT4_P12ihipStream_tbEUlT_E_NS1_11comp_targetILNS1_3genE8ELNS1_11target_archE1030ELNS1_3gpuE2ELNS1_3repE0EEENS1_30default_config_static_selectorELNS0_4arch9wavefront6targetE1EEEvT1_: ; @_ZN7rocprim17ROCPRIM_400000_NS6detail17trampoline_kernelINS0_14default_configENS1_35adjacent_difference_config_selectorILb1EsEEZNS1_24adjacent_difference_implIS3_Lb1ELb0EPsS7_N6thrust23THRUST_200600_302600_NS4plusIsEEEE10hipError_tPvRmT2_T3_mT4_P12ihipStream_tbEUlT_E_NS1_11comp_targetILNS1_3genE8ELNS1_11target_archE1030ELNS1_3gpuE2ELNS1_3repE0EEENS1_30default_config_static_selectorELNS0_4arch9wavefront6targetE1EEEvT1_
; %bb.0:
	.section	.rodata,"a",@progbits
	.p2align	6, 0x0
	.amdhsa_kernel _ZN7rocprim17ROCPRIM_400000_NS6detail17trampoline_kernelINS0_14default_configENS1_35adjacent_difference_config_selectorILb1EsEEZNS1_24adjacent_difference_implIS3_Lb1ELb0EPsS7_N6thrust23THRUST_200600_302600_NS4plusIsEEEE10hipError_tPvRmT2_T3_mT4_P12ihipStream_tbEUlT_E_NS1_11comp_targetILNS1_3genE8ELNS1_11target_archE1030ELNS1_3gpuE2ELNS1_3repE0EEENS1_30default_config_static_selectorELNS0_4arch9wavefront6targetE1EEEvT1_
		.amdhsa_group_segment_fixed_size 0
		.amdhsa_private_segment_fixed_size 0
		.amdhsa_kernarg_size 56
		.amdhsa_user_sgpr_count 6
		.amdhsa_user_sgpr_private_segment_buffer 1
		.amdhsa_user_sgpr_dispatch_ptr 0
		.amdhsa_user_sgpr_queue_ptr 0
		.amdhsa_user_sgpr_kernarg_segment_ptr 1
		.amdhsa_user_sgpr_dispatch_id 0
		.amdhsa_user_sgpr_flat_scratch_init 0
		.amdhsa_user_sgpr_private_segment_size 0
		.amdhsa_uses_dynamic_stack 0
		.amdhsa_system_sgpr_private_segment_wavefront_offset 0
		.amdhsa_system_sgpr_workgroup_id_x 1
		.amdhsa_system_sgpr_workgroup_id_y 0
		.amdhsa_system_sgpr_workgroup_id_z 0
		.amdhsa_system_sgpr_workgroup_info 0
		.amdhsa_system_vgpr_workitem_id 0
		.amdhsa_next_free_vgpr 1
		.amdhsa_next_free_sgpr 0
		.amdhsa_reserve_vcc 0
		.amdhsa_reserve_flat_scratch 0
		.amdhsa_float_round_mode_32 0
		.amdhsa_float_round_mode_16_64 0
		.amdhsa_float_denorm_mode_32 3
		.amdhsa_float_denorm_mode_16_64 3
		.amdhsa_dx10_clamp 1
		.amdhsa_ieee_mode 1
		.amdhsa_fp16_overflow 0
		.amdhsa_exception_fp_ieee_invalid_op 0
		.amdhsa_exception_fp_denorm_src 0
		.amdhsa_exception_fp_ieee_div_zero 0
		.amdhsa_exception_fp_ieee_overflow 0
		.amdhsa_exception_fp_ieee_underflow 0
		.amdhsa_exception_fp_ieee_inexact 0
		.amdhsa_exception_int_div_zero 0
	.end_amdhsa_kernel
	.section	.text._ZN7rocprim17ROCPRIM_400000_NS6detail17trampoline_kernelINS0_14default_configENS1_35adjacent_difference_config_selectorILb1EsEEZNS1_24adjacent_difference_implIS3_Lb1ELb0EPsS7_N6thrust23THRUST_200600_302600_NS4plusIsEEEE10hipError_tPvRmT2_T3_mT4_P12ihipStream_tbEUlT_E_NS1_11comp_targetILNS1_3genE8ELNS1_11target_archE1030ELNS1_3gpuE2ELNS1_3repE0EEENS1_30default_config_static_selectorELNS0_4arch9wavefront6targetE1EEEvT1_,"axG",@progbits,_ZN7rocprim17ROCPRIM_400000_NS6detail17trampoline_kernelINS0_14default_configENS1_35adjacent_difference_config_selectorILb1EsEEZNS1_24adjacent_difference_implIS3_Lb1ELb0EPsS7_N6thrust23THRUST_200600_302600_NS4plusIsEEEE10hipError_tPvRmT2_T3_mT4_P12ihipStream_tbEUlT_E_NS1_11comp_targetILNS1_3genE8ELNS1_11target_archE1030ELNS1_3gpuE2ELNS1_3repE0EEENS1_30default_config_static_selectorELNS0_4arch9wavefront6targetE1EEEvT1_,comdat
.Lfunc_end407:
	.size	_ZN7rocprim17ROCPRIM_400000_NS6detail17trampoline_kernelINS0_14default_configENS1_35adjacent_difference_config_selectorILb1EsEEZNS1_24adjacent_difference_implIS3_Lb1ELb0EPsS7_N6thrust23THRUST_200600_302600_NS4plusIsEEEE10hipError_tPvRmT2_T3_mT4_P12ihipStream_tbEUlT_E_NS1_11comp_targetILNS1_3genE8ELNS1_11target_archE1030ELNS1_3gpuE2ELNS1_3repE0EEENS1_30default_config_static_selectorELNS0_4arch9wavefront6targetE1EEEvT1_, .Lfunc_end407-_ZN7rocprim17ROCPRIM_400000_NS6detail17trampoline_kernelINS0_14default_configENS1_35adjacent_difference_config_selectorILb1EsEEZNS1_24adjacent_difference_implIS3_Lb1ELb0EPsS7_N6thrust23THRUST_200600_302600_NS4plusIsEEEE10hipError_tPvRmT2_T3_mT4_P12ihipStream_tbEUlT_E_NS1_11comp_targetILNS1_3genE8ELNS1_11target_archE1030ELNS1_3gpuE2ELNS1_3repE0EEENS1_30default_config_static_selectorELNS0_4arch9wavefront6targetE1EEEvT1_
                                        ; -- End function
	.set _ZN7rocprim17ROCPRIM_400000_NS6detail17trampoline_kernelINS0_14default_configENS1_35adjacent_difference_config_selectorILb1EsEEZNS1_24adjacent_difference_implIS3_Lb1ELb0EPsS7_N6thrust23THRUST_200600_302600_NS4plusIsEEEE10hipError_tPvRmT2_T3_mT4_P12ihipStream_tbEUlT_E_NS1_11comp_targetILNS1_3genE8ELNS1_11target_archE1030ELNS1_3gpuE2ELNS1_3repE0EEENS1_30default_config_static_selectorELNS0_4arch9wavefront6targetE1EEEvT1_.num_vgpr, 0
	.set _ZN7rocprim17ROCPRIM_400000_NS6detail17trampoline_kernelINS0_14default_configENS1_35adjacent_difference_config_selectorILb1EsEEZNS1_24adjacent_difference_implIS3_Lb1ELb0EPsS7_N6thrust23THRUST_200600_302600_NS4plusIsEEEE10hipError_tPvRmT2_T3_mT4_P12ihipStream_tbEUlT_E_NS1_11comp_targetILNS1_3genE8ELNS1_11target_archE1030ELNS1_3gpuE2ELNS1_3repE0EEENS1_30default_config_static_selectorELNS0_4arch9wavefront6targetE1EEEvT1_.num_agpr, 0
	.set _ZN7rocprim17ROCPRIM_400000_NS6detail17trampoline_kernelINS0_14default_configENS1_35adjacent_difference_config_selectorILb1EsEEZNS1_24adjacent_difference_implIS3_Lb1ELb0EPsS7_N6thrust23THRUST_200600_302600_NS4plusIsEEEE10hipError_tPvRmT2_T3_mT4_P12ihipStream_tbEUlT_E_NS1_11comp_targetILNS1_3genE8ELNS1_11target_archE1030ELNS1_3gpuE2ELNS1_3repE0EEENS1_30default_config_static_selectorELNS0_4arch9wavefront6targetE1EEEvT1_.numbered_sgpr, 0
	.set _ZN7rocprim17ROCPRIM_400000_NS6detail17trampoline_kernelINS0_14default_configENS1_35adjacent_difference_config_selectorILb1EsEEZNS1_24adjacent_difference_implIS3_Lb1ELb0EPsS7_N6thrust23THRUST_200600_302600_NS4plusIsEEEE10hipError_tPvRmT2_T3_mT4_P12ihipStream_tbEUlT_E_NS1_11comp_targetILNS1_3genE8ELNS1_11target_archE1030ELNS1_3gpuE2ELNS1_3repE0EEENS1_30default_config_static_selectorELNS0_4arch9wavefront6targetE1EEEvT1_.num_named_barrier, 0
	.set _ZN7rocprim17ROCPRIM_400000_NS6detail17trampoline_kernelINS0_14default_configENS1_35adjacent_difference_config_selectorILb1EsEEZNS1_24adjacent_difference_implIS3_Lb1ELb0EPsS7_N6thrust23THRUST_200600_302600_NS4plusIsEEEE10hipError_tPvRmT2_T3_mT4_P12ihipStream_tbEUlT_E_NS1_11comp_targetILNS1_3genE8ELNS1_11target_archE1030ELNS1_3gpuE2ELNS1_3repE0EEENS1_30default_config_static_selectorELNS0_4arch9wavefront6targetE1EEEvT1_.private_seg_size, 0
	.set _ZN7rocprim17ROCPRIM_400000_NS6detail17trampoline_kernelINS0_14default_configENS1_35adjacent_difference_config_selectorILb1EsEEZNS1_24adjacent_difference_implIS3_Lb1ELb0EPsS7_N6thrust23THRUST_200600_302600_NS4plusIsEEEE10hipError_tPvRmT2_T3_mT4_P12ihipStream_tbEUlT_E_NS1_11comp_targetILNS1_3genE8ELNS1_11target_archE1030ELNS1_3gpuE2ELNS1_3repE0EEENS1_30default_config_static_selectorELNS0_4arch9wavefront6targetE1EEEvT1_.uses_vcc, 0
	.set _ZN7rocprim17ROCPRIM_400000_NS6detail17trampoline_kernelINS0_14default_configENS1_35adjacent_difference_config_selectorILb1EsEEZNS1_24adjacent_difference_implIS3_Lb1ELb0EPsS7_N6thrust23THRUST_200600_302600_NS4plusIsEEEE10hipError_tPvRmT2_T3_mT4_P12ihipStream_tbEUlT_E_NS1_11comp_targetILNS1_3genE8ELNS1_11target_archE1030ELNS1_3gpuE2ELNS1_3repE0EEENS1_30default_config_static_selectorELNS0_4arch9wavefront6targetE1EEEvT1_.uses_flat_scratch, 0
	.set _ZN7rocprim17ROCPRIM_400000_NS6detail17trampoline_kernelINS0_14default_configENS1_35adjacent_difference_config_selectorILb1EsEEZNS1_24adjacent_difference_implIS3_Lb1ELb0EPsS7_N6thrust23THRUST_200600_302600_NS4plusIsEEEE10hipError_tPvRmT2_T3_mT4_P12ihipStream_tbEUlT_E_NS1_11comp_targetILNS1_3genE8ELNS1_11target_archE1030ELNS1_3gpuE2ELNS1_3repE0EEENS1_30default_config_static_selectorELNS0_4arch9wavefront6targetE1EEEvT1_.has_dyn_sized_stack, 0
	.set _ZN7rocprim17ROCPRIM_400000_NS6detail17trampoline_kernelINS0_14default_configENS1_35adjacent_difference_config_selectorILb1EsEEZNS1_24adjacent_difference_implIS3_Lb1ELb0EPsS7_N6thrust23THRUST_200600_302600_NS4plusIsEEEE10hipError_tPvRmT2_T3_mT4_P12ihipStream_tbEUlT_E_NS1_11comp_targetILNS1_3genE8ELNS1_11target_archE1030ELNS1_3gpuE2ELNS1_3repE0EEENS1_30default_config_static_selectorELNS0_4arch9wavefront6targetE1EEEvT1_.has_recursion, 0
	.set _ZN7rocprim17ROCPRIM_400000_NS6detail17trampoline_kernelINS0_14default_configENS1_35adjacent_difference_config_selectorILb1EsEEZNS1_24adjacent_difference_implIS3_Lb1ELb0EPsS7_N6thrust23THRUST_200600_302600_NS4plusIsEEEE10hipError_tPvRmT2_T3_mT4_P12ihipStream_tbEUlT_E_NS1_11comp_targetILNS1_3genE8ELNS1_11target_archE1030ELNS1_3gpuE2ELNS1_3repE0EEENS1_30default_config_static_selectorELNS0_4arch9wavefront6targetE1EEEvT1_.has_indirect_call, 0
	.section	.AMDGPU.csdata,"",@progbits
; Kernel info:
; codeLenInByte = 0
; TotalNumSgprs: 4
; NumVgprs: 0
; ScratchSize: 0
; MemoryBound: 0
; FloatMode: 240
; IeeeMode: 1
; LDSByteSize: 0 bytes/workgroup (compile time only)
; SGPRBlocks: 0
; VGPRBlocks: 0
; NumSGPRsForWavesPerEU: 4
; NumVGPRsForWavesPerEU: 1
; Occupancy: 10
; WaveLimiterHint : 0
; COMPUTE_PGM_RSRC2:SCRATCH_EN: 0
; COMPUTE_PGM_RSRC2:USER_SGPR: 6
; COMPUTE_PGM_RSRC2:TRAP_HANDLER: 0
; COMPUTE_PGM_RSRC2:TGID_X_EN: 1
; COMPUTE_PGM_RSRC2:TGID_Y_EN: 0
; COMPUTE_PGM_RSRC2:TGID_Z_EN: 0
; COMPUTE_PGM_RSRC2:TIDIG_COMP_CNT: 0
	.section	.text._ZN7rocprim17ROCPRIM_400000_NS6detail17trampoline_kernelINS0_14default_configENS1_22reduce_config_selectorIN6thrust23THRUST_200600_302600_NS5tupleIblNS6_9null_typeES8_S8_S8_S8_S8_S8_S8_EEEEZNS1_11reduce_implILb1ES3_PS9_SC_S9_NS6_11hip_rocprim9__find_if7functorIS9_EEEE10hipError_tPvRmT1_T2_T3_mT4_P12ihipStream_tbEUlT_E0_NS1_11comp_targetILNS1_3genE0ELNS1_11target_archE4294967295ELNS1_3gpuE0ELNS1_3repE0EEENS1_30default_config_static_selectorELNS0_4arch9wavefront6targetE1EEEvSK_,"axG",@progbits,_ZN7rocprim17ROCPRIM_400000_NS6detail17trampoline_kernelINS0_14default_configENS1_22reduce_config_selectorIN6thrust23THRUST_200600_302600_NS5tupleIblNS6_9null_typeES8_S8_S8_S8_S8_S8_S8_EEEEZNS1_11reduce_implILb1ES3_PS9_SC_S9_NS6_11hip_rocprim9__find_if7functorIS9_EEEE10hipError_tPvRmT1_T2_T3_mT4_P12ihipStream_tbEUlT_E0_NS1_11comp_targetILNS1_3genE0ELNS1_11target_archE4294967295ELNS1_3gpuE0ELNS1_3repE0EEENS1_30default_config_static_selectorELNS0_4arch9wavefront6targetE1EEEvSK_,comdat
	.protected	_ZN7rocprim17ROCPRIM_400000_NS6detail17trampoline_kernelINS0_14default_configENS1_22reduce_config_selectorIN6thrust23THRUST_200600_302600_NS5tupleIblNS6_9null_typeES8_S8_S8_S8_S8_S8_S8_EEEEZNS1_11reduce_implILb1ES3_PS9_SC_S9_NS6_11hip_rocprim9__find_if7functorIS9_EEEE10hipError_tPvRmT1_T2_T3_mT4_P12ihipStream_tbEUlT_E0_NS1_11comp_targetILNS1_3genE0ELNS1_11target_archE4294967295ELNS1_3gpuE0ELNS1_3repE0EEENS1_30default_config_static_selectorELNS0_4arch9wavefront6targetE1EEEvSK_ ; -- Begin function _ZN7rocprim17ROCPRIM_400000_NS6detail17trampoline_kernelINS0_14default_configENS1_22reduce_config_selectorIN6thrust23THRUST_200600_302600_NS5tupleIblNS6_9null_typeES8_S8_S8_S8_S8_S8_S8_EEEEZNS1_11reduce_implILb1ES3_PS9_SC_S9_NS6_11hip_rocprim9__find_if7functorIS9_EEEE10hipError_tPvRmT1_T2_T3_mT4_P12ihipStream_tbEUlT_E0_NS1_11comp_targetILNS1_3genE0ELNS1_11target_archE4294967295ELNS1_3gpuE0ELNS1_3repE0EEENS1_30default_config_static_selectorELNS0_4arch9wavefront6targetE1EEEvSK_
	.globl	_ZN7rocprim17ROCPRIM_400000_NS6detail17trampoline_kernelINS0_14default_configENS1_22reduce_config_selectorIN6thrust23THRUST_200600_302600_NS5tupleIblNS6_9null_typeES8_S8_S8_S8_S8_S8_S8_EEEEZNS1_11reduce_implILb1ES3_PS9_SC_S9_NS6_11hip_rocprim9__find_if7functorIS9_EEEE10hipError_tPvRmT1_T2_T3_mT4_P12ihipStream_tbEUlT_E0_NS1_11comp_targetILNS1_3genE0ELNS1_11target_archE4294967295ELNS1_3gpuE0ELNS1_3repE0EEENS1_30default_config_static_selectorELNS0_4arch9wavefront6targetE1EEEvSK_
	.p2align	8
	.type	_ZN7rocprim17ROCPRIM_400000_NS6detail17trampoline_kernelINS0_14default_configENS1_22reduce_config_selectorIN6thrust23THRUST_200600_302600_NS5tupleIblNS6_9null_typeES8_S8_S8_S8_S8_S8_S8_EEEEZNS1_11reduce_implILb1ES3_PS9_SC_S9_NS6_11hip_rocprim9__find_if7functorIS9_EEEE10hipError_tPvRmT1_T2_T3_mT4_P12ihipStream_tbEUlT_E0_NS1_11comp_targetILNS1_3genE0ELNS1_11target_archE4294967295ELNS1_3gpuE0ELNS1_3repE0EEENS1_30default_config_static_selectorELNS0_4arch9wavefront6targetE1EEEvSK_,@function
_ZN7rocprim17ROCPRIM_400000_NS6detail17trampoline_kernelINS0_14default_configENS1_22reduce_config_selectorIN6thrust23THRUST_200600_302600_NS5tupleIblNS6_9null_typeES8_S8_S8_S8_S8_S8_S8_EEEEZNS1_11reduce_implILb1ES3_PS9_SC_S9_NS6_11hip_rocprim9__find_if7functorIS9_EEEE10hipError_tPvRmT1_T2_T3_mT4_P12ihipStream_tbEUlT_E0_NS1_11comp_targetILNS1_3genE0ELNS1_11target_archE4294967295ELNS1_3gpuE0ELNS1_3repE0EEENS1_30default_config_static_selectorELNS0_4arch9wavefront6targetE1EEEvSK_: ; @_ZN7rocprim17ROCPRIM_400000_NS6detail17trampoline_kernelINS0_14default_configENS1_22reduce_config_selectorIN6thrust23THRUST_200600_302600_NS5tupleIblNS6_9null_typeES8_S8_S8_S8_S8_S8_S8_EEEEZNS1_11reduce_implILb1ES3_PS9_SC_S9_NS6_11hip_rocprim9__find_if7functorIS9_EEEE10hipError_tPvRmT1_T2_T3_mT4_P12ihipStream_tbEUlT_E0_NS1_11comp_targetILNS1_3genE0ELNS1_11target_archE4294967295ELNS1_3gpuE0ELNS1_3repE0EEENS1_30default_config_static_selectorELNS0_4arch9wavefront6targetE1EEEvSK_
; %bb.0:
	.section	.rodata,"a",@progbits
	.p2align	6, 0x0
	.amdhsa_kernel _ZN7rocprim17ROCPRIM_400000_NS6detail17trampoline_kernelINS0_14default_configENS1_22reduce_config_selectorIN6thrust23THRUST_200600_302600_NS5tupleIblNS6_9null_typeES8_S8_S8_S8_S8_S8_S8_EEEEZNS1_11reduce_implILb1ES3_PS9_SC_S9_NS6_11hip_rocprim9__find_if7functorIS9_EEEE10hipError_tPvRmT1_T2_T3_mT4_P12ihipStream_tbEUlT_E0_NS1_11comp_targetILNS1_3genE0ELNS1_11target_archE4294967295ELNS1_3gpuE0ELNS1_3repE0EEENS1_30default_config_static_selectorELNS0_4arch9wavefront6targetE1EEEvSK_
		.amdhsa_group_segment_fixed_size 0
		.amdhsa_private_segment_fixed_size 0
		.amdhsa_kernarg_size 72
		.amdhsa_user_sgpr_count 6
		.amdhsa_user_sgpr_private_segment_buffer 1
		.amdhsa_user_sgpr_dispatch_ptr 0
		.amdhsa_user_sgpr_queue_ptr 0
		.amdhsa_user_sgpr_kernarg_segment_ptr 1
		.amdhsa_user_sgpr_dispatch_id 0
		.amdhsa_user_sgpr_flat_scratch_init 0
		.amdhsa_user_sgpr_private_segment_size 0
		.amdhsa_uses_dynamic_stack 0
		.amdhsa_system_sgpr_private_segment_wavefront_offset 0
		.amdhsa_system_sgpr_workgroup_id_x 1
		.amdhsa_system_sgpr_workgroup_id_y 0
		.amdhsa_system_sgpr_workgroup_id_z 0
		.amdhsa_system_sgpr_workgroup_info 0
		.amdhsa_system_vgpr_workitem_id 0
		.amdhsa_next_free_vgpr 1
		.amdhsa_next_free_sgpr 0
		.amdhsa_reserve_vcc 0
		.amdhsa_reserve_flat_scratch 0
		.amdhsa_float_round_mode_32 0
		.amdhsa_float_round_mode_16_64 0
		.amdhsa_float_denorm_mode_32 3
		.amdhsa_float_denorm_mode_16_64 3
		.amdhsa_dx10_clamp 1
		.amdhsa_ieee_mode 1
		.amdhsa_fp16_overflow 0
		.amdhsa_exception_fp_ieee_invalid_op 0
		.amdhsa_exception_fp_denorm_src 0
		.amdhsa_exception_fp_ieee_div_zero 0
		.amdhsa_exception_fp_ieee_overflow 0
		.amdhsa_exception_fp_ieee_underflow 0
		.amdhsa_exception_fp_ieee_inexact 0
		.amdhsa_exception_int_div_zero 0
	.end_amdhsa_kernel
	.section	.text._ZN7rocprim17ROCPRIM_400000_NS6detail17trampoline_kernelINS0_14default_configENS1_22reduce_config_selectorIN6thrust23THRUST_200600_302600_NS5tupleIblNS6_9null_typeES8_S8_S8_S8_S8_S8_S8_EEEEZNS1_11reduce_implILb1ES3_PS9_SC_S9_NS6_11hip_rocprim9__find_if7functorIS9_EEEE10hipError_tPvRmT1_T2_T3_mT4_P12ihipStream_tbEUlT_E0_NS1_11comp_targetILNS1_3genE0ELNS1_11target_archE4294967295ELNS1_3gpuE0ELNS1_3repE0EEENS1_30default_config_static_selectorELNS0_4arch9wavefront6targetE1EEEvSK_,"axG",@progbits,_ZN7rocprim17ROCPRIM_400000_NS6detail17trampoline_kernelINS0_14default_configENS1_22reduce_config_selectorIN6thrust23THRUST_200600_302600_NS5tupleIblNS6_9null_typeES8_S8_S8_S8_S8_S8_S8_EEEEZNS1_11reduce_implILb1ES3_PS9_SC_S9_NS6_11hip_rocprim9__find_if7functorIS9_EEEE10hipError_tPvRmT1_T2_T3_mT4_P12ihipStream_tbEUlT_E0_NS1_11comp_targetILNS1_3genE0ELNS1_11target_archE4294967295ELNS1_3gpuE0ELNS1_3repE0EEENS1_30default_config_static_selectorELNS0_4arch9wavefront6targetE1EEEvSK_,comdat
.Lfunc_end408:
	.size	_ZN7rocprim17ROCPRIM_400000_NS6detail17trampoline_kernelINS0_14default_configENS1_22reduce_config_selectorIN6thrust23THRUST_200600_302600_NS5tupleIblNS6_9null_typeES8_S8_S8_S8_S8_S8_S8_EEEEZNS1_11reduce_implILb1ES3_PS9_SC_S9_NS6_11hip_rocprim9__find_if7functorIS9_EEEE10hipError_tPvRmT1_T2_T3_mT4_P12ihipStream_tbEUlT_E0_NS1_11comp_targetILNS1_3genE0ELNS1_11target_archE4294967295ELNS1_3gpuE0ELNS1_3repE0EEENS1_30default_config_static_selectorELNS0_4arch9wavefront6targetE1EEEvSK_, .Lfunc_end408-_ZN7rocprim17ROCPRIM_400000_NS6detail17trampoline_kernelINS0_14default_configENS1_22reduce_config_selectorIN6thrust23THRUST_200600_302600_NS5tupleIblNS6_9null_typeES8_S8_S8_S8_S8_S8_S8_EEEEZNS1_11reduce_implILb1ES3_PS9_SC_S9_NS6_11hip_rocprim9__find_if7functorIS9_EEEE10hipError_tPvRmT1_T2_T3_mT4_P12ihipStream_tbEUlT_E0_NS1_11comp_targetILNS1_3genE0ELNS1_11target_archE4294967295ELNS1_3gpuE0ELNS1_3repE0EEENS1_30default_config_static_selectorELNS0_4arch9wavefront6targetE1EEEvSK_
                                        ; -- End function
	.set _ZN7rocprim17ROCPRIM_400000_NS6detail17trampoline_kernelINS0_14default_configENS1_22reduce_config_selectorIN6thrust23THRUST_200600_302600_NS5tupleIblNS6_9null_typeES8_S8_S8_S8_S8_S8_S8_EEEEZNS1_11reduce_implILb1ES3_PS9_SC_S9_NS6_11hip_rocprim9__find_if7functorIS9_EEEE10hipError_tPvRmT1_T2_T3_mT4_P12ihipStream_tbEUlT_E0_NS1_11comp_targetILNS1_3genE0ELNS1_11target_archE4294967295ELNS1_3gpuE0ELNS1_3repE0EEENS1_30default_config_static_selectorELNS0_4arch9wavefront6targetE1EEEvSK_.num_vgpr, 0
	.set _ZN7rocprim17ROCPRIM_400000_NS6detail17trampoline_kernelINS0_14default_configENS1_22reduce_config_selectorIN6thrust23THRUST_200600_302600_NS5tupleIblNS6_9null_typeES8_S8_S8_S8_S8_S8_S8_EEEEZNS1_11reduce_implILb1ES3_PS9_SC_S9_NS6_11hip_rocprim9__find_if7functorIS9_EEEE10hipError_tPvRmT1_T2_T3_mT4_P12ihipStream_tbEUlT_E0_NS1_11comp_targetILNS1_3genE0ELNS1_11target_archE4294967295ELNS1_3gpuE0ELNS1_3repE0EEENS1_30default_config_static_selectorELNS0_4arch9wavefront6targetE1EEEvSK_.num_agpr, 0
	.set _ZN7rocprim17ROCPRIM_400000_NS6detail17trampoline_kernelINS0_14default_configENS1_22reduce_config_selectorIN6thrust23THRUST_200600_302600_NS5tupleIblNS6_9null_typeES8_S8_S8_S8_S8_S8_S8_EEEEZNS1_11reduce_implILb1ES3_PS9_SC_S9_NS6_11hip_rocprim9__find_if7functorIS9_EEEE10hipError_tPvRmT1_T2_T3_mT4_P12ihipStream_tbEUlT_E0_NS1_11comp_targetILNS1_3genE0ELNS1_11target_archE4294967295ELNS1_3gpuE0ELNS1_3repE0EEENS1_30default_config_static_selectorELNS0_4arch9wavefront6targetE1EEEvSK_.numbered_sgpr, 0
	.set _ZN7rocprim17ROCPRIM_400000_NS6detail17trampoline_kernelINS0_14default_configENS1_22reduce_config_selectorIN6thrust23THRUST_200600_302600_NS5tupleIblNS6_9null_typeES8_S8_S8_S8_S8_S8_S8_EEEEZNS1_11reduce_implILb1ES3_PS9_SC_S9_NS6_11hip_rocprim9__find_if7functorIS9_EEEE10hipError_tPvRmT1_T2_T3_mT4_P12ihipStream_tbEUlT_E0_NS1_11comp_targetILNS1_3genE0ELNS1_11target_archE4294967295ELNS1_3gpuE0ELNS1_3repE0EEENS1_30default_config_static_selectorELNS0_4arch9wavefront6targetE1EEEvSK_.num_named_barrier, 0
	.set _ZN7rocprim17ROCPRIM_400000_NS6detail17trampoline_kernelINS0_14default_configENS1_22reduce_config_selectorIN6thrust23THRUST_200600_302600_NS5tupleIblNS6_9null_typeES8_S8_S8_S8_S8_S8_S8_EEEEZNS1_11reduce_implILb1ES3_PS9_SC_S9_NS6_11hip_rocprim9__find_if7functorIS9_EEEE10hipError_tPvRmT1_T2_T3_mT4_P12ihipStream_tbEUlT_E0_NS1_11comp_targetILNS1_3genE0ELNS1_11target_archE4294967295ELNS1_3gpuE0ELNS1_3repE0EEENS1_30default_config_static_selectorELNS0_4arch9wavefront6targetE1EEEvSK_.private_seg_size, 0
	.set _ZN7rocprim17ROCPRIM_400000_NS6detail17trampoline_kernelINS0_14default_configENS1_22reduce_config_selectorIN6thrust23THRUST_200600_302600_NS5tupleIblNS6_9null_typeES8_S8_S8_S8_S8_S8_S8_EEEEZNS1_11reduce_implILb1ES3_PS9_SC_S9_NS6_11hip_rocprim9__find_if7functorIS9_EEEE10hipError_tPvRmT1_T2_T3_mT4_P12ihipStream_tbEUlT_E0_NS1_11comp_targetILNS1_3genE0ELNS1_11target_archE4294967295ELNS1_3gpuE0ELNS1_3repE0EEENS1_30default_config_static_selectorELNS0_4arch9wavefront6targetE1EEEvSK_.uses_vcc, 0
	.set _ZN7rocprim17ROCPRIM_400000_NS6detail17trampoline_kernelINS0_14default_configENS1_22reduce_config_selectorIN6thrust23THRUST_200600_302600_NS5tupleIblNS6_9null_typeES8_S8_S8_S8_S8_S8_S8_EEEEZNS1_11reduce_implILb1ES3_PS9_SC_S9_NS6_11hip_rocprim9__find_if7functorIS9_EEEE10hipError_tPvRmT1_T2_T3_mT4_P12ihipStream_tbEUlT_E0_NS1_11comp_targetILNS1_3genE0ELNS1_11target_archE4294967295ELNS1_3gpuE0ELNS1_3repE0EEENS1_30default_config_static_selectorELNS0_4arch9wavefront6targetE1EEEvSK_.uses_flat_scratch, 0
	.set _ZN7rocprim17ROCPRIM_400000_NS6detail17trampoline_kernelINS0_14default_configENS1_22reduce_config_selectorIN6thrust23THRUST_200600_302600_NS5tupleIblNS6_9null_typeES8_S8_S8_S8_S8_S8_S8_EEEEZNS1_11reduce_implILb1ES3_PS9_SC_S9_NS6_11hip_rocprim9__find_if7functorIS9_EEEE10hipError_tPvRmT1_T2_T3_mT4_P12ihipStream_tbEUlT_E0_NS1_11comp_targetILNS1_3genE0ELNS1_11target_archE4294967295ELNS1_3gpuE0ELNS1_3repE0EEENS1_30default_config_static_selectorELNS0_4arch9wavefront6targetE1EEEvSK_.has_dyn_sized_stack, 0
	.set _ZN7rocprim17ROCPRIM_400000_NS6detail17trampoline_kernelINS0_14default_configENS1_22reduce_config_selectorIN6thrust23THRUST_200600_302600_NS5tupleIblNS6_9null_typeES8_S8_S8_S8_S8_S8_S8_EEEEZNS1_11reduce_implILb1ES3_PS9_SC_S9_NS6_11hip_rocprim9__find_if7functorIS9_EEEE10hipError_tPvRmT1_T2_T3_mT4_P12ihipStream_tbEUlT_E0_NS1_11comp_targetILNS1_3genE0ELNS1_11target_archE4294967295ELNS1_3gpuE0ELNS1_3repE0EEENS1_30default_config_static_selectorELNS0_4arch9wavefront6targetE1EEEvSK_.has_recursion, 0
	.set _ZN7rocprim17ROCPRIM_400000_NS6detail17trampoline_kernelINS0_14default_configENS1_22reduce_config_selectorIN6thrust23THRUST_200600_302600_NS5tupleIblNS6_9null_typeES8_S8_S8_S8_S8_S8_S8_EEEEZNS1_11reduce_implILb1ES3_PS9_SC_S9_NS6_11hip_rocprim9__find_if7functorIS9_EEEE10hipError_tPvRmT1_T2_T3_mT4_P12ihipStream_tbEUlT_E0_NS1_11comp_targetILNS1_3genE0ELNS1_11target_archE4294967295ELNS1_3gpuE0ELNS1_3repE0EEENS1_30default_config_static_selectorELNS0_4arch9wavefront6targetE1EEEvSK_.has_indirect_call, 0
	.section	.AMDGPU.csdata,"",@progbits
; Kernel info:
; codeLenInByte = 0
; TotalNumSgprs: 4
; NumVgprs: 0
; ScratchSize: 0
; MemoryBound: 0
; FloatMode: 240
; IeeeMode: 1
; LDSByteSize: 0 bytes/workgroup (compile time only)
; SGPRBlocks: 0
; VGPRBlocks: 0
; NumSGPRsForWavesPerEU: 4
; NumVGPRsForWavesPerEU: 1
; Occupancy: 10
; WaveLimiterHint : 0
; COMPUTE_PGM_RSRC2:SCRATCH_EN: 0
; COMPUTE_PGM_RSRC2:USER_SGPR: 6
; COMPUTE_PGM_RSRC2:TRAP_HANDLER: 0
; COMPUTE_PGM_RSRC2:TGID_X_EN: 1
; COMPUTE_PGM_RSRC2:TGID_Y_EN: 0
; COMPUTE_PGM_RSRC2:TGID_Z_EN: 0
; COMPUTE_PGM_RSRC2:TIDIG_COMP_CNT: 0
	.section	.text._ZN7rocprim17ROCPRIM_400000_NS6detail17trampoline_kernelINS0_14default_configENS1_22reduce_config_selectorIN6thrust23THRUST_200600_302600_NS5tupleIblNS6_9null_typeES8_S8_S8_S8_S8_S8_S8_EEEEZNS1_11reduce_implILb1ES3_PS9_SC_S9_NS6_11hip_rocprim9__find_if7functorIS9_EEEE10hipError_tPvRmT1_T2_T3_mT4_P12ihipStream_tbEUlT_E0_NS1_11comp_targetILNS1_3genE5ELNS1_11target_archE942ELNS1_3gpuE9ELNS1_3repE0EEENS1_30default_config_static_selectorELNS0_4arch9wavefront6targetE1EEEvSK_,"axG",@progbits,_ZN7rocprim17ROCPRIM_400000_NS6detail17trampoline_kernelINS0_14default_configENS1_22reduce_config_selectorIN6thrust23THRUST_200600_302600_NS5tupleIblNS6_9null_typeES8_S8_S8_S8_S8_S8_S8_EEEEZNS1_11reduce_implILb1ES3_PS9_SC_S9_NS6_11hip_rocprim9__find_if7functorIS9_EEEE10hipError_tPvRmT1_T2_T3_mT4_P12ihipStream_tbEUlT_E0_NS1_11comp_targetILNS1_3genE5ELNS1_11target_archE942ELNS1_3gpuE9ELNS1_3repE0EEENS1_30default_config_static_selectorELNS0_4arch9wavefront6targetE1EEEvSK_,comdat
	.protected	_ZN7rocprim17ROCPRIM_400000_NS6detail17trampoline_kernelINS0_14default_configENS1_22reduce_config_selectorIN6thrust23THRUST_200600_302600_NS5tupleIblNS6_9null_typeES8_S8_S8_S8_S8_S8_S8_EEEEZNS1_11reduce_implILb1ES3_PS9_SC_S9_NS6_11hip_rocprim9__find_if7functorIS9_EEEE10hipError_tPvRmT1_T2_T3_mT4_P12ihipStream_tbEUlT_E0_NS1_11comp_targetILNS1_3genE5ELNS1_11target_archE942ELNS1_3gpuE9ELNS1_3repE0EEENS1_30default_config_static_selectorELNS0_4arch9wavefront6targetE1EEEvSK_ ; -- Begin function _ZN7rocprim17ROCPRIM_400000_NS6detail17trampoline_kernelINS0_14default_configENS1_22reduce_config_selectorIN6thrust23THRUST_200600_302600_NS5tupleIblNS6_9null_typeES8_S8_S8_S8_S8_S8_S8_EEEEZNS1_11reduce_implILb1ES3_PS9_SC_S9_NS6_11hip_rocprim9__find_if7functorIS9_EEEE10hipError_tPvRmT1_T2_T3_mT4_P12ihipStream_tbEUlT_E0_NS1_11comp_targetILNS1_3genE5ELNS1_11target_archE942ELNS1_3gpuE9ELNS1_3repE0EEENS1_30default_config_static_selectorELNS0_4arch9wavefront6targetE1EEEvSK_
	.globl	_ZN7rocprim17ROCPRIM_400000_NS6detail17trampoline_kernelINS0_14default_configENS1_22reduce_config_selectorIN6thrust23THRUST_200600_302600_NS5tupleIblNS6_9null_typeES8_S8_S8_S8_S8_S8_S8_EEEEZNS1_11reduce_implILb1ES3_PS9_SC_S9_NS6_11hip_rocprim9__find_if7functorIS9_EEEE10hipError_tPvRmT1_T2_T3_mT4_P12ihipStream_tbEUlT_E0_NS1_11comp_targetILNS1_3genE5ELNS1_11target_archE942ELNS1_3gpuE9ELNS1_3repE0EEENS1_30default_config_static_selectorELNS0_4arch9wavefront6targetE1EEEvSK_
	.p2align	8
	.type	_ZN7rocprim17ROCPRIM_400000_NS6detail17trampoline_kernelINS0_14default_configENS1_22reduce_config_selectorIN6thrust23THRUST_200600_302600_NS5tupleIblNS6_9null_typeES8_S8_S8_S8_S8_S8_S8_EEEEZNS1_11reduce_implILb1ES3_PS9_SC_S9_NS6_11hip_rocprim9__find_if7functorIS9_EEEE10hipError_tPvRmT1_T2_T3_mT4_P12ihipStream_tbEUlT_E0_NS1_11comp_targetILNS1_3genE5ELNS1_11target_archE942ELNS1_3gpuE9ELNS1_3repE0EEENS1_30default_config_static_selectorELNS0_4arch9wavefront6targetE1EEEvSK_,@function
_ZN7rocprim17ROCPRIM_400000_NS6detail17trampoline_kernelINS0_14default_configENS1_22reduce_config_selectorIN6thrust23THRUST_200600_302600_NS5tupleIblNS6_9null_typeES8_S8_S8_S8_S8_S8_S8_EEEEZNS1_11reduce_implILb1ES3_PS9_SC_S9_NS6_11hip_rocprim9__find_if7functorIS9_EEEE10hipError_tPvRmT1_T2_T3_mT4_P12ihipStream_tbEUlT_E0_NS1_11comp_targetILNS1_3genE5ELNS1_11target_archE942ELNS1_3gpuE9ELNS1_3repE0EEENS1_30default_config_static_selectorELNS0_4arch9wavefront6targetE1EEEvSK_: ; @_ZN7rocprim17ROCPRIM_400000_NS6detail17trampoline_kernelINS0_14default_configENS1_22reduce_config_selectorIN6thrust23THRUST_200600_302600_NS5tupleIblNS6_9null_typeES8_S8_S8_S8_S8_S8_S8_EEEEZNS1_11reduce_implILb1ES3_PS9_SC_S9_NS6_11hip_rocprim9__find_if7functorIS9_EEEE10hipError_tPvRmT1_T2_T3_mT4_P12ihipStream_tbEUlT_E0_NS1_11comp_targetILNS1_3genE5ELNS1_11target_archE942ELNS1_3gpuE9ELNS1_3repE0EEENS1_30default_config_static_selectorELNS0_4arch9wavefront6targetE1EEEvSK_
; %bb.0:
	.section	.rodata,"a",@progbits
	.p2align	6, 0x0
	.amdhsa_kernel _ZN7rocprim17ROCPRIM_400000_NS6detail17trampoline_kernelINS0_14default_configENS1_22reduce_config_selectorIN6thrust23THRUST_200600_302600_NS5tupleIblNS6_9null_typeES8_S8_S8_S8_S8_S8_S8_EEEEZNS1_11reduce_implILb1ES3_PS9_SC_S9_NS6_11hip_rocprim9__find_if7functorIS9_EEEE10hipError_tPvRmT1_T2_T3_mT4_P12ihipStream_tbEUlT_E0_NS1_11comp_targetILNS1_3genE5ELNS1_11target_archE942ELNS1_3gpuE9ELNS1_3repE0EEENS1_30default_config_static_selectorELNS0_4arch9wavefront6targetE1EEEvSK_
		.amdhsa_group_segment_fixed_size 0
		.amdhsa_private_segment_fixed_size 0
		.amdhsa_kernarg_size 72
		.amdhsa_user_sgpr_count 6
		.amdhsa_user_sgpr_private_segment_buffer 1
		.amdhsa_user_sgpr_dispatch_ptr 0
		.amdhsa_user_sgpr_queue_ptr 0
		.amdhsa_user_sgpr_kernarg_segment_ptr 1
		.amdhsa_user_sgpr_dispatch_id 0
		.amdhsa_user_sgpr_flat_scratch_init 0
		.amdhsa_user_sgpr_private_segment_size 0
		.amdhsa_uses_dynamic_stack 0
		.amdhsa_system_sgpr_private_segment_wavefront_offset 0
		.amdhsa_system_sgpr_workgroup_id_x 1
		.amdhsa_system_sgpr_workgroup_id_y 0
		.amdhsa_system_sgpr_workgroup_id_z 0
		.amdhsa_system_sgpr_workgroup_info 0
		.amdhsa_system_vgpr_workitem_id 0
		.amdhsa_next_free_vgpr 1
		.amdhsa_next_free_sgpr 0
		.amdhsa_reserve_vcc 0
		.amdhsa_reserve_flat_scratch 0
		.amdhsa_float_round_mode_32 0
		.amdhsa_float_round_mode_16_64 0
		.amdhsa_float_denorm_mode_32 3
		.amdhsa_float_denorm_mode_16_64 3
		.amdhsa_dx10_clamp 1
		.amdhsa_ieee_mode 1
		.amdhsa_fp16_overflow 0
		.amdhsa_exception_fp_ieee_invalid_op 0
		.amdhsa_exception_fp_denorm_src 0
		.amdhsa_exception_fp_ieee_div_zero 0
		.amdhsa_exception_fp_ieee_overflow 0
		.amdhsa_exception_fp_ieee_underflow 0
		.amdhsa_exception_fp_ieee_inexact 0
		.amdhsa_exception_int_div_zero 0
	.end_amdhsa_kernel
	.section	.text._ZN7rocprim17ROCPRIM_400000_NS6detail17trampoline_kernelINS0_14default_configENS1_22reduce_config_selectorIN6thrust23THRUST_200600_302600_NS5tupleIblNS6_9null_typeES8_S8_S8_S8_S8_S8_S8_EEEEZNS1_11reduce_implILb1ES3_PS9_SC_S9_NS6_11hip_rocprim9__find_if7functorIS9_EEEE10hipError_tPvRmT1_T2_T3_mT4_P12ihipStream_tbEUlT_E0_NS1_11comp_targetILNS1_3genE5ELNS1_11target_archE942ELNS1_3gpuE9ELNS1_3repE0EEENS1_30default_config_static_selectorELNS0_4arch9wavefront6targetE1EEEvSK_,"axG",@progbits,_ZN7rocprim17ROCPRIM_400000_NS6detail17trampoline_kernelINS0_14default_configENS1_22reduce_config_selectorIN6thrust23THRUST_200600_302600_NS5tupleIblNS6_9null_typeES8_S8_S8_S8_S8_S8_S8_EEEEZNS1_11reduce_implILb1ES3_PS9_SC_S9_NS6_11hip_rocprim9__find_if7functorIS9_EEEE10hipError_tPvRmT1_T2_T3_mT4_P12ihipStream_tbEUlT_E0_NS1_11comp_targetILNS1_3genE5ELNS1_11target_archE942ELNS1_3gpuE9ELNS1_3repE0EEENS1_30default_config_static_selectorELNS0_4arch9wavefront6targetE1EEEvSK_,comdat
.Lfunc_end409:
	.size	_ZN7rocprim17ROCPRIM_400000_NS6detail17trampoline_kernelINS0_14default_configENS1_22reduce_config_selectorIN6thrust23THRUST_200600_302600_NS5tupleIblNS6_9null_typeES8_S8_S8_S8_S8_S8_S8_EEEEZNS1_11reduce_implILb1ES3_PS9_SC_S9_NS6_11hip_rocprim9__find_if7functorIS9_EEEE10hipError_tPvRmT1_T2_T3_mT4_P12ihipStream_tbEUlT_E0_NS1_11comp_targetILNS1_3genE5ELNS1_11target_archE942ELNS1_3gpuE9ELNS1_3repE0EEENS1_30default_config_static_selectorELNS0_4arch9wavefront6targetE1EEEvSK_, .Lfunc_end409-_ZN7rocprim17ROCPRIM_400000_NS6detail17trampoline_kernelINS0_14default_configENS1_22reduce_config_selectorIN6thrust23THRUST_200600_302600_NS5tupleIblNS6_9null_typeES8_S8_S8_S8_S8_S8_S8_EEEEZNS1_11reduce_implILb1ES3_PS9_SC_S9_NS6_11hip_rocprim9__find_if7functorIS9_EEEE10hipError_tPvRmT1_T2_T3_mT4_P12ihipStream_tbEUlT_E0_NS1_11comp_targetILNS1_3genE5ELNS1_11target_archE942ELNS1_3gpuE9ELNS1_3repE0EEENS1_30default_config_static_selectorELNS0_4arch9wavefront6targetE1EEEvSK_
                                        ; -- End function
	.set _ZN7rocprim17ROCPRIM_400000_NS6detail17trampoline_kernelINS0_14default_configENS1_22reduce_config_selectorIN6thrust23THRUST_200600_302600_NS5tupleIblNS6_9null_typeES8_S8_S8_S8_S8_S8_S8_EEEEZNS1_11reduce_implILb1ES3_PS9_SC_S9_NS6_11hip_rocprim9__find_if7functorIS9_EEEE10hipError_tPvRmT1_T2_T3_mT4_P12ihipStream_tbEUlT_E0_NS1_11comp_targetILNS1_3genE5ELNS1_11target_archE942ELNS1_3gpuE9ELNS1_3repE0EEENS1_30default_config_static_selectorELNS0_4arch9wavefront6targetE1EEEvSK_.num_vgpr, 0
	.set _ZN7rocprim17ROCPRIM_400000_NS6detail17trampoline_kernelINS0_14default_configENS1_22reduce_config_selectorIN6thrust23THRUST_200600_302600_NS5tupleIblNS6_9null_typeES8_S8_S8_S8_S8_S8_S8_EEEEZNS1_11reduce_implILb1ES3_PS9_SC_S9_NS6_11hip_rocprim9__find_if7functorIS9_EEEE10hipError_tPvRmT1_T2_T3_mT4_P12ihipStream_tbEUlT_E0_NS1_11comp_targetILNS1_3genE5ELNS1_11target_archE942ELNS1_3gpuE9ELNS1_3repE0EEENS1_30default_config_static_selectorELNS0_4arch9wavefront6targetE1EEEvSK_.num_agpr, 0
	.set _ZN7rocprim17ROCPRIM_400000_NS6detail17trampoline_kernelINS0_14default_configENS1_22reduce_config_selectorIN6thrust23THRUST_200600_302600_NS5tupleIblNS6_9null_typeES8_S8_S8_S8_S8_S8_S8_EEEEZNS1_11reduce_implILb1ES3_PS9_SC_S9_NS6_11hip_rocprim9__find_if7functorIS9_EEEE10hipError_tPvRmT1_T2_T3_mT4_P12ihipStream_tbEUlT_E0_NS1_11comp_targetILNS1_3genE5ELNS1_11target_archE942ELNS1_3gpuE9ELNS1_3repE0EEENS1_30default_config_static_selectorELNS0_4arch9wavefront6targetE1EEEvSK_.numbered_sgpr, 0
	.set _ZN7rocprim17ROCPRIM_400000_NS6detail17trampoline_kernelINS0_14default_configENS1_22reduce_config_selectorIN6thrust23THRUST_200600_302600_NS5tupleIblNS6_9null_typeES8_S8_S8_S8_S8_S8_S8_EEEEZNS1_11reduce_implILb1ES3_PS9_SC_S9_NS6_11hip_rocprim9__find_if7functorIS9_EEEE10hipError_tPvRmT1_T2_T3_mT4_P12ihipStream_tbEUlT_E0_NS1_11comp_targetILNS1_3genE5ELNS1_11target_archE942ELNS1_3gpuE9ELNS1_3repE0EEENS1_30default_config_static_selectorELNS0_4arch9wavefront6targetE1EEEvSK_.num_named_barrier, 0
	.set _ZN7rocprim17ROCPRIM_400000_NS6detail17trampoline_kernelINS0_14default_configENS1_22reduce_config_selectorIN6thrust23THRUST_200600_302600_NS5tupleIblNS6_9null_typeES8_S8_S8_S8_S8_S8_S8_EEEEZNS1_11reduce_implILb1ES3_PS9_SC_S9_NS6_11hip_rocprim9__find_if7functorIS9_EEEE10hipError_tPvRmT1_T2_T3_mT4_P12ihipStream_tbEUlT_E0_NS1_11comp_targetILNS1_3genE5ELNS1_11target_archE942ELNS1_3gpuE9ELNS1_3repE0EEENS1_30default_config_static_selectorELNS0_4arch9wavefront6targetE1EEEvSK_.private_seg_size, 0
	.set _ZN7rocprim17ROCPRIM_400000_NS6detail17trampoline_kernelINS0_14default_configENS1_22reduce_config_selectorIN6thrust23THRUST_200600_302600_NS5tupleIblNS6_9null_typeES8_S8_S8_S8_S8_S8_S8_EEEEZNS1_11reduce_implILb1ES3_PS9_SC_S9_NS6_11hip_rocprim9__find_if7functorIS9_EEEE10hipError_tPvRmT1_T2_T3_mT4_P12ihipStream_tbEUlT_E0_NS1_11comp_targetILNS1_3genE5ELNS1_11target_archE942ELNS1_3gpuE9ELNS1_3repE0EEENS1_30default_config_static_selectorELNS0_4arch9wavefront6targetE1EEEvSK_.uses_vcc, 0
	.set _ZN7rocprim17ROCPRIM_400000_NS6detail17trampoline_kernelINS0_14default_configENS1_22reduce_config_selectorIN6thrust23THRUST_200600_302600_NS5tupleIblNS6_9null_typeES8_S8_S8_S8_S8_S8_S8_EEEEZNS1_11reduce_implILb1ES3_PS9_SC_S9_NS6_11hip_rocprim9__find_if7functorIS9_EEEE10hipError_tPvRmT1_T2_T3_mT4_P12ihipStream_tbEUlT_E0_NS1_11comp_targetILNS1_3genE5ELNS1_11target_archE942ELNS1_3gpuE9ELNS1_3repE0EEENS1_30default_config_static_selectorELNS0_4arch9wavefront6targetE1EEEvSK_.uses_flat_scratch, 0
	.set _ZN7rocprim17ROCPRIM_400000_NS6detail17trampoline_kernelINS0_14default_configENS1_22reduce_config_selectorIN6thrust23THRUST_200600_302600_NS5tupleIblNS6_9null_typeES8_S8_S8_S8_S8_S8_S8_EEEEZNS1_11reduce_implILb1ES3_PS9_SC_S9_NS6_11hip_rocprim9__find_if7functorIS9_EEEE10hipError_tPvRmT1_T2_T3_mT4_P12ihipStream_tbEUlT_E0_NS1_11comp_targetILNS1_3genE5ELNS1_11target_archE942ELNS1_3gpuE9ELNS1_3repE0EEENS1_30default_config_static_selectorELNS0_4arch9wavefront6targetE1EEEvSK_.has_dyn_sized_stack, 0
	.set _ZN7rocprim17ROCPRIM_400000_NS6detail17trampoline_kernelINS0_14default_configENS1_22reduce_config_selectorIN6thrust23THRUST_200600_302600_NS5tupleIblNS6_9null_typeES8_S8_S8_S8_S8_S8_S8_EEEEZNS1_11reduce_implILb1ES3_PS9_SC_S9_NS6_11hip_rocprim9__find_if7functorIS9_EEEE10hipError_tPvRmT1_T2_T3_mT4_P12ihipStream_tbEUlT_E0_NS1_11comp_targetILNS1_3genE5ELNS1_11target_archE942ELNS1_3gpuE9ELNS1_3repE0EEENS1_30default_config_static_selectorELNS0_4arch9wavefront6targetE1EEEvSK_.has_recursion, 0
	.set _ZN7rocprim17ROCPRIM_400000_NS6detail17trampoline_kernelINS0_14default_configENS1_22reduce_config_selectorIN6thrust23THRUST_200600_302600_NS5tupleIblNS6_9null_typeES8_S8_S8_S8_S8_S8_S8_EEEEZNS1_11reduce_implILb1ES3_PS9_SC_S9_NS6_11hip_rocprim9__find_if7functorIS9_EEEE10hipError_tPvRmT1_T2_T3_mT4_P12ihipStream_tbEUlT_E0_NS1_11comp_targetILNS1_3genE5ELNS1_11target_archE942ELNS1_3gpuE9ELNS1_3repE0EEENS1_30default_config_static_selectorELNS0_4arch9wavefront6targetE1EEEvSK_.has_indirect_call, 0
	.section	.AMDGPU.csdata,"",@progbits
; Kernel info:
; codeLenInByte = 0
; TotalNumSgprs: 4
; NumVgprs: 0
; ScratchSize: 0
; MemoryBound: 0
; FloatMode: 240
; IeeeMode: 1
; LDSByteSize: 0 bytes/workgroup (compile time only)
; SGPRBlocks: 0
; VGPRBlocks: 0
; NumSGPRsForWavesPerEU: 4
; NumVGPRsForWavesPerEU: 1
; Occupancy: 10
; WaveLimiterHint : 0
; COMPUTE_PGM_RSRC2:SCRATCH_EN: 0
; COMPUTE_PGM_RSRC2:USER_SGPR: 6
; COMPUTE_PGM_RSRC2:TRAP_HANDLER: 0
; COMPUTE_PGM_RSRC2:TGID_X_EN: 1
; COMPUTE_PGM_RSRC2:TGID_Y_EN: 0
; COMPUTE_PGM_RSRC2:TGID_Z_EN: 0
; COMPUTE_PGM_RSRC2:TIDIG_COMP_CNT: 0
	.section	.text._ZN7rocprim17ROCPRIM_400000_NS6detail17trampoline_kernelINS0_14default_configENS1_22reduce_config_selectorIN6thrust23THRUST_200600_302600_NS5tupleIblNS6_9null_typeES8_S8_S8_S8_S8_S8_S8_EEEEZNS1_11reduce_implILb1ES3_PS9_SC_S9_NS6_11hip_rocprim9__find_if7functorIS9_EEEE10hipError_tPvRmT1_T2_T3_mT4_P12ihipStream_tbEUlT_E0_NS1_11comp_targetILNS1_3genE4ELNS1_11target_archE910ELNS1_3gpuE8ELNS1_3repE0EEENS1_30default_config_static_selectorELNS0_4arch9wavefront6targetE1EEEvSK_,"axG",@progbits,_ZN7rocprim17ROCPRIM_400000_NS6detail17trampoline_kernelINS0_14default_configENS1_22reduce_config_selectorIN6thrust23THRUST_200600_302600_NS5tupleIblNS6_9null_typeES8_S8_S8_S8_S8_S8_S8_EEEEZNS1_11reduce_implILb1ES3_PS9_SC_S9_NS6_11hip_rocprim9__find_if7functorIS9_EEEE10hipError_tPvRmT1_T2_T3_mT4_P12ihipStream_tbEUlT_E0_NS1_11comp_targetILNS1_3genE4ELNS1_11target_archE910ELNS1_3gpuE8ELNS1_3repE0EEENS1_30default_config_static_selectorELNS0_4arch9wavefront6targetE1EEEvSK_,comdat
	.protected	_ZN7rocprim17ROCPRIM_400000_NS6detail17trampoline_kernelINS0_14default_configENS1_22reduce_config_selectorIN6thrust23THRUST_200600_302600_NS5tupleIblNS6_9null_typeES8_S8_S8_S8_S8_S8_S8_EEEEZNS1_11reduce_implILb1ES3_PS9_SC_S9_NS6_11hip_rocprim9__find_if7functorIS9_EEEE10hipError_tPvRmT1_T2_T3_mT4_P12ihipStream_tbEUlT_E0_NS1_11comp_targetILNS1_3genE4ELNS1_11target_archE910ELNS1_3gpuE8ELNS1_3repE0EEENS1_30default_config_static_selectorELNS0_4arch9wavefront6targetE1EEEvSK_ ; -- Begin function _ZN7rocprim17ROCPRIM_400000_NS6detail17trampoline_kernelINS0_14default_configENS1_22reduce_config_selectorIN6thrust23THRUST_200600_302600_NS5tupleIblNS6_9null_typeES8_S8_S8_S8_S8_S8_S8_EEEEZNS1_11reduce_implILb1ES3_PS9_SC_S9_NS6_11hip_rocprim9__find_if7functorIS9_EEEE10hipError_tPvRmT1_T2_T3_mT4_P12ihipStream_tbEUlT_E0_NS1_11comp_targetILNS1_3genE4ELNS1_11target_archE910ELNS1_3gpuE8ELNS1_3repE0EEENS1_30default_config_static_selectorELNS0_4arch9wavefront6targetE1EEEvSK_
	.globl	_ZN7rocprim17ROCPRIM_400000_NS6detail17trampoline_kernelINS0_14default_configENS1_22reduce_config_selectorIN6thrust23THRUST_200600_302600_NS5tupleIblNS6_9null_typeES8_S8_S8_S8_S8_S8_S8_EEEEZNS1_11reduce_implILb1ES3_PS9_SC_S9_NS6_11hip_rocprim9__find_if7functorIS9_EEEE10hipError_tPvRmT1_T2_T3_mT4_P12ihipStream_tbEUlT_E0_NS1_11comp_targetILNS1_3genE4ELNS1_11target_archE910ELNS1_3gpuE8ELNS1_3repE0EEENS1_30default_config_static_selectorELNS0_4arch9wavefront6targetE1EEEvSK_
	.p2align	8
	.type	_ZN7rocprim17ROCPRIM_400000_NS6detail17trampoline_kernelINS0_14default_configENS1_22reduce_config_selectorIN6thrust23THRUST_200600_302600_NS5tupleIblNS6_9null_typeES8_S8_S8_S8_S8_S8_S8_EEEEZNS1_11reduce_implILb1ES3_PS9_SC_S9_NS6_11hip_rocprim9__find_if7functorIS9_EEEE10hipError_tPvRmT1_T2_T3_mT4_P12ihipStream_tbEUlT_E0_NS1_11comp_targetILNS1_3genE4ELNS1_11target_archE910ELNS1_3gpuE8ELNS1_3repE0EEENS1_30default_config_static_selectorELNS0_4arch9wavefront6targetE1EEEvSK_,@function
_ZN7rocprim17ROCPRIM_400000_NS6detail17trampoline_kernelINS0_14default_configENS1_22reduce_config_selectorIN6thrust23THRUST_200600_302600_NS5tupleIblNS6_9null_typeES8_S8_S8_S8_S8_S8_S8_EEEEZNS1_11reduce_implILb1ES3_PS9_SC_S9_NS6_11hip_rocprim9__find_if7functorIS9_EEEE10hipError_tPvRmT1_T2_T3_mT4_P12ihipStream_tbEUlT_E0_NS1_11comp_targetILNS1_3genE4ELNS1_11target_archE910ELNS1_3gpuE8ELNS1_3repE0EEENS1_30default_config_static_selectorELNS0_4arch9wavefront6targetE1EEEvSK_: ; @_ZN7rocprim17ROCPRIM_400000_NS6detail17trampoline_kernelINS0_14default_configENS1_22reduce_config_selectorIN6thrust23THRUST_200600_302600_NS5tupleIblNS6_9null_typeES8_S8_S8_S8_S8_S8_S8_EEEEZNS1_11reduce_implILb1ES3_PS9_SC_S9_NS6_11hip_rocprim9__find_if7functorIS9_EEEE10hipError_tPvRmT1_T2_T3_mT4_P12ihipStream_tbEUlT_E0_NS1_11comp_targetILNS1_3genE4ELNS1_11target_archE910ELNS1_3gpuE8ELNS1_3repE0EEENS1_30default_config_static_selectorELNS0_4arch9wavefront6targetE1EEEvSK_
; %bb.0:
	.section	.rodata,"a",@progbits
	.p2align	6, 0x0
	.amdhsa_kernel _ZN7rocprim17ROCPRIM_400000_NS6detail17trampoline_kernelINS0_14default_configENS1_22reduce_config_selectorIN6thrust23THRUST_200600_302600_NS5tupleIblNS6_9null_typeES8_S8_S8_S8_S8_S8_S8_EEEEZNS1_11reduce_implILb1ES3_PS9_SC_S9_NS6_11hip_rocprim9__find_if7functorIS9_EEEE10hipError_tPvRmT1_T2_T3_mT4_P12ihipStream_tbEUlT_E0_NS1_11comp_targetILNS1_3genE4ELNS1_11target_archE910ELNS1_3gpuE8ELNS1_3repE0EEENS1_30default_config_static_selectorELNS0_4arch9wavefront6targetE1EEEvSK_
		.amdhsa_group_segment_fixed_size 0
		.amdhsa_private_segment_fixed_size 0
		.amdhsa_kernarg_size 72
		.amdhsa_user_sgpr_count 6
		.amdhsa_user_sgpr_private_segment_buffer 1
		.amdhsa_user_sgpr_dispatch_ptr 0
		.amdhsa_user_sgpr_queue_ptr 0
		.amdhsa_user_sgpr_kernarg_segment_ptr 1
		.amdhsa_user_sgpr_dispatch_id 0
		.amdhsa_user_sgpr_flat_scratch_init 0
		.amdhsa_user_sgpr_private_segment_size 0
		.amdhsa_uses_dynamic_stack 0
		.amdhsa_system_sgpr_private_segment_wavefront_offset 0
		.amdhsa_system_sgpr_workgroup_id_x 1
		.amdhsa_system_sgpr_workgroup_id_y 0
		.amdhsa_system_sgpr_workgroup_id_z 0
		.amdhsa_system_sgpr_workgroup_info 0
		.amdhsa_system_vgpr_workitem_id 0
		.amdhsa_next_free_vgpr 1
		.amdhsa_next_free_sgpr 0
		.amdhsa_reserve_vcc 0
		.amdhsa_reserve_flat_scratch 0
		.amdhsa_float_round_mode_32 0
		.amdhsa_float_round_mode_16_64 0
		.amdhsa_float_denorm_mode_32 3
		.amdhsa_float_denorm_mode_16_64 3
		.amdhsa_dx10_clamp 1
		.amdhsa_ieee_mode 1
		.amdhsa_fp16_overflow 0
		.amdhsa_exception_fp_ieee_invalid_op 0
		.amdhsa_exception_fp_denorm_src 0
		.amdhsa_exception_fp_ieee_div_zero 0
		.amdhsa_exception_fp_ieee_overflow 0
		.amdhsa_exception_fp_ieee_underflow 0
		.amdhsa_exception_fp_ieee_inexact 0
		.amdhsa_exception_int_div_zero 0
	.end_amdhsa_kernel
	.section	.text._ZN7rocprim17ROCPRIM_400000_NS6detail17trampoline_kernelINS0_14default_configENS1_22reduce_config_selectorIN6thrust23THRUST_200600_302600_NS5tupleIblNS6_9null_typeES8_S8_S8_S8_S8_S8_S8_EEEEZNS1_11reduce_implILb1ES3_PS9_SC_S9_NS6_11hip_rocprim9__find_if7functorIS9_EEEE10hipError_tPvRmT1_T2_T3_mT4_P12ihipStream_tbEUlT_E0_NS1_11comp_targetILNS1_3genE4ELNS1_11target_archE910ELNS1_3gpuE8ELNS1_3repE0EEENS1_30default_config_static_selectorELNS0_4arch9wavefront6targetE1EEEvSK_,"axG",@progbits,_ZN7rocprim17ROCPRIM_400000_NS6detail17trampoline_kernelINS0_14default_configENS1_22reduce_config_selectorIN6thrust23THRUST_200600_302600_NS5tupleIblNS6_9null_typeES8_S8_S8_S8_S8_S8_S8_EEEEZNS1_11reduce_implILb1ES3_PS9_SC_S9_NS6_11hip_rocprim9__find_if7functorIS9_EEEE10hipError_tPvRmT1_T2_T3_mT4_P12ihipStream_tbEUlT_E0_NS1_11comp_targetILNS1_3genE4ELNS1_11target_archE910ELNS1_3gpuE8ELNS1_3repE0EEENS1_30default_config_static_selectorELNS0_4arch9wavefront6targetE1EEEvSK_,comdat
.Lfunc_end410:
	.size	_ZN7rocprim17ROCPRIM_400000_NS6detail17trampoline_kernelINS0_14default_configENS1_22reduce_config_selectorIN6thrust23THRUST_200600_302600_NS5tupleIblNS6_9null_typeES8_S8_S8_S8_S8_S8_S8_EEEEZNS1_11reduce_implILb1ES3_PS9_SC_S9_NS6_11hip_rocprim9__find_if7functorIS9_EEEE10hipError_tPvRmT1_T2_T3_mT4_P12ihipStream_tbEUlT_E0_NS1_11comp_targetILNS1_3genE4ELNS1_11target_archE910ELNS1_3gpuE8ELNS1_3repE0EEENS1_30default_config_static_selectorELNS0_4arch9wavefront6targetE1EEEvSK_, .Lfunc_end410-_ZN7rocprim17ROCPRIM_400000_NS6detail17trampoline_kernelINS0_14default_configENS1_22reduce_config_selectorIN6thrust23THRUST_200600_302600_NS5tupleIblNS6_9null_typeES8_S8_S8_S8_S8_S8_S8_EEEEZNS1_11reduce_implILb1ES3_PS9_SC_S9_NS6_11hip_rocprim9__find_if7functorIS9_EEEE10hipError_tPvRmT1_T2_T3_mT4_P12ihipStream_tbEUlT_E0_NS1_11comp_targetILNS1_3genE4ELNS1_11target_archE910ELNS1_3gpuE8ELNS1_3repE0EEENS1_30default_config_static_selectorELNS0_4arch9wavefront6targetE1EEEvSK_
                                        ; -- End function
	.set _ZN7rocprim17ROCPRIM_400000_NS6detail17trampoline_kernelINS0_14default_configENS1_22reduce_config_selectorIN6thrust23THRUST_200600_302600_NS5tupleIblNS6_9null_typeES8_S8_S8_S8_S8_S8_S8_EEEEZNS1_11reduce_implILb1ES3_PS9_SC_S9_NS6_11hip_rocprim9__find_if7functorIS9_EEEE10hipError_tPvRmT1_T2_T3_mT4_P12ihipStream_tbEUlT_E0_NS1_11comp_targetILNS1_3genE4ELNS1_11target_archE910ELNS1_3gpuE8ELNS1_3repE0EEENS1_30default_config_static_selectorELNS0_4arch9wavefront6targetE1EEEvSK_.num_vgpr, 0
	.set _ZN7rocprim17ROCPRIM_400000_NS6detail17trampoline_kernelINS0_14default_configENS1_22reduce_config_selectorIN6thrust23THRUST_200600_302600_NS5tupleIblNS6_9null_typeES8_S8_S8_S8_S8_S8_S8_EEEEZNS1_11reduce_implILb1ES3_PS9_SC_S9_NS6_11hip_rocprim9__find_if7functorIS9_EEEE10hipError_tPvRmT1_T2_T3_mT4_P12ihipStream_tbEUlT_E0_NS1_11comp_targetILNS1_3genE4ELNS1_11target_archE910ELNS1_3gpuE8ELNS1_3repE0EEENS1_30default_config_static_selectorELNS0_4arch9wavefront6targetE1EEEvSK_.num_agpr, 0
	.set _ZN7rocprim17ROCPRIM_400000_NS6detail17trampoline_kernelINS0_14default_configENS1_22reduce_config_selectorIN6thrust23THRUST_200600_302600_NS5tupleIblNS6_9null_typeES8_S8_S8_S8_S8_S8_S8_EEEEZNS1_11reduce_implILb1ES3_PS9_SC_S9_NS6_11hip_rocprim9__find_if7functorIS9_EEEE10hipError_tPvRmT1_T2_T3_mT4_P12ihipStream_tbEUlT_E0_NS1_11comp_targetILNS1_3genE4ELNS1_11target_archE910ELNS1_3gpuE8ELNS1_3repE0EEENS1_30default_config_static_selectorELNS0_4arch9wavefront6targetE1EEEvSK_.numbered_sgpr, 0
	.set _ZN7rocprim17ROCPRIM_400000_NS6detail17trampoline_kernelINS0_14default_configENS1_22reduce_config_selectorIN6thrust23THRUST_200600_302600_NS5tupleIblNS6_9null_typeES8_S8_S8_S8_S8_S8_S8_EEEEZNS1_11reduce_implILb1ES3_PS9_SC_S9_NS6_11hip_rocprim9__find_if7functorIS9_EEEE10hipError_tPvRmT1_T2_T3_mT4_P12ihipStream_tbEUlT_E0_NS1_11comp_targetILNS1_3genE4ELNS1_11target_archE910ELNS1_3gpuE8ELNS1_3repE0EEENS1_30default_config_static_selectorELNS0_4arch9wavefront6targetE1EEEvSK_.num_named_barrier, 0
	.set _ZN7rocprim17ROCPRIM_400000_NS6detail17trampoline_kernelINS0_14default_configENS1_22reduce_config_selectorIN6thrust23THRUST_200600_302600_NS5tupleIblNS6_9null_typeES8_S8_S8_S8_S8_S8_S8_EEEEZNS1_11reduce_implILb1ES3_PS9_SC_S9_NS6_11hip_rocprim9__find_if7functorIS9_EEEE10hipError_tPvRmT1_T2_T3_mT4_P12ihipStream_tbEUlT_E0_NS1_11comp_targetILNS1_3genE4ELNS1_11target_archE910ELNS1_3gpuE8ELNS1_3repE0EEENS1_30default_config_static_selectorELNS0_4arch9wavefront6targetE1EEEvSK_.private_seg_size, 0
	.set _ZN7rocprim17ROCPRIM_400000_NS6detail17trampoline_kernelINS0_14default_configENS1_22reduce_config_selectorIN6thrust23THRUST_200600_302600_NS5tupleIblNS6_9null_typeES8_S8_S8_S8_S8_S8_S8_EEEEZNS1_11reduce_implILb1ES3_PS9_SC_S9_NS6_11hip_rocprim9__find_if7functorIS9_EEEE10hipError_tPvRmT1_T2_T3_mT4_P12ihipStream_tbEUlT_E0_NS1_11comp_targetILNS1_3genE4ELNS1_11target_archE910ELNS1_3gpuE8ELNS1_3repE0EEENS1_30default_config_static_selectorELNS0_4arch9wavefront6targetE1EEEvSK_.uses_vcc, 0
	.set _ZN7rocprim17ROCPRIM_400000_NS6detail17trampoline_kernelINS0_14default_configENS1_22reduce_config_selectorIN6thrust23THRUST_200600_302600_NS5tupleIblNS6_9null_typeES8_S8_S8_S8_S8_S8_S8_EEEEZNS1_11reduce_implILb1ES3_PS9_SC_S9_NS6_11hip_rocprim9__find_if7functorIS9_EEEE10hipError_tPvRmT1_T2_T3_mT4_P12ihipStream_tbEUlT_E0_NS1_11comp_targetILNS1_3genE4ELNS1_11target_archE910ELNS1_3gpuE8ELNS1_3repE0EEENS1_30default_config_static_selectorELNS0_4arch9wavefront6targetE1EEEvSK_.uses_flat_scratch, 0
	.set _ZN7rocprim17ROCPRIM_400000_NS6detail17trampoline_kernelINS0_14default_configENS1_22reduce_config_selectorIN6thrust23THRUST_200600_302600_NS5tupleIblNS6_9null_typeES8_S8_S8_S8_S8_S8_S8_EEEEZNS1_11reduce_implILb1ES3_PS9_SC_S9_NS6_11hip_rocprim9__find_if7functorIS9_EEEE10hipError_tPvRmT1_T2_T3_mT4_P12ihipStream_tbEUlT_E0_NS1_11comp_targetILNS1_3genE4ELNS1_11target_archE910ELNS1_3gpuE8ELNS1_3repE0EEENS1_30default_config_static_selectorELNS0_4arch9wavefront6targetE1EEEvSK_.has_dyn_sized_stack, 0
	.set _ZN7rocprim17ROCPRIM_400000_NS6detail17trampoline_kernelINS0_14default_configENS1_22reduce_config_selectorIN6thrust23THRUST_200600_302600_NS5tupleIblNS6_9null_typeES8_S8_S8_S8_S8_S8_S8_EEEEZNS1_11reduce_implILb1ES3_PS9_SC_S9_NS6_11hip_rocprim9__find_if7functorIS9_EEEE10hipError_tPvRmT1_T2_T3_mT4_P12ihipStream_tbEUlT_E0_NS1_11comp_targetILNS1_3genE4ELNS1_11target_archE910ELNS1_3gpuE8ELNS1_3repE0EEENS1_30default_config_static_selectorELNS0_4arch9wavefront6targetE1EEEvSK_.has_recursion, 0
	.set _ZN7rocprim17ROCPRIM_400000_NS6detail17trampoline_kernelINS0_14default_configENS1_22reduce_config_selectorIN6thrust23THRUST_200600_302600_NS5tupleIblNS6_9null_typeES8_S8_S8_S8_S8_S8_S8_EEEEZNS1_11reduce_implILb1ES3_PS9_SC_S9_NS6_11hip_rocprim9__find_if7functorIS9_EEEE10hipError_tPvRmT1_T2_T3_mT4_P12ihipStream_tbEUlT_E0_NS1_11comp_targetILNS1_3genE4ELNS1_11target_archE910ELNS1_3gpuE8ELNS1_3repE0EEENS1_30default_config_static_selectorELNS0_4arch9wavefront6targetE1EEEvSK_.has_indirect_call, 0
	.section	.AMDGPU.csdata,"",@progbits
; Kernel info:
; codeLenInByte = 0
; TotalNumSgprs: 4
; NumVgprs: 0
; ScratchSize: 0
; MemoryBound: 0
; FloatMode: 240
; IeeeMode: 1
; LDSByteSize: 0 bytes/workgroup (compile time only)
; SGPRBlocks: 0
; VGPRBlocks: 0
; NumSGPRsForWavesPerEU: 4
; NumVGPRsForWavesPerEU: 1
; Occupancy: 10
; WaveLimiterHint : 0
; COMPUTE_PGM_RSRC2:SCRATCH_EN: 0
; COMPUTE_PGM_RSRC2:USER_SGPR: 6
; COMPUTE_PGM_RSRC2:TRAP_HANDLER: 0
; COMPUTE_PGM_RSRC2:TGID_X_EN: 1
; COMPUTE_PGM_RSRC2:TGID_Y_EN: 0
; COMPUTE_PGM_RSRC2:TGID_Z_EN: 0
; COMPUTE_PGM_RSRC2:TIDIG_COMP_CNT: 0
	.section	.text._ZN7rocprim17ROCPRIM_400000_NS6detail17trampoline_kernelINS0_14default_configENS1_22reduce_config_selectorIN6thrust23THRUST_200600_302600_NS5tupleIblNS6_9null_typeES8_S8_S8_S8_S8_S8_S8_EEEEZNS1_11reduce_implILb1ES3_PS9_SC_S9_NS6_11hip_rocprim9__find_if7functorIS9_EEEE10hipError_tPvRmT1_T2_T3_mT4_P12ihipStream_tbEUlT_E0_NS1_11comp_targetILNS1_3genE3ELNS1_11target_archE908ELNS1_3gpuE7ELNS1_3repE0EEENS1_30default_config_static_selectorELNS0_4arch9wavefront6targetE1EEEvSK_,"axG",@progbits,_ZN7rocprim17ROCPRIM_400000_NS6detail17trampoline_kernelINS0_14default_configENS1_22reduce_config_selectorIN6thrust23THRUST_200600_302600_NS5tupleIblNS6_9null_typeES8_S8_S8_S8_S8_S8_S8_EEEEZNS1_11reduce_implILb1ES3_PS9_SC_S9_NS6_11hip_rocprim9__find_if7functorIS9_EEEE10hipError_tPvRmT1_T2_T3_mT4_P12ihipStream_tbEUlT_E0_NS1_11comp_targetILNS1_3genE3ELNS1_11target_archE908ELNS1_3gpuE7ELNS1_3repE0EEENS1_30default_config_static_selectorELNS0_4arch9wavefront6targetE1EEEvSK_,comdat
	.protected	_ZN7rocprim17ROCPRIM_400000_NS6detail17trampoline_kernelINS0_14default_configENS1_22reduce_config_selectorIN6thrust23THRUST_200600_302600_NS5tupleIblNS6_9null_typeES8_S8_S8_S8_S8_S8_S8_EEEEZNS1_11reduce_implILb1ES3_PS9_SC_S9_NS6_11hip_rocprim9__find_if7functorIS9_EEEE10hipError_tPvRmT1_T2_T3_mT4_P12ihipStream_tbEUlT_E0_NS1_11comp_targetILNS1_3genE3ELNS1_11target_archE908ELNS1_3gpuE7ELNS1_3repE0EEENS1_30default_config_static_selectorELNS0_4arch9wavefront6targetE1EEEvSK_ ; -- Begin function _ZN7rocprim17ROCPRIM_400000_NS6detail17trampoline_kernelINS0_14default_configENS1_22reduce_config_selectorIN6thrust23THRUST_200600_302600_NS5tupleIblNS6_9null_typeES8_S8_S8_S8_S8_S8_S8_EEEEZNS1_11reduce_implILb1ES3_PS9_SC_S9_NS6_11hip_rocprim9__find_if7functorIS9_EEEE10hipError_tPvRmT1_T2_T3_mT4_P12ihipStream_tbEUlT_E0_NS1_11comp_targetILNS1_3genE3ELNS1_11target_archE908ELNS1_3gpuE7ELNS1_3repE0EEENS1_30default_config_static_selectorELNS0_4arch9wavefront6targetE1EEEvSK_
	.globl	_ZN7rocprim17ROCPRIM_400000_NS6detail17trampoline_kernelINS0_14default_configENS1_22reduce_config_selectorIN6thrust23THRUST_200600_302600_NS5tupleIblNS6_9null_typeES8_S8_S8_S8_S8_S8_S8_EEEEZNS1_11reduce_implILb1ES3_PS9_SC_S9_NS6_11hip_rocprim9__find_if7functorIS9_EEEE10hipError_tPvRmT1_T2_T3_mT4_P12ihipStream_tbEUlT_E0_NS1_11comp_targetILNS1_3genE3ELNS1_11target_archE908ELNS1_3gpuE7ELNS1_3repE0EEENS1_30default_config_static_selectorELNS0_4arch9wavefront6targetE1EEEvSK_
	.p2align	8
	.type	_ZN7rocprim17ROCPRIM_400000_NS6detail17trampoline_kernelINS0_14default_configENS1_22reduce_config_selectorIN6thrust23THRUST_200600_302600_NS5tupleIblNS6_9null_typeES8_S8_S8_S8_S8_S8_S8_EEEEZNS1_11reduce_implILb1ES3_PS9_SC_S9_NS6_11hip_rocprim9__find_if7functorIS9_EEEE10hipError_tPvRmT1_T2_T3_mT4_P12ihipStream_tbEUlT_E0_NS1_11comp_targetILNS1_3genE3ELNS1_11target_archE908ELNS1_3gpuE7ELNS1_3repE0EEENS1_30default_config_static_selectorELNS0_4arch9wavefront6targetE1EEEvSK_,@function
_ZN7rocprim17ROCPRIM_400000_NS6detail17trampoline_kernelINS0_14default_configENS1_22reduce_config_selectorIN6thrust23THRUST_200600_302600_NS5tupleIblNS6_9null_typeES8_S8_S8_S8_S8_S8_S8_EEEEZNS1_11reduce_implILb1ES3_PS9_SC_S9_NS6_11hip_rocprim9__find_if7functorIS9_EEEE10hipError_tPvRmT1_T2_T3_mT4_P12ihipStream_tbEUlT_E0_NS1_11comp_targetILNS1_3genE3ELNS1_11target_archE908ELNS1_3gpuE7ELNS1_3repE0EEENS1_30default_config_static_selectorELNS0_4arch9wavefront6targetE1EEEvSK_: ; @_ZN7rocprim17ROCPRIM_400000_NS6detail17trampoline_kernelINS0_14default_configENS1_22reduce_config_selectorIN6thrust23THRUST_200600_302600_NS5tupleIblNS6_9null_typeES8_S8_S8_S8_S8_S8_S8_EEEEZNS1_11reduce_implILb1ES3_PS9_SC_S9_NS6_11hip_rocprim9__find_if7functorIS9_EEEE10hipError_tPvRmT1_T2_T3_mT4_P12ihipStream_tbEUlT_E0_NS1_11comp_targetILNS1_3genE3ELNS1_11target_archE908ELNS1_3gpuE7ELNS1_3repE0EEENS1_30default_config_static_selectorELNS0_4arch9wavefront6targetE1EEEvSK_
; %bb.0:
	.section	.rodata,"a",@progbits
	.p2align	6, 0x0
	.amdhsa_kernel _ZN7rocprim17ROCPRIM_400000_NS6detail17trampoline_kernelINS0_14default_configENS1_22reduce_config_selectorIN6thrust23THRUST_200600_302600_NS5tupleIblNS6_9null_typeES8_S8_S8_S8_S8_S8_S8_EEEEZNS1_11reduce_implILb1ES3_PS9_SC_S9_NS6_11hip_rocprim9__find_if7functorIS9_EEEE10hipError_tPvRmT1_T2_T3_mT4_P12ihipStream_tbEUlT_E0_NS1_11comp_targetILNS1_3genE3ELNS1_11target_archE908ELNS1_3gpuE7ELNS1_3repE0EEENS1_30default_config_static_selectorELNS0_4arch9wavefront6targetE1EEEvSK_
		.amdhsa_group_segment_fixed_size 0
		.amdhsa_private_segment_fixed_size 0
		.amdhsa_kernarg_size 72
		.amdhsa_user_sgpr_count 6
		.amdhsa_user_sgpr_private_segment_buffer 1
		.amdhsa_user_sgpr_dispatch_ptr 0
		.amdhsa_user_sgpr_queue_ptr 0
		.amdhsa_user_sgpr_kernarg_segment_ptr 1
		.amdhsa_user_sgpr_dispatch_id 0
		.amdhsa_user_sgpr_flat_scratch_init 0
		.amdhsa_user_sgpr_private_segment_size 0
		.amdhsa_uses_dynamic_stack 0
		.amdhsa_system_sgpr_private_segment_wavefront_offset 0
		.amdhsa_system_sgpr_workgroup_id_x 1
		.amdhsa_system_sgpr_workgroup_id_y 0
		.amdhsa_system_sgpr_workgroup_id_z 0
		.amdhsa_system_sgpr_workgroup_info 0
		.amdhsa_system_vgpr_workitem_id 0
		.amdhsa_next_free_vgpr 1
		.amdhsa_next_free_sgpr 0
		.amdhsa_reserve_vcc 0
		.amdhsa_reserve_flat_scratch 0
		.amdhsa_float_round_mode_32 0
		.amdhsa_float_round_mode_16_64 0
		.amdhsa_float_denorm_mode_32 3
		.amdhsa_float_denorm_mode_16_64 3
		.amdhsa_dx10_clamp 1
		.amdhsa_ieee_mode 1
		.amdhsa_fp16_overflow 0
		.amdhsa_exception_fp_ieee_invalid_op 0
		.amdhsa_exception_fp_denorm_src 0
		.amdhsa_exception_fp_ieee_div_zero 0
		.amdhsa_exception_fp_ieee_overflow 0
		.amdhsa_exception_fp_ieee_underflow 0
		.amdhsa_exception_fp_ieee_inexact 0
		.amdhsa_exception_int_div_zero 0
	.end_amdhsa_kernel
	.section	.text._ZN7rocprim17ROCPRIM_400000_NS6detail17trampoline_kernelINS0_14default_configENS1_22reduce_config_selectorIN6thrust23THRUST_200600_302600_NS5tupleIblNS6_9null_typeES8_S8_S8_S8_S8_S8_S8_EEEEZNS1_11reduce_implILb1ES3_PS9_SC_S9_NS6_11hip_rocprim9__find_if7functorIS9_EEEE10hipError_tPvRmT1_T2_T3_mT4_P12ihipStream_tbEUlT_E0_NS1_11comp_targetILNS1_3genE3ELNS1_11target_archE908ELNS1_3gpuE7ELNS1_3repE0EEENS1_30default_config_static_selectorELNS0_4arch9wavefront6targetE1EEEvSK_,"axG",@progbits,_ZN7rocprim17ROCPRIM_400000_NS6detail17trampoline_kernelINS0_14default_configENS1_22reduce_config_selectorIN6thrust23THRUST_200600_302600_NS5tupleIblNS6_9null_typeES8_S8_S8_S8_S8_S8_S8_EEEEZNS1_11reduce_implILb1ES3_PS9_SC_S9_NS6_11hip_rocprim9__find_if7functorIS9_EEEE10hipError_tPvRmT1_T2_T3_mT4_P12ihipStream_tbEUlT_E0_NS1_11comp_targetILNS1_3genE3ELNS1_11target_archE908ELNS1_3gpuE7ELNS1_3repE0EEENS1_30default_config_static_selectorELNS0_4arch9wavefront6targetE1EEEvSK_,comdat
.Lfunc_end411:
	.size	_ZN7rocprim17ROCPRIM_400000_NS6detail17trampoline_kernelINS0_14default_configENS1_22reduce_config_selectorIN6thrust23THRUST_200600_302600_NS5tupleIblNS6_9null_typeES8_S8_S8_S8_S8_S8_S8_EEEEZNS1_11reduce_implILb1ES3_PS9_SC_S9_NS6_11hip_rocprim9__find_if7functorIS9_EEEE10hipError_tPvRmT1_T2_T3_mT4_P12ihipStream_tbEUlT_E0_NS1_11comp_targetILNS1_3genE3ELNS1_11target_archE908ELNS1_3gpuE7ELNS1_3repE0EEENS1_30default_config_static_selectorELNS0_4arch9wavefront6targetE1EEEvSK_, .Lfunc_end411-_ZN7rocprim17ROCPRIM_400000_NS6detail17trampoline_kernelINS0_14default_configENS1_22reduce_config_selectorIN6thrust23THRUST_200600_302600_NS5tupleIblNS6_9null_typeES8_S8_S8_S8_S8_S8_S8_EEEEZNS1_11reduce_implILb1ES3_PS9_SC_S9_NS6_11hip_rocprim9__find_if7functorIS9_EEEE10hipError_tPvRmT1_T2_T3_mT4_P12ihipStream_tbEUlT_E0_NS1_11comp_targetILNS1_3genE3ELNS1_11target_archE908ELNS1_3gpuE7ELNS1_3repE0EEENS1_30default_config_static_selectorELNS0_4arch9wavefront6targetE1EEEvSK_
                                        ; -- End function
	.set _ZN7rocprim17ROCPRIM_400000_NS6detail17trampoline_kernelINS0_14default_configENS1_22reduce_config_selectorIN6thrust23THRUST_200600_302600_NS5tupleIblNS6_9null_typeES8_S8_S8_S8_S8_S8_S8_EEEEZNS1_11reduce_implILb1ES3_PS9_SC_S9_NS6_11hip_rocprim9__find_if7functorIS9_EEEE10hipError_tPvRmT1_T2_T3_mT4_P12ihipStream_tbEUlT_E0_NS1_11comp_targetILNS1_3genE3ELNS1_11target_archE908ELNS1_3gpuE7ELNS1_3repE0EEENS1_30default_config_static_selectorELNS0_4arch9wavefront6targetE1EEEvSK_.num_vgpr, 0
	.set _ZN7rocprim17ROCPRIM_400000_NS6detail17trampoline_kernelINS0_14default_configENS1_22reduce_config_selectorIN6thrust23THRUST_200600_302600_NS5tupleIblNS6_9null_typeES8_S8_S8_S8_S8_S8_S8_EEEEZNS1_11reduce_implILb1ES3_PS9_SC_S9_NS6_11hip_rocprim9__find_if7functorIS9_EEEE10hipError_tPvRmT1_T2_T3_mT4_P12ihipStream_tbEUlT_E0_NS1_11comp_targetILNS1_3genE3ELNS1_11target_archE908ELNS1_3gpuE7ELNS1_3repE0EEENS1_30default_config_static_selectorELNS0_4arch9wavefront6targetE1EEEvSK_.num_agpr, 0
	.set _ZN7rocprim17ROCPRIM_400000_NS6detail17trampoline_kernelINS0_14default_configENS1_22reduce_config_selectorIN6thrust23THRUST_200600_302600_NS5tupleIblNS6_9null_typeES8_S8_S8_S8_S8_S8_S8_EEEEZNS1_11reduce_implILb1ES3_PS9_SC_S9_NS6_11hip_rocprim9__find_if7functorIS9_EEEE10hipError_tPvRmT1_T2_T3_mT4_P12ihipStream_tbEUlT_E0_NS1_11comp_targetILNS1_3genE3ELNS1_11target_archE908ELNS1_3gpuE7ELNS1_3repE0EEENS1_30default_config_static_selectorELNS0_4arch9wavefront6targetE1EEEvSK_.numbered_sgpr, 0
	.set _ZN7rocprim17ROCPRIM_400000_NS6detail17trampoline_kernelINS0_14default_configENS1_22reduce_config_selectorIN6thrust23THRUST_200600_302600_NS5tupleIblNS6_9null_typeES8_S8_S8_S8_S8_S8_S8_EEEEZNS1_11reduce_implILb1ES3_PS9_SC_S9_NS6_11hip_rocprim9__find_if7functorIS9_EEEE10hipError_tPvRmT1_T2_T3_mT4_P12ihipStream_tbEUlT_E0_NS1_11comp_targetILNS1_3genE3ELNS1_11target_archE908ELNS1_3gpuE7ELNS1_3repE0EEENS1_30default_config_static_selectorELNS0_4arch9wavefront6targetE1EEEvSK_.num_named_barrier, 0
	.set _ZN7rocprim17ROCPRIM_400000_NS6detail17trampoline_kernelINS0_14default_configENS1_22reduce_config_selectorIN6thrust23THRUST_200600_302600_NS5tupleIblNS6_9null_typeES8_S8_S8_S8_S8_S8_S8_EEEEZNS1_11reduce_implILb1ES3_PS9_SC_S9_NS6_11hip_rocprim9__find_if7functorIS9_EEEE10hipError_tPvRmT1_T2_T3_mT4_P12ihipStream_tbEUlT_E0_NS1_11comp_targetILNS1_3genE3ELNS1_11target_archE908ELNS1_3gpuE7ELNS1_3repE0EEENS1_30default_config_static_selectorELNS0_4arch9wavefront6targetE1EEEvSK_.private_seg_size, 0
	.set _ZN7rocprim17ROCPRIM_400000_NS6detail17trampoline_kernelINS0_14default_configENS1_22reduce_config_selectorIN6thrust23THRUST_200600_302600_NS5tupleIblNS6_9null_typeES8_S8_S8_S8_S8_S8_S8_EEEEZNS1_11reduce_implILb1ES3_PS9_SC_S9_NS6_11hip_rocprim9__find_if7functorIS9_EEEE10hipError_tPvRmT1_T2_T3_mT4_P12ihipStream_tbEUlT_E0_NS1_11comp_targetILNS1_3genE3ELNS1_11target_archE908ELNS1_3gpuE7ELNS1_3repE0EEENS1_30default_config_static_selectorELNS0_4arch9wavefront6targetE1EEEvSK_.uses_vcc, 0
	.set _ZN7rocprim17ROCPRIM_400000_NS6detail17trampoline_kernelINS0_14default_configENS1_22reduce_config_selectorIN6thrust23THRUST_200600_302600_NS5tupleIblNS6_9null_typeES8_S8_S8_S8_S8_S8_S8_EEEEZNS1_11reduce_implILb1ES3_PS9_SC_S9_NS6_11hip_rocprim9__find_if7functorIS9_EEEE10hipError_tPvRmT1_T2_T3_mT4_P12ihipStream_tbEUlT_E0_NS1_11comp_targetILNS1_3genE3ELNS1_11target_archE908ELNS1_3gpuE7ELNS1_3repE0EEENS1_30default_config_static_selectorELNS0_4arch9wavefront6targetE1EEEvSK_.uses_flat_scratch, 0
	.set _ZN7rocprim17ROCPRIM_400000_NS6detail17trampoline_kernelINS0_14default_configENS1_22reduce_config_selectorIN6thrust23THRUST_200600_302600_NS5tupleIblNS6_9null_typeES8_S8_S8_S8_S8_S8_S8_EEEEZNS1_11reduce_implILb1ES3_PS9_SC_S9_NS6_11hip_rocprim9__find_if7functorIS9_EEEE10hipError_tPvRmT1_T2_T3_mT4_P12ihipStream_tbEUlT_E0_NS1_11comp_targetILNS1_3genE3ELNS1_11target_archE908ELNS1_3gpuE7ELNS1_3repE0EEENS1_30default_config_static_selectorELNS0_4arch9wavefront6targetE1EEEvSK_.has_dyn_sized_stack, 0
	.set _ZN7rocprim17ROCPRIM_400000_NS6detail17trampoline_kernelINS0_14default_configENS1_22reduce_config_selectorIN6thrust23THRUST_200600_302600_NS5tupleIblNS6_9null_typeES8_S8_S8_S8_S8_S8_S8_EEEEZNS1_11reduce_implILb1ES3_PS9_SC_S9_NS6_11hip_rocprim9__find_if7functorIS9_EEEE10hipError_tPvRmT1_T2_T3_mT4_P12ihipStream_tbEUlT_E0_NS1_11comp_targetILNS1_3genE3ELNS1_11target_archE908ELNS1_3gpuE7ELNS1_3repE0EEENS1_30default_config_static_selectorELNS0_4arch9wavefront6targetE1EEEvSK_.has_recursion, 0
	.set _ZN7rocprim17ROCPRIM_400000_NS6detail17trampoline_kernelINS0_14default_configENS1_22reduce_config_selectorIN6thrust23THRUST_200600_302600_NS5tupleIblNS6_9null_typeES8_S8_S8_S8_S8_S8_S8_EEEEZNS1_11reduce_implILb1ES3_PS9_SC_S9_NS6_11hip_rocprim9__find_if7functorIS9_EEEE10hipError_tPvRmT1_T2_T3_mT4_P12ihipStream_tbEUlT_E0_NS1_11comp_targetILNS1_3genE3ELNS1_11target_archE908ELNS1_3gpuE7ELNS1_3repE0EEENS1_30default_config_static_selectorELNS0_4arch9wavefront6targetE1EEEvSK_.has_indirect_call, 0
	.section	.AMDGPU.csdata,"",@progbits
; Kernel info:
; codeLenInByte = 0
; TotalNumSgprs: 4
; NumVgprs: 0
; ScratchSize: 0
; MemoryBound: 0
; FloatMode: 240
; IeeeMode: 1
; LDSByteSize: 0 bytes/workgroup (compile time only)
; SGPRBlocks: 0
; VGPRBlocks: 0
; NumSGPRsForWavesPerEU: 4
; NumVGPRsForWavesPerEU: 1
; Occupancy: 10
; WaveLimiterHint : 0
; COMPUTE_PGM_RSRC2:SCRATCH_EN: 0
; COMPUTE_PGM_RSRC2:USER_SGPR: 6
; COMPUTE_PGM_RSRC2:TRAP_HANDLER: 0
; COMPUTE_PGM_RSRC2:TGID_X_EN: 1
; COMPUTE_PGM_RSRC2:TGID_Y_EN: 0
; COMPUTE_PGM_RSRC2:TGID_Z_EN: 0
; COMPUTE_PGM_RSRC2:TIDIG_COMP_CNT: 0
	.section	.text._ZN7rocprim17ROCPRIM_400000_NS6detail17trampoline_kernelINS0_14default_configENS1_22reduce_config_selectorIN6thrust23THRUST_200600_302600_NS5tupleIblNS6_9null_typeES8_S8_S8_S8_S8_S8_S8_EEEEZNS1_11reduce_implILb1ES3_PS9_SC_S9_NS6_11hip_rocprim9__find_if7functorIS9_EEEE10hipError_tPvRmT1_T2_T3_mT4_P12ihipStream_tbEUlT_E0_NS1_11comp_targetILNS1_3genE2ELNS1_11target_archE906ELNS1_3gpuE6ELNS1_3repE0EEENS1_30default_config_static_selectorELNS0_4arch9wavefront6targetE1EEEvSK_,"axG",@progbits,_ZN7rocprim17ROCPRIM_400000_NS6detail17trampoline_kernelINS0_14default_configENS1_22reduce_config_selectorIN6thrust23THRUST_200600_302600_NS5tupleIblNS6_9null_typeES8_S8_S8_S8_S8_S8_S8_EEEEZNS1_11reduce_implILb1ES3_PS9_SC_S9_NS6_11hip_rocprim9__find_if7functorIS9_EEEE10hipError_tPvRmT1_T2_T3_mT4_P12ihipStream_tbEUlT_E0_NS1_11comp_targetILNS1_3genE2ELNS1_11target_archE906ELNS1_3gpuE6ELNS1_3repE0EEENS1_30default_config_static_selectorELNS0_4arch9wavefront6targetE1EEEvSK_,comdat
	.protected	_ZN7rocprim17ROCPRIM_400000_NS6detail17trampoline_kernelINS0_14default_configENS1_22reduce_config_selectorIN6thrust23THRUST_200600_302600_NS5tupleIblNS6_9null_typeES8_S8_S8_S8_S8_S8_S8_EEEEZNS1_11reduce_implILb1ES3_PS9_SC_S9_NS6_11hip_rocprim9__find_if7functorIS9_EEEE10hipError_tPvRmT1_T2_T3_mT4_P12ihipStream_tbEUlT_E0_NS1_11comp_targetILNS1_3genE2ELNS1_11target_archE906ELNS1_3gpuE6ELNS1_3repE0EEENS1_30default_config_static_selectorELNS0_4arch9wavefront6targetE1EEEvSK_ ; -- Begin function _ZN7rocprim17ROCPRIM_400000_NS6detail17trampoline_kernelINS0_14default_configENS1_22reduce_config_selectorIN6thrust23THRUST_200600_302600_NS5tupleIblNS6_9null_typeES8_S8_S8_S8_S8_S8_S8_EEEEZNS1_11reduce_implILb1ES3_PS9_SC_S9_NS6_11hip_rocprim9__find_if7functorIS9_EEEE10hipError_tPvRmT1_T2_T3_mT4_P12ihipStream_tbEUlT_E0_NS1_11comp_targetILNS1_3genE2ELNS1_11target_archE906ELNS1_3gpuE6ELNS1_3repE0EEENS1_30default_config_static_selectorELNS0_4arch9wavefront6targetE1EEEvSK_
	.globl	_ZN7rocprim17ROCPRIM_400000_NS6detail17trampoline_kernelINS0_14default_configENS1_22reduce_config_selectorIN6thrust23THRUST_200600_302600_NS5tupleIblNS6_9null_typeES8_S8_S8_S8_S8_S8_S8_EEEEZNS1_11reduce_implILb1ES3_PS9_SC_S9_NS6_11hip_rocprim9__find_if7functorIS9_EEEE10hipError_tPvRmT1_T2_T3_mT4_P12ihipStream_tbEUlT_E0_NS1_11comp_targetILNS1_3genE2ELNS1_11target_archE906ELNS1_3gpuE6ELNS1_3repE0EEENS1_30default_config_static_selectorELNS0_4arch9wavefront6targetE1EEEvSK_
	.p2align	8
	.type	_ZN7rocprim17ROCPRIM_400000_NS6detail17trampoline_kernelINS0_14default_configENS1_22reduce_config_selectorIN6thrust23THRUST_200600_302600_NS5tupleIblNS6_9null_typeES8_S8_S8_S8_S8_S8_S8_EEEEZNS1_11reduce_implILb1ES3_PS9_SC_S9_NS6_11hip_rocprim9__find_if7functorIS9_EEEE10hipError_tPvRmT1_T2_T3_mT4_P12ihipStream_tbEUlT_E0_NS1_11comp_targetILNS1_3genE2ELNS1_11target_archE906ELNS1_3gpuE6ELNS1_3repE0EEENS1_30default_config_static_selectorELNS0_4arch9wavefront6targetE1EEEvSK_,@function
_ZN7rocprim17ROCPRIM_400000_NS6detail17trampoline_kernelINS0_14default_configENS1_22reduce_config_selectorIN6thrust23THRUST_200600_302600_NS5tupleIblNS6_9null_typeES8_S8_S8_S8_S8_S8_S8_EEEEZNS1_11reduce_implILb1ES3_PS9_SC_S9_NS6_11hip_rocprim9__find_if7functorIS9_EEEE10hipError_tPvRmT1_T2_T3_mT4_P12ihipStream_tbEUlT_E0_NS1_11comp_targetILNS1_3genE2ELNS1_11target_archE906ELNS1_3gpuE6ELNS1_3repE0EEENS1_30default_config_static_selectorELNS0_4arch9wavefront6targetE1EEEvSK_: ; @_ZN7rocprim17ROCPRIM_400000_NS6detail17trampoline_kernelINS0_14default_configENS1_22reduce_config_selectorIN6thrust23THRUST_200600_302600_NS5tupleIblNS6_9null_typeES8_S8_S8_S8_S8_S8_S8_EEEEZNS1_11reduce_implILb1ES3_PS9_SC_S9_NS6_11hip_rocprim9__find_if7functorIS9_EEEE10hipError_tPvRmT1_T2_T3_mT4_P12ihipStream_tbEUlT_E0_NS1_11comp_targetILNS1_3genE2ELNS1_11target_archE906ELNS1_3gpuE6ELNS1_3repE0EEENS1_30default_config_static_selectorELNS0_4arch9wavefront6targetE1EEEvSK_
; %bb.0:
	s_load_dwordx8 s[12:19], s[4:5], 0x0
	s_load_dwordx4 s[20:23], s[4:5], 0x20
	s_mov_b32 s25, 0
	s_mov_b32 s7, s25
	v_lshlrev_b32_e32 v9, 4, v0
	s_waitcnt lgkmcnt(0)
	s_lshl_b64 s[0:1], s[14:15], 4
	s_add_u32 s8, s12, s0
	s_addc_u32 s9, s13, s1
	s_lshl_b32 s24, s6, 8
	s_lshr_b64 s[0:1], s[16:17], 8
	s_lshl_b64 s[2:3], s[24:25], 4
	s_add_u32 s14, s8, s2
	s_addc_u32 s15, s9, s3
	s_cmp_lg_u64 s[0:1], s[6:7]
	v_mbcnt_lo_u32_b32 v8, -1, 0
	s_cbranch_scc0 .LBB412_10
; %bb.1:
	global_load_ubyte v4, v9, s[14:15]
	global_load_ubyte v10, v9, s[14:15] offset:2048
	global_load_dwordx2 v[1:2], v9, s[14:15] offset:8
	global_load_dwordx2 v[6:7], v9, s[14:15] offset:2056
	v_mbcnt_hi_u32_b32 v3, -1, v8
	v_lshlrev_b32_e32 v5, 2, v3
	v_or_b32_e32 v12, 0xfc, v5
	s_waitcnt vmcnt(3)
	v_and_b32_e32 v4, 1, v4
	s_waitcnt vmcnt(2)
	v_and_b32_e32 v11, 1, v10
	v_cmp_eq_u32_e64 s[0:1], 1, v11
	s_waitcnt vmcnt(0)
	v_cmp_lt_i64_e32 vcc, v[6:7], v[1:2]
	v_cmp_eq_u32_e64 s[2:3], 1, v4
	s_and_b64 vcc, s[0:1], vcc
	v_cndmask_b32_e32 v1, v1, v6, vcc
	v_cndmask_b32_e32 v2, v2, v7, vcc
	v_cndmask_b32_e64 v1, v6, v1, s[2:3]
	v_cndmask_b32_e64 v2, v7, v2, s[2:3]
	;; [unrolled: 1-line block ×3, first 2 shown]
	v_mov_b32_dpp v6, v1 quad_perm:[1,0,3,2] row_mask:0xf bank_mask:0xf bound_ctrl:1
	v_mov_b32_dpp v7, v2 quad_perm:[1,0,3,2] row_mask:0xf bank_mask:0xf bound_ctrl:1
	v_and_b32_e32 v4, 1, v4
	v_cmp_lt_i64_e64 s[0:1], v[1:2], v[6:7]
	v_cmp_eq_u32_e32 vcc, 1, v4
	v_mov_b32_dpp v10, v4 quad_perm:[1,0,3,2] row_mask:0xf bank_mask:0xf bound_ctrl:1
	v_and_b32_e32 v10, 1, v10
	s_and_b64 vcc, vcc, s[0:1]
	v_cndmask_b32_e32 v6, v6, v1, vcc
	v_cndmask_b32_e32 v7, v7, v2, vcc
	v_cmp_eq_u32_e32 vcc, 1, v10
	v_cndmask_b32_e32 v2, v2, v7, vcc
	v_cndmask_b32_e32 v1, v1, v6, vcc
	v_cndmask_b32_e64 v4, v4, 1, vcc
	v_mov_b32_dpp v7, v2 quad_perm:[2,3,0,1] row_mask:0xf bank_mask:0xf bound_ctrl:1
	v_mov_b32_dpp v6, v1 quad_perm:[2,3,0,1] row_mask:0xf bank_mask:0xf bound_ctrl:1
	v_and_b32_e32 v11, 1, v4
	v_cmp_lt_i64_e64 s[0:1], v[1:2], v[6:7]
	v_mov_b32_dpp v10, v4 quad_perm:[2,3,0,1] row_mask:0xf bank_mask:0xf bound_ctrl:1
	v_cmp_eq_u32_e32 vcc, 1, v11
	v_and_b32_e32 v10, 1, v10
	s_and_b64 vcc, vcc, s[0:1]
	v_cmp_eq_u32_e64 s[2:3], 1, v10
	v_cndmask_b32_e32 v6, v6, v1, vcc
	v_cndmask_b32_e32 v7, v7, v2, vcc
	v_cndmask_b32_e64 v1, v1, v6, s[2:3]
	v_cndmask_b32_e64 v2, v2, v7, s[2:3]
	;; [unrolled: 1-line block ×3, first 2 shown]
	v_mov_b32_dpp v6, v1 row_ror:4 row_mask:0xf bank_mask:0xf bound_ctrl:1
	v_mov_b32_dpp v7, v2 row_ror:4 row_mask:0xf bank_mask:0xf bound_ctrl:1
	v_and_b32_e32 v11, 1, v4
	v_cmp_lt_i64_e64 s[2:3], v[1:2], v[6:7]
	v_mov_b32_dpp v10, v4 row_ror:4 row_mask:0xf bank_mask:0xf bound_ctrl:1
	v_cmp_eq_u32_e32 vcc, 1, v11
	v_and_b32_e32 v10, 1, v10
	s_and_b64 vcc, vcc, s[2:3]
	v_cmp_eq_u32_e64 s[0:1], 1, v10
	v_cndmask_b32_e32 v6, v6, v1, vcc
	v_cndmask_b32_e32 v7, v7, v2, vcc
	v_cndmask_b32_e64 v1, v1, v6, s[0:1]
	v_cndmask_b32_e64 v2, v2, v7, s[0:1]
	;; [unrolled: 1-line block ×3, first 2 shown]
	v_mov_b32_dpp v6, v1 row_ror:8 row_mask:0xf bank_mask:0xf bound_ctrl:1
	v_mov_b32_dpp v7, v2 row_ror:8 row_mask:0xf bank_mask:0xf bound_ctrl:1
	v_and_b32_e32 v11, 1, v4
	v_cmp_lt_i64_e64 s[2:3], v[1:2], v[6:7]
	v_mov_b32_dpp v10, v4 row_ror:8 row_mask:0xf bank_mask:0xf bound_ctrl:1
	v_cmp_eq_u32_e64 s[8:9], 1, v11
	v_and_b32_e32 v10, 1, v10
	s_and_b64 s[2:3], s[8:9], s[2:3]
	v_cmp_eq_u32_e64 s[10:11], 1, v10
	v_cndmask_b32_e64 v6, v6, v1, s[2:3]
	v_cndmask_b32_e64 v7, v7, v2, s[2:3]
	;; [unrolled: 1-line block ×5, first 2 shown]
	v_mov_b32_dpp v10, v4 row_bcast:15 row_mask:0xf bank_mask:0xf bound_ctrl:1
	v_mov_b32_dpp v6, v1 row_bcast:15 row_mask:0xf bank_mask:0xf bound_ctrl:1
	;; [unrolled: 1-line block ×3, first 2 shown]
	v_and_b32_e32 v11, 1, v4
	v_and_b32_e32 v10, 1, v10
	v_cmp_lt_i64_e64 s[2:3], v[1:2], v[6:7]
	v_cmp_eq_u32_e32 vcc, 1, v11
	v_cmp_eq_u32_e64 s[0:1], 1, v10
	v_cndmask_b32_e64 v4, v4, 1, s[0:1]
	s_and_b64 vcc, vcc, s[2:3]
	v_cndmask_b32_e32 v6, v6, v1, vcc
	v_mov_b32_dpp v10, v4 row_bcast:31 row_mask:0xf bank_mask:0xf bound_ctrl:1
	v_cndmask_b32_e32 v7, v7, v2, vcc
	v_and_b32_e32 v11, 1, v4
	v_and_b32_e32 v10, 1, v10
	v_cndmask_b32_e64 v1, v1, v6, s[0:1]
	v_cndmask_b32_e64 v2, v2, v7, s[0:1]
	v_cmp_eq_u32_e64 s[12:13], 1, v11
	v_cmp_eq_u32_e64 s[8:9], 1, v10
	v_mov_b32_dpp v10, v1 row_bcast:31 row_mask:0xf bank_mask:0xf bound_ctrl:1
	v_mov_b32_dpp v11, v2 row_bcast:31 row_mask:0xf bank_mask:0xf bound_ctrl:1
	v_cmp_lt_i64_e32 vcc, v[1:2], v[10:11]
	v_cndmask_b32_e64 v4, v4, 1, s[8:9]
	s_and_b64 vcc, s[12:13], vcc
	ds_bpermute_b32 v7, v12, v4
	v_cndmask_b32_e32 v4, v10, v1, vcc
	v_cndmask_b32_e32 v6, v11, v2, vcc
	v_cndmask_b32_e64 v1, v1, v4, s[8:9]
	v_cndmask_b32_e64 v2, v2, v6, s[8:9]
	ds_bpermute_b32 v1, v12, v1
	ds_bpermute_b32 v2, v12, v2
	v_cmp_eq_u32_e32 vcc, 0, v3
	s_and_saveexec_b64 s[0:1], vcc
	s_cbranch_execz .LBB412_3
; %bb.2:
	v_lshrrev_b32_e32 v4, 2, v0
	v_and_b32_e32 v4, 16, v4
	s_waitcnt lgkmcnt(2)
	ds_write_b8 v4, v7
	s_waitcnt lgkmcnt(1)
	ds_write_b64 v4, v[1:2] offset:8
.LBB412_3:
	s_or_b64 exec, exec, s[0:1]
	v_cmp_gt_u32_e32 vcc, 64, v0
	s_waitcnt lgkmcnt(0)
	s_barrier
	s_and_saveexec_b64 s[0:1], vcc
	s_cbranch_execz .LBB412_9
; %bb.4:
	v_and_b32_e32 v1, 1, v3
	v_lshlrev_b32_e32 v1, 4, v1
	ds_read_u8 v10, v1
	ds_read_b64 v[3:4], v1 offset:8
	v_or_b32_e32 v2, 4, v5
	s_waitcnt lgkmcnt(1)
	v_and_b32_e32 v1, 0xff, v10
	ds_bpermute_b32 v11, v2, v1
	s_waitcnt lgkmcnt(1)
	ds_bpermute_b32 v5, v2, v3
	ds_bpermute_b32 v6, v2, v4
	s_waitcnt lgkmcnt(2)
	v_and_b32_e32 v1, v10, v11
	v_and_b32_e32 v1, 1, v1
	v_cmp_eq_u32_e32 vcc, 1, v1
                                        ; implicit-def: $vgpr1_vgpr2
	s_and_saveexec_b64 s[2:3], vcc
	s_xor_b64 s[2:3], exec, s[2:3]
	s_cbranch_execz .LBB412_6
; %bb.5:
	s_waitcnt lgkmcnt(0)
	v_cmp_lt_i64_e32 vcc, v[5:6], v[3:4]
                                        ; implicit-def: $vgpr10
                                        ; implicit-def: $vgpr11
	v_cndmask_b32_e32 v2, v4, v6, vcc
	v_cndmask_b32_e32 v1, v3, v5, vcc
                                        ; implicit-def: $vgpr5_vgpr6
                                        ; implicit-def: $vgpr3_vgpr4
.LBB412_6:
	s_or_saveexec_b64 s[2:3], s[2:3]
	v_mov_b32_e32 v7, 1
	s_xor_b64 exec, exec, s[2:3]
	s_cbranch_execz .LBB412_8
; %bb.7:
	v_and_b32_e32 v1, 1, v10
	v_cmp_eq_u32_e32 vcc, 1, v1
	s_waitcnt lgkmcnt(0)
	v_cndmask_b32_e32 v2, v6, v4, vcc
	v_cndmask_b32_e32 v1, v5, v3, vcc
	v_cndmask_b32_e64 v7, v11, 1, vcc
.LBB412_8:
	s_or_b64 exec, exec, s[2:3]
.LBB412_9:
	s_or_b64 exec, exec, s[0:1]
	s_load_dword s10, s[4:5], 0x30
	s_load_dwordx2 s[8:9], s[4:5], 0x38
	s_branch .LBB412_62
.LBB412_10:
                                        ; implicit-def: $vgpr1_vgpr2
                                        ; implicit-def: $vgpr7
	s_load_dword s10, s[4:5], 0x30
	s_load_dwordx2 s[8:9], s[4:5], 0x38
	s_cbranch_execz .LBB412_62
; %bb.11:
	s_sub_i32 s11, s16, s24
	v_mov_b32_e32 v3, 0
	v_mov_b32_e32 v1, 0
	v_cmp_gt_u32_e32 vcc, s11, v0
	s_waitcnt lgkmcnt(0)
	v_mov_b32_e32 v5, 0
	v_mov_b32_e32 v4, 0
	v_mov_b32_e32 v2, 0
	v_mov_b32_e32 v6, 0
	s_and_saveexec_b64 s[0:1], vcc
	s_cbranch_execz .LBB412_13
; %bb.12:
	global_load_ubyte v6, v9, s[14:15]
	global_load_dwordx2 v[1:2], v9, s[14:15] offset:8
.LBB412_13:
	s_or_b64 exec, exec, s[0:1]
	v_or_b32_e32 v7, 0x80, v0
	v_cmp_gt_u32_e32 vcc, s11, v7
	s_and_saveexec_b64 s[0:1], vcc
	s_cbranch_execz .LBB412_15
; %bb.14:
	global_load_ubyte v5, v9, s[14:15] offset:2048
	global_load_dwordx2 v[3:4], v9, s[14:15] offset:2056
.LBB412_15:
	s_or_b64 exec, exec, s[0:1]
	s_waitcnt vmcnt(1)
	v_and_b32_e32 v9, 0xff, v5
	v_and_b32_e32 v5, 1, v5
	v_cmp_eq_u32_e64 s[0:1], 1, v5
	v_and_b32_e32 v5, 1, v6
	s_waitcnt vmcnt(0)
	v_cmp_lt_i64_e64 s[2:3], v[3:4], v[1:2]
	v_cmp_eq_u32_e64 s[4:5], 1, v5
	v_and_b32_e32 v7, 0xff, v6
	v_cndmask_b32_e64 v5, v9, 1, s[4:5]
	s_and_b64 s[0:1], s[0:1], s[2:3]
	v_cndmask_b32_e64 v6, v2, v4, s[0:1]
	v_cndmask_b32_e64 v9, v1, v3, s[0:1]
	v_cndmask_b32_e32 v7, v7, v5, vcc
	v_mbcnt_hi_u32_b32 v5, -1, v8
	v_cndmask_b32_e64 v3, v3, v9, s[4:5]
	v_cndmask_b32_e64 v4, v4, v6, s[4:5]
	v_and_b32_e32 v6, 63, v5
	v_cndmask_b32_e32 v2, v2, v4, vcc
	v_cndmask_b32_e32 v1, v1, v3, vcc
	v_cmp_ne_u32_e32 vcc, 63, v6
	v_addc_co_u32_e32 v3, vcc, 0, v5, vcc
	v_lshlrev_b32_e32 v4, 2, v3
	ds_bpermute_b32 v9, v4, v7
	ds_bpermute_b32 v3, v4, v1
	;; [unrolled: 1-line block ×3, first 2 shown]
	s_min_u32 s4, s11, 0x80
	v_and_b32_e32 v8, 64, v0
	v_sub_u32_e64 v8, s4, v8 clamp
	v_add_u32_e32 v10, 1, v6
	v_cmp_lt_u32_e32 vcc, v10, v8
	s_and_saveexec_b64 s[0:1], vcc
	s_cbranch_execz .LBB412_21
; %bb.16:
	s_waitcnt lgkmcnt(2)
	v_and_b32_e32 v10, v9, v7
	v_cmp_ne_u32_e32 vcc, 0, v10
	s_and_saveexec_b64 s[2:3], vcc
	s_xor_b64 s[2:3], exec, s[2:3]
	s_cbranch_execz .LBB412_18
; %bb.17:
	s_waitcnt lgkmcnt(0)
	v_cmp_lt_i64_e32 vcc, v[3:4], v[1:2]
                                        ; implicit-def: $vgpr7
                                        ; implicit-def: $vgpr9
	v_cndmask_b32_e32 v2, v2, v4, vcc
	v_cndmask_b32_e32 v1, v1, v3, vcc
                                        ; implicit-def: $vgpr3_vgpr4
.LBB412_18:
	s_or_saveexec_b64 s[2:3], s[2:3]
	v_mov_b32_e32 v10, 1
	s_xor_b64 exec, exec, s[2:3]
	s_cbranch_execz .LBB412_20
; %bb.19:
	v_and_b32_e32 v7, 1, v7
	v_cmp_eq_u32_e32 vcc, 1, v7
	s_waitcnt lgkmcnt(1)
	v_cndmask_b32_e32 v1, v3, v1, vcc
	v_and_b32_e32 v3, 0xff, v9
	s_waitcnt lgkmcnt(0)
	v_cndmask_b32_e32 v2, v4, v2, vcc
	v_cndmask_b32_e64 v10, v3, 1, vcc
.LBB412_20:
	s_or_b64 exec, exec, s[2:3]
	v_mov_b32_e32 v7, v10
.LBB412_21:
	s_or_b64 exec, exec, s[0:1]
	v_cmp_gt_u32_e32 vcc, 62, v6
	s_waitcnt lgkmcnt(1)
	v_cndmask_b32_e64 v3, 0, 2, vcc
	s_waitcnt lgkmcnt(0)
	v_add_lshl_u32 v4, v3, v5, 2
	ds_bpermute_b32 v9, v4, v7
	ds_bpermute_b32 v3, v4, v1
	ds_bpermute_b32 v4, v4, v2
	v_add_u32_e32 v10, 2, v6
	v_cmp_lt_u32_e32 vcc, v10, v8
	s_and_saveexec_b64 s[0:1], vcc
	s_cbranch_execz .LBB412_27
; %bb.22:
	s_waitcnt lgkmcnt(2)
	v_and_b32_e32 v10, v7, v9
	v_and_b32_e32 v10, 1, v10
	v_cmp_eq_u32_e32 vcc, 1, v10
	s_and_saveexec_b64 s[2:3], vcc
	s_xor_b64 s[2:3], exec, s[2:3]
	s_cbranch_execz .LBB412_24
; %bb.23:
	s_waitcnt lgkmcnt(0)
	v_cmp_lt_i64_e32 vcc, v[3:4], v[1:2]
                                        ; implicit-def: $vgpr7
                                        ; implicit-def: $vgpr9
	v_cndmask_b32_e32 v2, v2, v4, vcc
	v_cndmask_b32_e32 v1, v1, v3, vcc
                                        ; implicit-def: $vgpr3_vgpr4
.LBB412_24:
	s_or_saveexec_b64 s[2:3], s[2:3]
	v_mov_b32_e32 v10, 1
	s_xor_b64 exec, exec, s[2:3]
	s_cbranch_execz .LBB412_26
; %bb.25:
	v_and_b32_e32 v7, 1, v7
	v_cmp_eq_u32_e32 vcc, 1, v7
	s_waitcnt lgkmcnt(1)
	v_cndmask_b32_e32 v1, v3, v1, vcc
	v_and_b32_e32 v3, 0xff, v9
	s_waitcnt lgkmcnt(0)
	v_cndmask_b32_e32 v2, v4, v2, vcc
	v_cndmask_b32_e64 v10, v3, 1, vcc
.LBB412_26:
	s_or_b64 exec, exec, s[2:3]
	v_mov_b32_e32 v7, v10
.LBB412_27:
	s_or_b64 exec, exec, s[0:1]
	v_cmp_gt_u32_e32 vcc, 60, v6
	s_waitcnt lgkmcnt(1)
	v_cndmask_b32_e64 v3, 0, 4, vcc
	s_waitcnt lgkmcnt(0)
	v_add_lshl_u32 v4, v3, v5, 2
	ds_bpermute_b32 v9, v4, v7
	ds_bpermute_b32 v3, v4, v1
	ds_bpermute_b32 v4, v4, v2
	v_add_u32_e32 v10, 4, v6
	v_cmp_lt_u32_e32 vcc, v10, v8
	s_and_saveexec_b64 s[0:1], vcc
	s_cbranch_execz .LBB412_33
; %bb.28:
	s_waitcnt lgkmcnt(2)
	v_and_b32_e32 v10, v7, v9
	v_and_b32_e32 v10, 1, v10
	v_cmp_eq_u32_e32 vcc, 1, v10
	s_and_saveexec_b64 s[2:3], vcc
	s_xor_b64 s[2:3], exec, s[2:3]
	s_cbranch_execz .LBB412_30
; %bb.29:
	s_waitcnt lgkmcnt(0)
	v_cmp_lt_i64_e32 vcc, v[3:4], v[1:2]
                                        ; implicit-def: $vgpr7
                                        ; implicit-def: $vgpr9
	v_cndmask_b32_e32 v2, v2, v4, vcc
	v_cndmask_b32_e32 v1, v1, v3, vcc
                                        ; implicit-def: $vgpr3_vgpr4
.LBB412_30:
	s_or_saveexec_b64 s[2:3], s[2:3]
	v_mov_b32_e32 v10, 1
	s_xor_b64 exec, exec, s[2:3]
	s_cbranch_execz .LBB412_32
; %bb.31:
	v_and_b32_e32 v7, 1, v7
	v_cmp_eq_u32_e32 vcc, 1, v7
	s_waitcnt lgkmcnt(1)
	v_cndmask_b32_e32 v1, v3, v1, vcc
	v_and_b32_e32 v3, 0xff, v9
	s_waitcnt lgkmcnt(0)
	v_cndmask_b32_e32 v2, v4, v2, vcc
	v_cndmask_b32_e64 v10, v3, 1, vcc
.LBB412_32:
	s_or_b64 exec, exec, s[2:3]
	v_mov_b32_e32 v7, v10
.LBB412_33:
	;; [unrolled: 47-line block ×4, first 2 shown]
	s_or_b64 exec, exec, s[0:1]
	s_waitcnt lgkmcnt(2)
	v_lshlrev_b32_e32 v9, 2, v5
	s_waitcnt lgkmcnt(0)
	v_or_b32_e32 v4, 0x80, v9
	ds_bpermute_b32 v10, v4, v7
	ds_bpermute_b32 v3, v4, v1
	;; [unrolled: 1-line block ×3, first 2 shown]
	v_add_u32_e32 v6, 32, v6
	v_cmp_lt_u32_e32 vcc, v6, v8
	v_mov_b32_e32 v6, v7
	s_and_saveexec_b64 s[0:1], vcc
	s_cbranch_execz .LBB412_51
; %bb.46:
	s_waitcnt lgkmcnt(2)
	v_and_b32_e32 v6, v7, v10
	v_and_b32_e32 v6, 1, v6
	v_cmp_eq_u32_e32 vcc, 1, v6
	s_and_saveexec_b64 s[2:3], vcc
	s_xor_b64 s[2:3], exec, s[2:3]
	s_cbranch_execz .LBB412_48
; %bb.47:
	s_waitcnt lgkmcnt(0)
	v_cmp_lt_i64_e32 vcc, v[3:4], v[1:2]
                                        ; implicit-def: $vgpr7
                                        ; implicit-def: $vgpr10
	v_cndmask_b32_e32 v2, v2, v4, vcc
	v_cndmask_b32_e32 v1, v1, v3, vcc
                                        ; implicit-def: $vgpr3_vgpr4
.LBB412_48:
	s_or_saveexec_b64 s[2:3], s[2:3]
	v_mov_b32_e32 v6, 1
	s_xor_b64 exec, exec, s[2:3]
	s_cbranch_execz .LBB412_50
; %bb.49:
	v_and_b32_e32 v6, 1, v7
	v_cmp_eq_u32_e32 vcc, 1, v6
	v_cndmask_b32_e64 v6, v10, 1, vcc
	s_waitcnt lgkmcnt(0)
	v_cndmask_b32_e32 v2, v4, v2, vcc
	v_cndmask_b32_e32 v1, v3, v1, vcc
.LBB412_50:
	s_or_b64 exec, exec, s[2:3]
	v_and_b32_e32 v7, 0xff, v6
.LBB412_51:
	s_or_b64 exec, exec, s[0:1]
	v_cmp_eq_u32_e32 vcc, 0, v5
	s_and_saveexec_b64 s[0:1], vcc
	s_cbranch_execz .LBB412_53
; %bb.52:
	s_waitcnt lgkmcnt(1)
	v_lshrrev_b32_e32 v3, 2, v0
	v_and_b32_e32 v3, 16, v3
	ds_write_b8 v3, v6 offset:32
	ds_write_b64 v3, v[1:2] offset:40
.LBB412_53:
	s_or_b64 exec, exec, s[0:1]
	v_cmp_gt_u32_e32 vcc, 2, v0
	s_waitcnt lgkmcnt(0)
	s_barrier
	s_and_saveexec_b64 s[0:1], vcc
	s_cbranch_execz .LBB412_61
; %bb.54:
	v_lshlrev_b32_e32 v1, 4, v5
	ds_read_u8 v6, v1 offset:32
	ds_read_b64 v[1:2], v1 offset:40
	v_or_b32_e32 v4, 4, v9
	s_add_i32 s4, s4, 63
	v_and_b32_e32 v5, 1, v5
	s_waitcnt lgkmcnt(1)
	v_and_b32_e32 v7, 0xff, v6
	s_waitcnt lgkmcnt(0)
	ds_bpermute_b32 v3, v4, v1
	ds_bpermute_b32 v8, v4, v7
	;; [unrolled: 1-line block ×3, first 2 shown]
	s_lshr_b32 s2, s4, 6
	v_add_u32_e32 v5, 1, v5
	v_cmp_gt_u32_e32 vcc, s2, v5
	s_and_saveexec_b64 s[2:3], vcc
	s_cbranch_execz .LBB412_60
; %bb.55:
	s_waitcnt lgkmcnt(1)
	v_and_b32_e32 v5, v7, v8
	v_and_b32_e32 v5, 1, v5
	v_cmp_eq_u32_e32 vcc, 1, v5
	s_and_saveexec_b64 s[4:5], vcc
	s_xor_b64 s[4:5], exec, s[4:5]
	s_cbranch_execz .LBB412_57
; %bb.56:
	s_waitcnt lgkmcnt(0)
	v_cmp_lt_i64_e32 vcc, v[3:4], v[1:2]
                                        ; implicit-def: $vgpr6
                                        ; implicit-def: $vgpr8
	v_cndmask_b32_e32 v2, v2, v4, vcc
	v_cndmask_b32_e32 v1, v1, v3, vcc
                                        ; implicit-def: $vgpr3_vgpr4
.LBB412_57:
	s_or_saveexec_b64 s[4:5], s[4:5]
	v_mov_b32_e32 v7, 1
	s_xor_b64 exec, exec, s[4:5]
	s_cbranch_execz .LBB412_59
; %bb.58:
	v_and_b32_e32 v5, 1, v6
	v_cmp_eq_u32_e32 vcc, 1, v5
	s_waitcnt lgkmcnt(0)
	v_cndmask_b32_e32 v2, v4, v2, vcc
	v_cndmask_b32_e32 v1, v3, v1, vcc
	v_cndmask_b32_e64 v7, v8, 1, vcc
.LBB412_59:
	s_or_b64 exec, exec, s[4:5]
.LBB412_60:
	s_or_b64 exec, exec, s[2:3]
.LBB412_61:
	s_or_b64 exec, exec, s[0:1]
.LBB412_62:
	v_cmp_eq_u32_e32 vcc, 0, v0
	s_and_saveexec_b64 s[0:1], vcc
	s_cbranch_execnz .LBB412_64
; %bb.63:
	s_endpgm
.LBB412_64:
	s_mul_i32 s0, s22, s21
	s_mul_hi_u32 s1, s22, s20
	s_add_i32 s0, s1, s0
	s_mul_i32 s1, s23, s20
	s_add_i32 s1, s0, s1
	s_mul_i32 s0, s22, s20
	s_lshl_b64 s[0:1], s[0:1], 4
	s_add_u32 s2, s18, s0
	s_addc_u32 s3, s19, s1
	s_cmp_eq_u64 s[16:17], 0
	s_waitcnt lgkmcnt(0)
	v_mov_b32_e32 v0, s9
	s_cselect_b64 vcc, -1, 0
	v_cndmask_b32_e32 v2, v2, v0, vcc
	v_mov_b32_e32 v0, s8
	s_lshl_b64 s[0:1], s[6:7], 4
	v_cndmask_b32_e32 v1, v1, v0, vcc
	v_mov_b32_e32 v0, s10
	s_add_u32 s0, s2, s0
	v_cndmask_b32_e32 v0, v7, v0, vcc
	s_addc_u32 s1, s3, s1
	v_mov_b32_e32 v3, 0
	global_store_byte v3, v0, s[0:1]
	global_store_dwordx2 v3, v[1:2], s[0:1] offset:8
	s_endpgm
	.section	.rodata,"a",@progbits
	.p2align	6, 0x0
	.amdhsa_kernel _ZN7rocprim17ROCPRIM_400000_NS6detail17trampoline_kernelINS0_14default_configENS1_22reduce_config_selectorIN6thrust23THRUST_200600_302600_NS5tupleIblNS6_9null_typeES8_S8_S8_S8_S8_S8_S8_EEEEZNS1_11reduce_implILb1ES3_PS9_SC_S9_NS6_11hip_rocprim9__find_if7functorIS9_EEEE10hipError_tPvRmT1_T2_T3_mT4_P12ihipStream_tbEUlT_E0_NS1_11comp_targetILNS1_3genE2ELNS1_11target_archE906ELNS1_3gpuE6ELNS1_3repE0EEENS1_30default_config_static_selectorELNS0_4arch9wavefront6targetE1EEEvSK_
		.amdhsa_group_segment_fixed_size 64
		.amdhsa_private_segment_fixed_size 0
		.amdhsa_kernarg_size 72
		.amdhsa_user_sgpr_count 6
		.amdhsa_user_sgpr_private_segment_buffer 1
		.amdhsa_user_sgpr_dispatch_ptr 0
		.amdhsa_user_sgpr_queue_ptr 0
		.amdhsa_user_sgpr_kernarg_segment_ptr 1
		.amdhsa_user_sgpr_dispatch_id 0
		.amdhsa_user_sgpr_flat_scratch_init 0
		.amdhsa_user_sgpr_private_segment_size 0
		.amdhsa_uses_dynamic_stack 0
		.amdhsa_system_sgpr_private_segment_wavefront_offset 0
		.amdhsa_system_sgpr_workgroup_id_x 1
		.amdhsa_system_sgpr_workgroup_id_y 0
		.amdhsa_system_sgpr_workgroup_id_z 0
		.amdhsa_system_sgpr_workgroup_info 0
		.amdhsa_system_vgpr_workitem_id 0
		.amdhsa_next_free_vgpr 13
		.amdhsa_next_free_sgpr 26
		.amdhsa_reserve_vcc 1
		.amdhsa_reserve_flat_scratch 0
		.amdhsa_float_round_mode_32 0
		.amdhsa_float_round_mode_16_64 0
		.amdhsa_float_denorm_mode_32 3
		.amdhsa_float_denorm_mode_16_64 3
		.amdhsa_dx10_clamp 1
		.amdhsa_ieee_mode 1
		.amdhsa_fp16_overflow 0
		.amdhsa_exception_fp_ieee_invalid_op 0
		.amdhsa_exception_fp_denorm_src 0
		.amdhsa_exception_fp_ieee_div_zero 0
		.amdhsa_exception_fp_ieee_overflow 0
		.amdhsa_exception_fp_ieee_underflow 0
		.amdhsa_exception_fp_ieee_inexact 0
		.amdhsa_exception_int_div_zero 0
	.end_amdhsa_kernel
	.section	.text._ZN7rocprim17ROCPRIM_400000_NS6detail17trampoline_kernelINS0_14default_configENS1_22reduce_config_selectorIN6thrust23THRUST_200600_302600_NS5tupleIblNS6_9null_typeES8_S8_S8_S8_S8_S8_S8_EEEEZNS1_11reduce_implILb1ES3_PS9_SC_S9_NS6_11hip_rocprim9__find_if7functorIS9_EEEE10hipError_tPvRmT1_T2_T3_mT4_P12ihipStream_tbEUlT_E0_NS1_11comp_targetILNS1_3genE2ELNS1_11target_archE906ELNS1_3gpuE6ELNS1_3repE0EEENS1_30default_config_static_selectorELNS0_4arch9wavefront6targetE1EEEvSK_,"axG",@progbits,_ZN7rocprim17ROCPRIM_400000_NS6detail17trampoline_kernelINS0_14default_configENS1_22reduce_config_selectorIN6thrust23THRUST_200600_302600_NS5tupleIblNS6_9null_typeES8_S8_S8_S8_S8_S8_S8_EEEEZNS1_11reduce_implILb1ES3_PS9_SC_S9_NS6_11hip_rocprim9__find_if7functorIS9_EEEE10hipError_tPvRmT1_T2_T3_mT4_P12ihipStream_tbEUlT_E0_NS1_11comp_targetILNS1_3genE2ELNS1_11target_archE906ELNS1_3gpuE6ELNS1_3repE0EEENS1_30default_config_static_selectorELNS0_4arch9wavefront6targetE1EEEvSK_,comdat
.Lfunc_end412:
	.size	_ZN7rocprim17ROCPRIM_400000_NS6detail17trampoline_kernelINS0_14default_configENS1_22reduce_config_selectorIN6thrust23THRUST_200600_302600_NS5tupleIblNS6_9null_typeES8_S8_S8_S8_S8_S8_S8_EEEEZNS1_11reduce_implILb1ES3_PS9_SC_S9_NS6_11hip_rocprim9__find_if7functorIS9_EEEE10hipError_tPvRmT1_T2_T3_mT4_P12ihipStream_tbEUlT_E0_NS1_11comp_targetILNS1_3genE2ELNS1_11target_archE906ELNS1_3gpuE6ELNS1_3repE0EEENS1_30default_config_static_selectorELNS0_4arch9wavefront6targetE1EEEvSK_, .Lfunc_end412-_ZN7rocprim17ROCPRIM_400000_NS6detail17trampoline_kernelINS0_14default_configENS1_22reduce_config_selectorIN6thrust23THRUST_200600_302600_NS5tupleIblNS6_9null_typeES8_S8_S8_S8_S8_S8_S8_EEEEZNS1_11reduce_implILb1ES3_PS9_SC_S9_NS6_11hip_rocprim9__find_if7functorIS9_EEEE10hipError_tPvRmT1_T2_T3_mT4_P12ihipStream_tbEUlT_E0_NS1_11comp_targetILNS1_3genE2ELNS1_11target_archE906ELNS1_3gpuE6ELNS1_3repE0EEENS1_30default_config_static_selectorELNS0_4arch9wavefront6targetE1EEEvSK_
                                        ; -- End function
	.set _ZN7rocprim17ROCPRIM_400000_NS6detail17trampoline_kernelINS0_14default_configENS1_22reduce_config_selectorIN6thrust23THRUST_200600_302600_NS5tupleIblNS6_9null_typeES8_S8_S8_S8_S8_S8_S8_EEEEZNS1_11reduce_implILb1ES3_PS9_SC_S9_NS6_11hip_rocprim9__find_if7functorIS9_EEEE10hipError_tPvRmT1_T2_T3_mT4_P12ihipStream_tbEUlT_E0_NS1_11comp_targetILNS1_3genE2ELNS1_11target_archE906ELNS1_3gpuE6ELNS1_3repE0EEENS1_30default_config_static_selectorELNS0_4arch9wavefront6targetE1EEEvSK_.num_vgpr, 13
	.set _ZN7rocprim17ROCPRIM_400000_NS6detail17trampoline_kernelINS0_14default_configENS1_22reduce_config_selectorIN6thrust23THRUST_200600_302600_NS5tupleIblNS6_9null_typeES8_S8_S8_S8_S8_S8_S8_EEEEZNS1_11reduce_implILb1ES3_PS9_SC_S9_NS6_11hip_rocprim9__find_if7functorIS9_EEEE10hipError_tPvRmT1_T2_T3_mT4_P12ihipStream_tbEUlT_E0_NS1_11comp_targetILNS1_3genE2ELNS1_11target_archE906ELNS1_3gpuE6ELNS1_3repE0EEENS1_30default_config_static_selectorELNS0_4arch9wavefront6targetE1EEEvSK_.num_agpr, 0
	.set _ZN7rocprim17ROCPRIM_400000_NS6detail17trampoline_kernelINS0_14default_configENS1_22reduce_config_selectorIN6thrust23THRUST_200600_302600_NS5tupleIblNS6_9null_typeES8_S8_S8_S8_S8_S8_S8_EEEEZNS1_11reduce_implILb1ES3_PS9_SC_S9_NS6_11hip_rocprim9__find_if7functorIS9_EEEE10hipError_tPvRmT1_T2_T3_mT4_P12ihipStream_tbEUlT_E0_NS1_11comp_targetILNS1_3genE2ELNS1_11target_archE906ELNS1_3gpuE6ELNS1_3repE0EEENS1_30default_config_static_selectorELNS0_4arch9wavefront6targetE1EEEvSK_.numbered_sgpr, 26
	.set _ZN7rocprim17ROCPRIM_400000_NS6detail17trampoline_kernelINS0_14default_configENS1_22reduce_config_selectorIN6thrust23THRUST_200600_302600_NS5tupleIblNS6_9null_typeES8_S8_S8_S8_S8_S8_S8_EEEEZNS1_11reduce_implILb1ES3_PS9_SC_S9_NS6_11hip_rocprim9__find_if7functorIS9_EEEE10hipError_tPvRmT1_T2_T3_mT4_P12ihipStream_tbEUlT_E0_NS1_11comp_targetILNS1_3genE2ELNS1_11target_archE906ELNS1_3gpuE6ELNS1_3repE0EEENS1_30default_config_static_selectorELNS0_4arch9wavefront6targetE1EEEvSK_.num_named_barrier, 0
	.set _ZN7rocprim17ROCPRIM_400000_NS6detail17trampoline_kernelINS0_14default_configENS1_22reduce_config_selectorIN6thrust23THRUST_200600_302600_NS5tupleIblNS6_9null_typeES8_S8_S8_S8_S8_S8_S8_EEEEZNS1_11reduce_implILb1ES3_PS9_SC_S9_NS6_11hip_rocprim9__find_if7functorIS9_EEEE10hipError_tPvRmT1_T2_T3_mT4_P12ihipStream_tbEUlT_E0_NS1_11comp_targetILNS1_3genE2ELNS1_11target_archE906ELNS1_3gpuE6ELNS1_3repE0EEENS1_30default_config_static_selectorELNS0_4arch9wavefront6targetE1EEEvSK_.private_seg_size, 0
	.set _ZN7rocprim17ROCPRIM_400000_NS6detail17trampoline_kernelINS0_14default_configENS1_22reduce_config_selectorIN6thrust23THRUST_200600_302600_NS5tupleIblNS6_9null_typeES8_S8_S8_S8_S8_S8_S8_EEEEZNS1_11reduce_implILb1ES3_PS9_SC_S9_NS6_11hip_rocprim9__find_if7functorIS9_EEEE10hipError_tPvRmT1_T2_T3_mT4_P12ihipStream_tbEUlT_E0_NS1_11comp_targetILNS1_3genE2ELNS1_11target_archE906ELNS1_3gpuE6ELNS1_3repE0EEENS1_30default_config_static_selectorELNS0_4arch9wavefront6targetE1EEEvSK_.uses_vcc, 1
	.set _ZN7rocprim17ROCPRIM_400000_NS6detail17trampoline_kernelINS0_14default_configENS1_22reduce_config_selectorIN6thrust23THRUST_200600_302600_NS5tupleIblNS6_9null_typeES8_S8_S8_S8_S8_S8_S8_EEEEZNS1_11reduce_implILb1ES3_PS9_SC_S9_NS6_11hip_rocprim9__find_if7functorIS9_EEEE10hipError_tPvRmT1_T2_T3_mT4_P12ihipStream_tbEUlT_E0_NS1_11comp_targetILNS1_3genE2ELNS1_11target_archE906ELNS1_3gpuE6ELNS1_3repE0EEENS1_30default_config_static_selectorELNS0_4arch9wavefront6targetE1EEEvSK_.uses_flat_scratch, 0
	.set _ZN7rocprim17ROCPRIM_400000_NS6detail17trampoline_kernelINS0_14default_configENS1_22reduce_config_selectorIN6thrust23THRUST_200600_302600_NS5tupleIblNS6_9null_typeES8_S8_S8_S8_S8_S8_S8_EEEEZNS1_11reduce_implILb1ES3_PS9_SC_S9_NS6_11hip_rocprim9__find_if7functorIS9_EEEE10hipError_tPvRmT1_T2_T3_mT4_P12ihipStream_tbEUlT_E0_NS1_11comp_targetILNS1_3genE2ELNS1_11target_archE906ELNS1_3gpuE6ELNS1_3repE0EEENS1_30default_config_static_selectorELNS0_4arch9wavefront6targetE1EEEvSK_.has_dyn_sized_stack, 0
	.set _ZN7rocprim17ROCPRIM_400000_NS6detail17trampoline_kernelINS0_14default_configENS1_22reduce_config_selectorIN6thrust23THRUST_200600_302600_NS5tupleIblNS6_9null_typeES8_S8_S8_S8_S8_S8_S8_EEEEZNS1_11reduce_implILb1ES3_PS9_SC_S9_NS6_11hip_rocprim9__find_if7functorIS9_EEEE10hipError_tPvRmT1_T2_T3_mT4_P12ihipStream_tbEUlT_E0_NS1_11comp_targetILNS1_3genE2ELNS1_11target_archE906ELNS1_3gpuE6ELNS1_3repE0EEENS1_30default_config_static_selectorELNS0_4arch9wavefront6targetE1EEEvSK_.has_recursion, 0
	.set _ZN7rocprim17ROCPRIM_400000_NS6detail17trampoline_kernelINS0_14default_configENS1_22reduce_config_selectorIN6thrust23THRUST_200600_302600_NS5tupleIblNS6_9null_typeES8_S8_S8_S8_S8_S8_S8_EEEEZNS1_11reduce_implILb1ES3_PS9_SC_S9_NS6_11hip_rocprim9__find_if7functorIS9_EEEE10hipError_tPvRmT1_T2_T3_mT4_P12ihipStream_tbEUlT_E0_NS1_11comp_targetILNS1_3genE2ELNS1_11target_archE906ELNS1_3gpuE6ELNS1_3repE0EEENS1_30default_config_static_selectorELNS0_4arch9wavefront6targetE1EEEvSK_.has_indirect_call, 0
	.section	.AMDGPU.csdata,"",@progbits
; Kernel info:
; codeLenInByte = 2708
; TotalNumSgprs: 30
; NumVgprs: 13
; ScratchSize: 0
; MemoryBound: 0
; FloatMode: 240
; IeeeMode: 1
; LDSByteSize: 64 bytes/workgroup (compile time only)
; SGPRBlocks: 3
; VGPRBlocks: 3
; NumSGPRsForWavesPerEU: 30
; NumVGPRsForWavesPerEU: 13
; Occupancy: 10
; WaveLimiterHint : 1
; COMPUTE_PGM_RSRC2:SCRATCH_EN: 0
; COMPUTE_PGM_RSRC2:USER_SGPR: 6
; COMPUTE_PGM_RSRC2:TRAP_HANDLER: 0
; COMPUTE_PGM_RSRC2:TGID_X_EN: 1
; COMPUTE_PGM_RSRC2:TGID_Y_EN: 0
; COMPUTE_PGM_RSRC2:TGID_Z_EN: 0
; COMPUTE_PGM_RSRC2:TIDIG_COMP_CNT: 0
	.section	.text._ZN7rocprim17ROCPRIM_400000_NS6detail17trampoline_kernelINS0_14default_configENS1_22reduce_config_selectorIN6thrust23THRUST_200600_302600_NS5tupleIblNS6_9null_typeES8_S8_S8_S8_S8_S8_S8_EEEEZNS1_11reduce_implILb1ES3_PS9_SC_S9_NS6_11hip_rocprim9__find_if7functorIS9_EEEE10hipError_tPvRmT1_T2_T3_mT4_P12ihipStream_tbEUlT_E0_NS1_11comp_targetILNS1_3genE10ELNS1_11target_archE1201ELNS1_3gpuE5ELNS1_3repE0EEENS1_30default_config_static_selectorELNS0_4arch9wavefront6targetE1EEEvSK_,"axG",@progbits,_ZN7rocprim17ROCPRIM_400000_NS6detail17trampoline_kernelINS0_14default_configENS1_22reduce_config_selectorIN6thrust23THRUST_200600_302600_NS5tupleIblNS6_9null_typeES8_S8_S8_S8_S8_S8_S8_EEEEZNS1_11reduce_implILb1ES3_PS9_SC_S9_NS6_11hip_rocprim9__find_if7functorIS9_EEEE10hipError_tPvRmT1_T2_T3_mT4_P12ihipStream_tbEUlT_E0_NS1_11comp_targetILNS1_3genE10ELNS1_11target_archE1201ELNS1_3gpuE5ELNS1_3repE0EEENS1_30default_config_static_selectorELNS0_4arch9wavefront6targetE1EEEvSK_,comdat
	.protected	_ZN7rocprim17ROCPRIM_400000_NS6detail17trampoline_kernelINS0_14default_configENS1_22reduce_config_selectorIN6thrust23THRUST_200600_302600_NS5tupleIblNS6_9null_typeES8_S8_S8_S8_S8_S8_S8_EEEEZNS1_11reduce_implILb1ES3_PS9_SC_S9_NS6_11hip_rocprim9__find_if7functorIS9_EEEE10hipError_tPvRmT1_T2_T3_mT4_P12ihipStream_tbEUlT_E0_NS1_11comp_targetILNS1_3genE10ELNS1_11target_archE1201ELNS1_3gpuE5ELNS1_3repE0EEENS1_30default_config_static_selectorELNS0_4arch9wavefront6targetE1EEEvSK_ ; -- Begin function _ZN7rocprim17ROCPRIM_400000_NS6detail17trampoline_kernelINS0_14default_configENS1_22reduce_config_selectorIN6thrust23THRUST_200600_302600_NS5tupleIblNS6_9null_typeES8_S8_S8_S8_S8_S8_S8_EEEEZNS1_11reduce_implILb1ES3_PS9_SC_S9_NS6_11hip_rocprim9__find_if7functorIS9_EEEE10hipError_tPvRmT1_T2_T3_mT4_P12ihipStream_tbEUlT_E0_NS1_11comp_targetILNS1_3genE10ELNS1_11target_archE1201ELNS1_3gpuE5ELNS1_3repE0EEENS1_30default_config_static_selectorELNS0_4arch9wavefront6targetE1EEEvSK_
	.globl	_ZN7rocprim17ROCPRIM_400000_NS6detail17trampoline_kernelINS0_14default_configENS1_22reduce_config_selectorIN6thrust23THRUST_200600_302600_NS5tupleIblNS6_9null_typeES8_S8_S8_S8_S8_S8_S8_EEEEZNS1_11reduce_implILb1ES3_PS9_SC_S9_NS6_11hip_rocprim9__find_if7functorIS9_EEEE10hipError_tPvRmT1_T2_T3_mT4_P12ihipStream_tbEUlT_E0_NS1_11comp_targetILNS1_3genE10ELNS1_11target_archE1201ELNS1_3gpuE5ELNS1_3repE0EEENS1_30default_config_static_selectorELNS0_4arch9wavefront6targetE1EEEvSK_
	.p2align	8
	.type	_ZN7rocprim17ROCPRIM_400000_NS6detail17trampoline_kernelINS0_14default_configENS1_22reduce_config_selectorIN6thrust23THRUST_200600_302600_NS5tupleIblNS6_9null_typeES8_S8_S8_S8_S8_S8_S8_EEEEZNS1_11reduce_implILb1ES3_PS9_SC_S9_NS6_11hip_rocprim9__find_if7functorIS9_EEEE10hipError_tPvRmT1_T2_T3_mT4_P12ihipStream_tbEUlT_E0_NS1_11comp_targetILNS1_3genE10ELNS1_11target_archE1201ELNS1_3gpuE5ELNS1_3repE0EEENS1_30default_config_static_selectorELNS0_4arch9wavefront6targetE1EEEvSK_,@function
_ZN7rocprim17ROCPRIM_400000_NS6detail17trampoline_kernelINS0_14default_configENS1_22reduce_config_selectorIN6thrust23THRUST_200600_302600_NS5tupleIblNS6_9null_typeES8_S8_S8_S8_S8_S8_S8_EEEEZNS1_11reduce_implILb1ES3_PS9_SC_S9_NS6_11hip_rocprim9__find_if7functorIS9_EEEE10hipError_tPvRmT1_T2_T3_mT4_P12ihipStream_tbEUlT_E0_NS1_11comp_targetILNS1_3genE10ELNS1_11target_archE1201ELNS1_3gpuE5ELNS1_3repE0EEENS1_30default_config_static_selectorELNS0_4arch9wavefront6targetE1EEEvSK_: ; @_ZN7rocprim17ROCPRIM_400000_NS6detail17trampoline_kernelINS0_14default_configENS1_22reduce_config_selectorIN6thrust23THRUST_200600_302600_NS5tupleIblNS6_9null_typeES8_S8_S8_S8_S8_S8_S8_EEEEZNS1_11reduce_implILb1ES3_PS9_SC_S9_NS6_11hip_rocprim9__find_if7functorIS9_EEEE10hipError_tPvRmT1_T2_T3_mT4_P12ihipStream_tbEUlT_E0_NS1_11comp_targetILNS1_3genE10ELNS1_11target_archE1201ELNS1_3gpuE5ELNS1_3repE0EEENS1_30default_config_static_selectorELNS0_4arch9wavefront6targetE1EEEvSK_
; %bb.0:
	.section	.rodata,"a",@progbits
	.p2align	6, 0x0
	.amdhsa_kernel _ZN7rocprim17ROCPRIM_400000_NS6detail17trampoline_kernelINS0_14default_configENS1_22reduce_config_selectorIN6thrust23THRUST_200600_302600_NS5tupleIblNS6_9null_typeES8_S8_S8_S8_S8_S8_S8_EEEEZNS1_11reduce_implILb1ES3_PS9_SC_S9_NS6_11hip_rocprim9__find_if7functorIS9_EEEE10hipError_tPvRmT1_T2_T3_mT4_P12ihipStream_tbEUlT_E0_NS1_11comp_targetILNS1_3genE10ELNS1_11target_archE1201ELNS1_3gpuE5ELNS1_3repE0EEENS1_30default_config_static_selectorELNS0_4arch9wavefront6targetE1EEEvSK_
		.amdhsa_group_segment_fixed_size 0
		.amdhsa_private_segment_fixed_size 0
		.amdhsa_kernarg_size 72
		.amdhsa_user_sgpr_count 6
		.amdhsa_user_sgpr_private_segment_buffer 1
		.amdhsa_user_sgpr_dispatch_ptr 0
		.amdhsa_user_sgpr_queue_ptr 0
		.amdhsa_user_sgpr_kernarg_segment_ptr 1
		.amdhsa_user_sgpr_dispatch_id 0
		.amdhsa_user_sgpr_flat_scratch_init 0
		.amdhsa_user_sgpr_private_segment_size 0
		.amdhsa_uses_dynamic_stack 0
		.amdhsa_system_sgpr_private_segment_wavefront_offset 0
		.amdhsa_system_sgpr_workgroup_id_x 1
		.amdhsa_system_sgpr_workgroup_id_y 0
		.amdhsa_system_sgpr_workgroup_id_z 0
		.amdhsa_system_sgpr_workgroup_info 0
		.amdhsa_system_vgpr_workitem_id 0
		.amdhsa_next_free_vgpr 1
		.amdhsa_next_free_sgpr 0
		.amdhsa_reserve_vcc 0
		.amdhsa_reserve_flat_scratch 0
		.amdhsa_float_round_mode_32 0
		.amdhsa_float_round_mode_16_64 0
		.amdhsa_float_denorm_mode_32 3
		.amdhsa_float_denorm_mode_16_64 3
		.amdhsa_dx10_clamp 1
		.amdhsa_ieee_mode 1
		.amdhsa_fp16_overflow 0
		.amdhsa_exception_fp_ieee_invalid_op 0
		.amdhsa_exception_fp_denorm_src 0
		.amdhsa_exception_fp_ieee_div_zero 0
		.amdhsa_exception_fp_ieee_overflow 0
		.amdhsa_exception_fp_ieee_underflow 0
		.amdhsa_exception_fp_ieee_inexact 0
		.amdhsa_exception_int_div_zero 0
	.end_amdhsa_kernel
	.section	.text._ZN7rocprim17ROCPRIM_400000_NS6detail17trampoline_kernelINS0_14default_configENS1_22reduce_config_selectorIN6thrust23THRUST_200600_302600_NS5tupleIblNS6_9null_typeES8_S8_S8_S8_S8_S8_S8_EEEEZNS1_11reduce_implILb1ES3_PS9_SC_S9_NS6_11hip_rocprim9__find_if7functorIS9_EEEE10hipError_tPvRmT1_T2_T3_mT4_P12ihipStream_tbEUlT_E0_NS1_11comp_targetILNS1_3genE10ELNS1_11target_archE1201ELNS1_3gpuE5ELNS1_3repE0EEENS1_30default_config_static_selectorELNS0_4arch9wavefront6targetE1EEEvSK_,"axG",@progbits,_ZN7rocprim17ROCPRIM_400000_NS6detail17trampoline_kernelINS0_14default_configENS1_22reduce_config_selectorIN6thrust23THRUST_200600_302600_NS5tupleIblNS6_9null_typeES8_S8_S8_S8_S8_S8_S8_EEEEZNS1_11reduce_implILb1ES3_PS9_SC_S9_NS6_11hip_rocprim9__find_if7functorIS9_EEEE10hipError_tPvRmT1_T2_T3_mT4_P12ihipStream_tbEUlT_E0_NS1_11comp_targetILNS1_3genE10ELNS1_11target_archE1201ELNS1_3gpuE5ELNS1_3repE0EEENS1_30default_config_static_selectorELNS0_4arch9wavefront6targetE1EEEvSK_,comdat
.Lfunc_end413:
	.size	_ZN7rocprim17ROCPRIM_400000_NS6detail17trampoline_kernelINS0_14default_configENS1_22reduce_config_selectorIN6thrust23THRUST_200600_302600_NS5tupleIblNS6_9null_typeES8_S8_S8_S8_S8_S8_S8_EEEEZNS1_11reduce_implILb1ES3_PS9_SC_S9_NS6_11hip_rocprim9__find_if7functorIS9_EEEE10hipError_tPvRmT1_T2_T3_mT4_P12ihipStream_tbEUlT_E0_NS1_11comp_targetILNS1_3genE10ELNS1_11target_archE1201ELNS1_3gpuE5ELNS1_3repE0EEENS1_30default_config_static_selectorELNS0_4arch9wavefront6targetE1EEEvSK_, .Lfunc_end413-_ZN7rocprim17ROCPRIM_400000_NS6detail17trampoline_kernelINS0_14default_configENS1_22reduce_config_selectorIN6thrust23THRUST_200600_302600_NS5tupleIblNS6_9null_typeES8_S8_S8_S8_S8_S8_S8_EEEEZNS1_11reduce_implILb1ES3_PS9_SC_S9_NS6_11hip_rocprim9__find_if7functorIS9_EEEE10hipError_tPvRmT1_T2_T3_mT4_P12ihipStream_tbEUlT_E0_NS1_11comp_targetILNS1_3genE10ELNS1_11target_archE1201ELNS1_3gpuE5ELNS1_3repE0EEENS1_30default_config_static_selectorELNS0_4arch9wavefront6targetE1EEEvSK_
                                        ; -- End function
	.set _ZN7rocprim17ROCPRIM_400000_NS6detail17trampoline_kernelINS0_14default_configENS1_22reduce_config_selectorIN6thrust23THRUST_200600_302600_NS5tupleIblNS6_9null_typeES8_S8_S8_S8_S8_S8_S8_EEEEZNS1_11reduce_implILb1ES3_PS9_SC_S9_NS6_11hip_rocprim9__find_if7functorIS9_EEEE10hipError_tPvRmT1_T2_T3_mT4_P12ihipStream_tbEUlT_E0_NS1_11comp_targetILNS1_3genE10ELNS1_11target_archE1201ELNS1_3gpuE5ELNS1_3repE0EEENS1_30default_config_static_selectorELNS0_4arch9wavefront6targetE1EEEvSK_.num_vgpr, 0
	.set _ZN7rocprim17ROCPRIM_400000_NS6detail17trampoline_kernelINS0_14default_configENS1_22reduce_config_selectorIN6thrust23THRUST_200600_302600_NS5tupleIblNS6_9null_typeES8_S8_S8_S8_S8_S8_S8_EEEEZNS1_11reduce_implILb1ES3_PS9_SC_S9_NS6_11hip_rocprim9__find_if7functorIS9_EEEE10hipError_tPvRmT1_T2_T3_mT4_P12ihipStream_tbEUlT_E0_NS1_11comp_targetILNS1_3genE10ELNS1_11target_archE1201ELNS1_3gpuE5ELNS1_3repE0EEENS1_30default_config_static_selectorELNS0_4arch9wavefront6targetE1EEEvSK_.num_agpr, 0
	.set _ZN7rocprim17ROCPRIM_400000_NS6detail17trampoline_kernelINS0_14default_configENS1_22reduce_config_selectorIN6thrust23THRUST_200600_302600_NS5tupleIblNS6_9null_typeES8_S8_S8_S8_S8_S8_S8_EEEEZNS1_11reduce_implILb1ES3_PS9_SC_S9_NS6_11hip_rocprim9__find_if7functorIS9_EEEE10hipError_tPvRmT1_T2_T3_mT4_P12ihipStream_tbEUlT_E0_NS1_11comp_targetILNS1_3genE10ELNS1_11target_archE1201ELNS1_3gpuE5ELNS1_3repE0EEENS1_30default_config_static_selectorELNS0_4arch9wavefront6targetE1EEEvSK_.numbered_sgpr, 0
	.set _ZN7rocprim17ROCPRIM_400000_NS6detail17trampoline_kernelINS0_14default_configENS1_22reduce_config_selectorIN6thrust23THRUST_200600_302600_NS5tupleIblNS6_9null_typeES8_S8_S8_S8_S8_S8_S8_EEEEZNS1_11reduce_implILb1ES3_PS9_SC_S9_NS6_11hip_rocprim9__find_if7functorIS9_EEEE10hipError_tPvRmT1_T2_T3_mT4_P12ihipStream_tbEUlT_E0_NS1_11comp_targetILNS1_3genE10ELNS1_11target_archE1201ELNS1_3gpuE5ELNS1_3repE0EEENS1_30default_config_static_selectorELNS0_4arch9wavefront6targetE1EEEvSK_.num_named_barrier, 0
	.set _ZN7rocprim17ROCPRIM_400000_NS6detail17trampoline_kernelINS0_14default_configENS1_22reduce_config_selectorIN6thrust23THRUST_200600_302600_NS5tupleIblNS6_9null_typeES8_S8_S8_S8_S8_S8_S8_EEEEZNS1_11reduce_implILb1ES3_PS9_SC_S9_NS6_11hip_rocprim9__find_if7functorIS9_EEEE10hipError_tPvRmT1_T2_T3_mT4_P12ihipStream_tbEUlT_E0_NS1_11comp_targetILNS1_3genE10ELNS1_11target_archE1201ELNS1_3gpuE5ELNS1_3repE0EEENS1_30default_config_static_selectorELNS0_4arch9wavefront6targetE1EEEvSK_.private_seg_size, 0
	.set _ZN7rocprim17ROCPRIM_400000_NS6detail17trampoline_kernelINS0_14default_configENS1_22reduce_config_selectorIN6thrust23THRUST_200600_302600_NS5tupleIblNS6_9null_typeES8_S8_S8_S8_S8_S8_S8_EEEEZNS1_11reduce_implILb1ES3_PS9_SC_S9_NS6_11hip_rocprim9__find_if7functorIS9_EEEE10hipError_tPvRmT1_T2_T3_mT4_P12ihipStream_tbEUlT_E0_NS1_11comp_targetILNS1_3genE10ELNS1_11target_archE1201ELNS1_3gpuE5ELNS1_3repE0EEENS1_30default_config_static_selectorELNS0_4arch9wavefront6targetE1EEEvSK_.uses_vcc, 0
	.set _ZN7rocprim17ROCPRIM_400000_NS6detail17trampoline_kernelINS0_14default_configENS1_22reduce_config_selectorIN6thrust23THRUST_200600_302600_NS5tupleIblNS6_9null_typeES8_S8_S8_S8_S8_S8_S8_EEEEZNS1_11reduce_implILb1ES3_PS9_SC_S9_NS6_11hip_rocprim9__find_if7functorIS9_EEEE10hipError_tPvRmT1_T2_T3_mT4_P12ihipStream_tbEUlT_E0_NS1_11comp_targetILNS1_3genE10ELNS1_11target_archE1201ELNS1_3gpuE5ELNS1_3repE0EEENS1_30default_config_static_selectorELNS0_4arch9wavefront6targetE1EEEvSK_.uses_flat_scratch, 0
	.set _ZN7rocprim17ROCPRIM_400000_NS6detail17trampoline_kernelINS0_14default_configENS1_22reduce_config_selectorIN6thrust23THRUST_200600_302600_NS5tupleIblNS6_9null_typeES8_S8_S8_S8_S8_S8_S8_EEEEZNS1_11reduce_implILb1ES3_PS9_SC_S9_NS6_11hip_rocprim9__find_if7functorIS9_EEEE10hipError_tPvRmT1_T2_T3_mT4_P12ihipStream_tbEUlT_E0_NS1_11comp_targetILNS1_3genE10ELNS1_11target_archE1201ELNS1_3gpuE5ELNS1_3repE0EEENS1_30default_config_static_selectorELNS0_4arch9wavefront6targetE1EEEvSK_.has_dyn_sized_stack, 0
	.set _ZN7rocprim17ROCPRIM_400000_NS6detail17trampoline_kernelINS0_14default_configENS1_22reduce_config_selectorIN6thrust23THRUST_200600_302600_NS5tupleIblNS6_9null_typeES8_S8_S8_S8_S8_S8_S8_EEEEZNS1_11reduce_implILb1ES3_PS9_SC_S9_NS6_11hip_rocprim9__find_if7functorIS9_EEEE10hipError_tPvRmT1_T2_T3_mT4_P12ihipStream_tbEUlT_E0_NS1_11comp_targetILNS1_3genE10ELNS1_11target_archE1201ELNS1_3gpuE5ELNS1_3repE0EEENS1_30default_config_static_selectorELNS0_4arch9wavefront6targetE1EEEvSK_.has_recursion, 0
	.set _ZN7rocprim17ROCPRIM_400000_NS6detail17trampoline_kernelINS0_14default_configENS1_22reduce_config_selectorIN6thrust23THRUST_200600_302600_NS5tupleIblNS6_9null_typeES8_S8_S8_S8_S8_S8_S8_EEEEZNS1_11reduce_implILb1ES3_PS9_SC_S9_NS6_11hip_rocprim9__find_if7functorIS9_EEEE10hipError_tPvRmT1_T2_T3_mT4_P12ihipStream_tbEUlT_E0_NS1_11comp_targetILNS1_3genE10ELNS1_11target_archE1201ELNS1_3gpuE5ELNS1_3repE0EEENS1_30default_config_static_selectorELNS0_4arch9wavefront6targetE1EEEvSK_.has_indirect_call, 0
	.section	.AMDGPU.csdata,"",@progbits
; Kernel info:
; codeLenInByte = 0
; TotalNumSgprs: 4
; NumVgprs: 0
; ScratchSize: 0
; MemoryBound: 0
; FloatMode: 240
; IeeeMode: 1
; LDSByteSize: 0 bytes/workgroup (compile time only)
; SGPRBlocks: 0
; VGPRBlocks: 0
; NumSGPRsForWavesPerEU: 4
; NumVGPRsForWavesPerEU: 1
; Occupancy: 10
; WaveLimiterHint : 0
; COMPUTE_PGM_RSRC2:SCRATCH_EN: 0
; COMPUTE_PGM_RSRC2:USER_SGPR: 6
; COMPUTE_PGM_RSRC2:TRAP_HANDLER: 0
; COMPUTE_PGM_RSRC2:TGID_X_EN: 1
; COMPUTE_PGM_RSRC2:TGID_Y_EN: 0
; COMPUTE_PGM_RSRC2:TGID_Z_EN: 0
; COMPUTE_PGM_RSRC2:TIDIG_COMP_CNT: 0
	.section	.text._ZN7rocprim17ROCPRIM_400000_NS6detail17trampoline_kernelINS0_14default_configENS1_22reduce_config_selectorIN6thrust23THRUST_200600_302600_NS5tupleIblNS6_9null_typeES8_S8_S8_S8_S8_S8_S8_EEEEZNS1_11reduce_implILb1ES3_PS9_SC_S9_NS6_11hip_rocprim9__find_if7functorIS9_EEEE10hipError_tPvRmT1_T2_T3_mT4_P12ihipStream_tbEUlT_E0_NS1_11comp_targetILNS1_3genE10ELNS1_11target_archE1200ELNS1_3gpuE4ELNS1_3repE0EEENS1_30default_config_static_selectorELNS0_4arch9wavefront6targetE1EEEvSK_,"axG",@progbits,_ZN7rocprim17ROCPRIM_400000_NS6detail17trampoline_kernelINS0_14default_configENS1_22reduce_config_selectorIN6thrust23THRUST_200600_302600_NS5tupleIblNS6_9null_typeES8_S8_S8_S8_S8_S8_S8_EEEEZNS1_11reduce_implILb1ES3_PS9_SC_S9_NS6_11hip_rocprim9__find_if7functorIS9_EEEE10hipError_tPvRmT1_T2_T3_mT4_P12ihipStream_tbEUlT_E0_NS1_11comp_targetILNS1_3genE10ELNS1_11target_archE1200ELNS1_3gpuE4ELNS1_3repE0EEENS1_30default_config_static_selectorELNS0_4arch9wavefront6targetE1EEEvSK_,comdat
	.protected	_ZN7rocprim17ROCPRIM_400000_NS6detail17trampoline_kernelINS0_14default_configENS1_22reduce_config_selectorIN6thrust23THRUST_200600_302600_NS5tupleIblNS6_9null_typeES8_S8_S8_S8_S8_S8_S8_EEEEZNS1_11reduce_implILb1ES3_PS9_SC_S9_NS6_11hip_rocprim9__find_if7functorIS9_EEEE10hipError_tPvRmT1_T2_T3_mT4_P12ihipStream_tbEUlT_E0_NS1_11comp_targetILNS1_3genE10ELNS1_11target_archE1200ELNS1_3gpuE4ELNS1_3repE0EEENS1_30default_config_static_selectorELNS0_4arch9wavefront6targetE1EEEvSK_ ; -- Begin function _ZN7rocprim17ROCPRIM_400000_NS6detail17trampoline_kernelINS0_14default_configENS1_22reduce_config_selectorIN6thrust23THRUST_200600_302600_NS5tupleIblNS6_9null_typeES8_S8_S8_S8_S8_S8_S8_EEEEZNS1_11reduce_implILb1ES3_PS9_SC_S9_NS6_11hip_rocprim9__find_if7functorIS9_EEEE10hipError_tPvRmT1_T2_T3_mT4_P12ihipStream_tbEUlT_E0_NS1_11comp_targetILNS1_3genE10ELNS1_11target_archE1200ELNS1_3gpuE4ELNS1_3repE0EEENS1_30default_config_static_selectorELNS0_4arch9wavefront6targetE1EEEvSK_
	.globl	_ZN7rocprim17ROCPRIM_400000_NS6detail17trampoline_kernelINS0_14default_configENS1_22reduce_config_selectorIN6thrust23THRUST_200600_302600_NS5tupleIblNS6_9null_typeES8_S8_S8_S8_S8_S8_S8_EEEEZNS1_11reduce_implILb1ES3_PS9_SC_S9_NS6_11hip_rocprim9__find_if7functorIS9_EEEE10hipError_tPvRmT1_T2_T3_mT4_P12ihipStream_tbEUlT_E0_NS1_11comp_targetILNS1_3genE10ELNS1_11target_archE1200ELNS1_3gpuE4ELNS1_3repE0EEENS1_30default_config_static_selectorELNS0_4arch9wavefront6targetE1EEEvSK_
	.p2align	8
	.type	_ZN7rocprim17ROCPRIM_400000_NS6detail17trampoline_kernelINS0_14default_configENS1_22reduce_config_selectorIN6thrust23THRUST_200600_302600_NS5tupleIblNS6_9null_typeES8_S8_S8_S8_S8_S8_S8_EEEEZNS1_11reduce_implILb1ES3_PS9_SC_S9_NS6_11hip_rocprim9__find_if7functorIS9_EEEE10hipError_tPvRmT1_T2_T3_mT4_P12ihipStream_tbEUlT_E0_NS1_11comp_targetILNS1_3genE10ELNS1_11target_archE1200ELNS1_3gpuE4ELNS1_3repE0EEENS1_30default_config_static_selectorELNS0_4arch9wavefront6targetE1EEEvSK_,@function
_ZN7rocprim17ROCPRIM_400000_NS6detail17trampoline_kernelINS0_14default_configENS1_22reduce_config_selectorIN6thrust23THRUST_200600_302600_NS5tupleIblNS6_9null_typeES8_S8_S8_S8_S8_S8_S8_EEEEZNS1_11reduce_implILb1ES3_PS9_SC_S9_NS6_11hip_rocprim9__find_if7functorIS9_EEEE10hipError_tPvRmT1_T2_T3_mT4_P12ihipStream_tbEUlT_E0_NS1_11comp_targetILNS1_3genE10ELNS1_11target_archE1200ELNS1_3gpuE4ELNS1_3repE0EEENS1_30default_config_static_selectorELNS0_4arch9wavefront6targetE1EEEvSK_: ; @_ZN7rocprim17ROCPRIM_400000_NS6detail17trampoline_kernelINS0_14default_configENS1_22reduce_config_selectorIN6thrust23THRUST_200600_302600_NS5tupleIblNS6_9null_typeES8_S8_S8_S8_S8_S8_S8_EEEEZNS1_11reduce_implILb1ES3_PS9_SC_S9_NS6_11hip_rocprim9__find_if7functorIS9_EEEE10hipError_tPvRmT1_T2_T3_mT4_P12ihipStream_tbEUlT_E0_NS1_11comp_targetILNS1_3genE10ELNS1_11target_archE1200ELNS1_3gpuE4ELNS1_3repE0EEENS1_30default_config_static_selectorELNS0_4arch9wavefront6targetE1EEEvSK_
; %bb.0:
	.section	.rodata,"a",@progbits
	.p2align	6, 0x0
	.amdhsa_kernel _ZN7rocprim17ROCPRIM_400000_NS6detail17trampoline_kernelINS0_14default_configENS1_22reduce_config_selectorIN6thrust23THRUST_200600_302600_NS5tupleIblNS6_9null_typeES8_S8_S8_S8_S8_S8_S8_EEEEZNS1_11reduce_implILb1ES3_PS9_SC_S9_NS6_11hip_rocprim9__find_if7functorIS9_EEEE10hipError_tPvRmT1_T2_T3_mT4_P12ihipStream_tbEUlT_E0_NS1_11comp_targetILNS1_3genE10ELNS1_11target_archE1200ELNS1_3gpuE4ELNS1_3repE0EEENS1_30default_config_static_selectorELNS0_4arch9wavefront6targetE1EEEvSK_
		.amdhsa_group_segment_fixed_size 0
		.amdhsa_private_segment_fixed_size 0
		.amdhsa_kernarg_size 72
		.amdhsa_user_sgpr_count 6
		.amdhsa_user_sgpr_private_segment_buffer 1
		.amdhsa_user_sgpr_dispatch_ptr 0
		.amdhsa_user_sgpr_queue_ptr 0
		.amdhsa_user_sgpr_kernarg_segment_ptr 1
		.amdhsa_user_sgpr_dispatch_id 0
		.amdhsa_user_sgpr_flat_scratch_init 0
		.amdhsa_user_sgpr_private_segment_size 0
		.amdhsa_uses_dynamic_stack 0
		.amdhsa_system_sgpr_private_segment_wavefront_offset 0
		.amdhsa_system_sgpr_workgroup_id_x 1
		.amdhsa_system_sgpr_workgroup_id_y 0
		.amdhsa_system_sgpr_workgroup_id_z 0
		.amdhsa_system_sgpr_workgroup_info 0
		.amdhsa_system_vgpr_workitem_id 0
		.amdhsa_next_free_vgpr 1
		.amdhsa_next_free_sgpr 0
		.amdhsa_reserve_vcc 0
		.amdhsa_reserve_flat_scratch 0
		.amdhsa_float_round_mode_32 0
		.amdhsa_float_round_mode_16_64 0
		.amdhsa_float_denorm_mode_32 3
		.amdhsa_float_denorm_mode_16_64 3
		.amdhsa_dx10_clamp 1
		.amdhsa_ieee_mode 1
		.amdhsa_fp16_overflow 0
		.amdhsa_exception_fp_ieee_invalid_op 0
		.amdhsa_exception_fp_denorm_src 0
		.amdhsa_exception_fp_ieee_div_zero 0
		.amdhsa_exception_fp_ieee_overflow 0
		.amdhsa_exception_fp_ieee_underflow 0
		.amdhsa_exception_fp_ieee_inexact 0
		.amdhsa_exception_int_div_zero 0
	.end_amdhsa_kernel
	.section	.text._ZN7rocprim17ROCPRIM_400000_NS6detail17trampoline_kernelINS0_14default_configENS1_22reduce_config_selectorIN6thrust23THRUST_200600_302600_NS5tupleIblNS6_9null_typeES8_S8_S8_S8_S8_S8_S8_EEEEZNS1_11reduce_implILb1ES3_PS9_SC_S9_NS6_11hip_rocprim9__find_if7functorIS9_EEEE10hipError_tPvRmT1_T2_T3_mT4_P12ihipStream_tbEUlT_E0_NS1_11comp_targetILNS1_3genE10ELNS1_11target_archE1200ELNS1_3gpuE4ELNS1_3repE0EEENS1_30default_config_static_selectorELNS0_4arch9wavefront6targetE1EEEvSK_,"axG",@progbits,_ZN7rocprim17ROCPRIM_400000_NS6detail17trampoline_kernelINS0_14default_configENS1_22reduce_config_selectorIN6thrust23THRUST_200600_302600_NS5tupleIblNS6_9null_typeES8_S8_S8_S8_S8_S8_S8_EEEEZNS1_11reduce_implILb1ES3_PS9_SC_S9_NS6_11hip_rocprim9__find_if7functorIS9_EEEE10hipError_tPvRmT1_T2_T3_mT4_P12ihipStream_tbEUlT_E0_NS1_11comp_targetILNS1_3genE10ELNS1_11target_archE1200ELNS1_3gpuE4ELNS1_3repE0EEENS1_30default_config_static_selectorELNS0_4arch9wavefront6targetE1EEEvSK_,comdat
.Lfunc_end414:
	.size	_ZN7rocprim17ROCPRIM_400000_NS6detail17trampoline_kernelINS0_14default_configENS1_22reduce_config_selectorIN6thrust23THRUST_200600_302600_NS5tupleIblNS6_9null_typeES8_S8_S8_S8_S8_S8_S8_EEEEZNS1_11reduce_implILb1ES3_PS9_SC_S9_NS6_11hip_rocprim9__find_if7functorIS9_EEEE10hipError_tPvRmT1_T2_T3_mT4_P12ihipStream_tbEUlT_E0_NS1_11comp_targetILNS1_3genE10ELNS1_11target_archE1200ELNS1_3gpuE4ELNS1_3repE0EEENS1_30default_config_static_selectorELNS0_4arch9wavefront6targetE1EEEvSK_, .Lfunc_end414-_ZN7rocprim17ROCPRIM_400000_NS6detail17trampoline_kernelINS0_14default_configENS1_22reduce_config_selectorIN6thrust23THRUST_200600_302600_NS5tupleIblNS6_9null_typeES8_S8_S8_S8_S8_S8_S8_EEEEZNS1_11reduce_implILb1ES3_PS9_SC_S9_NS6_11hip_rocprim9__find_if7functorIS9_EEEE10hipError_tPvRmT1_T2_T3_mT4_P12ihipStream_tbEUlT_E0_NS1_11comp_targetILNS1_3genE10ELNS1_11target_archE1200ELNS1_3gpuE4ELNS1_3repE0EEENS1_30default_config_static_selectorELNS0_4arch9wavefront6targetE1EEEvSK_
                                        ; -- End function
	.set _ZN7rocprim17ROCPRIM_400000_NS6detail17trampoline_kernelINS0_14default_configENS1_22reduce_config_selectorIN6thrust23THRUST_200600_302600_NS5tupleIblNS6_9null_typeES8_S8_S8_S8_S8_S8_S8_EEEEZNS1_11reduce_implILb1ES3_PS9_SC_S9_NS6_11hip_rocprim9__find_if7functorIS9_EEEE10hipError_tPvRmT1_T2_T3_mT4_P12ihipStream_tbEUlT_E0_NS1_11comp_targetILNS1_3genE10ELNS1_11target_archE1200ELNS1_3gpuE4ELNS1_3repE0EEENS1_30default_config_static_selectorELNS0_4arch9wavefront6targetE1EEEvSK_.num_vgpr, 0
	.set _ZN7rocprim17ROCPRIM_400000_NS6detail17trampoline_kernelINS0_14default_configENS1_22reduce_config_selectorIN6thrust23THRUST_200600_302600_NS5tupleIblNS6_9null_typeES8_S8_S8_S8_S8_S8_S8_EEEEZNS1_11reduce_implILb1ES3_PS9_SC_S9_NS6_11hip_rocprim9__find_if7functorIS9_EEEE10hipError_tPvRmT1_T2_T3_mT4_P12ihipStream_tbEUlT_E0_NS1_11comp_targetILNS1_3genE10ELNS1_11target_archE1200ELNS1_3gpuE4ELNS1_3repE0EEENS1_30default_config_static_selectorELNS0_4arch9wavefront6targetE1EEEvSK_.num_agpr, 0
	.set _ZN7rocprim17ROCPRIM_400000_NS6detail17trampoline_kernelINS0_14default_configENS1_22reduce_config_selectorIN6thrust23THRUST_200600_302600_NS5tupleIblNS6_9null_typeES8_S8_S8_S8_S8_S8_S8_EEEEZNS1_11reduce_implILb1ES3_PS9_SC_S9_NS6_11hip_rocprim9__find_if7functorIS9_EEEE10hipError_tPvRmT1_T2_T3_mT4_P12ihipStream_tbEUlT_E0_NS1_11comp_targetILNS1_3genE10ELNS1_11target_archE1200ELNS1_3gpuE4ELNS1_3repE0EEENS1_30default_config_static_selectorELNS0_4arch9wavefront6targetE1EEEvSK_.numbered_sgpr, 0
	.set _ZN7rocprim17ROCPRIM_400000_NS6detail17trampoline_kernelINS0_14default_configENS1_22reduce_config_selectorIN6thrust23THRUST_200600_302600_NS5tupleIblNS6_9null_typeES8_S8_S8_S8_S8_S8_S8_EEEEZNS1_11reduce_implILb1ES3_PS9_SC_S9_NS6_11hip_rocprim9__find_if7functorIS9_EEEE10hipError_tPvRmT1_T2_T3_mT4_P12ihipStream_tbEUlT_E0_NS1_11comp_targetILNS1_3genE10ELNS1_11target_archE1200ELNS1_3gpuE4ELNS1_3repE0EEENS1_30default_config_static_selectorELNS0_4arch9wavefront6targetE1EEEvSK_.num_named_barrier, 0
	.set _ZN7rocprim17ROCPRIM_400000_NS6detail17trampoline_kernelINS0_14default_configENS1_22reduce_config_selectorIN6thrust23THRUST_200600_302600_NS5tupleIblNS6_9null_typeES8_S8_S8_S8_S8_S8_S8_EEEEZNS1_11reduce_implILb1ES3_PS9_SC_S9_NS6_11hip_rocprim9__find_if7functorIS9_EEEE10hipError_tPvRmT1_T2_T3_mT4_P12ihipStream_tbEUlT_E0_NS1_11comp_targetILNS1_3genE10ELNS1_11target_archE1200ELNS1_3gpuE4ELNS1_3repE0EEENS1_30default_config_static_selectorELNS0_4arch9wavefront6targetE1EEEvSK_.private_seg_size, 0
	.set _ZN7rocprim17ROCPRIM_400000_NS6detail17trampoline_kernelINS0_14default_configENS1_22reduce_config_selectorIN6thrust23THRUST_200600_302600_NS5tupleIblNS6_9null_typeES8_S8_S8_S8_S8_S8_S8_EEEEZNS1_11reduce_implILb1ES3_PS9_SC_S9_NS6_11hip_rocprim9__find_if7functorIS9_EEEE10hipError_tPvRmT1_T2_T3_mT4_P12ihipStream_tbEUlT_E0_NS1_11comp_targetILNS1_3genE10ELNS1_11target_archE1200ELNS1_3gpuE4ELNS1_3repE0EEENS1_30default_config_static_selectorELNS0_4arch9wavefront6targetE1EEEvSK_.uses_vcc, 0
	.set _ZN7rocprim17ROCPRIM_400000_NS6detail17trampoline_kernelINS0_14default_configENS1_22reduce_config_selectorIN6thrust23THRUST_200600_302600_NS5tupleIblNS6_9null_typeES8_S8_S8_S8_S8_S8_S8_EEEEZNS1_11reduce_implILb1ES3_PS9_SC_S9_NS6_11hip_rocprim9__find_if7functorIS9_EEEE10hipError_tPvRmT1_T2_T3_mT4_P12ihipStream_tbEUlT_E0_NS1_11comp_targetILNS1_3genE10ELNS1_11target_archE1200ELNS1_3gpuE4ELNS1_3repE0EEENS1_30default_config_static_selectorELNS0_4arch9wavefront6targetE1EEEvSK_.uses_flat_scratch, 0
	.set _ZN7rocprim17ROCPRIM_400000_NS6detail17trampoline_kernelINS0_14default_configENS1_22reduce_config_selectorIN6thrust23THRUST_200600_302600_NS5tupleIblNS6_9null_typeES8_S8_S8_S8_S8_S8_S8_EEEEZNS1_11reduce_implILb1ES3_PS9_SC_S9_NS6_11hip_rocprim9__find_if7functorIS9_EEEE10hipError_tPvRmT1_T2_T3_mT4_P12ihipStream_tbEUlT_E0_NS1_11comp_targetILNS1_3genE10ELNS1_11target_archE1200ELNS1_3gpuE4ELNS1_3repE0EEENS1_30default_config_static_selectorELNS0_4arch9wavefront6targetE1EEEvSK_.has_dyn_sized_stack, 0
	.set _ZN7rocprim17ROCPRIM_400000_NS6detail17trampoline_kernelINS0_14default_configENS1_22reduce_config_selectorIN6thrust23THRUST_200600_302600_NS5tupleIblNS6_9null_typeES8_S8_S8_S8_S8_S8_S8_EEEEZNS1_11reduce_implILb1ES3_PS9_SC_S9_NS6_11hip_rocprim9__find_if7functorIS9_EEEE10hipError_tPvRmT1_T2_T3_mT4_P12ihipStream_tbEUlT_E0_NS1_11comp_targetILNS1_3genE10ELNS1_11target_archE1200ELNS1_3gpuE4ELNS1_3repE0EEENS1_30default_config_static_selectorELNS0_4arch9wavefront6targetE1EEEvSK_.has_recursion, 0
	.set _ZN7rocprim17ROCPRIM_400000_NS6detail17trampoline_kernelINS0_14default_configENS1_22reduce_config_selectorIN6thrust23THRUST_200600_302600_NS5tupleIblNS6_9null_typeES8_S8_S8_S8_S8_S8_S8_EEEEZNS1_11reduce_implILb1ES3_PS9_SC_S9_NS6_11hip_rocprim9__find_if7functorIS9_EEEE10hipError_tPvRmT1_T2_T3_mT4_P12ihipStream_tbEUlT_E0_NS1_11comp_targetILNS1_3genE10ELNS1_11target_archE1200ELNS1_3gpuE4ELNS1_3repE0EEENS1_30default_config_static_selectorELNS0_4arch9wavefront6targetE1EEEvSK_.has_indirect_call, 0
	.section	.AMDGPU.csdata,"",@progbits
; Kernel info:
; codeLenInByte = 0
; TotalNumSgprs: 4
; NumVgprs: 0
; ScratchSize: 0
; MemoryBound: 0
; FloatMode: 240
; IeeeMode: 1
; LDSByteSize: 0 bytes/workgroup (compile time only)
; SGPRBlocks: 0
; VGPRBlocks: 0
; NumSGPRsForWavesPerEU: 4
; NumVGPRsForWavesPerEU: 1
; Occupancy: 10
; WaveLimiterHint : 0
; COMPUTE_PGM_RSRC2:SCRATCH_EN: 0
; COMPUTE_PGM_RSRC2:USER_SGPR: 6
; COMPUTE_PGM_RSRC2:TRAP_HANDLER: 0
; COMPUTE_PGM_RSRC2:TGID_X_EN: 1
; COMPUTE_PGM_RSRC2:TGID_Y_EN: 0
; COMPUTE_PGM_RSRC2:TGID_Z_EN: 0
; COMPUTE_PGM_RSRC2:TIDIG_COMP_CNT: 0
	.section	.text._ZN7rocprim17ROCPRIM_400000_NS6detail17trampoline_kernelINS0_14default_configENS1_22reduce_config_selectorIN6thrust23THRUST_200600_302600_NS5tupleIblNS6_9null_typeES8_S8_S8_S8_S8_S8_S8_EEEEZNS1_11reduce_implILb1ES3_PS9_SC_S9_NS6_11hip_rocprim9__find_if7functorIS9_EEEE10hipError_tPvRmT1_T2_T3_mT4_P12ihipStream_tbEUlT_E0_NS1_11comp_targetILNS1_3genE9ELNS1_11target_archE1100ELNS1_3gpuE3ELNS1_3repE0EEENS1_30default_config_static_selectorELNS0_4arch9wavefront6targetE1EEEvSK_,"axG",@progbits,_ZN7rocprim17ROCPRIM_400000_NS6detail17trampoline_kernelINS0_14default_configENS1_22reduce_config_selectorIN6thrust23THRUST_200600_302600_NS5tupleIblNS6_9null_typeES8_S8_S8_S8_S8_S8_S8_EEEEZNS1_11reduce_implILb1ES3_PS9_SC_S9_NS6_11hip_rocprim9__find_if7functorIS9_EEEE10hipError_tPvRmT1_T2_T3_mT4_P12ihipStream_tbEUlT_E0_NS1_11comp_targetILNS1_3genE9ELNS1_11target_archE1100ELNS1_3gpuE3ELNS1_3repE0EEENS1_30default_config_static_selectorELNS0_4arch9wavefront6targetE1EEEvSK_,comdat
	.protected	_ZN7rocprim17ROCPRIM_400000_NS6detail17trampoline_kernelINS0_14default_configENS1_22reduce_config_selectorIN6thrust23THRUST_200600_302600_NS5tupleIblNS6_9null_typeES8_S8_S8_S8_S8_S8_S8_EEEEZNS1_11reduce_implILb1ES3_PS9_SC_S9_NS6_11hip_rocprim9__find_if7functorIS9_EEEE10hipError_tPvRmT1_T2_T3_mT4_P12ihipStream_tbEUlT_E0_NS1_11comp_targetILNS1_3genE9ELNS1_11target_archE1100ELNS1_3gpuE3ELNS1_3repE0EEENS1_30default_config_static_selectorELNS0_4arch9wavefront6targetE1EEEvSK_ ; -- Begin function _ZN7rocprim17ROCPRIM_400000_NS6detail17trampoline_kernelINS0_14default_configENS1_22reduce_config_selectorIN6thrust23THRUST_200600_302600_NS5tupleIblNS6_9null_typeES8_S8_S8_S8_S8_S8_S8_EEEEZNS1_11reduce_implILb1ES3_PS9_SC_S9_NS6_11hip_rocprim9__find_if7functorIS9_EEEE10hipError_tPvRmT1_T2_T3_mT4_P12ihipStream_tbEUlT_E0_NS1_11comp_targetILNS1_3genE9ELNS1_11target_archE1100ELNS1_3gpuE3ELNS1_3repE0EEENS1_30default_config_static_selectorELNS0_4arch9wavefront6targetE1EEEvSK_
	.globl	_ZN7rocprim17ROCPRIM_400000_NS6detail17trampoline_kernelINS0_14default_configENS1_22reduce_config_selectorIN6thrust23THRUST_200600_302600_NS5tupleIblNS6_9null_typeES8_S8_S8_S8_S8_S8_S8_EEEEZNS1_11reduce_implILb1ES3_PS9_SC_S9_NS6_11hip_rocprim9__find_if7functorIS9_EEEE10hipError_tPvRmT1_T2_T3_mT4_P12ihipStream_tbEUlT_E0_NS1_11comp_targetILNS1_3genE9ELNS1_11target_archE1100ELNS1_3gpuE3ELNS1_3repE0EEENS1_30default_config_static_selectorELNS0_4arch9wavefront6targetE1EEEvSK_
	.p2align	8
	.type	_ZN7rocprim17ROCPRIM_400000_NS6detail17trampoline_kernelINS0_14default_configENS1_22reduce_config_selectorIN6thrust23THRUST_200600_302600_NS5tupleIblNS6_9null_typeES8_S8_S8_S8_S8_S8_S8_EEEEZNS1_11reduce_implILb1ES3_PS9_SC_S9_NS6_11hip_rocprim9__find_if7functorIS9_EEEE10hipError_tPvRmT1_T2_T3_mT4_P12ihipStream_tbEUlT_E0_NS1_11comp_targetILNS1_3genE9ELNS1_11target_archE1100ELNS1_3gpuE3ELNS1_3repE0EEENS1_30default_config_static_selectorELNS0_4arch9wavefront6targetE1EEEvSK_,@function
_ZN7rocprim17ROCPRIM_400000_NS6detail17trampoline_kernelINS0_14default_configENS1_22reduce_config_selectorIN6thrust23THRUST_200600_302600_NS5tupleIblNS6_9null_typeES8_S8_S8_S8_S8_S8_S8_EEEEZNS1_11reduce_implILb1ES3_PS9_SC_S9_NS6_11hip_rocprim9__find_if7functorIS9_EEEE10hipError_tPvRmT1_T2_T3_mT4_P12ihipStream_tbEUlT_E0_NS1_11comp_targetILNS1_3genE9ELNS1_11target_archE1100ELNS1_3gpuE3ELNS1_3repE0EEENS1_30default_config_static_selectorELNS0_4arch9wavefront6targetE1EEEvSK_: ; @_ZN7rocprim17ROCPRIM_400000_NS6detail17trampoline_kernelINS0_14default_configENS1_22reduce_config_selectorIN6thrust23THRUST_200600_302600_NS5tupleIblNS6_9null_typeES8_S8_S8_S8_S8_S8_S8_EEEEZNS1_11reduce_implILb1ES3_PS9_SC_S9_NS6_11hip_rocprim9__find_if7functorIS9_EEEE10hipError_tPvRmT1_T2_T3_mT4_P12ihipStream_tbEUlT_E0_NS1_11comp_targetILNS1_3genE9ELNS1_11target_archE1100ELNS1_3gpuE3ELNS1_3repE0EEENS1_30default_config_static_selectorELNS0_4arch9wavefront6targetE1EEEvSK_
; %bb.0:
	.section	.rodata,"a",@progbits
	.p2align	6, 0x0
	.amdhsa_kernel _ZN7rocprim17ROCPRIM_400000_NS6detail17trampoline_kernelINS0_14default_configENS1_22reduce_config_selectorIN6thrust23THRUST_200600_302600_NS5tupleIblNS6_9null_typeES8_S8_S8_S8_S8_S8_S8_EEEEZNS1_11reduce_implILb1ES3_PS9_SC_S9_NS6_11hip_rocprim9__find_if7functorIS9_EEEE10hipError_tPvRmT1_T2_T3_mT4_P12ihipStream_tbEUlT_E0_NS1_11comp_targetILNS1_3genE9ELNS1_11target_archE1100ELNS1_3gpuE3ELNS1_3repE0EEENS1_30default_config_static_selectorELNS0_4arch9wavefront6targetE1EEEvSK_
		.amdhsa_group_segment_fixed_size 0
		.amdhsa_private_segment_fixed_size 0
		.amdhsa_kernarg_size 72
		.amdhsa_user_sgpr_count 6
		.amdhsa_user_sgpr_private_segment_buffer 1
		.amdhsa_user_sgpr_dispatch_ptr 0
		.amdhsa_user_sgpr_queue_ptr 0
		.amdhsa_user_sgpr_kernarg_segment_ptr 1
		.amdhsa_user_sgpr_dispatch_id 0
		.amdhsa_user_sgpr_flat_scratch_init 0
		.amdhsa_user_sgpr_private_segment_size 0
		.amdhsa_uses_dynamic_stack 0
		.amdhsa_system_sgpr_private_segment_wavefront_offset 0
		.amdhsa_system_sgpr_workgroup_id_x 1
		.amdhsa_system_sgpr_workgroup_id_y 0
		.amdhsa_system_sgpr_workgroup_id_z 0
		.amdhsa_system_sgpr_workgroup_info 0
		.amdhsa_system_vgpr_workitem_id 0
		.amdhsa_next_free_vgpr 1
		.amdhsa_next_free_sgpr 0
		.amdhsa_reserve_vcc 0
		.amdhsa_reserve_flat_scratch 0
		.amdhsa_float_round_mode_32 0
		.amdhsa_float_round_mode_16_64 0
		.amdhsa_float_denorm_mode_32 3
		.amdhsa_float_denorm_mode_16_64 3
		.amdhsa_dx10_clamp 1
		.amdhsa_ieee_mode 1
		.amdhsa_fp16_overflow 0
		.amdhsa_exception_fp_ieee_invalid_op 0
		.amdhsa_exception_fp_denorm_src 0
		.amdhsa_exception_fp_ieee_div_zero 0
		.amdhsa_exception_fp_ieee_overflow 0
		.amdhsa_exception_fp_ieee_underflow 0
		.amdhsa_exception_fp_ieee_inexact 0
		.amdhsa_exception_int_div_zero 0
	.end_amdhsa_kernel
	.section	.text._ZN7rocprim17ROCPRIM_400000_NS6detail17trampoline_kernelINS0_14default_configENS1_22reduce_config_selectorIN6thrust23THRUST_200600_302600_NS5tupleIblNS6_9null_typeES8_S8_S8_S8_S8_S8_S8_EEEEZNS1_11reduce_implILb1ES3_PS9_SC_S9_NS6_11hip_rocprim9__find_if7functorIS9_EEEE10hipError_tPvRmT1_T2_T3_mT4_P12ihipStream_tbEUlT_E0_NS1_11comp_targetILNS1_3genE9ELNS1_11target_archE1100ELNS1_3gpuE3ELNS1_3repE0EEENS1_30default_config_static_selectorELNS0_4arch9wavefront6targetE1EEEvSK_,"axG",@progbits,_ZN7rocprim17ROCPRIM_400000_NS6detail17trampoline_kernelINS0_14default_configENS1_22reduce_config_selectorIN6thrust23THRUST_200600_302600_NS5tupleIblNS6_9null_typeES8_S8_S8_S8_S8_S8_S8_EEEEZNS1_11reduce_implILb1ES3_PS9_SC_S9_NS6_11hip_rocprim9__find_if7functorIS9_EEEE10hipError_tPvRmT1_T2_T3_mT4_P12ihipStream_tbEUlT_E0_NS1_11comp_targetILNS1_3genE9ELNS1_11target_archE1100ELNS1_3gpuE3ELNS1_3repE0EEENS1_30default_config_static_selectorELNS0_4arch9wavefront6targetE1EEEvSK_,comdat
.Lfunc_end415:
	.size	_ZN7rocprim17ROCPRIM_400000_NS6detail17trampoline_kernelINS0_14default_configENS1_22reduce_config_selectorIN6thrust23THRUST_200600_302600_NS5tupleIblNS6_9null_typeES8_S8_S8_S8_S8_S8_S8_EEEEZNS1_11reduce_implILb1ES3_PS9_SC_S9_NS6_11hip_rocprim9__find_if7functorIS9_EEEE10hipError_tPvRmT1_T2_T3_mT4_P12ihipStream_tbEUlT_E0_NS1_11comp_targetILNS1_3genE9ELNS1_11target_archE1100ELNS1_3gpuE3ELNS1_3repE0EEENS1_30default_config_static_selectorELNS0_4arch9wavefront6targetE1EEEvSK_, .Lfunc_end415-_ZN7rocprim17ROCPRIM_400000_NS6detail17trampoline_kernelINS0_14default_configENS1_22reduce_config_selectorIN6thrust23THRUST_200600_302600_NS5tupleIblNS6_9null_typeES8_S8_S8_S8_S8_S8_S8_EEEEZNS1_11reduce_implILb1ES3_PS9_SC_S9_NS6_11hip_rocprim9__find_if7functorIS9_EEEE10hipError_tPvRmT1_T2_T3_mT4_P12ihipStream_tbEUlT_E0_NS1_11comp_targetILNS1_3genE9ELNS1_11target_archE1100ELNS1_3gpuE3ELNS1_3repE0EEENS1_30default_config_static_selectorELNS0_4arch9wavefront6targetE1EEEvSK_
                                        ; -- End function
	.set _ZN7rocprim17ROCPRIM_400000_NS6detail17trampoline_kernelINS0_14default_configENS1_22reduce_config_selectorIN6thrust23THRUST_200600_302600_NS5tupleIblNS6_9null_typeES8_S8_S8_S8_S8_S8_S8_EEEEZNS1_11reduce_implILb1ES3_PS9_SC_S9_NS6_11hip_rocprim9__find_if7functorIS9_EEEE10hipError_tPvRmT1_T2_T3_mT4_P12ihipStream_tbEUlT_E0_NS1_11comp_targetILNS1_3genE9ELNS1_11target_archE1100ELNS1_3gpuE3ELNS1_3repE0EEENS1_30default_config_static_selectorELNS0_4arch9wavefront6targetE1EEEvSK_.num_vgpr, 0
	.set _ZN7rocprim17ROCPRIM_400000_NS6detail17trampoline_kernelINS0_14default_configENS1_22reduce_config_selectorIN6thrust23THRUST_200600_302600_NS5tupleIblNS6_9null_typeES8_S8_S8_S8_S8_S8_S8_EEEEZNS1_11reduce_implILb1ES3_PS9_SC_S9_NS6_11hip_rocprim9__find_if7functorIS9_EEEE10hipError_tPvRmT1_T2_T3_mT4_P12ihipStream_tbEUlT_E0_NS1_11comp_targetILNS1_3genE9ELNS1_11target_archE1100ELNS1_3gpuE3ELNS1_3repE0EEENS1_30default_config_static_selectorELNS0_4arch9wavefront6targetE1EEEvSK_.num_agpr, 0
	.set _ZN7rocprim17ROCPRIM_400000_NS6detail17trampoline_kernelINS0_14default_configENS1_22reduce_config_selectorIN6thrust23THRUST_200600_302600_NS5tupleIblNS6_9null_typeES8_S8_S8_S8_S8_S8_S8_EEEEZNS1_11reduce_implILb1ES3_PS9_SC_S9_NS6_11hip_rocprim9__find_if7functorIS9_EEEE10hipError_tPvRmT1_T2_T3_mT4_P12ihipStream_tbEUlT_E0_NS1_11comp_targetILNS1_3genE9ELNS1_11target_archE1100ELNS1_3gpuE3ELNS1_3repE0EEENS1_30default_config_static_selectorELNS0_4arch9wavefront6targetE1EEEvSK_.numbered_sgpr, 0
	.set _ZN7rocprim17ROCPRIM_400000_NS6detail17trampoline_kernelINS0_14default_configENS1_22reduce_config_selectorIN6thrust23THRUST_200600_302600_NS5tupleIblNS6_9null_typeES8_S8_S8_S8_S8_S8_S8_EEEEZNS1_11reduce_implILb1ES3_PS9_SC_S9_NS6_11hip_rocprim9__find_if7functorIS9_EEEE10hipError_tPvRmT1_T2_T3_mT4_P12ihipStream_tbEUlT_E0_NS1_11comp_targetILNS1_3genE9ELNS1_11target_archE1100ELNS1_3gpuE3ELNS1_3repE0EEENS1_30default_config_static_selectorELNS0_4arch9wavefront6targetE1EEEvSK_.num_named_barrier, 0
	.set _ZN7rocprim17ROCPRIM_400000_NS6detail17trampoline_kernelINS0_14default_configENS1_22reduce_config_selectorIN6thrust23THRUST_200600_302600_NS5tupleIblNS6_9null_typeES8_S8_S8_S8_S8_S8_S8_EEEEZNS1_11reduce_implILb1ES3_PS9_SC_S9_NS6_11hip_rocprim9__find_if7functorIS9_EEEE10hipError_tPvRmT1_T2_T3_mT4_P12ihipStream_tbEUlT_E0_NS1_11comp_targetILNS1_3genE9ELNS1_11target_archE1100ELNS1_3gpuE3ELNS1_3repE0EEENS1_30default_config_static_selectorELNS0_4arch9wavefront6targetE1EEEvSK_.private_seg_size, 0
	.set _ZN7rocprim17ROCPRIM_400000_NS6detail17trampoline_kernelINS0_14default_configENS1_22reduce_config_selectorIN6thrust23THRUST_200600_302600_NS5tupleIblNS6_9null_typeES8_S8_S8_S8_S8_S8_S8_EEEEZNS1_11reduce_implILb1ES3_PS9_SC_S9_NS6_11hip_rocprim9__find_if7functorIS9_EEEE10hipError_tPvRmT1_T2_T3_mT4_P12ihipStream_tbEUlT_E0_NS1_11comp_targetILNS1_3genE9ELNS1_11target_archE1100ELNS1_3gpuE3ELNS1_3repE0EEENS1_30default_config_static_selectorELNS0_4arch9wavefront6targetE1EEEvSK_.uses_vcc, 0
	.set _ZN7rocprim17ROCPRIM_400000_NS6detail17trampoline_kernelINS0_14default_configENS1_22reduce_config_selectorIN6thrust23THRUST_200600_302600_NS5tupleIblNS6_9null_typeES8_S8_S8_S8_S8_S8_S8_EEEEZNS1_11reduce_implILb1ES3_PS9_SC_S9_NS6_11hip_rocprim9__find_if7functorIS9_EEEE10hipError_tPvRmT1_T2_T3_mT4_P12ihipStream_tbEUlT_E0_NS1_11comp_targetILNS1_3genE9ELNS1_11target_archE1100ELNS1_3gpuE3ELNS1_3repE0EEENS1_30default_config_static_selectorELNS0_4arch9wavefront6targetE1EEEvSK_.uses_flat_scratch, 0
	.set _ZN7rocprim17ROCPRIM_400000_NS6detail17trampoline_kernelINS0_14default_configENS1_22reduce_config_selectorIN6thrust23THRUST_200600_302600_NS5tupleIblNS6_9null_typeES8_S8_S8_S8_S8_S8_S8_EEEEZNS1_11reduce_implILb1ES3_PS9_SC_S9_NS6_11hip_rocprim9__find_if7functorIS9_EEEE10hipError_tPvRmT1_T2_T3_mT4_P12ihipStream_tbEUlT_E0_NS1_11comp_targetILNS1_3genE9ELNS1_11target_archE1100ELNS1_3gpuE3ELNS1_3repE0EEENS1_30default_config_static_selectorELNS0_4arch9wavefront6targetE1EEEvSK_.has_dyn_sized_stack, 0
	.set _ZN7rocprim17ROCPRIM_400000_NS6detail17trampoline_kernelINS0_14default_configENS1_22reduce_config_selectorIN6thrust23THRUST_200600_302600_NS5tupleIblNS6_9null_typeES8_S8_S8_S8_S8_S8_S8_EEEEZNS1_11reduce_implILb1ES3_PS9_SC_S9_NS6_11hip_rocprim9__find_if7functorIS9_EEEE10hipError_tPvRmT1_T2_T3_mT4_P12ihipStream_tbEUlT_E0_NS1_11comp_targetILNS1_3genE9ELNS1_11target_archE1100ELNS1_3gpuE3ELNS1_3repE0EEENS1_30default_config_static_selectorELNS0_4arch9wavefront6targetE1EEEvSK_.has_recursion, 0
	.set _ZN7rocprim17ROCPRIM_400000_NS6detail17trampoline_kernelINS0_14default_configENS1_22reduce_config_selectorIN6thrust23THRUST_200600_302600_NS5tupleIblNS6_9null_typeES8_S8_S8_S8_S8_S8_S8_EEEEZNS1_11reduce_implILb1ES3_PS9_SC_S9_NS6_11hip_rocprim9__find_if7functorIS9_EEEE10hipError_tPvRmT1_T2_T3_mT4_P12ihipStream_tbEUlT_E0_NS1_11comp_targetILNS1_3genE9ELNS1_11target_archE1100ELNS1_3gpuE3ELNS1_3repE0EEENS1_30default_config_static_selectorELNS0_4arch9wavefront6targetE1EEEvSK_.has_indirect_call, 0
	.section	.AMDGPU.csdata,"",@progbits
; Kernel info:
; codeLenInByte = 0
; TotalNumSgprs: 4
; NumVgprs: 0
; ScratchSize: 0
; MemoryBound: 0
; FloatMode: 240
; IeeeMode: 1
; LDSByteSize: 0 bytes/workgroup (compile time only)
; SGPRBlocks: 0
; VGPRBlocks: 0
; NumSGPRsForWavesPerEU: 4
; NumVGPRsForWavesPerEU: 1
; Occupancy: 10
; WaveLimiterHint : 0
; COMPUTE_PGM_RSRC2:SCRATCH_EN: 0
; COMPUTE_PGM_RSRC2:USER_SGPR: 6
; COMPUTE_PGM_RSRC2:TRAP_HANDLER: 0
; COMPUTE_PGM_RSRC2:TGID_X_EN: 1
; COMPUTE_PGM_RSRC2:TGID_Y_EN: 0
; COMPUTE_PGM_RSRC2:TGID_Z_EN: 0
; COMPUTE_PGM_RSRC2:TIDIG_COMP_CNT: 0
	.section	.text._ZN7rocprim17ROCPRIM_400000_NS6detail17trampoline_kernelINS0_14default_configENS1_22reduce_config_selectorIN6thrust23THRUST_200600_302600_NS5tupleIblNS6_9null_typeES8_S8_S8_S8_S8_S8_S8_EEEEZNS1_11reduce_implILb1ES3_PS9_SC_S9_NS6_11hip_rocprim9__find_if7functorIS9_EEEE10hipError_tPvRmT1_T2_T3_mT4_P12ihipStream_tbEUlT_E0_NS1_11comp_targetILNS1_3genE8ELNS1_11target_archE1030ELNS1_3gpuE2ELNS1_3repE0EEENS1_30default_config_static_selectorELNS0_4arch9wavefront6targetE1EEEvSK_,"axG",@progbits,_ZN7rocprim17ROCPRIM_400000_NS6detail17trampoline_kernelINS0_14default_configENS1_22reduce_config_selectorIN6thrust23THRUST_200600_302600_NS5tupleIblNS6_9null_typeES8_S8_S8_S8_S8_S8_S8_EEEEZNS1_11reduce_implILb1ES3_PS9_SC_S9_NS6_11hip_rocprim9__find_if7functorIS9_EEEE10hipError_tPvRmT1_T2_T3_mT4_P12ihipStream_tbEUlT_E0_NS1_11comp_targetILNS1_3genE8ELNS1_11target_archE1030ELNS1_3gpuE2ELNS1_3repE0EEENS1_30default_config_static_selectorELNS0_4arch9wavefront6targetE1EEEvSK_,comdat
	.protected	_ZN7rocprim17ROCPRIM_400000_NS6detail17trampoline_kernelINS0_14default_configENS1_22reduce_config_selectorIN6thrust23THRUST_200600_302600_NS5tupleIblNS6_9null_typeES8_S8_S8_S8_S8_S8_S8_EEEEZNS1_11reduce_implILb1ES3_PS9_SC_S9_NS6_11hip_rocprim9__find_if7functorIS9_EEEE10hipError_tPvRmT1_T2_T3_mT4_P12ihipStream_tbEUlT_E0_NS1_11comp_targetILNS1_3genE8ELNS1_11target_archE1030ELNS1_3gpuE2ELNS1_3repE0EEENS1_30default_config_static_selectorELNS0_4arch9wavefront6targetE1EEEvSK_ ; -- Begin function _ZN7rocprim17ROCPRIM_400000_NS6detail17trampoline_kernelINS0_14default_configENS1_22reduce_config_selectorIN6thrust23THRUST_200600_302600_NS5tupleIblNS6_9null_typeES8_S8_S8_S8_S8_S8_S8_EEEEZNS1_11reduce_implILb1ES3_PS9_SC_S9_NS6_11hip_rocprim9__find_if7functorIS9_EEEE10hipError_tPvRmT1_T2_T3_mT4_P12ihipStream_tbEUlT_E0_NS1_11comp_targetILNS1_3genE8ELNS1_11target_archE1030ELNS1_3gpuE2ELNS1_3repE0EEENS1_30default_config_static_selectorELNS0_4arch9wavefront6targetE1EEEvSK_
	.globl	_ZN7rocprim17ROCPRIM_400000_NS6detail17trampoline_kernelINS0_14default_configENS1_22reduce_config_selectorIN6thrust23THRUST_200600_302600_NS5tupleIblNS6_9null_typeES8_S8_S8_S8_S8_S8_S8_EEEEZNS1_11reduce_implILb1ES3_PS9_SC_S9_NS6_11hip_rocprim9__find_if7functorIS9_EEEE10hipError_tPvRmT1_T2_T3_mT4_P12ihipStream_tbEUlT_E0_NS1_11comp_targetILNS1_3genE8ELNS1_11target_archE1030ELNS1_3gpuE2ELNS1_3repE0EEENS1_30default_config_static_selectorELNS0_4arch9wavefront6targetE1EEEvSK_
	.p2align	8
	.type	_ZN7rocprim17ROCPRIM_400000_NS6detail17trampoline_kernelINS0_14default_configENS1_22reduce_config_selectorIN6thrust23THRUST_200600_302600_NS5tupleIblNS6_9null_typeES8_S8_S8_S8_S8_S8_S8_EEEEZNS1_11reduce_implILb1ES3_PS9_SC_S9_NS6_11hip_rocprim9__find_if7functorIS9_EEEE10hipError_tPvRmT1_T2_T3_mT4_P12ihipStream_tbEUlT_E0_NS1_11comp_targetILNS1_3genE8ELNS1_11target_archE1030ELNS1_3gpuE2ELNS1_3repE0EEENS1_30default_config_static_selectorELNS0_4arch9wavefront6targetE1EEEvSK_,@function
_ZN7rocprim17ROCPRIM_400000_NS6detail17trampoline_kernelINS0_14default_configENS1_22reduce_config_selectorIN6thrust23THRUST_200600_302600_NS5tupleIblNS6_9null_typeES8_S8_S8_S8_S8_S8_S8_EEEEZNS1_11reduce_implILb1ES3_PS9_SC_S9_NS6_11hip_rocprim9__find_if7functorIS9_EEEE10hipError_tPvRmT1_T2_T3_mT4_P12ihipStream_tbEUlT_E0_NS1_11comp_targetILNS1_3genE8ELNS1_11target_archE1030ELNS1_3gpuE2ELNS1_3repE0EEENS1_30default_config_static_selectorELNS0_4arch9wavefront6targetE1EEEvSK_: ; @_ZN7rocprim17ROCPRIM_400000_NS6detail17trampoline_kernelINS0_14default_configENS1_22reduce_config_selectorIN6thrust23THRUST_200600_302600_NS5tupleIblNS6_9null_typeES8_S8_S8_S8_S8_S8_S8_EEEEZNS1_11reduce_implILb1ES3_PS9_SC_S9_NS6_11hip_rocprim9__find_if7functorIS9_EEEE10hipError_tPvRmT1_T2_T3_mT4_P12ihipStream_tbEUlT_E0_NS1_11comp_targetILNS1_3genE8ELNS1_11target_archE1030ELNS1_3gpuE2ELNS1_3repE0EEENS1_30default_config_static_selectorELNS0_4arch9wavefront6targetE1EEEvSK_
; %bb.0:
	.section	.rodata,"a",@progbits
	.p2align	6, 0x0
	.amdhsa_kernel _ZN7rocprim17ROCPRIM_400000_NS6detail17trampoline_kernelINS0_14default_configENS1_22reduce_config_selectorIN6thrust23THRUST_200600_302600_NS5tupleIblNS6_9null_typeES8_S8_S8_S8_S8_S8_S8_EEEEZNS1_11reduce_implILb1ES3_PS9_SC_S9_NS6_11hip_rocprim9__find_if7functorIS9_EEEE10hipError_tPvRmT1_T2_T3_mT4_P12ihipStream_tbEUlT_E0_NS1_11comp_targetILNS1_3genE8ELNS1_11target_archE1030ELNS1_3gpuE2ELNS1_3repE0EEENS1_30default_config_static_selectorELNS0_4arch9wavefront6targetE1EEEvSK_
		.amdhsa_group_segment_fixed_size 0
		.amdhsa_private_segment_fixed_size 0
		.amdhsa_kernarg_size 72
		.amdhsa_user_sgpr_count 6
		.amdhsa_user_sgpr_private_segment_buffer 1
		.amdhsa_user_sgpr_dispatch_ptr 0
		.amdhsa_user_sgpr_queue_ptr 0
		.amdhsa_user_sgpr_kernarg_segment_ptr 1
		.amdhsa_user_sgpr_dispatch_id 0
		.amdhsa_user_sgpr_flat_scratch_init 0
		.amdhsa_user_sgpr_private_segment_size 0
		.amdhsa_uses_dynamic_stack 0
		.amdhsa_system_sgpr_private_segment_wavefront_offset 0
		.amdhsa_system_sgpr_workgroup_id_x 1
		.amdhsa_system_sgpr_workgroup_id_y 0
		.amdhsa_system_sgpr_workgroup_id_z 0
		.amdhsa_system_sgpr_workgroup_info 0
		.amdhsa_system_vgpr_workitem_id 0
		.amdhsa_next_free_vgpr 1
		.amdhsa_next_free_sgpr 0
		.amdhsa_reserve_vcc 0
		.amdhsa_reserve_flat_scratch 0
		.amdhsa_float_round_mode_32 0
		.amdhsa_float_round_mode_16_64 0
		.amdhsa_float_denorm_mode_32 3
		.amdhsa_float_denorm_mode_16_64 3
		.amdhsa_dx10_clamp 1
		.amdhsa_ieee_mode 1
		.amdhsa_fp16_overflow 0
		.amdhsa_exception_fp_ieee_invalid_op 0
		.amdhsa_exception_fp_denorm_src 0
		.amdhsa_exception_fp_ieee_div_zero 0
		.amdhsa_exception_fp_ieee_overflow 0
		.amdhsa_exception_fp_ieee_underflow 0
		.amdhsa_exception_fp_ieee_inexact 0
		.amdhsa_exception_int_div_zero 0
	.end_amdhsa_kernel
	.section	.text._ZN7rocprim17ROCPRIM_400000_NS6detail17trampoline_kernelINS0_14default_configENS1_22reduce_config_selectorIN6thrust23THRUST_200600_302600_NS5tupleIblNS6_9null_typeES8_S8_S8_S8_S8_S8_S8_EEEEZNS1_11reduce_implILb1ES3_PS9_SC_S9_NS6_11hip_rocprim9__find_if7functorIS9_EEEE10hipError_tPvRmT1_T2_T3_mT4_P12ihipStream_tbEUlT_E0_NS1_11comp_targetILNS1_3genE8ELNS1_11target_archE1030ELNS1_3gpuE2ELNS1_3repE0EEENS1_30default_config_static_selectorELNS0_4arch9wavefront6targetE1EEEvSK_,"axG",@progbits,_ZN7rocprim17ROCPRIM_400000_NS6detail17trampoline_kernelINS0_14default_configENS1_22reduce_config_selectorIN6thrust23THRUST_200600_302600_NS5tupleIblNS6_9null_typeES8_S8_S8_S8_S8_S8_S8_EEEEZNS1_11reduce_implILb1ES3_PS9_SC_S9_NS6_11hip_rocprim9__find_if7functorIS9_EEEE10hipError_tPvRmT1_T2_T3_mT4_P12ihipStream_tbEUlT_E0_NS1_11comp_targetILNS1_3genE8ELNS1_11target_archE1030ELNS1_3gpuE2ELNS1_3repE0EEENS1_30default_config_static_selectorELNS0_4arch9wavefront6targetE1EEEvSK_,comdat
.Lfunc_end416:
	.size	_ZN7rocprim17ROCPRIM_400000_NS6detail17trampoline_kernelINS0_14default_configENS1_22reduce_config_selectorIN6thrust23THRUST_200600_302600_NS5tupleIblNS6_9null_typeES8_S8_S8_S8_S8_S8_S8_EEEEZNS1_11reduce_implILb1ES3_PS9_SC_S9_NS6_11hip_rocprim9__find_if7functorIS9_EEEE10hipError_tPvRmT1_T2_T3_mT4_P12ihipStream_tbEUlT_E0_NS1_11comp_targetILNS1_3genE8ELNS1_11target_archE1030ELNS1_3gpuE2ELNS1_3repE0EEENS1_30default_config_static_selectorELNS0_4arch9wavefront6targetE1EEEvSK_, .Lfunc_end416-_ZN7rocprim17ROCPRIM_400000_NS6detail17trampoline_kernelINS0_14default_configENS1_22reduce_config_selectorIN6thrust23THRUST_200600_302600_NS5tupleIblNS6_9null_typeES8_S8_S8_S8_S8_S8_S8_EEEEZNS1_11reduce_implILb1ES3_PS9_SC_S9_NS6_11hip_rocprim9__find_if7functorIS9_EEEE10hipError_tPvRmT1_T2_T3_mT4_P12ihipStream_tbEUlT_E0_NS1_11comp_targetILNS1_3genE8ELNS1_11target_archE1030ELNS1_3gpuE2ELNS1_3repE0EEENS1_30default_config_static_selectorELNS0_4arch9wavefront6targetE1EEEvSK_
                                        ; -- End function
	.set _ZN7rocprim17ROCPRIM_400000_NS6detail17trampoline_kernelINS0_14default_configENS1_22reduce_config_selectorIN6thrust23THRUST_200600_302600_NS5tupleIblNS6_9null_typeES8_S8_S8_S8_S8_S8_S8_EEEEZNS1_11reduce_implILb1ES3_PS9_SC_S9_NS6_11hip_rocprim9__find_if7functorIS9_EEEE10hipError_tPvRmT1_T2_T3_mT4_P12ihipStream_tbEUlT_E0_NS1_11comp_targetILNS1_3genE8ELNS1_11target_archE1030ELNS1_3gpuE2ELNS1_3repE0EEENS1_30default_config_static_selectorELNS0_4arch9wavefront6targetE1EEEvSK_.num_vgpr, 0
	.set _ZN7rocprim17ROCPRIM_400000_NS6detail17trampoline_kernelINS0_14default_configENS1_22reduce_config_selectorIN6thrust23THRUST_200600_302600_NS5tupleIblNS6_9null_typeES8_S8_S8_S8_S8_S8_S8_EEEEZNS1_11reduce_implILb1ES3_PS9_SC_S9_NS6_11hip_rocprim9__find_if7functorIS9_EEEE10hipError_tPvRmT1_T2_T3_mT4_P12ihipStream_tbEUlT_E0_NS1_11comp_targetILNS1_3genE8ELNS1_11target_archE1030ELNS1_3gpuE2ELNS1_3repE0EEENS1_30default_config_static_selectorELNS0_4arch9wavefront6targetE1EEEvSK_.num_agpr, 0
	.set _ZN7rocprim17ROCPRIM_400000_NS6detail17trampoline_kernelINS0_14default_configENS1_22reduce_config_selectorIN6thrust23THRUST_200600_302600_NS5tupleIblNS6_9null_typeES8_S8_S8_S8_S8_S8_S8_EEEEZNS1_11reduce_implILb1ES3_PS9_SC_S9_NS6_11hip_rocprim9__find_if7functorIS9_EEEE10hipError_tPvRmT1_T2_T3_mT4_P12ihipStream_tbEUlT_E0_NS1_11comp_targetILNS1_3genE8ELNS1_11target_archE1030ELNS1_3gpuE2ELNS1_3repE0EEENS1_30default_config_static_selectorELNS0_4arch9wavefront6targetE1EEEvSK_.numbered_sgpr, 0
	.set _ZN7rocprim17ROCPRIM_400000_NS6detail17trampoline_kernelINS0_14default_configENS1_22reduce_config_selectorIN6thrust23THRUST_200600_302600_NS5tupleIblNS6_9null_typeES8_S8_S8_S8_S8_S8_S8_EEEEZNS1_11reduce_implILb1ES3_PS9_SC_S9_NS6_11hip_rocprim9__find_if7functorIS9_EEEE10hipError_tPvRmT1_T2_T3_mT4_P12ihipStream_tbEUlT_E0_NS1_11comp_targetILNS1_3genE8ELNS1_11target_archE1030ELNS1_3gpuE2ELNS1_3repE0EEENS1_30default_config_static_selectorELNS0_4arch9wavefront6targetE1EEEvSK_.num_named_barrier, 0
	.set _ZN7rocprim17ROCPRIM_400000_NS6detail17trampoline_kernelINS0_14default_configENS1_22reduce_config_selectorIN6thrust23THRUST_200600_302600_NS5tupleIblNS6_9null_typeES8_S8_S8_S8_S8_S8_S8_EEEEZNS1_11reduce_implILb1ES3_PS9_SC_S9_NS6_11hip_rocprim9__find_if7functorIS9_EEEE10hipError_tPvRmT1_T2_T3_mT4_P12ihipStream_tbEUlT_E0_NS1_11comp_targetILNS1_3genE8ELNS1_11target_archE1030ELNS1_3gpuE2ELNS1_3repE0EEENS1_30default_config_static_selectorELNS0_4arch9wavefront6targetE1EEEvSK_.private_seg_size, 0
	.set _ZN7rocprim17ROCPRIM_400000_NS6detail17trampoline_kernelINS0_14default_configENS1_22reduce_config_selectorIN6thrust23THRUST_200600_302600_NS5tupleIblNS6_9null_typeES8_S8_S8_S8_S8_S8_S8_EEEEZNS1_11reduce_implILb1ES3_PS9_SC_S9_NS6_11hip_rocprim9__find_if7functorIS9_EEEE10hipError_tPvRmT1_T2_T3_mT4_P12ihipStream_tbEUlT_E0_NS1_11comp_targetILNS1_3genE8ELNS1_11target_archE1030ELNS1_3gpuE2ELNS1_3repE0EEENS1_30default_config_static_selectorELNS0_4arch9wavefront6targetE1EEEvSK_.uses_vcc, 0
	.set _ZN7rocprim17ROCPRIM_400000_NS6detail17trampoline_kernelINS0_14default_configENS1_22reduce_config_selectorIN6thrust23THRUST_200600_302600_NS5tupleIblNS6_9null_typeES8_S8_S8_S8_S8_S8_S8_EEEEZNS1_11reduce_implILb1ES3_PS9_SC_S9_NS6_11hip_rocprim9__find_if7functorIS9_EEEE10hipError_tPvRmT1_T2_T3_mT4_P12ihipStream_tbEUlT_E0_NS1_11comp_targetILNS1_3genE8ELNS1_11target_archE1030ELNS1_3gpuE2ELNS1_3repE0EEENS1_30default_config_static_selectorELNS0_4arch9wavefront6targetE1EEEvSK_.uses_flat_scratch, 0
	.set _ZN7rocprim17ROCPRIM_400000_NS6detail17trampoline_kernelINS0_14default_configENS1_22reduce_config_selectorIN6thrust23THRUST_200600_302600_NS5tupleIblNS6_9null_typeES8_S8_S8_S8_S8_S8_S8_EEEEZNS1_11reduce_implILb1ES3_PS9_SC_S9_NS6_11hip_rocprim9__find_if7functorIS9_EEEE10hipError_tPvRmT1_T2_T3_mT4_P12ihipStream_tbEUlT_E0_NS1_11comp_targetILNS1_3genE8ELNS1_11target_archE1030ELNS1_3gpuE2ELNS1_3repE0EEENS1_30default_config_static_selectorELNS0_4arch9wavefront6targetE1EEEvSK_.has_dyn_sized_stack, 0
	.set _ZN7rocprim17ROCPRIM_400000_NS6detail17trampoline_kernelINS0_14default_configENS1_22reduce_config_selectorIN6thrust23THRUST_200600_302600_NS5tupleIblNS6_9null_typeES8_S8_S8_S8_S8_S8_S8_EEEEZNS1_11reduce_implILb1ES3_PS9_SC_S9_NS6_11hip_rocprim9__find_if7functorIS9_EEEE10hipError_tPvRmT1_T2_T3_mT4_P12ihipStream_tbEUlT_E0_NS1_11comp_targetILNS1_3genE8ELNS1_11target_archE1030ELNS1_3gpuE2ELNS1_3repE0EEENS1_30default_config_static_selectorELNS0_4arch9wavefront6targetE1EEEvSK_.has_recursion, 0
	.set _ZN7rocprim17ROCPRIM_400000_NS6detail17trampoline_kernelINS0_14default_configENS1_22reduce_config_selectorIN6thrust23THRUST_200600_302600_NS5tupleIblNS6_9null_typeES8_S8_S8_S8_S8_S8_S8_EEEEZNS1_11reduce_implILb1ES3_PS9_SC_S9_NS6_11hip_rocprim9__find_if7functorIS9_EEEE10hipError_tPvRmT1_T2_T3_mT4_P12ihipStream_tbEUlT_E0_NS1_11comp_targetILNS1_3genE8ELNS1_11target_archE1030ELNS1_3gpuE2ELNS1_3repE0EEENS1_30default_config_static_selectorELNS0_4arch9wavefront6targetE1EEEvSK_.has_indirect_call, 0
	.section	.AMDGPU.csdata,"",@progbits
; Kernel info:
; codeLenInByte = 0
; TotalNumSgprs: 4
; NumVgprs: 0
; ScratchSize: 0
; MemoryBound: 0
; FloatMode: 240
; IeeeMode: 1
; LDSByteSize: 0 bytes/workgroup (compile time only)
; SGPRBlocks: 0
; VGPRBlocks: 0
; NumSGPRsForWavesPerEU: 4
; NumVGPRsForWavesPerEU: 1
; Occupancy: 10
; WaveLimiterHint : 0
; COMPUTE_PGM_RSRC2:SCRATCH_EN: 0
; COMPUTE_PGM_RSRC2:USER_SGPR: 6
; COMPUTE_PGM_RSRC2:TRAP_HANDLER: 0
; COMPUTE_PGM_RSRC2:TGID_X_EN: 1
; COMPUTE_PGM_RSRC2:TGID_Y_EN: 0
; COMPUTE_PGM_RSRC2:TGID_Z_EN: 0
; COMPUTE_PGM_RSRC2:TIDIG_COMP_CNT: 0
	.section	.text._ZN7rocprim17ROCPRIM_400000_NS6detail17trampoline_kernelINS0_14default_configENS1_22reduce_config_selectorIN6thrust23THRUST_200600_302600_NS5tupleIblNS6_9null_typeES8_S8_S8_S8_S8_S8_S8_EEEEZNS1_11reduce_implILb1ES3_PS9_SC_S9_NS6_11hip_rocprim9__find_if7functorIS9_EEEE10hipError_tPvRmT1_T2_T3_mT4_P12ihipStream_tbEUlT_E1_NS1_11comp_targetILNS1_3genE0ELNS1_11target_archE4294967295ELNS1_3gpuE0ELNS1_3repE0EEENS1_30default_config_static_selectorELNS0_4arch9wavefront6targetE1EEEvSK_,"axG",@progbits,_ZN7rocprim17ROCPRIM_400000_NS6detail17trampoline_kernelINS0_14default_configENS1_22reduce_config_selectorIN6thrust23THRUST_200600_302600_NS5tupleIblNS6_9null_typeES8_S8_S8_S8_S8_S8_S8_EEEEZNS1_11reduce_implILb1ES3_PS9_SC_S9_NS6_11hip_rocprim9__find_if7functorIS9_EEEE10hipError_tPvRmT1_T2_T3_mT4_P12ihipStream_tbEUlT_E1_NS1_11comp_targetILNS1_3genE0ELNS1_11target_archE4294967295ELNS1_3gpuE0ELNS1_3repE0EEENS1_30default_config_static_selectorELNS0_4arch9wavefront6targetE1EEEvSK_,comdat
	.protected	_ZN7rocprim17ROCPRIM_400000_NS6detail17trampoline_kernelINS0_14default_configENS1_22reduce_config_selectorIN6thrust23THRUST_200600_302600_NS5tupleIblNS6_9null_typeES8_S8_S8_S8_S8_S8_S8_EEEEZNS1_11reduce_implILb1ES3_PS9_SC_S9_NS6_11hip_rocprim9__find_if7functorIS9_EEEE10hipError_tPvRmT1_T2_T3_mT4_P12ihipStream_tbEUlT_E1_NS1_11comp_targetILNS1_3genE0ELNS1_11target_archE4294967295ELNS1_3gpuE0ELNS1_3repE0EEENS1_30default_config_static_selectorELNS0_4arch9wavefront6targetE1EEEvSK_ ; -- Begin function _ZN7rocprim17ROCPRIM_400000_NS6detail17trampoline_kernelINS0_14default_configENS1_22reduce_config_selectorIN6thrust23THRUST_200600_302600_NS5tupleIblNS6_9null_typeES8_S8_S8_S8_S8_S8_S8_EEEEZNS1_11reduce_implILb1ES3_PS9_SC_S9_NS6_11hip_rocprim9__find_if7functorIS9_EEEE10hipError_tPvRmT1_T2_T3_mT4_P12ihipStream_tbEUlT_E1_NS1_11comp_targetILNS1_3genE0ELNS1_11target_archE4294967295ELNS1_3gpuE0ELNS1_3repE0EEENS1_30default_config_static_selectorELNS0_4arch9wavefront6targetE1EEEvSK_
	.globl	_ZN7rocprim17ROCPRIM_400000_NS6detail17trampoline_kernelINS0_14default_configENS1_22reduce_config_selectorIN6thrust23THRUST_200600_302600_NS5tupleIblNS6_9null_typeES8_S8_S8_S8_S8_S8_S8_EEEEZNS1_11reduce_implILb1ES3_PS9_SC_S9_NS6_11hip_rocprim9__find_if7functorIS9_EEEE10hipError_tPvRmT1_T2_T3_mT4_P12ihipStream_tbEUlT_E1_NS1_11comp_targetILNS1_3genE0ELNS1_11target_archE4294967295ELNS1_3gpuE0ELNS1_3repE0EEENS1_30default_config_static_selectorELNS0_4arch9wavefront6targetE1EEEvSK_
	.p2align	8
	.type	_ZN7rocprim17ROCPRIM_400000_NS6detail17trampoline_kernelINS0_14default_configENS1_22reduce_config_selectorIN6thrust23THRUST_200600_302600_NS5tupleIblNS6_9null_typeES8_S8_S8_S8_S8_S8_S8_EEEEZNS1_11reduce_implILb1ES3_PS9_SC_S9_NS6_11hip_rocprim9__find_if7functorIS9_EEEE10hipError_tPvRmT1_T2_T3_mT4_P12ihipStream_tbEUlT_E1_NS1_11comp_targetILNS1_3genE0ELNS1_11target_archE4294967295ELNS1_3gpuE0ELNS1_3repE0EEENS1_30default_config_static_selectorELNS0_4arch9wavefront6targetE1EEEvSK_,@function
_ZN7rocprim17ROCPRIM_400000_NS6detail17trampoline_kernelINS0_14default_configENS1_22reduce_config_selectorIN6thrust23THRUST_200600_302600_NS5tupleIblNS6_9null_typeES8_S8_S8_S8_S8_S8_S8_EEEEZNS1_11reduce_implILb1ES3_PS9_SC_S9_NS6_11hip_rocprim9__find_if7functorIS9_EEEE10hipError_tPvRmT1_T2_T3_mT4_P12ihipStream_tbEUlT_E1_NS1_11comp_targetILNS1_3genE0ELNS1_11target_archE4294967295ELNS1_3gpuE0ELNS1_3repE0EEENS1_30default_config_static_selectorELNS0_4arch9wavefront6targetE1EEEvSK_: ; @_ZN7rocprim17ROCPRIM_400000_NS6detail17trampoline_kernelINS0_14default_configENS1_22reduce_config_selectorIN6thrust23THRUST_200600_302600_NS5tupleIblNS6_9null_typeES8_S8_S8_S8_S8_S8_S8_EEEEZNS1_11reduce_implILb1ES3_PS9_SC_S9_NS6_11hip_rocprim9__find_if7functorIS9_EEEE10hipError_tPvRmT1_T2_T3_mT4_P12ihipStream_tbEUlT_E1_NS1_11comp_targetILNS1_3genE0ELNS1_11target_archE4294967295ELNS1_3gpuE0ELNS1_3repE0EEENS1_30default_config_static_selectorELNS0_4arch9wavefront6targetE1EEEvSK_
; %bb.0:
	.section	.rodata,"a",@progbits
	.p2align	6, 0x0
	.amdhsa_kernel _ZN7rocprim17ROCPRIM_400000_NS6detail17trampoline_kernelINS0_14default_configENS1_22reduce_config_selectorIN6thrust23THRUST_200600_302600_NS5tupleIblNS6_9null_typeES8_S8_S8_S8_S8_S8_S8_EEEEZNS1_11reduce_implILb1ES3_PS9_SC_S9_NS6_11hip_rocprim9__find_if7functorIS9_EEEE10hipError_tPvRmT1_T2_T3_mT4_P12ihipStream_tbEUlT_E1_NS1_11comp_targetILNS1_3genE0ELNS1_11target_archE4294967295ELNS1_3gpuE0ELNS1_3repE0EEENS1_30default_config_static_selectorELNS0_4arch9wavefront6targetE1EEEvSK_
		.amdhsa_group_segment_fixed_size 0
		.amdhsa_private_segment_fixed_size 0
		.amdhsa_kernarg_size 56
		.amdhsa_user_sgpr_count 6
		.amdhsa_user_sgpr_private_segment_buffer 1
		.amdhsa_user_sgpr_dispatch_ptr 0
		.amdhsa_user_sgpr_queue_ptr 0
		.amdhsa_user_sgpr_kernarg_segment_ptr 1
		.amdhsa_user_sgpr_dispatch_id 0
		.amdhsa_user_sgpr_flat_scratch_init 0
		.amdhsa_user_sgpr_private_segment_size 0
		.amdhsa_uses_dynamic_stack 0
		.amdhsa_system_sgpr_private_segment_wavefront_offset 0
		.amdhsa_system_sgpr_workgroup_id_x 1
		.amdhsa_system_sgpr_workgroup_id_y 0
		.amdhsa_system_sgpr_workgroup_id_z 0
		.amdhsa_system_sgpr_workgroup_info 0
		.amdhsa_system_vgpr_workitem_id 0
		.amdhsa_next_free_vgpr 1
		.amdhsa_next_free_sgpr 0
		.amdhsa_reserve_vcc 0
		.amdhsa_reserve_flat_scratch 0
		.amdhsa_float_round_mode_32 0
		.amdhsa_float_round_mode_16_64 0
		.amdhsa_float_denorm_mode_32 3
		.amdhsa_float_denorm_mode_16_64 3
		.amdhsa_dx10_clamp 1
		.amdhsa_ieee_mode 1
		.amdhsa_fp16_overflow 0
		.amdhsa_exception_fp_ieee_invalid_op 0
		.amdhsa_exception_fp_denorm_src 0
		.amdhsa_exception_fp_ieee_div_zero 0
		.amdhsa_exception_fp_ieee_overflow 0
		.amdhsa_exception_fp_ieee_underflow 0
		.amdhsa_exception_fp_ieee_inexact 0
		.amdhsa_exception_int_div_zero 0
	.end_amdhsa_kernel
	.section	.text._ZN7rocprim17ROCPRIM_400000_NS6detail17trampoline_kernelINS0_14default_configENS1_22reduce_config_selectorIN6thrust23THRUST_200600_302600_NS5tupleIblNS6_9null_typeES8_S8_S8_S8_S8_S8_S8_EEEEZNS1_11reduce_implILb1ES3_PS9_SC_S9_NS6_11hip_rocprim9__find_if7functorIS9_EEEE10hipError_tPvRmT1_T2_T3_mT4_P12ihipStream_tbEUlT_E1_NS1_11comp_targetILNS1_3genE0ELNS1_11target_archE4294967295ELNS1_3gpuE0ELNS1_3repE0EEENS1_30default_config_static_selectorELNS0_4arch9wavefront6targetE1EEEvSK_,"axG",@progbits,_ZN7rocprim17ROCPRIM_400000_NS6detail17trampoline_kernelINS0_14default_configENS1_22reduce_config_selectorIN6thrust23THRUST_200600_302600_NS5tupleIblNS6_9null_typeES8_S8_S8_S8_S8_S8_S8_EEEEZNS1_11reduce_implILb1ES3_PS9_SC_S9_NS6_11hip_rocprim9__find_if7functorIS9_EEEE10hipError_tPvRmT1_T2_T3_mT4_P12ihipStream_tbEUlT_E1_NS1_11comp_targetILNS1_3genE0ELNS1_11target_archE4294967295ELNS1_3gpuE0ELNS1_3repE0EEENS1_30default_config_static_selectorELNS0_4arch9wavefront6targetE1EEEvSK_,comdat
.Lfunc_end417:
	.size	_ZN7rocprim17ROCPRIM_400000_NS6detail17trampoline_kernelINS0_14default_configENS1_22reduce_config_selectorIN6thrust23THRUST_200600_302600_NS5tupleIblNS6_9null_typeES8_S8_S8_S8_S8_S8_S8_EEEEZNS1_11reduce_implILb1ES3_PS9_SC_S9_NS6_11hip_rocprim9__find_if7functorIS9_EEEE10hipError_tPvRmT1_T2_T3_mT4_P12ihipStream_tbEUlT_E1_NS1_11comp_targetILNS1_3genE0ELNS1_11target_archE4294967295ELNS1_3gpuE0ELNS1_3repE0EEENS1_30default_config_static_selectorELNS0_4arch9wavefront6targetE1EEEvSK_, .Lfunc_end417-_ZN7rocprim17ROCPRIM_400000_NS6detail17trampoline_kernelINS0_14default_configENS1_22reduce_config_selectorIN6thrust23THRUST_200600_302600_NS5tupleIblNS6_9null_typeES8_S8_S8_S8_S8_S8_S8_EEEEZNS1_11reduce_implILb1ES3_PS9_SC_S9_NS6_11hip_rocprim9__find_if7functorIS9_EEEE10hipError_tPvRmT1_T2_T3_mT4_P12ihipStream_tbEUlT_E1_NS1_11comp_targetILNS1_3genE0ELNS1_11target_archE4294967295ELNS1_3gpuE0ELNS1_3repE0EEENS1_30default_config_static_selectorELNS0_4arch9wavefront6targetE1EEEvSK_
                                        ; -- End function
	.set _ZN7rocprim17ROCPRIM_400000_NS6detail17trampoline_kernelINS0_14default_configENS1_22reduce_config_selectorIN6thrust23THRUST_200600_302600_NS5tupleIblNS6_9null_typeES8_S8_S8_S8_S8_S8_S8_EEEEZNS1_11reduce_implILb1ES3_PS9_SC_S9_NS6_11hip_rocprim9__find_if7functorIS9_EEEE10hipError_tPvRmT1_T2_T3_mT4_P12ihipStream_tbEUlT_E1_NS1_11comp_targetILNS1_3genE0ELNS1_11target_archE4294967295ELNS1_3gpuE0ELNS1_3repE0EEENS1_30default_config_static_selectorELNS0_4arch9wavefront6targetE1EEEvSK_.num_vgpr, 0
	.set _ZN7rocprim17ROCPRIM_400000_NS6detail17trampoline_kernelINS0_14default_configENS1_22reduce_config_selectorIN6thrust23THRUST_200600_302600_NS5tupleIblNS6_9null_typeES8_S8_S8_S8_S8_S8_S8_EEEEZNS1_11reduce_implILb1ES3_PS9_SC_S9_NS6_11hip_rocprim9__find_if7functorIS9_EEEE10hipError_tPvRmT1_T2_T3_mT4_P12ihipStream_tbEUlT_E1_NS1_11comp_targetILNS1_3genE0ELNS1_11target_archE4294967295ELNS1_3gpuE0ELNS1_3repE0EEENS1_30default_config_static_selectorELNS0_4arch9wavefront6targetE1EEEvSK_.num_agpr, 0
	.set _ZN7rocprim17ROCPRIM_400000_NS6detail17trampoline_kernelINS0_14default_configENS1_22reduce_config_selectorIN6thrust23THRUST_200600_302600_NS5tupleIblNS6_9null_typeES8_S8_S8_S8_S8_S8_S8_EEEEZNS1_11reduce_implILb1ES3_PS9_SC_S9_NS6_11hip_rocprim9__find_if7functorIS9_EEEE10hipError_tPvRmT1_T2_T3_mT4_P12ihipStream_tbEUlT_E1_NS1_11comp_targetILNS1_3genE0ELNS1_11target_archE4294967295ELNS1_3gpuE0ELNS1_3repE0EEENS1_30default_config_static_selectorELNS0_4arch9wavefront6targetE1EEEvSK_.numbered_sgpr, 0
	.set _ZN7rocprim17ROCPRIM_400000_NS6detail17trampoline_kernelINS0_14default_configENS1_22reduce_config_selectorIN6thrust23THRUST_200600_302600_NS5tupleIblNS6_9null_typeES8_S8_S8_S8_S8_S8_S8_EEEEZNS1_11reduce_implILb1ES3_PS9_SC_S9_NS6_11hip_rocprim9__find_if7functorIS9_EEEE10hipError_tPvRmT1_T2_T3_mT4_P12ihipStream_tbEUlT_E1_NS1_11comp_targetILNS1_3genE0ELNS1_11target_archE4294967295ELNS1_3gpuE0ELNS1_3repE0EEENS1_30default_config_static_selectorELNS0_4arch9wavefront6targetE1EEEvSK_.num_named_barrier, 0
	.set _ZN7rocprim17ROCPRIM_400000_NS6detail17trampoline_kernelINS0_14default_configENS1_22reduce_config_selectorIN6thrust23THRUST_200600_302600_NS5tupleIblNS6_9null_typeES8_S8_S8_S8_S8_S8_S8_EEEEZNS1_11reduce_implILb1ES3_PS9_SC_S9_NS6_11hip_rocprim9__find_if7functorIS9_EEEE10hipError_tPvRmT1_T2_T3_mT4_P12ihipStream_tbEUlT_E1_NS1_11comp_targetILNS1_3genE0ELNS1_11target_archE4294967295ELNS1_3gpuE0ELNS1_3repE0EEENS1_30default_config_static_selectorELNS0_4arch9wavefront6targetE1EEEvSK_.private_seg_size, 0
	.set _ZN7rocprim17ROCPRIM_400000_NS6detail17trampoline_kernelINS0_14default_configENS1_22reduce_config_selectorIN6thrust23THRUST_200600_302600_NS5tupleIblNS6_9null_typeES8_S8_S8_S8_S8_S8_S8_EEEEZNS1_11reduce_implILb1ES3_PS9_SC_S9_NS6_11hip_rocprim9__find_if7functorIS9_EEEE10hipError_tPvRmT1_T2_T3_mT4_P12ihipStream_tbEUlT_E1_NS1_11comp_targetILNS1_3genE0ELNS1_11target_archE4294967295ELNS1_3gpuE0ELNS1_3repE0EEENS1_30default_config_static_selectorELNS0_4arch9wavefront6targetE1EEEvSK_.uses_vcc, 0
	.set _ZN7rocprim17ROCPRIM_400000_NS6detail17trampoline_kernelINS0_14default_configENS1_22reduce_config_selectorIN6thrust23THRUST_200600_302600_NS5tupleIblNS6_9null_typeES8_S8_S8_S8_S8_S8_S8_EEEEZNS1_11reduce_implILb1ES3_PS9_SC_S9_NS6_11hip_rocprim9__find_if7functorIS9_EEEE10hipError_tPvRmT1_T2_T3_mT4_P12ihipStream_tbEUlT_E1_NS1_11comp_targetILNS1_3genE0ELNS1_11target_archE4294967295ELNS1_3gpuE0ELNS1_3repE0EEENS1_30default_config_static_selectorELNS0_4arch9wavefront6targetE1EEEvSK_.uses_flat_scratch, 0
	.set _ZN7rocprim17ROCPRIM_400000_NS6detail17trampoline_kernelINS0_14default_configENS1_22reduce_config_selectorIN6thrust23THRUST_200600_302600_NS5tupleIblNS6_9null_typeES8_S8_S8_S8_S8_S8_S8_EEEEZNS1_11reduce_implILb1ES3_PS9_SC_S9_NS6_11hip_rocprim9__find_if7functorIS9_EEEE10hipError_tPvRmT1_T2_T3_mT4_P12ihipStream_tbEUlT_E1_NS1_11comp_targetILNS1_3genE0ELNS1_11target_archE4294967295ELNS1_3gpuE0ELNS1_3repE0EEENS1_30default_config_static_selectorELNS0_4arch9wavefront6targetE1EEEvSK_.has_dyn_sized_stack, 0
	.set _ZN7rocprim17ROCPRIM_400000_NS6detail17trampoline_kernelINS0_14default_configENS1_22reduce_config_selectorIN6thrust23THRUST_200600_302600_NS5tupleIblNS6_9null_typeES8_S8_S8_S8_S8_S8_S8_EEEEZNS1_11reduce_implILb1ES3_PS9_SC_S9_NS6_11hip_rocprim9__find_if7functorIS9_EEEE10hipError_tPvRmT1_T2_T3_mT4_P12ihipStream_tbEUlT_E1_NS1_11comp_targetILNS1_3genE0ELNS1_11target_archE4294967295ELNS1_3gpuE0ELNS1_3repE0EEENS1_30default_config_static_selectorELNS0_4arch9wavefront6targetE1EEEvSK_.has_recursion, 0
	.set _ZN7rocprim17ROCPRIM_400000_NS6detail17trampoline_kernelINS0_14default_configENS1_22reduce_config_selectorIN6thrust23THRUST_200600_302600_NS5tupleIblNS6_9null_typeES8_S8_S8_S8_S8_S8_S8_EEEEZNS1_11reduce_implILb1ES3_PS9_SC_S9_NS6_11hip_rocprim9__find_if7functorIS9_EEEE10hipError_tPvRmT1_T2_T3_mT4_P12ihipStream_tbEUlT_E1_NS1_11comp_targetILNS1_3genE0ELNS1_11target_archE4294967295ELNS1_3gpuE0ELNS1_3repE0EEENS1_30default_config_static_selectorELNS0_4arch9wavefront6targetE1EEEvSK_.has_indirect_call, 0
	.section	.AMDGPU.csdata,"",@progbits
; Kernel info:
; codeLenInByte = 0
; TotalNumSgprs: 4
; NumVgprs: 0
; ScratchSize: 0
; MemoryBound: 0
; FloatMode: 240
; IeeeMode: 1
; LDSByteSize: 0 bytes/workgroup (compile time only)
; SGPRBlocks: 0
; VGPRBlocks: 0
; NumSGPRsForWavesPerEU: 4
; NumVGPRsForWavesPerEU: 1
; Occupancy: 10
; WaveLimiterHint : 0
; COMPUTE_PGM_RSRC2:SCRATCH_EN: 0
; COMPUTE_PGM_RSRC2:USER_SGPR: 6
; COMPUTE_PGM_RSRC2:TRAP_HANDLER: 0
; COMPUTE_PGM_RSRC2:TGID_X_EN: 1
; COMPUTE_PGM_RSRC2:TGID_Y_EN: 0
; COMPUTE_PGM_RSRC2:TGID_Z_EN: 0
; COMPUTE_PGM_RSRC2:TIDIG_COMP_CNT: 0
	.section	.text._ZN7rocprim17ROCPRIM_400000_NS6detail17trampoline_kernelINS0_14default_configENS1_22reduce_config_selectorIN6thrust23THRUST_200600_302600_NS5tupleIblNS6_9null_typeES8_S8_S8_S8_S8_S8_S8_EEEEZNS1_11reduce_implILb1ES3_PS9_SC_S9_NS6_11hip_rocprim9__find_if7functorIS9_EEEE10hipError_tPvRmT1_T2_T3_mT4_P12ihipStream_tbEUlT_E1_NS1_11comp_targetILNS1_3genE5ELNS1_11target_archE942ELNS1_3gpuE9ELNS1_3repE0EEENS1_30default_config_static_selectorELNS0_4arch9wavefront6targetE1EEEvSK_,"axG",@progbits,_ZN7rocprim17ROCPRIM_400000_NS6detail17trampoline_kernelINS0_14default_configENS1_22reduce_config_selectorIN6thrust23THRUST_200600_302600_NS5tupleIblNS6_9null_typeES8_S8_S8_S8_S8_S8_S8_EEEEZNS1_11reduce_implILb1ES3_PS9_SC_S9_NS6_11hip_rocprim9__find_if7functorIS9_EEEE10hipError_tPvRmT1_T2_T3_mT4_P12ihipStream_tbEUlT_E1_NS1_11comp_targetILNS1_3genE5ELNS1_11target_archE942ELNS1_3gpuE9ELNS1_3repE0EEENS1_30default_config_static_selectorELNS0_4arch9wavefront6targetE1EEEvSK_,comdat
	.protected	_ZN7rocprim17ROCPRIM_400000_NS6detail17trampoline_kernelINS0_14default_configENS1_22reduce_config_selectorIN6thrust23THRUST_200600_302600_NS5tupleIblNS6_9null_typeES8_S8_S8_S8_S8_S8_S8_EEEEZNS1_11reduce_implILb1ES3_PS9_SC_S9_NS6_11hip_rocprim9__find_if7functorIS9_EEEE10hipError_tPvRmT1_T2_T3_mT4_P12ihipStream_tbEUlT_E1_NS1_11comp_targetILNS1_3genE5ELNS1_11target_archE942ELNS1_3gpuE9ELNS1_3repE0EEENS1_30default_config_static_selectorELNS0_4arch9wavefront6targetE1EEEvSK_ ; -- Begin function _ZN7rocprim17ROCPRIM_400000_NS6detail17trampoline_kernelINS0_14default_configENS1_22reduce_config_selectorIN6thrust23THRUST_200600_302600_NS5tupleIblNS6_9null_typeES8_S8_S8_S8_S8_S8_S8_EEEEZNS1_11reduce_implILb1ES3_PS9_SC_S9_NS6_11hip_rocprim9__find_if7functorIS9_EEEE10hipError_tPvRmT1_T2_T3_mT4_P12ihipStream_tbEUlT_E1_NS1_11comp_targetILNS1_3genE5ELNS1_11target_archE942ELNS1_3gpuE9ELNS1_3repE0EEENS1_30default_config_static_selectorELNS0_4arch9wavefront6targetE1EEEvSK_
	.globl	_ZN7rocprim17ROCPRIM_400000_NS6detail17trampoline_kernelINS0_14default_configENS1_22reduce_config_selectorIN6thrust23THRUST_200600_302600_NS5tupleIblNS6_9null_typeES8_S8_S8_S8_S8_S8_S8_EEEEZNS1_11reduce_implILb1ES3_PS9_SC_S9_NS6_11hip_rocprim9__find_if7functorIS9_EEEE10hipError_tPvRmT1_T2_T3_mT4_P12ihipStream_tbEUlT_E1_NS1_11comp_targetILNS1_3genE5ELNS1_11target_archE942ELNS1_3gpuE9ELNS1_3repE0EEENS1_30default_config_static_selectorELNS0_4arch9wavefront6targetE1EEEvSK_
	.p2align	8
	.type	_ZN7rocprim17ROCPRIM_400000_NS6detail17trampoline_kernelINS0_14default_configENS1_22reduce_config_selectorIN6thrust23THRUST_200600_302600_NS5tupleIblNS6_9null_typeES8_S8_S8_S8_S8_S8_S8_EEEEZNS1_11reduce_implILb1ES3_PS9_SC_S9_NS6_11hip_rocprim9__find_if7functorIS9_EEEE10hipError_tPvRmT1_T2_T3_mT4_P12ihipStream_tbEUlT_E1_NS1_11comp_targetILNS1_3genE5ELNS1_11target_archE942ELNS1_3gpuE9ELNS1_3repE0EEENS1_30default_config_static_selectorELNS0_4arch9wavefront6targetE1EEEvSK_,@function
_ZN7rocprim17ROCPRIM_400000_NS6detail17trampoline_kernelINS0_14default_configENS1_22reduce_config_selectorIN6thrust23THRUST_200600_302600_NS5tupleIblNS6_9null_typeES8_S8_S8_S8_S8_S8_S8_EEEEZNS1_11reduce_implILb1ES3_PS9_SC_S9_NS6_11hip_rocprim9__find_if7functorIS9_EEEE10hipError_tPvRmT1_T2_T3_mT4_P12ihipStream_tbEUlT_E1_NS1_11comp_targetILNS1_3genE5ELNS1_11target_archE942ELNS1_3gpuE9ELNS1_3repE0EEENS1_30default_config_static_selectorELNS0_4arch9wavefront6targetE1EEEvSK_: ; @_ZN7rocprim17ROCPRIM_400000_NS6detail17trampoline_kernelINS0_14default_configENS1_22reduce_config_selectorIN6thrust23THRUST_200600_302600_NS5tupleIblNS6_9null_typeES8_S8_S8_S8_S8_S8_S8_EEEEZNS1_11reduce_implILb1ES3_PS9_SC_S9_NS6_11hip_rocprim9__find_if7functorIS9_EEEE10hipError_tPvRmT1_T2_T3_mT4_P12ihipStream_tbEUlT_E1_NS1_11comp_targetILNS1_3genE5ELNS1_11target_archE942ELNS1_3gpuE9ELNS1_3repE0EEENS1_30default_config_static_selectorELNS0_4arch9wavefront6targetE1EEEvSK_
; %bb.0:
	.section	.rodata,"a",@progbits
	.p2align	6, 0x0
	.amdhsa_kernel _ZN7rocprim17ROCPRIM_400000_NS6detail17trampoline_kernelINS0_14default_configENS1_22reduce_config_selectorIN6thrust23THRUST_200600_302600_NS5tupleIblNS6_9null_typeES8_S8_S8_S8_S8_S8_S8_EEEEZNS1_11reduce_implILb1ES3_PS9_SC_S9_NS6_11hip_rocprim9__find_if7functorIS9_EEEE10hipError_tPvRmT1_T2_T3_mT4_P12ihipStream_tbEUlT_E1_NS1_11comp_targetILNS1_3genE5ELNS1_11target_archE942ELNS1_3gpuE9ELNS1_3repE0EEENS1_30default_config_static_selectorELNS0_4arch9wavefront6targetE1EEEvSK_
		.amdhsa_group_segment_fixed_size 0
		.amdhsa_private_segment_fixed_size 0
		.amdhsa_kernarg_size 56
		.amdhsa_user_sgpr_count 6
		.amdhsa_user_sgpr_private_segment_buffer 1
		.amdhsa_user_sgpr_dispatch_ptr 0
		.amdhsa_user_sgpr_queue_ptr 0
		.amdhsa_user_sgpr_kernarg_segment_ptr 1
		.amdhsa_user_sgpr_dispatch_id 0
		.amdhsa_user_sgpr_flat_scratch_init 0
		.amdhsa_user_sgpr_private_segment_size 0
		.amdhsa_uses_dynamic_stack 0
		.amdhsa_system_sgpr_private_segment_wavefront_offset 0
		.amdhsa_system_sgpr_workgroup_id_x 1
		.amdhsa_system_sgpr_workgroup_id_y 0
		.amdhsa_system_sgpr_workgroup_id_z 0
		.amdhsa_system_sgpr_workgroup_info 0
		.amdhsa_system_vgpr_workitem_id 0
		.amdhsa_next_free_vgpr 1
		.amdhsa_next_free_sgpr 0
		.amdhsa_reserve_vcc 0
		.amdhsa_reserve_flat_scratch 0
		.amdhsa_float_round_mode_32 0
		.amdhsa_float_round_mode_16_64 0
		.amdhsa_float_denorm_mode_32 3
		.amdhsa_float_denorm_mode_16_64 3
		.amdhsa_dx10_clamp 1
		.amdhsa_ieee_mode 1
		.amdhsa_fp16_overflow 0
		.amdhsa_exception_fp_ieee_invalid_op 0
		.amdhsa_exception_fp_denorm_src 0
		.amdhsa_exception_fp_ieee_div_zero 0
		.amdhsa_exception_fp_ieee_overflow 0
		.amdhsa_exception_fp_ieee_underflow 0
		.amdhsa_exception_fp_ieee_inexact 0
		.amdhsa_exception_int_div_zero 0
	.end_amdhsa_kernel
	.section	.text._ZN7rocprim17ROCPRIM_400000_NS6detail17trampoline_kernelINS0_14default_configENS1_22reduce_config_selectorIN6thrust23THRUST_200600_302600_NS5tupleIblNS6_9null_typeES8_S8_S8_S8_S8_S8_S8_EEEEZNS1_11reduce_implILb1ES3_PS9_SC_S9_NS6_11hip_rocprim9__find_if7functorIS9_EEEE10hipError_tPvRmT1_T2_T3_mT4_P12ihipStream_tbEUlT_E1_NS1_11comp_targetILNS1_3genE5ELNS1_11target_archE942ELNS1_3gpuE9ELNS1_3repE0EEENS1_30default_config_static_selectorELNS0_4arch9wavefront6targetE1EEEvSK_,"axG",@progbits,_ZN7rocprim17ROCPRIM_400000_NS6detail17trampoline_kernelINS0_14default_configENS1_22reduce_config_selectorIN6thrust23THRUST_200600_302600_NS5tupleIblNS6_9null_typeES8_S8_S8_S8_S8_S8_S8_EEEEZNS1_11reduce_implILb1ES3_PS9_SC_S9_NS6_11hip_rocprim9__find_if7functorIS9_EEEE10hipError_tPvRmT1_T2_T3_mT4_P12ihipStream_tbEUlT_E1_NS1_11comp_targetILNS1_3genE5ELNS1_11target_archE942ELNS1_3gpuE9ELNS1_3repE0EEENS1_30default_config_static_selectorELNS0_4arch9wavefront6targetE1EEEvSK_,comdat
.Lfunc_end418:
	.size	_ZN7rocprim17ROCPRIM_400000_NS6detail17trampoline_kernelINS0_14default_configENS1_22reduce_config_selectorIN6thrust23THRUST_200600_302600_NS5tupleIblNS6_9null_typeES8_S8_S8_S8_S8_S8_S8_EEEEZNS1_11reduce_implILb1ES3_PS9_SC_S9_NS6_11hip_rocprim9__find_if7functorIS9_EEEE10hipError_tPvRmT1_T2_T3_mT4_P12ihipStream_tbEUlT_E1_NS1_11comp_targetILNS1_3genE5ELNS1_11target_archE942ELNS1_3gpuE9ELNS1_3repE0EEENS1_30default_config_static_selectorELNS0_4arch9wavefront6targetE1EEEvSK_, .Lfunc_end418-_ZN7rocprim17ROCPRIM_400000_NS6detail17trampoline_kernelINS0_14default_configENS1_22reduce_config_selectorIN6thrust23THRUST_200600_302600_NS5tupleIblNS6_9null_typeES8_S8_S8_S8_S8_S8_S8_EEEEZNS1_11reduce_implILb1ES3_PS9_SC_S9_NS6_11hip_rocprim9__find_if7functorIS9_EEEE10hipError_tPvRmT1_T2_T3_mT4_P12ihipStream_tbEUlT_E1_NS1_11comp_targetILNS1_3genE5ELNS1_11target_archE942ELNS1_3gpuE9ELNS1_3repE0EEENS1_30default_config_static_selectorELNS0_4arch9wavefront6targetE1EEEvSK_
                                        ; -- End function
	.set _ZN7rocprim17ROCPRIM_400000_NS6detail17trampoline_kernelINS0_14default_configENS1_22reduce_config_selectorIN6thrust23THRUST_200600_302600_NS5tupleIblNS6_9null_typeES8_S8_S8_S8_S8_S8_S8_EEEEZNS1_11reduce_implILb1ES3_PS9_SC_S9_NS6_11hip_rocprim9__find_if7functorIS9_EEEE10hipError_tPvRmT1_T2_T3_mT4_P12ihipStream_tbEUlT_E1_NS1_11comp_targetILNS1_3genE5ELNS1_11target_archE942ELNS1_3gpuE9ELNS1_3repE0EEENS1_30default_config_static_selectorELNS0_4arch9wavefront6targetE1EEEvSK_.num_vgpr, 0
	.set _ZN7rocprim17ROCPRIM_400000_NS6detail17trampoline_kernelINS0_14default_configENS1_22reduce_config_selectorIN6thrust23THRUST_200600_302600_NS5tupleIblNS6_9null_typeES8_S8_S8_S8_S8_S8_S8_EEEEZNS1_11reduce_implILb1ES3_PS9_SC_S9_NS6_11hip_rocprim9__find_if7functorIS9_EEEE10hipError_tPvRmT1_T2_T3_mT4_P12ihipStream_tbEUlT_E1_NS1_11comp_targetILNS1_3genE5ELNS1_11target_archE942ELNS1_3gpuE9ELNS1_3repE0EEENS1_30default_config_static_selectorELNS0_4arch9wavefront6targetE1EEEvSK_.num_agpr, 0
	.set _ZN7rocprim17ROCPRIM_400000_NS6detail17trampoline_kernelINS0_14default_configENS1_22reduce_config_selectorIN6thrust23THRUST_200600_302600_NS5tupleIblNS6_9null_typeES8_S8_S8_S8_S8_S8_S8_EEEEZNS1_11reduce_implILb1ES3_PS9_SC_S9_NS6_11hip_rocprim9__find_if7functorIS9_EEEE10hipError_tPvRmT1_T2_T3_mT4_P12ihipStream_tbEUlT_E1_NS1_11comp_targetILNS1_3genE5ELNS1_11target_archE942ELNS1_3gpuE9ELNS1_3repE0EEENS1_30default_config_static_selectorELNS0_4arch9wavefront6targetE1EEEvSK_.numbered_sgpr, 0
	.set _ZN7rocprim17ROCPRIM_400000_NS6detail17trampoline_kernelINS0_14default_configENS1_22reduce_config_selectorIN6thrust23THRUST_200600_302600_NS5tupleIblNS6_9null_typeES8_S8_S8_S8_S8_S8_S8_EEEEZNS1_11reduce_implILb1ES3_PS9_SC_S9_NS6_11hip_rocprim9__find_if7functorIS9_EEEE10hipError_tPvRmT1_T2_T3_mT4_P12ihipStream_tbEUlT_E1_NS1_11comp_targetILNS1_3genE5ELNS1_11target_archE942ELNS1_3gpuE9ELNS1_3repE0EEENS1_30default_config_static_selectorELNS0_4arch9wavefront6targetE1EEEvSK_.num_named_barrier, 0
	.set _ZN7rocprim17ROCPRIM_400000_NS6detail17trampoline_kernelINS0_14default_configENS1_22reduce_config_selectorIN6thrust23THRUST_200600_302600_NS5tupleIblNS6_9null_typeES8_S8_S8_S8_S8_S8_S8_EEEEZNS1_11reduce_implILb1ES3_PS9_SC_S9_NS6_11hip_rocprim9__find_if7functorIS9_EEEE10hipError_tPvRmT1_T2_T3_mT4_P12ihipStream_tbEUlT_E1_NS1_11comp_targetILNS1_3genE5ELNS1_11target_archE942ELNS1_3gpuE9ELNS1_3repE0EEENS1_30default_config_static_selectorELNS0_4arch9wavefront6targetE1EEEvSK_.private_seg_size, 0
	.set _ZN7rocprim17ROCPRIM_400000_NS6detail17trampoline_kernelINS0_14default_configENS1_22reduce_config_selectorIN6thrust23THRUST_200600_302600_NS5tupleIblNS6_9null_typeES8_S8_S8_S8_S8_S8_S8_EEEEZNS1_11reduce_implILb1ES3_PS9_SC_S9_NS6_11hip_rocprim9__find_if7functorIS9_EEEE10hipError_tPvRmT1_T2_T3_mT4_P12ihipStream_tbEUlT_E1_NS1_11comp_targetILNS1_3genE5ELNS1_11target_archE942ELNS1_3gpuE9ELNS1_3repE0EEENS1_30default_config_static_selectorELNS0_4arch9wavefront6targetE1EEEvSK_.uses_vcc, 0
	.set _ZN7rocprim17ROCPRIM_400000_NS6detail17trampoline_kernelINS0_14default_configENS1_22reduce_config_selectorIN6thrust23THRUST_200600_302600_NS5tupleIblNS6_9null_typeES8_S8_S8_S8_S8_S8_S8_EEEEZNS1_11reduce_implILb1ES3_PS9_SC_S9_NS6_11hip_rocprim9__find_if7functorIS9_EEEE10hipError_tPvRmT1_T2_T3_mT4_P12ihipStream_tbEUlT_E1_NS1_11comp_targetILNS1_3genE5ELNS1_11target_archE942ELNS1_3gpuE9ELNS1_3repE0EEENS1_30default_config_static_selectorELNS0_4arch9wavefront6targetE1EEEvSK_.uses_flat_scratch, 0
	.set _ZN7rocprim17ROCPRIM_400000_NS6detail17trampoline_kernelINS0_14default_configENS1_22reduce_config_selectorIN6thrust23THRUST_200600_302600_NS5tupleIblNS6_9null_typeES8_S8_S8_S8_S8_S8_S8_EEEEZNS1_11reduce_implILb1ES3_PS9_SC_S9_NS6_11hip_rocprim9__find_if7functorIS9_EEEE10hipError_tPvRmT1_T2_T3_mT4_P12ihipStream_tbEUlT_E1_NS1_11comp_targetILNS1_3genE5ELNS1_11target_archE942ELNS1_3gpuE9ELNS1_3repE0EEENS1_30default_config_static_selectorELNS0_4arch9wavefront6targetE1EEEvSK_.has_dyn_sized_stack, 0
	.set _ZN7rocprim17ROCPRIM_400000_NS6detail17trampoline_kernelINS0_14default_configENS1_22reduce_config_selectorIN6thrust23THRUST_200600_302600_NS5tupleIblNS6_9null_typeES8_S8_S8_S8_S8_S8_S8_EEEEZNS1_11reduce_implILb1ES3_PS9_SC_S9_NS6_11hip_rocprim9__find_if7functorIS9_EEEE10hipError_tPvRmT1_T2_T3_mT4_P12ihipStream_tbEUlT_E1_NS1_11comp_targetILNS1_3genE5ELNS1_11target_archE942ELNS1_3gpuE9ELNS1_3repE0EEENS1_30default_config_static_selectorELNS0_4arch9wavefront6targetE1EEEvSK_.has_recursion, 0
	.set _ZN7rocprim17ROCPRIM_400000_NS6detail17trampoline_kernelINS0_14default_configENS1_22reduce_config_selectorIN6thrust23THRUST_200600_302600_NS5tupleIblNS6_9null_typeES8_S8_S8_S8_S8_S8_S8_EEEEZNS1_11reduce_implILb1ES3_PS9_SC_S9_NS6_11hip_rocprim9__find_if7functorIS9_EEEE10hipError_tPvRmT1_T2_T3_mT4_P12ihipStream_tbEUlT_E1_NS1_11comp_targetILNS1_3genE5ELNS1_11target_archE942ELNS1_3gpuE9ELNS1_3repE0EEENS1_30default_config_static_selectorELNS0_4arch9wavefront6targetE1EEEvSK_.has_indirect_call, 0
	.section	.AMDGPU.csdata,"",@progbits
; Kernel info:
; codeLenInByte = 0
; TotalNumSgprs: 4
; NumVgprs: 0
; ScratchSize: 0
; MemoryBound: 0
; FloatMode: 240
; IeeeMode: 1
; LDSByteSize: 0 bytes/workgroup (compile time only)
; SGPRBlocks: 0
; VGPRBlocks: 0
; NumSGPRsForWavesPerEU: 4
; NumVGPRsForWavesPerEU: 1
; Occupancy: 10
; WaveLimiterHint : 0
; COMPUTE_PGM_RSRC2:SCRATCH_EN: 0
; COMPUTE_PGM_RSRC2:USER_SGPR: 6
; COMPUTE_PGM_RSRC2:TRAP_HANDLER: 0
; COMPUTE_PGM_RSRC2:TGID_X_EN: 1
; COMPUTE_PGM_RSRC2:TGID_Y_EN: 0
; COMPUTE_PGM_RSRC2:TGID_Z_EN: 0
; COMPUTE_PGM_RSRC2:TIDIG_COMP_CNT: 0
	.section	.text._ZN7rocprim17ROCPRIM_400000_NS6detail17trampoline_kernelINS0_14default_configENS1_22reduce_config_selectorIN6thrust23THRUST_200600_302600_NS5tupleIblNS6_9null_typeES8_S8_S8_S8_S8_S8_S8_EEEEZNS1_11reduce_implILb1ES3_PS9_SC_S9_NS6_11hip_rocprim9__find_if7functorIS9_EEEE10hipError_tPvRmT1_T2_T3_mT4_P12ihipStream_tbEUlT_E1_NS1_11comp_targetILNS1_3genE4ELNS1_11target_archE910ELNS1_3gpuE8ELNS1_3repE0EEENS1_30default_config_static_selectorELNS0_4arch9wavefront6targetE1EEEvSK_,"axG",@progbits,_ZN7rocprim17ROCPRIM_400000_NS6detail17trampoline_kernelINS0_14default_configENS1_22reduce_config_selectorIN6thrust23THRUST_200600_302600_NS5tupleIblNS6_9null_typeES8_S8_S8_S8_S8_S8_S8_EEEEZNS1_11reduce_implILb1ES3_PS9_SC_S9_NS6_11hip_rocprim9__find_if7functorIS9_EEEE10hipError_tPvRmT1_T2_T3_mT4_P12ihipStream_tbEUlT_E1_NS1_11comp_targetILNS1_3genE4ELNS1_11target_archE910ELNS1_3gpuE8ELNS1_3repE0EEENS1_30default_config_static_selectorELNS0_4arch9wavefront6targetE1EEEvSK_,comdat
	.protected	_ZN7rocprim17ROCPRIM_400000_NS6detail17trampoline_kernelINS0_14default_configENS1_22reduce_config_selectorIN6thrust23THRUST_200600_302600_NS5tupleIblNS6_9null_typeES8_S8_S8_S8_S8_S8_S8_EEEEZNS1_11reduce_implILb1ES3_PS9_SC_S9_NS6_11hip_rocprim9__find_if7functorIS9_EEEE10hipError_tPvRmT1_T2_T3_mT4_P12ihipStream_tbEUlT_E1_NS1_11comp_targetILNS1_3genE4ELNS1_11target_archE910ELNS1_3gpuE8ELNS1_3repE0EEENS1_30default_config_static_selectorELNS0_4arch9wavefront6targetE1EEEvSK_ ; -- Begin function _ZN7rocprim17ROCPRIM_400000_NS6detail17trampoline_kernelINS0_14default_configENS1_22reduce_config_selectorIN6thrust23THRUST_200600_302600_NS5tupleIblNS6_9null_typeES8_S8_S8_S8_S8_S8_S8_EEEEZNS1_11reduce_implILb1ES3_PS9_SC_S9_NS6_11hip_rocprim9__find_if7functorIS9_EEEE10hipError_tPvRmT1_T2_T3_mT4_P12ihipStream_tbEUlT_E1_NS1_11comp_targetILNS1_3genE4ELNS1_11target_archE910ELNS1_3gpuE8ELNS1_3repE0EEENS1_30default_config_static_selectorELNS0_4arch9wavefront6targetE1EEEvSK_
	.globl	_ZN7rocprim17ROCPRIM_400000_NS6detail17trampoline_kernelINS0_14default_configENS1_22reduce_config_selectorIN6thrust23THRUST_200600_302600_NS5tupleIblNS6_9null_typeES8_S8_S8_S8_S8_S8_S8_EEEEZNS1_11reduce_implILb1ES3_PS9_SC_S9_NS6_11hip_rocprim9__find_if7functorIS9_EEEE10hipError_tPvRmT1_T2_T3_mT4_P12ihipStream_tbEUlT_E1_NS1_11comp_targetILNS1_3genE4ELNS1_11target_archE910ELNS1_3gpuE8ELNS1_3repE0EEENS1_30default_config_static_selectorELNS0_4arch9wavefront6targetE1EEEvSK_
	.p2align	8
	.type	_ZN7rocprim17ROCPRIM_400000_NS6detail17trampoline_kernelINS0_14default_configENS1_22reduce_config_selectorIN6thrust23THRUST_200600_302600_NS5tupleIblNS6_9null_typeES8_S8_S8_S8_S8_S8_S8_EEEEZNS1_11reduce_implILb1ES3_PS9_SC_S9_NS6_11hip_rocprim9__find_if7functorIS9_EEEE10hipError_tPvRmT1_T2_T3_mT4_P12ihipStream_tbEUlT_E1_NS1_11comp_targetILNS1_3genE4ELNS1_11target_archE910ELNS1_3gpuE8ELNS1_3repE0EEENS1_30default_config_static_selectorELNS0_4arch9wavefront6targetE1EEEvSK_,@function
_ZN7rocprim17ROCPRIM_400000_NS6detail17trampoline_kernelINS0_14default_configENS1_22reduce_config_selectorIN6thrust23THRUST_200600_302600_NS5tupleIblNS6_9null_typeES8_S8_S8_S8_S8_S8_S8_EEEEZNS1_11reduce_implILb1ES3_PS9_SC_S9_NS6_11hip_rocprim9__find_if7functorIS9_EEEE10hipError_tPvRmT1_T2_T3_mT4_P12ihipStream_tbEUlT_E1_NS1_11comp_targetILNS1_3genE4ELNS1_11target_archE910ELNS1_3gpuE8ELNS1_3repE0EEENS1_30default_config_static_selectorELNS0_4arch9wavefront6targetE1EEEvSK_: ; @_ZN7rocprim17ROCPRIM_400000_NS6detail17trampoline_kernelINS0_14default_configENS1_22reduce_config_selectorIN6thrust23THRUST_200600_302600_NS5tupleIblNS6_9null_typeES8_S8_S8_S8_S8_S8_S8_EEEEZNS1_11reduce_implILb1ES3_PS9_SC_S9_NS6_11hip_rocprim9__find_if7functorIS9_EEEE10hipError_tPvRmT1_T2_T3_mT4_P12ihipStream_tbEUlT_E1_NS1_11comp_targetILNS1_3genE4ELNS1_11target_archE910ELNS1_3gpuE8ELNS1_3repE0EEENS1_30default_config_static_selectorELNS0_4arch9wavefront6targetE1EEEvSK_
; %bb.0:
	.section	.rodata,"a",@progbits
	.p2align	6, 0x0
	.amdhsa_kernel _ZN7rocprim17ROCPRIM_400000_NS6detail17trampoline_kernelINS0_14default_configENS1_22reduce_config_selectorIN6thrust23THRUST_200600_302600_NS5tupleIblNS6_9null_typeES8_S8_S8_S8_S8_S8_S8_EEEEZNS1_11reduce_implILb1ES3_PS9_SC_S9_NS6_11hip_rocprim9__find_if7functorIS9_EEEE10hipError_tPvRmT1_T2_T3_mT4_P12ihipStream_tbEUlT_E1_NS1_11comp_targetILNS1_3genE4ELNS1_11target_archE910ELNS1_3gpuE8ELNS1_3repE0EEENS1_30default_config_static_selectorELNS0_4arch9wavefront6targetE1EEEvSK_
		.amdhsa_group_segment_fixed_size 0
		.amdhsa_private_segment_fixed_size 0
		.amdhsa_kernarg_size 56
		.amdhsa_user_sgpr_count 6
		.amdhsa_user_sgpr_private_segment_buffer 1
		.amdhsa_user_sgpr_dispatch_ptr 0
		.amdhsa_user_sgpr_queue_ptr 0
		.amdhsa_user_sgpr_kernarg_segment_ptr 1
		.amdhsa_user_sgpr_dispatch_id 0
		.amdhsa_user_sgpr_flat_scratch_init 0
		.amdhsa_user_sgpr_private_segment_size 0
		.amdhsa_uses_dynamic_stack 0
		.amdhsa_system_sgpr_private_segment_wavefront_offset 0
		.amdhsa_system_sgpr_workgroup_id_x 1
		.amdhsa_system_sgpr_workgroup_id_y 0
		.amdhsa_system_sgpr_workgroup_id_z 0
		.amdhsa_system_sgpr_workgroup_info 0
		.amdhsa_system_vgpr_workitem_id 0
		.amdhsa_next_free_vgpr 1
		.amdhsa_next_free_sgpr 0
		.amdhsa_reserve_vcc 0
		.amdhsa_reserve_flat_scratch 0
		.amdhsa_float_round_mode_32 0
		.amdhsa_float_round_mode_16_64 0
		.amdhsa_float_denorm_mode_32 3
		.amdhsa_float_denorm_mode_16_64 3
		.amdhsa_dx10_clamp 1
		.amdhsa_ieee_mode 1
		.amdhsa_fp16_overflow 0
		.amdhsa_exception_fp_ieee_invalid_op 0
		.amdhsa_exception_fp_denorm_src 0
		.amdhsa_exception_fp_ieee_div_zero 0
		.amdhsa_exception_fp_ieee_overflow 0
		.amdhsa_exception_fp_ieee_underflow 0
		.amdhsa_exception_fp_ieee_inexact 0
		.amdhsa_exception_int_div_zero 0
	.end_amdhsa_kernel
	.section	.text._ZN7rocprim17ROCPRIM_400000_NS6detail17trampoline_kernelINS0_14default_configENS1_22reduce_config_selectorIN6thrust23THRUST_200600_302600_NS5tupleIblNS6_9null_typeES8_S8_S8_S8_S8_S8_S8_EEEEZNS1_11reduce_implILb1ES3_PS9_SC_S9_NS6_11hip_rocprim9__find_if7functorIS9_EEEE10hipError_tPvRmT1_T2_T3_mT4_P12ihipStream_tbEUlT_E1_NS1_11comp_targetILNS1_3genE4ELNS1_11target_archE910ELNS1_3gpuE8ELNS1_3repE0EEENS1_30default_config_static_selectorELNS0_4arch9wavefront6targetE1EEEvSK_,"axG",@progbits,_ZN7rocprim17ROCPRIM_400000_NS6detail17trampoline_kernelINS0_14default_configENS1_22reduce_config_selectorIN6thrust23THRUST_200600_302600_NS5tupleIblNS6_9null_typeES8_S8_S8_S8_S8_S8_S8_EEEEZNS1_11reduce_implILb1ES3_PS9_SC_S9_NS6_11hip_rocprim9__find_if7functorIS9_EEEE10hipError_tPvRmT1_T2_T3_mT4_P12ihipStream_tbEUlT_E1_NS1_11comp_targetILNS1_3genE4ELNS1_11target_archE910ELNS1_3gpuE8ELNS1_3repE0EEENS1_30default_config_static_selectorELNS0_4arch9wavefront6targetE1EEEvSK_,comdat
.Lfunc_end419:
	.size	_ZN7rocprim17ROCPRIM_400000_NS6detail17trampoline_kernelINS0_14default_configENS1_22reduce_config_selectorIN6thrust23THRUST_200600_302600_NS5tupleIblNS6_9null_typeES8_S8_S8_S8_S8_S8_S8_EEEEZNS1_11reduce_implILb1ES3_PS9_SC_S9_NS6_11hip_rocprim9__find_if7functorIS9_EEEE10hipError_tPvRmT1_T2_T3_mT4_P12ihipStream_tbEUlT_E1_NS1_11comp_targetILNS1_3genE4ELNS1_11target_archE910ELNS1_3gpuE8ELNS1_3repE0EEENS1_30default_config_static_selectorELNS0_4arch9wavefront6targetE1EEEvSK_, .Lfunc_end419-_ZN7rocprim17ROCPRIM_400000_NS6detail17trampoline_kernelINS0_14default_configENS1_22reduce_config_selectorIN6thrust23THRUST_200600_302600_NS5tupleIblNS6_9null_typeES8_S8_S8_S8_S8_S8_S8_EEEEZNS1_11reduce_implILb1ES3_PS9_SC_S9_NS6_11hip_rocprim9__find_if7functorIS9_EEEE10hipError_tPvRmT1_T2_T3_mT4_P12ihipStream_tbEUlT_E1_NS1_11comp_targetILNS1_3genE4ELNS1_11target_archE910ELNS1_3gpuE8ELNS1_3repE0EEENS1_30default_config_static_selectorELNS0_4arch9wavefront6targetE1EEEvSK_
                                        ; -- End function
	.set _ZN7rocprim17ROCPRIM_400000_NS6detail17trampoline_kernelINS0_14default_configENS1_22reduce_config_selectorIN6thrust23THRUST_200600_302600_NS5tupleIblNS6_9null_typeES8_S8_S8_S8_S8_S8_S8_EEEEZNS1_11reduce_implILb1ES3_PS9_SC_S9_NS6_11hip_rocprim9__find_if7functorIS9_EEEE10hipError_tPvRmT1_T2_T3_mT4_P12ihipStream_tbEUlT_E1_NS1_11comp_targetILNS1_3genE4ELNS1_11target_archE910ELNS1_3gpuE8ELNS1_3repE0EEENS1_30default_config_static_selectorELNS0_4arch9wavefront6targetE1EEEvSK_.num_vgpr, 0
	.set _ZN7rocprim17ROCPRIM_400000_NS6detail17trampoline_kernelINS0_14default_configENS1_22reduce_config_selectorIN6thrust23THRUST_200600_302600_NS5tupleIblNS6_9null_typeES8_S8_S8_S8_S8_S8_S8_EEEEZNS1_11reduce_implILb1ES3_PS9_SC_S9_NS6_11hip_rocprim9__find_if7functorIS9_EEEE10hipError_tPvRmT1_T2_T3_mT4_P12ihipStream_tbEUlT_E1_NS1_11comp_targetILNS1_3genE4ELNS1_11target_archE910ELNS1_3gpuE8ELNS1_3repE0EEENS1_30default_config_static_selectorELNS0_4arch9wavefront6targetE1EEEvSK_.num_agpr, 0
	.set _ZN7rocprim17ROCPRIM_400000_NS6detail17trampoline_kernelINS0_14default_configENS1_22reduce_config_selectorIN6thrust23THRUST_200600_302600_NS5tupleIblNS6_9null_typeES8_S8_S8_S8_S8_S8_S8_EEEEZNS1_11reduce_implILb1ES3_PS9_SC_S9_NS6_11hip_rocprim9__find_if7functorIS9_EEEE10hipError_tPvRmT1_T2_T3_mT4_P12ihipStream_tbEUlT_E1_NS1_11comp_targetILNS1_3genE4ELNS1_11target_archE910ELNS1_3gpuE8ELNS1_3repE0EEENS1_30default_config_static_selectorELNS0_4arch9wavefront6targetE1EEEvSK_.numbered_sgpr, 0
	.set _ZN7rocprim17ROCPRIM_400000_NS6detail17trampoline_kernelINS0_14default_configENS1_22reduce_config_selectorIN6thrust23THRUST_200600_302600_NS5tupleIblNS6_9null_typeES8_S8_S8_S8_S8_S8_S8_EEEEZNS1_11reduce_implILb1ES3_PS9_SC_S9_NS6_11hip_rocprim9__find_if7functorIS9_EEEE10hipError_tPvRmT1_T2_T3_mT4_P12ihipStream_tbEUlT_E1_NS1_11comp_targetILNS1_3genE4ELNS1_11target_archE910ELNS1_3gpuE8ELNS1_3repE0EEENS1_30default_config_static_selectorELNS0_4arch9wavefront6targetE1EEEvSK_.num_named_barrier, 0
	.set _ZN7rocprim17ROCPRIM_400000_NS6detail17trampoline_kernelINS0_14default_configENS1_22reduce_config_selectorIN6thrust23THRUST_200600_302600_NS5tupleIblNS6_9null_typeES8_S8_S8_S8_S8_S8_S8_EEEEZNS1_11reduce_implILb1ES3_PS9_SC_S9_NS6_11hip_rocprim9__find_if7functorIS9_EEEE10hipError_tPvRmT1_T2_T3_mT4_P12ihipStream_tbEUlT_E1_NS1_11comp_targetILNS1_3genE4ELNS1_11target_archE910ELNS1_3gpuE8ELNS1_3repE0EEENS1_30default_config_static_selectorELNS0_4arch9wavefront6targetE1EEEvSK_.private_seg_size, 0
	.set _ZN7rocprim17ROCPRIM_400000_NS6detail17trampoline_kernelINS0_14default_configENS1_22reduce_config_selectorIN6thrust23THRUST_200600_302600_NS5tupleIblNS6_9null_typeES8_S8_S8_S8_S8_S8_S8_EEEEZNS1_11reduce_implILb1ES3_PS9_SC_S9_NS6_11hip_rocprim9__find_if7functorIS9_EEEE10hipError_tPvRmT1_T2_T3_mT4_P12ihipStream_tbEUlT_E1_NS1_11comp_targetILNS1_3genE4ELNS1_11target_archE910ELNS1_3gpuE8ELNS1_3repE0EEENS1_30default_config_static_selectorELNS0_4arch9wavefront6targetE1EEEvSK_.uses_vcc, 0
	.set _ZN7rocprim17ROCPRIM_400000_NS6detail17trampoline_kernelINS0_14default_configENS1_22reduce_config_selectorIN6thrust23THRUST_200600_302600_NS5tupleIblNS6_9null_typeES8_S8_S8_S8_S8_S8_S8_EEEEZNS1_11reduce_implILb1ES3_PS9_SC_S9_NS6_11hip_rocprim9__find_if7functorIS9_EEEE10hipError_tPvRmT1_T2_T3_mT4_P12ihipStream_tbEUlT_E1_NS1_11comp_targetILNS1_3genE4ELNS1_11target_archE910ELNS1_3gpuE8ELNS1_3repE0EEENS1_30default_config_static_selectorELNS0_4arch9wavefront6targetE1EEEvSK_.uses_flat_scratch, 0
	.set _ZN7rocprim17ROCPRIM_400000_NS6detail17trampoline_kernelINS0_14default_configENS1_22reduce_config_selectorIN6thrust23THRUST_200600_302600_NS5tupleIblNS6_9null_typeES8_S8_S8_S8_S8_S8_S8_EEEEZNS1_11reduce_implILb1ES3_PS9_SC_S9_NS6_11hip_rocprim9__find_if7functorIS9_EEEE10hipError_tPvRmT1_T2_T3_mT4_P12ihipStream_tbEUlT_E1_NS1_11comp_targetILNS1_3genE4ELNS1_11target_archE910ELNS1_3gpuE8ELNS1_3repE0EEENS1_30default_config_static_selectorELNS0_4arch9wavefront6targetE1EEEvSK_.has_dyn_sized_stack, 0
	.set _ZN7rocprim17ROCPRIM_400000_NS6detail17trampoline_kernelINS0_14default_configENS1_22reduce_config_selectorIN6thrust23THRUST_200600_302600_NS5tupleIblNS6_9null_typeES8_S8_S8_S8_S8_S8_S8_EEEEZNS1_11reduce_implILb1ES3_PS9_SC_S9_NS6_11hip_rocprim9__find_if7functorIS9_EEEE10hipError_tPvRmT1_T2_T3_mT4_P12ihipStream_tbEUlT_E1_NS1_11comp_targetILNS1_3genE4ELNS1_11target_archE910ELNS1_3gpuE8ELNS1_3repE0EEENS1_30default_config_static_selectorELNS0_4arch9wavefront6targetE1EEEvSK_.has_recursion, 0
	.set _ZN7rocprim17ROCPRIM_400000_NS6detail17trampoline_kernelINS0_14default_configENS1_22reduce_config_selectorIN6thrust23THRUST_200600_302600_NS5tupleIblNS6_9null_typeES8_S8_S8_S8_S8_S8_S8_EEEEZNS1_11reduce_implILb1ES3_PS9_SC_S9_NS6_11hip_rocprim9__find_if7functorIS9_EEEE10hipError_tPvRmT1_T2_T3_mT4_P12ihipStream_tbEUlT_E1_NS1_11comp_targetILNS1_3genE4ELNS1_11target_archE910ELNS1_3gpuE8ELNS1_3repE0EEENS1_30default_config_static_selectorELNS0_4arch9wavefront6targetE1EEEvSK_.has_indirect_call, 0
	.section	.AMDGPU.csdata,"",@progbits
; Kernel info:
; codeLenInByte = 0
; TotalNumSgprs: 4
; NumVgprs: 0
; ScratchSize: 0
; MemoryBound: 0
; FloatMode: 240
; IeeeMode: 1
; LDSByteSize: 0 bytes/workgroup (compile time only)
; SGPRBlocks: 0
; VGPRBlocks: 0
; NumSGPRsForWavesPerEU: 4
; NumVGPRsForWavesPerEU: 1
; Occupancy: 10
; WaveLimiterHint : 0
; COMPUTE_PGM_RSRC2:SCRATCH_EN: 0
; COMPUTE_PGM_RSRC2:USER_SGPR: 6
; COMPUTE_PGM_RSRC2:TRAP_HANDLER: 0
; COMPUTE_PGM_RSRC2:TGID_X_EN: 1
; COMPUTE_PGM_RSRC2:TGID_Y_EN: 0
; COMPUTE_PGM_RSRC2:TGID_Z_EN: 0
; COMPUTE_PGM_RSRC2:TIDIG_COMP_CNT: 0
	.section	.text._ZN7rocprim17ROCPRIM_400000_NS6detail17trampoline_kernelINS0_14default_configENS1_22reduce_config_selectorIN6thrust23THRUST_200600_302600_NS5tupleIblNS6_9null_typeES8_S8_S8_S8_S8_S8_S8_EEEEZNS1_11reduce_implILb1ES3_PS9_SC_S9_NS6_11hip_rocprim9__find_if7functorIS9_EEEE10hipError_tPvRmT1_T2_T3_mT4_P12ihipStream_tbEUlT_E1_NS1_11comp_targetILNS1_3genE3ELNS1_11target_archE908ELNS1_3gpuE7ELNS1_3repE0EEENS1_30default_config_static_selectorELNS0_4arch9wavefront6targetE1EEEvSK_,"axG",@progbits,_ZN7rocprim17ROCPRIM_400000_NS6detail17trampoline_kernelINS0_14default_configENS1_22reduce_config_selectorIN6thrust23THRUST_200600_302600_NS5tupleIblNS6_9null_typeES8_S8_S8_S8_S8_S8_S8_EEEEZNS1_11reduce_implILb1ES3_PS9_SC_S9_NS6_11hip_rocprim9__find_if7functorIS9_EEEE10hipError_tPvRmT1_T2_T3_mT4_P12ihipStream_tbEUlT_E1_NS1_11comp_targetILNS1_3genE3ELNS1_11target_archE908ELNS1_3gpuE7ELNS1_3repE0EEENS1_30default_config_static_selectorELNS0_4arch9wavefront6targetE1EEEvSK_,comdat
	.protected	_ZN7rocprim17ROCPRIM_400000_NS6detail17trampoline_kernelINS0_14default_configENS1_22reduce_config_selectorIN6thrust23THRUST_200600_302600_NS5tupleIblNS6_9null_typeES8_S8_S8_S8_S8_S8_S8_EEEEZNS1_11reduce_implILb1ES3_PS9_SC_S9_NS6_11hip_rocprim9__find_if7functorIS9_EEEE10hipError_tPvRmT1_T2_T3_mT4_P12ihipStream_tbEUlT_E1_NS1_11comp_targetILNS1_3genE3ELNS1_11target_archE908ELNS1_3gpuE7ELNS1_3repE0EEENS1_30default_config_static_selectorELNS0_4arch9wavefront6targetE1EEEvSK_ ; -- Begin function _ZN7rocprim17ROCPRIM_400000_NS6detail17trampoline_kernelINS0_14default_configENS1_22reduce_config_selectorIN6thrust23THRUST_200600_302600_NS5tupleIblNS6_9null_typeES8_S8_S8_S8_S8_S8_S8_EEEEZNS1_11reduce_implILb1ES3_PS9_SC_S9_NS6_11hip_rocprim9__find_if7functorIS9_EEEE10hipError_tPvRmT1_T2_T3_mT4_P12ihipStream_tbEUlT_E1_NS1_11comp_targetILNS1_3genE3ELNS1_11target_archE908ELNS1_3gpuE7ELNS1_3repE0EEENS1_30default_config_static_selectorELNS0_4arch9wavefront6targetE1EEEvSK_
	.globl	_ZN7rocprim17ROCPRIM_400000_NS6detail17trampoline_kernelINS0_14default_configENS1_22reduce_config_selectorIN6thrust23THRUST_200600_302600_NS5tupleIblNS6_9null_typeES8_S8_S8_S8_S8_S8_S8_EEEEZNS1_11reduce_implILb1ES3_PS9_SC_S9_NS6_11hip_rocprim9__find_if7functorIS9_EEEE10hipError_tPvRmT1_T2_T3_mT4_P12ihipStream_tbEUlT_E1_NS1_11comp_targetILNS1_3genE3ELNS1_11target_archE908ELNS1_3gpuE7ELNS1_3repE0EEENS1_30default_config_static_selectorELNS0_4arch9wavefront6targetE1EEEvSK_
	.p2align	8
	.type	_ZN7rocprim17ROCPRIM_400000_NS6detail17trampoline_kernelINS0_14default_configENS1_22reduce_config_selectorIN6thrust23THRUST_200600_302600_NS5tupleIblNS6_9null_typeES8_S8_S8_S8_S8_S8_S8_EEEEZNS1_11reduce_implILb1ES3_PS9_SC_S9_NS6_11hip_rocprim9__find_if7functorIS9_EEEE10hipError_tPvRmT1_T2_T3_mT4_P12ihipStream_tbEUlT_E1_NS1_11comp_targetILNS1_3genE3ELNS1_11target_archE908ELNS1_3gpuE7ELNS1_3repE0EEENS1_30default_config_static_selectorELNS0_4arch9wavefront6targetE1EEEvSK_,@function
_ZN7rocprim17ROCPRIM_400000_NS6detail17trampoline_kernelINS0_14default_configENS1_22reduce_config_selectorIN6thrust23THRUST_200600_302600_NS5tupleIblNS6_9null_typeES8_S8_S8_S8_S8_S8_S8_EEEEZNS1_11reduce_implILb1ES3_PS9_SC_S9_NS6_11hip_rocprim9__find_if7functorIS9_EEEE10hipError_tPvRmT1_T2_T3_mT4_P12ihipStream_tbEUlT_E1_NS1_11comp_targetILNS1_3genE3ELNS1_11target_archE908ELNS1_3gpuE7ELNS1_3repE0EEENS1_30default_config_static_selectorELNS0_4arch9wavefront6targetE1EEEvSK_: ; @_ZN7rocprim17ROCPRIM_400000_NS6detail17trampoline_kernelINS0_14default_configENS1_22reduce_config_selectorIN6thrust23THRUST_200600_302600_NS5tupleIblNS6_9null_typeES8_S8_S8_S8_S8_S8_S8_EEEEZNS1_11reduce_implILb1ES3_PS9_SC_S9_NS6_11hip_rocprim9__find_if7functorIS9_EEEE10hipError_tPvRmT1_T2_T3_mT4_P12ihipStream_tbEUlT_E1_NS1_11comp_targetILNS1_3genE3ELNS1_11target_archE908ELNS1_3gpuE7ELNS1_3repE0EEENS1_30default_config_static_selectorELNS0_4arch9wavefront6targetE1EEEvSK_
; %bb.0:
	.section	.rodata,"a",@progbits
	.p2align	6, 0x0
	.amdhsa_kernel _ZN7rocprim17ROCPRIM_400000_NS6detail17trampoline_kernelINS0_14default_configENS1_22reduce_config_selectorIN6thrust23THRUST_200600_302600_NS5tupleIblNS6_9null_typeES8_S8_S8_S8_S8_S8_S8_EEEEZNS1_11reduce_implILb1ES3_PS9_SC_S9_NS6_11hip_rocprim9__find_if7functorIS9_EEEE10hipError_tPvRmT1_T2_T3_mT4_P12ihipStream_tbEUlT_E1_NS1_11comp_targetILNS1_3genE3ELNS1_11target_archE908ELNS1_3gpuE7ELNS1_3repE0EEENS1_30default_config_static_selectorELNS0_4arch9wavefront6targetE1EEEvSK_
		.amdhsa_group_segment_fixed_size 0
		.amdhsa_private_segment_fixed_size 0
		.amdhsa_kernarg_size 56
		.amdhsa_user_sgpr_count 6
		.amdhsa_user_sgpr_private_segment_buffer 1
		.amdhsa_user_sgpr_dispatch_ptr 0
		.amdhsa_user_sgpr_queue_ptr 0
		.amdhsa_user_sgpr_kernarg_segment_ptr 1
		.amdhsa_user_sgpr_dispatch_id 0
		.amdhsa_user_sgpr_flat_scratch_init 0
		.amdhsa_user_sgpr_private_segment_size 0
		.amdhsa_uses_dynamic_stack 0
		.amdhsa_system_sgpr_private_segment_wavefront_offset 0
		.amdhsa_system_sgpr_workgroup_id_x 1
		.amdhsa_system_sgpr_workgroup_id_y 0
		.amdhsa_system_sgpr_workgroup_id_z 0
		.amdhsa_system_sgpr_workgroup_info 0
		.amdhsa_system_vgpr_workitem_id 0
		.amdhsa_next_free_vgpr 1
		.amdhsa_next_free_sgpr 0
		.amdhsa_reserve_vcc 0
		.amdhsa_reserve_flat_scratch 0
		.amdhsa_float_round_mode_32 0
		.amdhsa_float_round_mode_16_64 0
		.amdhsa_float_denorm_mode_32 3
		.amdhsa_float_denorm_mode_16_64 3
		.amdhsa_dx10_clamp 1
		.amdhsa_ieee_mode 1
		.amdhsa_fp16_overflow 0
		.amdhsa_exception_fp_ieee_invalid_op 0
		.amdhsa_exception_fp_denorm_src 0
		.amdhsa_exception_fp_ieee_div_zero 0
		.amdhsa_exception_fp_ieee_overflow 0
		.amdhsa_exception_fp_ieee_underflow 0
		.amdhsa_exception_fp_ieee_inexact 0
		.amdhsa_exception_int_div_zero 0
	.end_amdhsa_kernel
	.section	.text._ZN7rocprim17ROCPRIM_400000_NS6detail17trampoline_kernelINS0_14default_configENS1_22reduce_config_selectorIN6thrust23THRUST_200600_302600_NS5tupleIblNS6_9null_typeES8_S8_S8_S8_S8_S8_S8_EEEEZNS1_11reduce_implILb1ES3_PS9_SC_S9_NS6_11hip_rocprim9__find_if7functorIS9_EEEE10hipError_tPvRmT1_T2_T3_mT4_P12ihipStream_tbEUlT_E1_NS1_11comp_targetILNS1_3genE3ELNS1_11target_archE908ELNS1_3gpuE7ELNS1_3repE0EEENS1_30default_config_static_selectorELNS0_4arch9wavefront6targetE1EEEvSK_,"axG",@progbits,_ZN7rocprim17ROCPRIM_400000_NS6detail17trampoline_kernelINS0_14default_configENS1_22reduce_config_selectorIN6thrust23THRUST_200600_302600_NS5tupleIblNS6_9null_typeES8_S8_S8_S8_S8_S8_S8_EEEEZNS1_11reduce_implILb1ES3_PS9_SC_S9_NS6_11hip_rocprim9__find_if7functorIS9_EEEE10hipError_tPvRmT1_T2_T3_mT4_P12ihipStream_tbEUlT_E1_NS1_11comp_targetILNS1_3genE3ELNS1_11target_archE908ELNS1_3gpuE7ELNS1_3repE0EEENS1_30default_config_static_selectorELNS0_4arch9wavefront6targetE1EEEvSK_,comdat
.Lfunc_end420:
	.size	_ZN7rocprim17ROCPRIM_400000_NS6detail17trampoline_kernelINS0_14default_configENS1_22reduce_config_selectorIN6thrust23THRUST_200600_302600_NS5tupleIblNS6_9null_typeES8_S8_S8_S8_S8_S8_S8_EEEEZNS1_11reduce_implILb1ES3_PS9_SC_S9_NS6_11hip_rocprim9__find_if7functorIS9_EEEE10hipError_tPvRmT1_T2_T3_mT4_P12ihipStream_tbEUlT_E1_NS1_11comp_targetILNS1_3genE3ELNS1_11target_archE908ELNS1_3gpuE7ELNS1_3repE0EEENS1_30default_config_static_selectorELNS0_4arch9wavefront6targetE1EEEvSK_, .Lfunc_end420-_ZN7rocprim17ROCPRIM_400000_NS6detail17trampoline_kernelINS0_14default_configENS1_22reduce_config_selectorIN6thrust23THRUST_200600_302600_NS5tupleIblNS6_9null_typeES8_S8_S8_S8_S8_S8_S8_EEEEZNS1_11reduce_implILb1ES3_PS9_SC_S9_NS6_11hip_rocprim9__find_if7functorIS9_EEEE10hipError_tPvRmT1_T2_T3_mT4_P12ihipStream_tbEUlT_E1_NS1_11comp_targetILNS1_3genE3ELNS1_11target_archE908ELNS1_3gpuE7ELNS1_3repE0EEENS1_30default_config_static_selectorELNS0_4arch9wavefront6targetE1EEEvSK_
                                        ; -- End function
	.set _ZN7rocprim17ROCPRIM_400000_NS6detail17trampoline_kernelINS0_14default_configENS1_22reduce_config_selectorIN6thrust23THRUST_200600_302600_NS5tupleIblNS6_9null_typeES8_S8_S8_S8_S8_S8_S8_EEEEZNS1_11reduce_implILb1ES3_PS9_SC_S9_NS6_11hip_rocprim9__find_if7functorIS9_EEEE10hipError_tPvRmT1_T2_T3_mT4_P12ihipStream_tbEUlT_E1_NS1_11comp_targetILNS1_3genE3ELNS1_11target_archE908ELNS1_3gpuE7ELNS1_3repE0EEENS1_30default_config_static_selectorELNS0_4arch9wavefront6targetE1EEEvSK_.num_vgpr, 0
	.set _ZN7rocprim17ROCPRIM_400000_NS6detail17trampoline_kernelINS0_14default_configENS1_22reduce_config_selectorIN6thrust23THRUST_200600_302600_NS5tupleIblNS6_9null_typeES8_S8_S8_S8_S8_S8_S8_EEEEZNS1_11reduce_implILb1ES3_PS9_SC_S9_NS6_11hip_rocprim9__find_if7functorIS9_EEEE10hipError_tPvRmT1_T2_T3_mT4_P12ihipStream_tbEUlT_E1_NS1_11comp_targetILNS1_3genE3ELNS1_11target_archE908ELNS1_3gpuE7ELNS1_3repE0EEENS1_30default_config_static_selectorELNS0_4arch9wavefront6targetE1EEEvSK_.num_agpr, 0
	.set _ZN7rocprim17ROCPRIM_400000_NS6detail17trampoline_kernelINS0_14default_configENS1_22reduce_config_selectorIN6thrust23THRUST_200600_302600_NS5tupleIblNS6_9null_typeES8_S8_S8_S8_S8_S8_S8_EEEEZNS1_11reduce_implILb1ES3_PS9_SC_S9_NS6_11hip_rocprim9__find_if7functorIS9_EEEE10hipError_tPvRmT1_T2_T3_mT4_P12ihipStream_tbEUlT_E1_NS1_11comp_targetILNS1_3genE3ELNS1_11target_archE908ELNS1_3gpuE7ELNS1_3repE0EEENS1_30default_config_static_selectorELNS0_4arch9wavefront6targetE1EEEvSK_.numbered_sgpr, 0
	.set _ZN7rocprim17ROCPRIM_400000_NS6detail17trampoline_kernelINS0_14default_configENS1_22reduce_config_selectorIN6thrust23THRUST_200600_302600_NS5tupleIblNS6_9null_typeES8_S8_S8_S8_S8_S8_S8_EEEEZNS1_11reduce_implILb1ES3_PS9_SC_S9_NS6_11hip_rocprim9__find_if7functorIS9_EEEE10hipError_tPvRmT1_T2_T3_mT4_P12ihipStream_tbEUlT_E1_NS1_11comp_targetILNS1_3genE3ELNS1_11target_archE908ELNS1_3gpuE7ELNS1_3repE0EEENS1_30default_config_static_selectorELNS0_4arch9wavefront6targetE1EEEvSK_.num_named_barrier, 0
	.set _ZN7rocprim17ROCPRIM_400000_NS6detail17trampoline_kernelINS0_14default_configENS1_22reduce_config_selectorIN6thrust23THRUST_200600_302600_NS5tupleIblNS6_9null_typeES8_S8_S8_S8_S8_S8_S8_EEEEZNS1_11reduce_implILb1ES3_PS9_SC_S9_NS6_11hip_rocprim9__find_if7functorIS9_EEEE10hipError_tPvRmT1_T2_T3_mT4_P12ihipStream_tbEUlT_E1_NS1_11comp_targetILNS1_3genE3ELNS1_11target_archE908ELNS1_3gpuE7ELNS1_3repE0EEENS1_30default_config_static_selectorELNS0_4arch9wavefront6targetE1EEEvSK_.private_seg_size, 0
	.set _ZN7rocprim17ROCPRIM_400000_NS6detail17trampoline_kernelINS0_14default_configENS1_22reduce_config_selectorIN6thrust23THRUST_200600_302600_NS5tupleIblNS6_9null_typeES8_S8_S8_S8_S8_S8_S8_EEEEZNS1_11reduce_implILb1ES3_PS9_SC_S9_NS6_11hip_rocprim9__find_if7functorIS9_EEEE10hipError_tPvRmT1_T2_T3_mT4_P12ihipStream_tbEUlT_E1_NS1_11comp_targetILNS1_3genE3ELNS1_11target_archE908ELNS1_3gpuE7ELNS1_3repE0EEENS1_30default_config_static_selectorELNS0_4arch9wavefront6targetE1EEEvSK_.uses_vcc, 0
	.set _ZN7rocprim17ROCPRIM_400000_NS6detail17trampoline_kernelINS0_14default_configENS1_22reduce_config_selectorIN6thrust23THRUST_200600_302600_NS5tupleIblNS6_9null_typeES8_S8_S8_S8_S8_S8_S8_EEEEZNS1_11reduce_implILb1ES3_PS9_SC_S9_NS6_11hip_rocprim9__find_if7functorIS9_EEEE10hipError_tPvRmT1_T2_T3_mT4_P12ihipStream_tbEUlT_E1_NS1_11comp_targetILNS1_3genE3ELNS1_11target_archE908ELNS1_3gpuE7ELNS1_3repE0EEENS1_30default_config_static_selectorELNS0_4arch9wavefront6targetE1EEEvSK_.uses_flat_scratch, 0
	.set _ZN7rocprim17ROCPRIM_400000_NS6detail17trampoline_kernelINS0_14default_configENS1_22reduce_config_selectorIN6thrust23THRUST_200600_302600_NS5tupleIblNS6_9null_typeES8_S8_S8_S8_S8_S8_S8_EEEEZNS1_11reduce_implILb1ES3_PS9_SC_S9_NS6_11hip_rocprim9__find_if7functorIS9_EEEE10hipError_tPvRmT1_T2_T3_mT4_P12ihipStream_tbEUlT_E1_NS1_11comp_targetILNS1_3genE3ELNS1_11target_archE908ELNS1_3gpuE7ELNS1_3repE0EEENS1_30default_config_static_selectorELNS0_4arch9wavefront6targetE1EEEvSK_.has_dyn_sized_stack, 0
	.set _ZN7rocprim17ROCPRIM_400000_NS6detail17trampoline_kernelINS0_14default_configENS1_22reduce_config_selectorIN6thrust23THRUST_200600_302600_NS5tupleIblNS6_9null_typeES8_S8_S8_S8_S8_S8_S8_EEEEZNS1_11reduce_implILb1ES3_PS9_SC_S9_NS6_11hip_rocprim9__find_if7functorIS9_EEEE10hipError_tPvRmT1_T2_T3_mT4_P12ihipStream_tbEUlT_E1_NS1_11comp_targetILNS1_3genE3ELNS1_11target_archE908ELNS1_3gpuE7ELNS1_3repE0EEENS1_30default_config_static_selectorELNS0_4arch9wavefront6targetE1EEEvSK_.has_recursion, 0
	.set _ZN7rocprim17ROCPRIM_400000_NS6detail17trampoline_kernelINS0_14default_configENS1_22reduce_config_selectorIN6thrust23THRUST_200600_302600_NS5tupleIblNS6_9null_typeES8_S8_S8_S8_S8_S8_S8_EEEEZNS1_11reduce_implILb1ES3_PS9_SC_S9_NS6_11hip_rocprim9__find_if7functorIS9_EEEE10hipError_tPvRmT1_T2_T3_mT4_P12ihipStream_tbEUlT_E1_NS1_11comp_targetILNS1_3genE3ELNS1_11target_archE908ELNS1_3gpuE7ELNS1_3repE0EEENS1_30default_config_static_selectorELNS0_4arch9wavefront6targetE1EEEvSK_.has_indirect_call, 0
	.section	.AMDGPU.csdata,"",@progbits
; Kernel info:
; codeLenInByte = 0
; TotalNumSgprs: 4
; NumVgprs: 0
; ScratchSize: 0
; MemoryBound: 0
; FloatMode: 240
; IeeeMode: 1
; LDSByteSize: 0 bytes/workgroup (compile time only)
; SGPRBlocks: 0
; VGPRBlocks: 0
; NumSGPRsForWavesPerEU: 4
; NumVGPRsForWavesPerEU: 1
; Occupancy: 10
; WaveLimiterHint : 0
; COMPUTE_PGM_RSRC2:SCRATCH_EN: 0
; COMPUTE_PGM_RSRC2:USER_SGPR: 6
; COMPUTE_PGM_RSRC2:TRAP_HANDLER: 0
; COMPUTE_PGM_RSRC2:TGID_X_EN: 1
; COMPUTE_PGM_RSRC2:TGID_Y_EN: 0
; COMPUTE_PGM_RSRC2:TGID_Z_EN: 0
; COMPUTE_PGM_RSRC2:TIDIG_COMP_CNT: 0
	.section	.text._ZN7rocprim17ROCPRIM_400000_NS6detail17trampoline_kernelINS0_14default_configENS1_22reduce_config_selectorIN6thrust23THRUST_200600_302600_NS5tupleIblNS6_9null_typeES8_S8_S8_S8_S8_S8_S8_EEEEZNS1_11reduce_implILb1ES3_PS9_SC_S9_NS6_11hip_rocprim9__find_if7functorIS9_EEEE10hipError_tPvRmT1_T2_T3_mT4_P12ihipStream_tbEUlT_E1_NS1_11comp_targetILNS1_3genE2ELNS1_11target_archE906ELNS1_3gpuE6ELNS1_3repE0EEENS1_30default_config_static_selectorELNS0_4arch9wavefront6targetE1EEEvSK_,"axG",@progbits,_ZN7rocprim17ROCPRIM_400000_NS6detail17trampoline_kernelINS0_14default_configENS1_22reduce_config_selectorIN6thrust23THRUST_200600_302600_NS5tupleIblNS6_9null_typeES8_S8_S8_S8_S8_S8_S8_EEEEZNS1_11reduce_implILb1ES3_PS9_SC_S9_NS6_11hip_rocprim9__find_if7functorIS9_EEEE10hipError_tPvRmT1_T2_T3_mT4_P12ihipStream_tbEUlT_E1_NS1_11comp_targetILNS1_3genE2ELNS1_11target_archE906ELNS1_3gpuE6ELNS1_3repE0EEENS1_30default_config_static_selectorELNS0_4arch9wavefront6targetE1EEEvSK_,comdat
	.protected	_ZN7rocprim17ROCPRIM_400000_NS6detail17trampoline_kernelINS0_14default_configENS1_22reduce_config_selectorIN6thrust23THRUST_200600_302600_NS5tupleIblNS6_9null_typeES8_S8_S8_S8_S8_S8_S8_EEEEZNS1_11reduce_implILb1ES3_PS9_SC_S9_NS6_11hip_rocprim9__find_if7functorIS9_EEEE10hipError_tPvRmT1_T2_T3_mT4_P12ihipStream_tbEUlT_E1_NS1_11comp_targetILNS1_3genE2ELNS1_11target_archE906ELNS1_3gpuE6ELNS1_3repE0EEENS1_30default_config_static_selectorELNS0_4arch9wavefront6targetE1EEEvSK_ ; -- Begin function _ZN7rocprim17ROCPRIM_400000_NS6detail17trampoline_kernelINS0_14default_configENS1_22reduce_config_selectorIN6thrust23THRUST_200600_302600_NS5tupleIblNS6_9null_typeES8_S8_S8_S8_S8_S8_S8_EEEEZNS1_11reduce_implILb1ES3_PS9_SC_S9_NS6_11hip_rocprim9__find_if7functorIS9_EEEE10hipError_tPvRmT1_T2_T3_mT4_P12ihipStream_tbEUlT_E1_NS1_11comp_targetILNS1_3genE2ELNS1_11target_archE906ELNS1_3gpuE6ELNS1_3repE0EEENS1_30default_config_static_selectorELNS0_4arch9wavefront6targetE1EEEvSK_
	.globl	_ZN7rocprim17ROCPRIM_400000_NS6detail17trampoline_kernelINS0_14default_configENS1_22reduce_config_selectorIN6thrust23THRUST_200600_302600_NS5tupleIblNS6_9null_typeES8_S8_S8_S8_S8_S8_S8_EEEEZNS1_11reduce_implILb1ES3_PS9_SC_S9_NS6_11hip_rocprim9__find_if7functorIS9_EEEE10hipError_tPvRmT1_T2_T3_mT4_P12ihipStream_tbEUlT_E1_NS1_11comp_targetILNS1_3genE2ELNS1_11target_archE906ELNS1_3gpuE6ELNS1_3repE0EEENS1_30default_config_static_selectorELNS0_4arch9wavefront6targetE1EEEvSK_
	.p2align	8
	.type	_ZN7rocprim17ROCPRIM_400000_NS6detail17trampoline_kernelINS0_14default_configENS1_22reduce_config_selectorIN6thrust23THRUST_200600_302600_NS5tupleIblNS6_9null_typeES8_S8_S8_S8_S8_S8_S8_EEEEZNS1_11reduce_implILb1ES3_PS9_SC_S9_NS6_11hip_rocprim9__find_if7functorIS9_EEEE10hipError_tPvRmT1_T2_T3_mT4_P12ihipStream_tbEUlT_E1_NS1_11comp_targetILNS1_3genE2ELNS1_11target_archE906ELNS1_3gpuE6ELNS1_3repE0EEENS1_30default_config_static_selectorELNS0_4arch9wavefront6targetE1EEEvSK_,@function
_ZN7rocprim17ROCPRIM_400000_NS6detail17trampoline_kernelINS0_14default_configENS1_22reduce_config_selectorIN6thrust23THRUST_200600_302600_NS5tupleIblNS6_9null_typeES8_S8_S8_S8_S8_S8_S8_EEEEZNS1_11reduce_implILb1ES3_PS9_SC_S9_NS6_11hip_rocprim9__find_if7functorIS9_EEEE10hipError_tPvRmT1_T2_T3_mT4_P12ihipStream_tbEUlT_E1_NS1_11comp_targetILNS1_3genE2ELNS1_11target_archE906ELNS1_3gpuE6ELNS1_3repE0EEENS1_30default_config_static_selectorELNS0_4arch9wavefront6targetE1EEEvSK_: ; @_ZN7rocprim17ROCPRIM_400000_NS6detail17trampoline_kernelINS0_14default_configENS1_22reduce_config_selectorIN6thrust23THRUST_200600_302600_NS5tupleIblNS6_9null_typeES8_S8_S8_S8_S8_S8_S8_EEEEZNS1_11reduce_implILb1ES3_PS9_SC_S9_NS6_11hip_rocprim9__find_if7functorIS9_EEEE10hipError_tPvRmT1_T2_T3_mT4_P12ihipStream_tbEUlT_E1_NS1_11comp_targetILNS1_3genE2ELNS1_11target_archE906ELNS1_3gpuE6ELNS1_3repE0EEENS1_30default_config_static_selectorELNS0_4arch9wavefront6targetE1EEEvSK_
; %bb.0:
	s_load_dword s29, s[4:5], 0x4
	s_load_dwordx4 s[20:23], s[4:5], 0x8
	s_load_dword s28, s[4:5], 0x20
	s_load_dwordx2 s[18:19], s[4:5], 0x28
	s_waitcnt lgkmcnt(0)
	s_cmp_lt_i32 s29, 4
	s_cbranch_scc1 .LBB421_37
; %bb.1:
	s_cmp_gt_i32 s29, 7
	s_cbranch_scc0 .LBB421_38
; %bb.2:
	s_cmp_eq_u32 s29, 8
	s_mov_b64 s[24:25], 0
	s_cbranch_scc0 .LBB421_39
; %bb.3:
	s_mov_b32 s7, 0
	s_lshl_b32 s8, s6, 10
	s_mov_b32 s9, s7
	s_lshr_b64 s[0:1], s[22:23], 10
	s_lshl_b64 s[2:3], s[8:9], 4
	s_add_u32 s16, s20, s2
	s_addc_u32 s17, s21, s3
	s_cmp_lg_u64 s[0:1], s[6:7]
	s_cbranch_scc0 .LBB421_60
; %bb.4:
	v_lshlrev_b32_e32 v1, 4, v0
	global_load_ubyte v25, v1, s[16:17]
	global_load_ubyte v26, v1, s[16:17] offset:2048
	v_mov_b32_e32 v2, s17
	v_add_co_u32_e32 v5, vcc, s16, v1
	v_addc_co_u32_e32 v18, vcc, 0, v2, vcc
	global_load_dwordx2 v[13:14], v1, s[16:17] offset:2056
	global_load_dwordx2 v[15:16], v1, s[16:17] offset:8
	v_add_co_u32_e32 v1, vcc, 0x1000, v5
	v_addc_co_u32_e32 v2, vcc, 0, v18, vcc
	v_add_co_u32_e32 v3, vcc, 0x2000, v5
	v_addc_co_u32_e32 v4, vcc, 0, v18, vcc
	global_load_ubyte v24, v[1:2], off
	global_load_dwordx2 v[11:12], v[1:2], off offset:8
	global_load_ubyte v23, v[1:2], off offset:2048
	global_load_dwordx2 v[9:10], v[1:2], off offset:2056
	v_add_co_u32_e32 v17, vcc, 0x3000, v5
	v_addc_co_u32_e32 v18, vcc, 0, v18, vcc
	global_load_ubyte v22, v[3:4], off
	global_load_dwordx2 v[7:8], v[3:4], off offset:8
	global_load_ubyte v21, v[3:4], off offset:2048
	global_load_dwordx2 v[5:6], v[3:4], off offset:2056
	s_waitcnt vmcnt(10)
	v_and_b32_e32 v1, v26, v25
	v_and_b32_e32 v1, 1, v1
	v_cmp_eq_u32_e32 vcc, 1, v1
	global_load_ubyte v20, v[17:18], off
	global_load_dwordx2 v[3:4], v[17:18], off offset:8
	global_load_ubyte v19, v[17:18], off offset:2048
	global_load_dwordx2 v[1:2], v[17:18], off offset:2056
                                        ; implicit-def: $vgpr17_vgpr18
	s_and_saveexec_b64 s[0:1], vcc
	s_xor_b64 s[0:1], exec, s[0:1]
	s_cbranch_execz .LBB421_6
; %bb.5:
	s_waitcnt vmcnt(12)
	v_cmp_lt_i64_e32 vcc, v[13:14], v[15:16]
                                        ; implicit-def: $vgpr25
                                        ; implicit-def: $vgpr26
	v_cndmask_b32_e32 v18, v16, v14, vcc
	v_cndmask_b32_e32 v17, v15, v13, vcc
                                        ; implicit-def: $vgpr13_vgpr14
                                        ; implicit-def: $vgpr15_vgpr16
.LBB421_6:
	s_or_saveexec_b64 s[0:1], s[0:1]
	s_mov_b64 s[2:3], -1
	s_xor_b64 exec, exec, s[0:1]
	s_cbranch_execz .LBB421_8
; %bb.7:
	v_and_b32_e32 v17, 1, v25
	v_or_b32_e32 v18, v26, v25
	v_mov_b32_e32 v25, 0
	v_cmp_ne_u16_sdwa s[2:3], v18, v25 src0_sel:BYTE_0 src1_sel:DWORD
	v_cmp_eq_u32_e32 vcc, 1, v17
	s_waitcnt vmcnt(12)
	v_cndmask_b32_e32 v18, v14, v16, vcc
	v_cndmask_b32_e32 v17, v13, v15, vcc
	s_orn2_b64 s[2:3], s[2:3], exec
.LBB421_8:
	s_or_b64 exec, exec, s[0:1]
	s_waitcnt vmcnt(11)
	v_and_b32_e32 v13, 1, v24
	v_cmp_eq_u32_e32 vcc, 1, v13
	s_and_b64 s[0:1], s[2:3], vcc
	s_xor_b64 s[10:11], s[0:1], -1
                                        ; implicit-def: $sgpr0_sgpr1
                                        ; implicit-def: $vgpr13_vgpr14
	s_and_saveexec_b64 s[12:13], s[10:11]
	s_xor_b64 s[10:11], exec, s[12:13]
	s_cbranch_execz .LBB421_10
; %bb.9:
	s_or_b64 s[0:1], s[2:3], vcc
	s_waitcnt vmcnt(10)
	v_cndmask_b32_e64 v14, v12, v18, s[2:3]
	v_cndmask_b32_e64 v13, v11, v17, s[2:3]
                                        ; implicit-def: $vgpr11_vgpr12
                                        ; implicit-def: $vgpr17_vgpr18
.LBB421_10:
	s_andn2_saveexec_b64 s[2:3], s[10:11]
	s_cbranch_execz .LBB421_12
; %bb.11:
	s_waitcnt vmcnt(10)
	v_cmp_lt_i64_e32 vcc, v[11:12], v[17:18]
	s_or_b64 s[0:1], s[0:1], exec
	v_cndmask_b32_e32 v14, v18, v12, vcc
	v_cndmask_b32_e32 v13, v17, v11, vcc
.LBB421_12:
	s_or_b64 exec, exec, s[2:3]
	s_waitcnt vmcnt(9)
	v_and_b32_e32 v11, 1, v23
	v_cmp_eq_u32_e32 vcc, 1, v11
	s_and_b64 s[2:3], s[0:1], vcc
	s_xor_b64 s[10:11], s[2:3], -1
                                        ; implicit-def: $sgpr2_sgpr3
                                        ; implicit-def: $vgpr11_vgpr12
	s_and_saveexec_b64 s[12:13], s[10:11]
	s_xor_b64 s[10:11], exec, s[12:13]
	s_cbranch_execz .LBB421_14
; %bb.13:
	s_or_b64 s[2:3], s[0:1], vcc
	s_waitcnt vmcnt(8)
	v_cndmask_b32_e64 v12, v10, v14, s[0:1]
	v_cndmask_b32_e64 v11, v9, v13, s[0:1]
                                        ; implicit-def: $vgpr9_vgpr10
                                        ; implicit-def: $vgpr13_vgpr14
.LBB421_14:
	s_andn2_saveexec_b64 s[0:1], s[10:11]
	s_cbranch_execz .LBB421_16
; %bb.15:
	s_waitcnt vmcnt(8)
	v_cmp_lt_i64_e32 vcc, v[9:10], v[13:14]
	s_or_b64 s[2:3], s[2:3], exec
	v_cndmask_b32_e32 v12, v14, v10, vcc
	v_cndmask_b32_e32 v11, v13, v9, vcc
.LBB421_16:
	s_or_b64 exec, exec, s[0:1]
	s_waitcnt vmcnt(7)
	v_and_b32_e32 v9, 1, v22
	v_cmp_eq_u32_e32 vcc, 1, v9
	s_and_b64 s[0:1], s[2:3], vcc
	s_xor_b64 s[10:11], s[0:1], -1
                                        ; implicit-def: $sgpr0_sgpr1
                                        ; implicit-def: $vgpr9_vgpr10
	s_and_saveexec_b64 s[12:13], s[10:11]
	s_xor_b64 s[10:11], exec, s[12:13]
	s_cbranch_execz .LBB421_18
; %bb.17:
	s_or_b64 s[0:1], s[2:3], vcc
	s_waitcnt vmcnt(6)
	v_cndmask_b32_e64 v10, v8, v12, s[2:3]
	v_cndmask_b32_e64 v9, v7, v11, s[2:3]
                                        ; implicit-def: $vgpr7_vgpr8
                                        ; implicit-def: $vgpr11_vgpr12
.LBB421_18:
	s_andn2_saveexec_b64 s[2:3], s[10:11]
	s_cbranch_execz .LBB421_20
; %bb.19:
	s_waitcnt vmcnt(6)
	v_cmp_lt_i64_e32 vcc, v[7:8], v[11:12]
	s_or_b64 s[0:1], s[0:1], exec
	v_cndmask_b32_e32 v10, v12, v8, vcc
	v_cndmask_b32_e32 v9, v11, v7, vcc
.LBB421_20:
	s_or_b64 exec, exec, s[2:3]
	s_waitcnt vmcnt(5)
	v_and_b32_e32 v7, 1, v21
	v_cmp_eq_u32_e32 vcc, 1, v7
	s_and_b64 s[2:3], s[0:1], vcc
	s_xor_b64 s[10:11], s[2:3], -1
                                        ; implicit-def: $sgpr2_sgpr3
                                        ; implicit-def: $vgpr7_vgpr8
	s_and_saveexec_b64 s[12:13], s[10:11]
	s_xor_b64 s[10:11], exec, s[12:13]
	s_cbranch_execz .LBB421_22
; %bb.21:
	s_or_b64 s[2:3], s[0:1], vcc
	s_waitcnt vmcnt(4)
	v_cndmask_b32_e64 v8, v6, v10, s[0:1]
	v_cndmask_b32_e64 v7, v5, v9, s[0:1]
                                        ; implicit-def: $vgpr5_vgpr6
                                        ; implicit-def: $vgpr9_vgpr10
.LBB421_22:
	s_andn2_saveexec_b64 s[0:1], s[10:11]
	s_cbranch_execz .LBB421_24
; %bb.23:
	s_waitcnt vmcnt(4)
	v_cmp_lt_i64_e32 vcc, v[5:6], v[9:10]
	s_or_b64 s[2:3], s[2:3], exec
	v_cndmask_b32_e32 v8, v10, v6, vcc
	v_cndmask_b32_e32 v7, v9, v5, vcc
.LBB421_24:
	s_or_b64 exec, exec, s[0:1]
	s_waitcnt vmcnt(3)
	v_and_b32_e32 v5, 1, v20
	v_cmp_eq_u32_e32 vcc, 1, v5
	s_and_b64 s[0:1], s[2:3], vcc
	s_xor_b64 s[0:1], s[0:1], -1
                                        ; implicit-def: $sgpr10_sgpr11
                                        ; implicit-def: $vgpr5_vgpr6
	s_and_saveexec_b64 s[12:13], s[0:1]
	s_xor_b64 s[0:1], exec, s[12:13]
	s_cbranch_execz .LBB421_26
; %bb.25:
	s_or_b64 s[10:11], s[2:3], vcc
	s_waitcnt vmcnt(2)
	v_cndmask_b32_e64 v6, v4, v8, s[2:3]
	v_cndmask_b32_e64 v5, v3, v7, s[2:3]
                                        ; implicit-def: $vgpr3_vgpr4
                                        ; implicit-def: $vgpr7_vgpr8
.LBB421_26:
	s_andn2_saveexec_b64 s[0:1], s[0:1]
	s_cbranch_execz .LBB421_28
; %bb.27:
	s_waitcnt vmcnt(2)
	v_cmp_lt_i64_e32 vcc, v[3:4], v[7:8]
	s_or_b64 s[10:11], s[10:11], exec
	v_cndmask_b32_e32 v6, v8, v4, vcc
	v_cndmask_b32_e32 v5, v7, v3, vcc
.LBB421_28:
	s_or_b64 exec, exec, s[0:1]
	s_waitcnt vmcnt(1)
	v_and_b32_e32 v3, 1, v19
	s_waitcnt vmcnt(0)
	v_cmp_lt_i64_e64 s[0:1], v[1:2], v[5:6]
	v_cmp_eq_u32_e32 vcc, 1, v3
	s_and_b64 vcc, vcc, s[0:1]
	v_cndmask_b32_e32 v3, v5, v1, vcc
	v_cndmask_b32_e32 v4, v6, v2, vcc
	v_cndmask_b32_e64 v2, v2, v4, s[10:11]
	v_cndmask_b32_e64 v1, v1, v3, s[10:11]
	v_cndmask_b32_e64 v7, v19, 1, s[10:11]
	v_mov_b32_dpp v5, v2 quad_perm:[1,0,3,2] row_mask:0xf bank_mask:0xf bound_ctrl:1
	v_mov_b32_dpp v4, v1 quad_perm:[1,0,3,2] row_mask:0xf bank_mask:0xf bound_ctrl:1
	v_and_b32_e32 v6, 0xff, v7
	v_and_b32_e32 v7, 1, v7
	v_cmp_lt_i64_e32 vcc, v[1:2], v[4:5]
	v_mov_b32_dpp v8, v6 quad_perm:[1,0,3,2] row_mask:0xf bank_mask:0xf bound_ctrl:1
	v_cmp_eq_u32_e64 s[0:1], 1, v7
	v_and_b32_e32 v8, 1, v8
	s_and_b64 vcc, s[0:1], vcc
	v_cndmask_b32_e32 v4, v4, v1, vcc
	v_cndmask_b32_e32 v5, v5, v2, vcc
	v_cmp_eq_u32_e32 vcc, 1, v8
	v_cndmask_b32_e32 v2, v2, v5, vcc
	v_cndmask_b32_e32 v1, v1, v4, vcc
	v_cndmask_b32_e64 v6, v6, 1, vcc
	v_mov_b32_dpp v5, v2 quad_perm:[2,3,0,1] row_mask:0xf bank_mask:0xf bound_ctrl:1
	v_mov_b32_dpp v4, v1 quad_perm:[2,3,0,1] row_mask:0xf bank_mask:0xf bound_ctrl:1
	v_and_b32_e32 v8, 1, v6
	v_cmp_lt_i64_e64 s[0:1], v[1:2], v[4:5]
	v_mov_b32_dpp v7, v6 quad_perm:[2,3,0,1] row_mask:0xf bank_mask:0xf bound_ctrl:1
	v_cmp_eq_u32_e32 vcc, 1, v8
	v_and_b32_e32 v7, 1, v7
	s_and_b64 vcc, vcc, s[0:1]
	v_cmp_eq_u32_e64 s[2:3], 1, v7
	v_cndmask_b32_e32 v4, v4, v1, vcc
	v_cndmask_b32_e32 v5, v5, v2, vcc
	v_cndmask_b32_e64 v2, v2, v5, s[2:3]
	v_cndmask_b32_e64 v1, v1, v4, s[2:3]
	;; [unrolled: 1-line block ×3, first 2 shown]
	v_mov_b32_dpp v5, v2 row_ror:4 row_mask:0xf bank_mask:0xf bound_ctrl:1
	v_mov_b32_dpp v4, v1 row_ror:4 row_mask:0xf bank_mask:0xf bound_ctrl:1
	v_and_b32_e32 v8, 1, v6
	v_cmp_lt_i64_e64 s[0:1], v[1:2], v[4:5]
	v_mov_b32_dpp v7, v6 row_ror:4 row_mask:0xf bank_mask:0xf bound_ctrl:1
	v_cmp_eq_u32_e32 vcc, 1, v8
	v_and_b32_e32 v7, 1, v7
	s_and_b64 vcc, vcc, s[0:1]
	v_cmp_eq_u32_e64 s[2:3], 1, v7
	v_cndmask_b32_e32 v4, v4, v1, vcc
	v_cndmask_b32_e32 v5, v5, v2, vcc
	v_cndmask_b32_e64 v2, v2, v5, s[2:3]
	v_cndmask_b32_e64 v1, v1, v4, s[2:3]
	;; [unrolled: 1-line block ×3, first 2 shown]
	v_mov_b32_dpp v5, v2 row_ror:8 row_mask:0xf bank_mask:0xf bound_ctrl:1
	v_mov_b32_dpp v4, v1 row_ror:8 row_mask:0xf bank_mask:0xf bound_ctrl:1
	v_and_b32_e32 v8, 1, v6
	v_cmp_lt_i64_e64 s[0:1], v[1:2], v[4:5]
	v_mov_b32_dpp v7, v6 row_ror:8 row_mask:0xf bank_mask:0xf bound_ctrl:1
	v_cmp_eq_u32_e32 vcc, 1, v8
	v_and_b32_e32 v7, 1, v7
	s_and_b64 vcc, vcc, s[0:1]
	v_cmp_eq_u32_e64 s[2:3], 1, v7
	v_cndmask_b32_e32 v4, v4, v1, vcc
	v_cndmask_b32_e32 v5, v5, v2, vcc
	v_cndmask_b32_e64 v2, v2, v5, s[2:3]
	v_cndmask_b32_e64 v1, v1, v4, s[2:3]
	;; [unrolled: 1-line block ×3, first 2 shown]
	v_mov_b32_dpp v5, v2 row_bcast:15 row_mask:0xf bank_mask:0xf bound_ctrl:1
	v_mov_b32_dpp v4, v1 row_bcast:15 row_mask:0xf bank_mask:0xf bound_ctrl:1
	v_and_b32_e32 v8, 1, v6
	v_cmp_lt_i64_e64 s[0:1], v[1:2], v[4:5]
	v_mov_b32_dpp v7, v6 row_bcast:15 row_mask:0xf bank_mask:0xf bound_ctrl:1
	v_cmp_eq_u32_e32 vcc, 1, v8
	v_and_b32_e32 v7, 1, v7
	s_and_b64 vcc, vcc, s[0:1]
	v_cmp_eq_u32_e64 s[2:3], 1, v7
	v_cndmask_b32_e32 v4, v4, v1, vcc
	v_cndmask_b32_e32 v5, v5, v2, vcc
	v_cndmask_b32_e64 v2, v2, v5, s[2:3]
	v_cndmask_b32_e64 v1, v1, v4, s[2:3]
	;; [unrolled: 1-line block ×3, first 2 shown]
	v_mov_b32_dpp v5, v2 row_bcast:31 row_mask:0xf bank_mask:0xf bound_ctrl:1
	v_mov_b32_dpp v4, v1 row_bcast:31 row_mask:0xf bank_mask:0xf bound_ctrl:1
	v_and_b32_e32 v8, 1, v6
	v_cmp_lt_i64_e64 s[0:1], v[1:2], v[4:5]
	v_mov_b32_dpp v7, v6 row_bcast:31 row_mask:0xf bank_mask:0xf bound_ctrl:1
	v_cmp_eq_u32_e32 vcc, 1, v8
	v_mbcnt_lo_u32_b32 v3, -1, 0
	v_and_b32_e32 v7, 1, v7
	s_and_b64 vcc, vcc, s[0:1]
	v_mbcnt_hi_u32_b32 v3, -1, v3
	v_cmp_eq_u32_e64 s[2:3], 1, v7
	v_cndmask_b32_e32 v5, v5, v2, vcc
	v_cndmask_b32_e32 v4, v4, v1, vcc
	v_cndmask_b32_e64 v2, v2, v5, s[2:3]
	v_lshlrev_b32_e32 v5, 2, v3
	v_cndmask_b32_e64 v6, v6, 1, s[2:3]
	v_cndmask_b32_e64 v1, v1, v4, s[2:3]
	v_or_b32_e32 v4, 0xfc, v5
	ds_bpermute_b32 v17, v4, v6
	ds_bpermute_b32 v1, v4, v1
	;; [unrolled: 1-line block ×3, first 2 shown]
	v_cmp_eq_u32_e32 vcc, 0, v3
	s_and_saveexec_b64 s[0:1], vcc
	s_xor_b64 s[0:1], exec, s[0:1]
	s_cbranch_execz .LBB421_30
; %bb.29:
	v_lshrrev_b32_e32 v4, 2, v0
	v_and_b32_e32 v4, 16, v4
	s_waitcnt lgkmcnt(2)
	ds_write_b8 v4, v17 offset:96
	s_waitcnt lgkmcnt(1)
	ds_write_b64 v4, v[1:2] offset:104
.LBB421_30:
	s_or_b64 exec, exec, s[0:1]
	v_cmp_gt_u32_e32 vcc, 64, v0
	s_waitcnt lgkmcnt(0)
	s_barrier
	s_and_saveexec_b64 s[0:1], vcc
	s_cbranch_execz .LBB421_36
; %bb.31:
	v_and_b32_e32 v1, 1, v3
	v_lshlrev_b32_e32 v1, 4, v1
	ds_read_u8 v7, v1 offset:96
	ds_read_b64 v[3:4], v1 offset:104
	v_or_b32_e32 v2, 4, v5
	s_waitcnt lgkmcnt(1)
	v_and_b32_e32 v1, 0xff, v7
	ds_bpermute_b32 v8, v2, v1
	s_waitcnt lgkmcnt(1)
	ds_bpermute_b32 v5, v2, v3
	ds_bpermute_b32 v6, v2, v4
	s_waitcnt lgkmcnt(2)
	v_and_b32_e32 v1, v7, v8
	v_and_b32_e32 v1, 1, v1
	v_cmp_eq_u32_e32 vcc, 1, v1
                                        ; implicit-def: $vgpr1_vgpr2
	s_and_saveexec_b64 s[2:3], vcc
	s_xor_b64 s[2:3], exec, s[2:3]
	s_cbranch_execz .LBB421_33
; %bb.32:
	s_waitcnt lgkmcnt(0)
	v_cmp_lt_i64_e32 vcc, v[5:6], v[3:4]
                                        ; implicit-def: $vgpr7
                                        ; implicit-def: $vgpr8
	v_cndmask_b32_e32 v2, v4, v6, vcc
	v_cndmask_b32_e32 v1, v3, v5, vcc
                                        ; implicit-def: $vgpr5_vgpr6
                                        ; implicit-def: $vgpr3_vgpr4
.LBB421_33:
	s_or_saveexec_b64 s[2:3], s[2:3]
	v_mov_b32_e32 v17, 1
	s_xor_b64 exec, exec, s[2:3]
	s_cbranch_execz .LBB421_35
; %bb.34:
	v_and_b32_e32 v1, 1, v7
	v_cmp_eq_u32_e32 vcc, 1, v1
	s_waitcnt lgkmcnt(0)
	v_cndmask_b32_e32 v2, v6, v4, vcc
	v_cndmask_b32_e32 v1, v5, v3, vcc
	v_cndmask_b32_e64 v17, v8, 1, vcc
.LBB421_35:
	s_or_b64 exec, exec, s[2:3]
.LBB421_36:
	s_or_b64 exec, exec, s[0:1]
	s_branch .LBB421_177
.LBB421_37:
	s_mov_b64 s[14:15], 0
                                        ; implicit-def: $vgpr3_vgpr4
                                        ; implicit-def: $vgpr5
                                        ; implicit-def: $vgpr1_vgpr2
	s_cbranch_execnz .LBB421_251
	s_branch .LBB421_334
.LBB421_38:
	s_mov_b64 s[24:25], -1
.LBB421_39:
	s_mov_b64 s[14:15], 0
                                        ; implicit-def: $vgpr3_vgpr4
                                        ; implicit-def: $vgpr5
                                        ; implicit-def: $vgpr1_vgpr2
	s_and_b64 vcc, exec, s[24:25]
	s_cbranch_vccz .LBB421_182
.LBB421_40:
	s_cmp_eq_u32 s29, 4
	s_cbranch_scc0 .LBB421_59
; %bb.41:
	s_mov_b32 s7, 0
	s_lshl_b32 s10, s6, 9
	s_mov_b32 s11, s7
	s_lshr_b64 s[0:1], s[22:23], 9
	s_lshl_b64 s[2:3], s[10:11], 4
	s_add_u32 s8, s20, s2
	s_addc_u32 s9, s21, s3
	s_cmp_lg_u64 s[0:1], s[6:7]
	s_cbranch_scc0 .LBB421_83
; %bb.42:
	v_lshlrev_b32_e32 v1, 4, v0
	v_mov_b32_e32 v2, s9
	s_waitcnt lgkmcnt(2)
	v_add_co_u32_e32 v3, vcc, s8, v1
	v_addc_co_u32_e32 v2, vcc, 0, v2, vcc
	s_waitcnt lgkmcnt(1)
	v_add_co_u32_e32 v5, vcc, 0x1000, v3
	s_waitcnt lgkmcnt(0)
	v_addc_co_u32_e32 v6, vcc, 0, v2, vcc
	global_load_ubyte v13, v1, s[8:9]
	global_load_dwordx2 v[7:8], v1, s[8:9] offset:8
	global_load_ubyte v14, v1, s[8:9] offset:2048
	global_load_dwordx2 v[9:10], v1, s[8:9] offset:2056
	global_load_ubyte v12, v[5:6], off
	global_load_dwordx2 v[3:4], v[5:6], off offset:8
	global_load_ubyte v11, v[5:6], off offset:2048
	s_nop 0
	global_load_dwordx2 v[1:2], v[5:6], off offset:2056
	s_waitcnt vmcnt(5)
	v_and_b32_e32 v5, v14, v13
	v_and_b32_e32 v5, 1, v5
	v_cmp_eq_u32_e32 vcc, 1, v5
                                        ; implicit-def: $vgpr5_vgpr6
	s_and_saveexec_b64 s[0:1], vcc
	s_xor_b64 s[0:1], exec, s[0:1]
	s_cbranch_execz .LBB421_44
; %bb.43:
	s_waitcnt vmcnt(4)
	v_cmp_lt_i64_e32 vcc, v[9:10], v[7:8]
                                        ; implicit-def: $vgpr13
                                        ; implicit-def: $vgpr14
	v_cndmask_b32_e32 v6, v8, v10, vcc
	v_cndmask_b32_e32 v5, v7, v9, vcc
                                        ; implicit-def: $vgpr9_vgpr10
                                        ; implicit-def: $vgpr7_vgpr8
.LBB421_44:
	s_or_saveexec_b64 s[0:1], s[0:1]
	s_mov_b64 s[12:13], -1
	s_xor_b64 exec, exec, s[0:1]
	s_cbranch_execz .LBB421_46
; %bb.45:
	v_and_b32_e32 v5, 1, v13
	v_or_b32_e32 v6, v14, v13
	v_mov_b32_e32 v13, 0
	v_cmp_ne_u16_sdwa s[2:3], v6, v13 src0_sel:BYTE_0 src1_sel:DWORD
	v_cmp_eq_u32_e32 vcc, 1, v5
	s_waitcnt vmcnt(4)
	v_cndmask_b32_e32 v6, v10, v8, vcc
	v_cndmask_b32_e32 v5, v9, v7, vcc
	s_orn2_b64 s[12:13], s[2:3], exec
.LBB421_46:
	s_or_b64 exec, exec, s[0:1]
	s_waitcnt vmcnt(3)
	v_and_b32_e32 v7, 1, v12
	v_cmp_eq_u32_e32 vcc, 1, v7
	s_and_b64 s[0:1], s[12:13], vcc
	s_xor_b64 s[0:1], s[0:1], -1
                                        ; implicit-def: $sgpr2_sgpr3
                                        ; implicit-def: $vgpr7_vgpr8
	s_and_saveexec_b64 s[16:17], s[0:1]
	s_xor_b64 s[0:1], exec, s[16:17]
	s_cbranch_execz .LBB421_48
; %bb.47:
	s_or_b64 s[2:3], s[12:13], vcc
	s_waitcnt vmcnt(2)
	v_cndmask_b32_e64 v8, v4, v6, s[12:13]
	v_cndmask_b32_e64 v7, v3, v5, s[12:13]
                                        ; implicit-def: $vgpr3_vgpr4
                                        ; implicit-def: $vgpr5_vgpr6
.LBB421_48:
	s_andn2_saveexec_b64 s[0:1], s[0:1]
	s_cbranch_execz .LBB421_50
; %bb.49:
	s_waitcnt vmcnt(2)
	v_cmp_lt_i64_e32 vcc, v[3:4], v[5:6]
	s_or_b64 s[2:3], s[2:3], exec
	v_cndmask_b32_e32 v8, v6, v4, vcc
	v_cndmask_b32_e32 v7, v5, v3, vcc
.LBB421_50:
	s_or_b64 exec, exec, s[0:1]
	s_waitcnt vmcnt(1)
	v_and_b32_e32 v3, 1, v11
	s_waitcnt vmcnt(0)
	v_cmp_lt_i64_e64 s[0:1], v[1:2], v[7:8]
	v_cmp_eq_u32_e32 vcc, 1, v3
	s_and_b64 vcc, vcc, s[0:1]
	v_cndmask_b32_e32 v3, v7, v1, vcc
	v_cndmask_b32_e32 v4, v8, v2, vcc
	v_cndmask_b32_e64 v2, v2, v4, s[2:3]
	v_cndmask_b32_e64 v1, v1, v3, s[2:3]
	;; [unrolled: 1-line block ×3, first 2 shown]
	v_mov_b32_dpp v5, v2 quad_perm:[1,0,3,2] row_mask:0xf bank_mask:0xf bound_ctrl:1
	v_mov_b32_dpp v4, v1 quad_perm:[1,0,3,2] row_mask:0xf bank_mask:0xf bound_ctrl:1
	v_and_b32_e32 v7, 0xff, v6
	v_and_b32_e32 v6, 1, v6
	v_cmp_lt_i64_e32 vcc, v[1:2], v[4:5]
	v_mov_b32_dpp v8, v7 quad_perm:[1,0,3,2] row_mask:0xf bank_mask:0xf bound_ctrl:1
	v_cmp_eq_u32_e64 s[0:1], 1, v6
	v_and_b32_e32 v8, 1, v8
	s_and_b64 vcc, s[0:1], vcc
	v_cndmask_b32_e32 v4, v4, v1, vcc
	v_cndmask_b32_e32 v5, v5, v2, vcc
	v_cmp_eq_u32_e32 vcc, 1, v8
	v_cndmask_b32_e32 v2, v2, v5, vcc
	v_cndmask_b32_e32 v1, v1, v4, vcc
	v_cndmask_b32_e64 v6, v7, 1, vcc
	v_mov_b32_dpp v5, v2 quad_perm:[2,3,0,1] row_mask:0xf bank_mask:0xf bound_ctrl:1
	v_mov_b32_dpp v4, v1 quad_perm:[2,3,0,1] row_mask:0xf bank_mask:0xf bound_ctrl:1
	v_and_b32_e32 v8, 1, v6
	v_cmp_lt_i64_e64 s[0:1], v[1:2], v[4:5]
	v_mov_b32_dpp v7, v6 quad_perm:[2,3,0,1] row_mask:0xf bank_mask:0xf bound_ctrl:1
	v_cmp_eq_u32_e32 vcc, 1, v8
	v_and_b32_e32 v7, 1, v7
	s_and_b64 vcc, vcc, s[0:1]
	v_cmp_eq_u32_e64 s[2:3], 1, v7
	v_cndmask_b32_e32 v4, v4, v1, vcc
	v_cndmask_b32_e32 v5, v5, v2, vcc
	v_cndmask_b32_e64 v2, v2, v5, s[2:3]
	v_cndmask_b32_e64 v1, v1, v4, s[2:3]
	;; [unrolled: 1-line block ×3, first 2 shown]
	v_mov_b32_dpp v5, v2 row_ror:4 row_mask:0xf bank_mask:0xf bound_ctrl:1
	v_mov_b32_dpp v4, v1 row_ror:4 row_mask:0xf bank_mask:0xf bound_ctrl:1
	v_and_b32_e32 v8, 1, v6
	v_cmp_lt_i64_e64 s[0:1], v[1:2], v[4:5]
	v_mov_b32_dpp v7, v6 row_ror:4 row_mask:0xf bank_mask:0xf bound_ctrl:1
	v_cmp_eq_u32_e32 vcc, 1, v8
	v_and_b32_e32 v7, 1, v7
	s_and_b64 vcc, vcc, s[0:1]
	v_cmp_eq_u32_e64 s[2:3], 1, v7
	v_cndmask_b32_e32 v4, v4, v1, vcc
	v_cndmask_b32_e32 v5, v5, v2, vcc
	v_cndmask_b32_e64 v2, v2, v5, s[2:3]
	v_cndmask_b32_e64 v1, v1, v4, s[2:3]
	;; [unrolled: 1-line block ×3, first 2 shown]
	v_mov_b32_dpp v5, v2 row_ror:8 row_mask:0xf bank_mask:0xf bound_ctrl:1
	v_mov_b32_dpp v4, v1 row_ror:8 row_mask:0xf bank_mask:0xf bound_ctrl:1
	v_and_b32_e32 v8, 1, v6
	v_cmp_lt_i64_e64 s[0:1], v[1:2], v[4:5]
	v_mov_b32_dpp v7, v6 row_ror:8 row_mask:0xf bank_mask:0xf bound_ctrl:1
	v_cmp_eq_u32_e32 vcc, 1, v8
	v_and_b32_e32 v7, 1, v7
	s_and_b64 vcc, vcc, s[0:1]
	v_cmp_eq_u32_e64 s[2:3], 1, v7
	v_cndmask_b32_e32 v4, v4, v1, vcc
	v_cndmask_b32_e32 v5, v5, v2, vcc
	v_cndmask_b32_e64 v2, v2, v5, s[2:3]
	v_cndmask_b32_e64 v1, v1, v4, s[2:3]
	;; [unrolled: 1-line block ×3, first 2 shown]
	v_mov_b32_dpp v5, v2 row_bcast:15 row_mask:0xf bank_mask:0xf bound_ctrl:1
	v_mov_b32_dpp v4, v1 row_bcast:15 row_mask:0xf bank_mask:0xf bound_ctrl:1
	v_and_b32_e32 v8, 1, v6
	v_cmp_lt_i64_e64 s[0:1], v[1:2], v[4:5]
	v_mov_b32_dpp v7, v6 row_bcast:15 row_mask:0xf bank_mask:0xf bound_ctrl:1
	v_cmp_eq_u32_e32 vcc, 1, v8
	v_and_b32_e32 v7, 1, v7
	s_and_b64 vcc, vcc, s[0:1]
	v_cmp_eq_u32_e64 s[2:3], 1, v7
	v_cndmask_b32_e32 v4, v4, v1, vcc
	v_cndmask_b32_e32 v5, v5, v2, vcc
	v_cndmask_b32_e64 v2, v2, v5, s[2:3]
	v_cndmask_b32_e64 v1, v1, v4, s[2:3]
	;; [unrolled: 1-line block ×3, first 2 shown]
	v_mov_b32_dpp v5, v2 row_bcast:31 row_mask:0xf bank_mask:0xf bound_ctrl:1
	v_mov_b32_dpp v4, v1 row_bcast:31 row_mask:0xf bank_mask:0xf bound_ctrl:1
	v_and_b32_e32 v8, 1, v6
	v_cmp_lt_i64_e64 s[0:1], v[1:2], v[4:5]
	v_mov_b32_dpp v7, v6 row_bcast:31 row_mask:0xf bank_mask:0xf bound_ctrl:1
	v_cmp_eq_u32_e32 vcc, 1, v8
	v_mbcnt_lo_u32_b32 v3, -1, 0
	v_and_b32_e32 v7, 1, v7
	s_and_b64 vcc, vcc, s[0:1]
	v_mbcnt_hi_u32_b32 v3, -1, v3
	v_cmp_eq_u32_e64 s[2:3], 1, v7
	v_cndmask_b32_e32 v5, v5, v2, vcc
	v_cndmask_b32_e32 v4, v4, v1, vcc
	v_cndmask_b32_e64 v2, v2, v5, s[2:3]
	v_lshlrev_b32_e32 v5, 2, v3
	v_cndmask_b32_e64 v6, v6, 1, s[2:3]
	v_cndmask_b32_e64 v1, v1, v4, s[2:3]
	v_or_b32_e32 v4, 0xfc, v5
	ds_bpermute_b32 v9, v4, v6
	ds_bpermute_b32 v1, v4, v1
	ds_bpermute_b32 v2, v4, v2
	v_cmp_eq_u32_e32 vcc, 0, v3
	s_and_saveexec_b64 s[0:1], vcc
	s_xor_b64 s[0:1], exec, s[0:1]
	s_cbranch_execz .LBB421_52
; %bb.51:
	v_lshrrev_b32_e32 v4, 2, v0
	v_and_b32_e32 v4, 16, v4
	s_waitcnt lgkmcnt(2)
	ds_write_b8 v4, v9 offset:64
	s_waitcnt lgkmcnt(1)
	ds_write_b64 v4, v[1:2] offset:72
.LBB421_52:
	s_or_b64 exec, exec, s[0:1]
	v_cmp_gt_u32_e32 vcc, 64, v0
	s_waitcnt lgkmcnt(0)
	s_barrier
	s_and_saveexec_b64 s[0:1], vcc
	s_cbranch_execz .LBB421_58
; %bb.53:
	v_and_b32_e32 v1, 1, v3
	v_lshlrev_b32_e32 v1, 4, v1
	ds_read_u8 v7, v1 offset:64
	ds_read_b64 v[3:4], v1 offset:72
	v_or_b32_e32 v2, 4, v5
	s_waitcnt lgkmcnt(1)
	v_and_b32_e32 v1, 0xff, v7
	ds_bpermute_b32 v8, v2, v1
	s_waitcnt lgkmcnt(1)
	ds_bpermute_b32 v5, v2, v3
	ds_bpermute_b32 v6, v2, v4
	s_waitcnt lgkmcnt(2)
	v_and_b32_e32 v1, v7, v8
	v_and_b32_e32 v1, 1, v1
	v_cmp_eq_u32_e32 vcc, 1, v1
                                        ; implicit-def: $vgpr1_vgpr2
	s_and_saveexec_b64 s[2:3], vcc
	s_xor_b64 s[2:3], exec, s[2:3]
	s_cbranch_execz .LBB421_55
; %bb.54:
	s_waitcnt lgkmcnt(0)
	v_cmp_lt_i64_e32 vcc, v[5:6], v[3:4]
                                        ; implicit-def: $vgpr7
                                        ; implicit-def: $vgpr8
	v_cndmask_b32_e32 v2, v4, v6, vcc
	v_cndmask_b32_e32 v1, v3, v5, vcc
                                        ; implicit-def: $vgpr5_vgpr6
                                        ; implicit-def: $vgpr3_vgpr4
.LBB421_55:
	s_or_saveexec_b64 s[2:3], s[2:3]
	v_mov_b32_e32 v9, 1
	s_xor_b64 exec, exec, s[2:3]
	s_cbranch_execz .LBB421_57
; %bb.56:
	v_and_b32_e32 v1, 1, v7
	v_cmp_eq_u32_e32 vcc, 1, v1
	s_waitcnt lgkmcnt(0)
	v_cndmask_b32_e32 v2, v6, v4, vcc
	v_cndmask_b32_e32 v1, v5, v3, vcc
	v_cndmask_b32_e64 v9, v8, 1, vcc
.LBB421_57:
	s_or_b64 exec, exec, s[2:3]
.LBB421_58:
	s_or_b64 exec, exec, s[0:1]
	s_branch .LBB421_246
.LBB421_59:
                                        ; implicit-def: $vgpr3_vgpr4
                                        ; implicit-def: $vgpr5
                                        ; implicit-def: $vgpr1_vgpr2
	s_branch .LBB421_334
.LBB421_60:
                                        ; implicit-def: $vgpr1_vgpr2
                                        ; implicit-def: $vgpr17
	s_cbranch_execz .LBB421_177
; %bb.61:
	s_sub_i32 s30, s22, s8
	v_mov_b32_e32 v15, 0
	v_mov_b32_e32 v1, 0
	v_cmp_gt_u32_e32 vcc, s30, v0
	v_mov_b32_e32 v24, 0
	v_mov_b32_e32 v16, 0
	;; [unrolled: 1-line block ×4, first 2 shown]
	s_and_saveexec_b64 s[0:1], vcc
	s_cbranch_execz .LBB421_63
; %bb.62:
	v_lshlrev_b32_e32 v3, 4, v0
	global_load_ubyte v17, v3, s[16:17]
	global_load_dwordx2 v[1:2], v3, s[16:17] offset:8
.LBB421_63:
	s_or_b64 exec, exec, s[0:1]
	v_or_b32_e32 v3, 0x80, v0
	v_cmp_gt_u32_e64 s[14:15], s30, v3
	s_and_saveexec_b64 s[0:1], s[14:15]
	s_cbranch_execz .LBB421_65
; %bb.64:
	v_lshlrev_b32_e32 v3, 4, v0
	global_load_ubyte v24, v3, s[16:17] offset:2048
	global_load_dwordx2 v[15:16], v3, s[16:17] offset:2056
.LBB421_65:
	s_or_b64 exec, exec, s[0:1]
	v_or_b32_e32 v3, 0x100, v0
	v_mov_b32_e32 v11, 0
	v_mov_b32_e32 v13, 0
	v_cmp_gt_u32_e64 s[12:13], s30, v3
	v_mov_b32_e32 v22, 0
	v_mov_b32_e32 v12, 0
	;; [unrolled: 1-line block ×4, first 2 shown]
	s_and_saveexec_b64 s[0:1], s[12:13]
	s_cbranch_execz .LBB421_67
; %bb.66:
	v_lshlrev_b32_e32 v3, 4, v3
	global_load_ubyte v23, v3, s[16:17]
	global_load_dwordx2 v[13:14], v3, s[16:17] offset:8
.LBB421_67:
	s_or_b64 exec, exec, s[0:1]
	v_or_b32_e32 v3, 0x180, v0
	v_cmp_gt_u32_e64 s[10:11], s30, v3
	s_and_saveexec_b64 s[0:1], s[10:11]
	s_cbranch_execz .LBB421_69
; %bb.68:
	v_lshlrev_b32_e32 v3, 4, v3
	global_load_ubyte v22, v3, s[16:17]
	global_load_dwordx2 v[11:12], v3, s[16:17] offset:8
.LBB421_69:
	s_or_b64 exec, exec, s[0:1]
	v_or_b32_e32 v3, 0x200, v0
	v_mov_b32_e32 v7, 0
	v_mov_b32_e32 v9, 0
	v_cmp_gt_u32_e64 s[8:9], s30, v3
	v_mov_b32_e32 v20, 0
	v_mov_b32_e32 v8, 0
	;; [unrolled: 1-line block ×4, first 2 shown]
	s_and_saveexec_b64 s[0:1], s[8:9]
	s_cbranch_execz .LBB421_71
; %bb.70:
	v_lshlrev_b32_e32 v3, 4, v3
	global_load_ubyte v21, v3, s[16:17]
	global_load_dwordx2 v[9:10], v3, s[16:17] offset:8
.LBB421_71:
	s_or_b64 exec, exec, s[0:1]
	v_or_b32_e32 v3, 0x280, v0
	v_cmp_gt_u32_e64 s[2:3], s30, v3
	s_and_saveexec_b64 s[0:1], s[2:3]
	s_cbranch_execz .LBB421_73
; %bb.72:
	v_lshlrev_b32_e32 v3, 4, v3
	global_load_ubyte v20, v3, s[16:17]
	global_load_dwordx2 v[7:8], v3, s[16:17] offset:8
.LBB421_73:
	s_or_b64 exec, exec, s[0:1]
	v_or_b32_e32 v25, 0x300, v0
	v_mov_b32_e32 v3, 0
	s_waitcnt lgkmcnt(0)
	v_mov_b32_e32 v5, 0
	v_cmp_gt_u32_e64 s[0:1], s30, v25
	v_mov_b32_e32 v4, 0
	v_mov_b32_e32 v18, 0
	;; [unrolled: 1-line block ×4, first 2 shown]
	s_and_saveexec_b64 s[26:27], s[0:1]
	s_cbranch_execz .LBB421_75
; %bb.74:
	v_lshlrev_b32_e32 v25, 4, v25
	global_load_ubyte v19, v25, s[16:17]
	global_load_dwordx2 v[5:6], v25, s[16:17] offset:8
.LBB421_75:
	s_or_b64 exec, exec, s[26:27]
	v_or_b32_e32 v25, 0x380, v0
	v_cmp_gt_u32_e32 vcc, s30, v25
	s_and_saveexec_b64 s[26:27], vcc
	s_cbranch_execnz .LBB421_94
; %bb.76:
	s_or_b64 exec, exec, s[26:27]
	s_and_saveexec_b64 s[26:27], s[14:15]
	s_cbranch_execnz .LBB421_95
.LBB421_77:
	s_or_b64 exec, exec, s[26:27]
	s_and_saveexec_b64 s[16:17], s[12:13]
	s_cbranch_execnz .LBB421_100
.LBB421_78:
	s_or_b64 exec, exec, s[16:17]
	s_and_saveexec_b64 s[14:15], s[10:11]
	s_cbranch_execnz .LBB421_105
.LBB421_79:
	s_or_b64 exec, exec, s[14:15]
	s_and_saveexec_b64 s[12:13], s[8:9]
	s_cbranch_execnz .LBB421_110
.LBB421_80:
	s_or_b64 exec, exec, s[12:13]
	s_and_saveexec_b64 s[10:11], s[2:3]
	s_cbranch_execnz .LBB421_115
.LBB421_81:
	s_or_b64 exec, exec, s[10:11]
	s_and_saveexec_b64 s[8:9], s[0:1]
	s_cbranch_execnz .LBB421_120
.LBB421_82:
	s_or_b64 exec, exec, s[8:9]
	s_and_saveexec_b64 s[2:3], vcc
	s_cbranch_execnz .LBB421_125
	s_branch .LBB421_130
.LBB421_83:
                                        ; implicit-def: $vgpr1_vgpr2
                                        ; implicit-def: $vgpr9
	s_cbranch_execz .LBB421_246
; %bb.84:
	s_sub_i32 s12, s22, s10
	s_waitcnt lgkmcnt(1)
	v_mov_b32_e32 v7, 0
	v_mov_b32_e32 v1, 0
	v_cmp_gt_u32_e32 vcc, s12, v0
	v_mov_b32_e32 v12, 0
	v_mov_b32_e32 v8, 0
	;; [unrolled: 1-line block ×4, first 2 shown]
	s_and_saveexec_b64 s[0:1], vcc
	s_cbranch_execz .LBB421_86
; %bb.85:
	v_lshlrev_b32_e32 v3, 4, v0
	global_load_ubyte v9, v3, s[8:9]
	global_load_dwordx2 v[1:2], v3, s[8:9] offset:8
.LBB421_86:
	s_or_b64 exec, exec, s[0:1]
	v_or_b32_e32 v3, 0x80, v0
	v_cmp_gt_u32_e64 s[2:3], s12, v3
	s_and_saveexec_b64 s[0:1], s[2:3]
	s_cbranch_execz .LBB421_88
; %bb.87:
	v_lshlrev_b32_e32 v3, 4, v0
	global_load_ubyte v12, v3, s[8:9] offset:2048
	global_load_dwordx2 v[7:8], v3, s[8:9] offset:2056
.LBB421_88:
	s_or_b64 exec, exec, s[0:1]
	v_or_b32_e32 v13, 0x100, v0
	s_waitcnt lgkmcnt(0)
	v_mov_b32_e32 v3, 0
	v_mov_b32_e32 v5, 0
	v_cmp_gt_u32_e64 s[0:1], s12, v13
	v_mov_b32_e32 v10, 0
	v_mov_b32_e32 v4, 0
	;; [unrolled: 1-line block ×4, first 2 shown]
	s_and_saveexec_b64 s[10:11], s[0:1]
	s_cbranch_execz .LBB421_90
; %bb.89:
	v_lshlrev_b32_e32 v13, 4, v13
	global_load_ubyte v11, v13, s[8:9]
	global_load_dwordx2 v[5:6], v13, s[8:9] offset:8
.LBB421_90:
	s_or_b64 exec, exec, s[10:11]
	v_or_b32_e32 v13, 0x180, v0
	v_cmp_gt_u32_e32 vcc, s12, v13
	s_and_saveexec_b64 s[10:11], vcc
	s_cbranch_execnz .LBB421_183
; %bb.91:
	s_or_b64 exec, exec, s[10:11]
	s_and_saveexec_b64 s[10:11], s[2:3]
	s_cbranch_execnz .LBB421_184
.LBB421_92:
	s_or_b64 exec, exec, s[10:11]
	s_and_saveexec_b64 s[8:9], s[0:1]
	s_cbranch_execnz .LBB421_189
.LBB421_93:
	s_or_b64 exec, exec, s[8:9]
	s_and_saveexec_b64 s[2:3], vcc
	s_cbranch_execnz .LBB421_194
	s_branch .LBB421_199
.LBB421_94:
	v_lshlrev_b32_e32 v25, 4, v25
	global_load_ubyte v18, v25, s[16:17]
	global_load_dwordx2 v[3:4], v25, s[16:17] offset:8
	s_or_b64 exec, exec, s[26:27]
	s_and_saveexec_b64 s[26:27], s[14:15]
	s_cbranch_execz .LBB421_77
.LBB421_95:
	s_waitcnt vmcnt(1)
	v_and_b32_e32 v17, 1, v17
	v_cmp_eq_u32_e64 s[14:15], 1, v17
	v_and_b32_e32 v17, 1, v24
	v_cmp_eq_u32_e64 s[16:17], 1, v17
	s_and_b64 s[16:17], s[14:15], s[16:17]
	s_xor_b64 s[16:17], s[16:17], -1
                                        ; implicit-def: $vgpr17
	s_and_saveexec_b64 s[34:35], s[16:17]
	s_xor_b64 s[16:17], exec, s[34:35]
	s_cbranch_execz .LBB421_97
; %bb.96:
	v_and_b32_e32 v17, 0xff, v24
	v_cndmask_b32_e64 v17, v17, 1, s[14:15]
	s_waitcnt vmcnt(0)
	v_cndmask_b32_e64 v2, v16, v2, s[14:15]
	v_cndmask_b32_e64 v1, v15, v1, s[14:15]
                                        ; implicit-def: $vgpr15_vgpr16
.LBB421_97:
	s_andn2_saveexec_b64 s[16:17], s[16:17]
	s_cbranch_execz .LBB421_99
; %bb.98:
	s_waitcnt vmcnt(0)
	v_cmp_lt_i64_e64 s[14:15], v[15:16], v[1:2]
	v_mov_b32_e32 v17, 1
	v_cndmask_b32_e64 v2, v2, v16, s[14:15]
	v_cndmask_b32_e64 v1, v1, v15, s[14:15]
.LBB421_99:
	s_or_b64 exec, exec, s[16:17]
	s_or_b64 exec, exec, s[26:27]
	s_and_saveexec_b64 s[16:17], s[12:13]
	s_cbranch_execz .LBB421_78
.LBB421_100:
	s_waitcnt vmcnt(0)
	v_and_b32_e32 v15, 1, v17
	v_cmp_eq_u32_e64 s[12:13], 1, v15
	v_and_b32_e32 v15, 1, v23
	v_cmp_eq_u32_e64 s[14:15], 1, v15
	s_and_b64 s[14:15], s[12:13], s[14:15]
	s_xor_b64 s[14:15], s[14:15], -1
                                        ; implicit-def: $vgpr17
	s_and_saveexec_b64 s[26:27], s[14:15]
	s_xor_b64 s[14:15], exec, s[26:27]
; %bb.101:
	v_and_b32_e32 v15, 0xff, v23
	v_cndmask_b32_e64 v17, v15, 1, s[12:13]
	v_cndmask_b32_e64 v2, v14, v2, s[12:13]
	v_cndmask_b32_e64 v1, v13, v1, s[12:13]
                                        ; implicit-def: $vgpr13_vgpr14
; %bb.102:
	s_andn2_saveexec_b64 s[14:15], s[14:15]
; %bb.103:
	v_cmp_lt_i64_e64 s[12:13], v[13:14], v[1:2]
	v_mov_b32_e32 v17, 1
	v_cndmask_b32_e64 v2, v2, v14, s[12:13]
	v_cndmask_b32_e64 v1, v1, v13, s[12:13]
; %bb.104:
	s_or_b64 exec, exec, s[14:15]
	s_or_b64 exec, exec, s[16:17]
	s_and_saveexec_b64 s[14:15], s[10:11]
	s_cbranch_execz .LBB421_79
.LBB421_105:
	s_waitcnt vmcnt(0)
	v_and_b32_e32 v13, 1, v17
	v_cmp_eq_u32_e64 s[10:11], 1, v13
	v_and_b32_e32 v13, 1, v22
	v_cmp_eq_u32_e64 s[12:13], 1, v13
	s_and_b64 s[12:13], s[10:11], s[12:13]
	s_xor_b64 s[12:13], s[12:13], -1
                                        ; implicit-def: $vgpr17
	s_and_saveexec_b64 s[16:17], s[12:13]
	s_xor_b64 s[12:13], exec, s[16:17]
; %bb.106:
	v_and_b32_e32 v13, 0xff, v22
	v_cndmask_b32_e64 v17, v13, 1, s[10:11]
	v_cndmask_b32_e64 v2, v12, v2, s[10:11]
	;; [unrolled: 1-line block ×3, first 2 shown]
                                        ; implicit-def: $vgpr11_vgpr12
; %bb.107:
	s_andn2_saveexec_b64 s[12:13], s[12:13]
; %bb.108:
	v_cmp_lt_i64_e64 s[10:11], v[11:12], v[1:2]
	v_mov_b32_e32 v17, 1
	v_cndmask_b32_e64 v2, v2, v12, s[10:11]
	v_cndmask_b32_e64 v1, v1, v11, s[10:11]
; %bb.109:
	s_or_b64 exec, exec, s[12:13]
	s_or_b64 exec, exec, s[14:15]
	s_and_saveexec_b64 s[12:13], s[8:9]
	s_cbranch_execz .LBB421_80
.LBB421_110:
	s_waitcnt vmcnt(0)
	v_and_b32_e32 v11, 1, v17
	v_cmp_eq_u32_e64 s[8:9], 1, v11
	v_and_b32_e32 v11, 1, v21
	v_cmp_eq_u32_e64 s[10:11], 1, v11
	s_and_b64 s[10:11], s[8:9], s[10:11]
	s_xor_b64 s[10:11], s[10:11], -1
                                        ; implicit-def: $vgpr17
	s_and_saveexec_b64 s[14:15], s[10:11]
	s_xor_b64 s[10:11], exec, s[14:15]
; %bb.111:
	v_and_b32_e32 v11, 0xff, v21
	v_cndmask_b32_e64 v17, v11, 1, s[8:9]
	v_cndmask_b32_e64 v2, v10, v2, s[8:9]
	;; [unrolled: 1-line block ×3, first 2 shown]
                                        ; implicit-def: $vgpr9_vgpr10
; %bb.112:
	s_andn2_saveexec_b64 s[10:11], s[10:11]
; %bb.113:
	v_cmp_lt_i64_e64 s[8:9], v[9:10], v[1:2]
	v_mov_b32_e32 v17, 1
	v_cndmask_b32_e64 v2, v2, v10, s[8:9]
	v_cndmask_b32_e64 v1, v1, v9, s[8:9]
; %bb.114:
	s_or_b64 exec, exec, s[10:11]
	s_or_b64 exec, exec, s[12:13]
	s_and_saveexec_b64 s[10:11], s[2:3]
	s_cbranch_execz .LBB421_81
.LBB421_115:
	s_waitcnt vmcnt(0)
	v_and_b32_e32 v9, 1, v17
	v_cmp_eq_u32_e64 s[2:3], 1, v9
	v_and_b32_e32 v9, 1, v20
	v_cmp_eq_u32_e64 s[8:9], 1, v9
	s_and_b64 s[8:9], s[2:3], s[8:9]
	s_xor_b64 s[8:9], s[8:9], -1
                                        ; implicit-def: $vgpr17
	s_and_saveexec_b64 s[12:13], s[8:9]
	s_xor_b64 s[8:9], exec, s[12:13]
; %bb.116:
	v_and_b32_e32 v9, 0xff, v20
	v_cndmask_b32_e64 v17, v9, 1, s[2:3]
	v_cndmask_b32_e64 v2, v8, v2, s[2:3]
	;; [unrolled: 1-line block ×3, first 2 shown]
                                        ; implicit-def: $vgpr7_vgpr8
; %bb.117:
	s_andn2_saveexec_b64 s[8:9], s[8:9]
; %bb.118:
	v_cmp_lt_i64_e64 s[2:3], v[7:8], v[1:2]
	v_mov_b32_e32 v17, 1
	v_cndmask_b32_e64 v2, v2, v8, s[2:3]
	v_cndmask_b32_e64 v1, v1, v7, s[2:3]
; %bb.119:
	s_or_b64 exec, exec, s[8:9]
	s_or_b64 exec, exec, s[10:11]
	s_and_saveexec_b64 s[8:9], s[0:1]
	s_cbranch_execz .LBB421_82
.LBB421_120:
	s_waitcnt vmcnt(0)
	v_and_b32_e32 v7, 1, v17
	v_cmp_eq_u32_e64 s[0:1], 1, v7
	v_and_b32_e32 v7, 1, v19
	v_cmp_eq_u32_e64 s[2:3], 1, v7
	s_and_b64 s[2:3], s[0:1], s[2:3]
	s_xor_b64 s[2:3], s[2:3], -1
                                        ; implicit-def: $vgpr17
	s_and_saveexec_b64 s[10:11], s[2:3]
	s_xor_b64 s[2:3], exec, s[10:11]
; %bb.121:
	v_and_b32_e32 v7, 0xff, v19
	v_cndmask_b32_e64 v17, v7, 1, s[0:1]
	v_cndmask_b32_e64 v2, v6, v2, s[0:1]
	;; [unrolled: 1-line block ×3, first 2 shown]
                                        ; implicit-def: $vgpr5_vgpr6
; %bb.122:
	s_andn2_saveexec_b64 s[2:3], s[2:3]
; %bb.123:
	v_cmp_lt_i64_e64 s[0:1], v[5:6], v[1:2]
	v_mov_b32_e32 v17, 1
	v_cndmask_b32_e64 v2, v2, v6, s[0:1]
	v_cndmask_b32_e64 v1, v1, v5, s[0:1]
; %bb.124:
	s_or_b64 exec, exec, s[2:3]
	s_or_b64 exec, exec, s[8:9]
	s_and_saveexec_b64 s[2:3], vcc
	s_cbranch_execz .LBB421_130
.LBB421_125:
	s_waitcnt vmcnt(0)
	v_and_b32_e32 v5, 1, v17
	v_cmp_eq_u32_e32 vcc, 1, v5
	v_and_b32_e32 v5, 1, v18
	v_cmp_eq_u32_e64 s[0:1], 1, v5
	s_and_b64 s[0:1], vcc, s[0:1]
	s_xor_b64 s[0:1], s[0:1], -1
                                        ; implicit-def: $vgpr17
	s_and_saveexec_b64 s[8:9], s[0:1]
	s_xor_b64 s[0:1], exec, s[8:9]
; %bb.126:
	v_and_b32_e32 v5, 0xff, v18
	v_cndmask_b32_e64 v17, v5, 1, vcc
	v_cndmask_b32_e32 v2, v4, v2, vcc
	v_cndmask_b32_e32 v1, v3, v1, vcc
                                        ; implicit-def: $vgpr3_vgpr4
; %bb.127:
	s_andn2_saveexec_b64 s[0:1], s[0:1]
; %bb.128:
	v_cmp_lt_i64_e32 vcc, v[3:4], v[1:2]
	v_mov_b32_e32 v17, 1
	v_cndmask_b32_e32 v2, v2, v4, vcc
	v_cndmask_b32_e32 v1, v1, v3, vcc
; %bb.129:
	s_or_b64 exec, exec, s[0:1]
.LBB421_130:
	s_or_b64 exec, exec, s[2:3]
	s_waitcnt vmcnt(0)
	v_mbcnt_lo_u32_b32 v3, -1, 0
	v_mbcnt_hi_u32_b32 v5, -1, v3
	v_and_b32_e32 v6, 63, v5
	v_cmp_ne_u32_e32 vcc, 63, v6
	v_addc_co_u32_e32 v3, vcc, 0, v5, vcc
	v_lshlrev_b32_e32 v4, 2, v3
	ds_bpermute_b32 v8, v4, v17
	ds_bpermute_b32 v3, v4, v1
	;; [unrolled: 1-line block ×3, first 2 shown]
	s_min_u32 s8, s30, 0x80
	v_and_b32_e32 v7, 64, v0
	v_sub_u32_e64 v7, s8, v7 clamp
	v_add_u32_e32 v9, 1, v6
	v_cmp_lt_u32_e32 vcc, v9, v7
	s_and_saveexec_b64 s[0:1], vcc
	s_xor_b64 s[0:1], exec, s[0:1]
	s_cbranch_execz .LBB421_136
; %bb.131:
	s_waitcnt lgkmcnt(2)
	v_and_b32_e32 v9, v8, v17
	v_cmp_ne_u32_e32 vcc, 0, v9
	s_and_saveexec_b64 s[2:3], vcc
	s_xor_b64 s[2:3], exec, s[2:3]
	s_cbranch_execz .LBB421_133
; %bb.132:
	s_waitcnt lgkmcnt(0)
	v_cmp_lt_i64_e32 vcc, v[3:4], v[1:2]
                                        ; implicit-def: $vgpr17
                                        ; implicit-def: $vgpr8
	v_cndmask_b32_e32 v2, v2, v4, vcc
	v_cndmask_b32_e32 v1, v1, v3, vcc
                                        ; implicit-def: $vgpr3_vgpr4
.LBB421_133:
	s_or_saveexec_b64 s[2:3], s[2:3]
	v_mov_b32_e32 v9, 1
	s_xor_b64 exec, exec, s[2:3]
	s_cbranch_execz .LBB421_135
; %bb.134:
	v_and_b32_e32 v9, 1, v17
	v_cmp_eq_u32_e32 vcc, 1, v9
	s_waitcnt lgkmcnt(1)
	v_cndmask_b32_e32 v1, v3, v1, vcc
	v_and_b32_e32 v3, 0xff, v8
	s_waitcnt lgkmcnt(0)
	v_cndmask_b32_e32 v2, v4, v2, vcc
	v_cndmask_b32_e64 v9, v3, 1, vcc
.LBB421_135:
	s_or_b64 exec, exec, s[2:3]
	v_mov_b32_e32 v17, v9
.LBB421_136:
	s_or_b64 exec, exec, s[0:1]
	v_cmp_gt_u32_e32 vcc, 62, v6
	s_waitcnt lgkmcnt(1)
	v_cndmask_b32_e64 v3, 0, 2, vcc
	s_waitcnt lgkmcnt(0)
	v_add_lshl_u32 v4, v3, v5, 2
	ds_bpermute_b32 v8, v4, v17
	ds_bpermute_b32 v3, v4, v1
	ds_bpermute_b32 v4, v4, v2
	v_add_u32_e32 v9, 2, v6
	v_cmp_lt_u32_e32 vcc, v9, v7
	s_and_saveexec_b64 s[0:1], vcc
	s_cbranch_execz .LBB421_142
; %bb.137:
	s_waitcnt lgkmcnt(2)
	v_and_b32_e32 v9, v17, v8
	v_and_b32_e32 v9, 1, v9
	v_cmp_eq_u32_e32 vcc, 1, v9
	s_and_saveexec_b64 s[2:3], vcc
	s_xor_b64 s[2:3], exec, s[2:3]
	s_cbranch_execz .LBB421_139
; %bb.138:
	s_waitcnt lgkmcnt(0)
	v_cmp_lt_i64_e32 vcc, v[3:4], v[1:2]
                                        ; implicit-def: $vgpr17
                                        ; implicit-def: $vgpr8
	v_cndmask_b32_e32 v2, v2, v4, vcc
	v_cndmask_b32_e32 v1, v1, v3, vcc
                                        ; implicit-def: $vgpr3_vgpr4
.LBB421_139:
	s_or_saveexec_b64 s[2:3], s[2:3]
	v_mov_b32_e32 v9, 1
	s_xor_b64 exec, exec, s[2:3]
	s_cbranch_execz .LBB421_141
; %bb.140:
	v_and_b32_e32 v9, 1, v17
	v_cmp_eq_u32_e32 vcc, 1, v9
	s_waitcnt lgkmcnt(1)
	v_cndmask_b32_e32 v1, v3, v1, vcc
	v_and_b32_e32 v3, 0xff, v8
	s_waitcnt lgkmcnt(0)
	v_cndmask_b32_e32 v2, v4, v2, vcc
	v_cndmask_b32_e64 v9, v3, 1, vcc
.LBB421_141:
	s_or_b64 exec, exec, s[2:3]
	v_mov_b32_e32 v17, v9
.LBB421_142:
	s_or_b64 exec, exec, s[0:1]
	v_cmp_gt_u32_e32 vcc, 60, v6
	s_waitcnt lgkmcnt(1)
	v_cndmask_b32_e64 v3, 0, 4, vcc
	s_waitcnt lgkmcnt(0)
	v_add_lshl_u32 v4, v3, v5, 2
	ds_bpermute_b32 v8, v4, v17
	ds_bpermute_b32 v3, v4, v1
	ds_bpermute_b32 v4, v4, v2
	v_add_u32_e32 v9, 4, v6
	v_cmp_lt_u32_e32 vcc, v9, v7
	s_and_saveexec_b64 s[0:1], vcc
	s_cbranch_execz .LBB421_148
; %bb.143:
	s_waitcnt lgkmcnt(2)
	v_and_b32_e32 v9, v17, v8
	v_and_b32_e32 v9, 1, v9
	v_cmp_eq_u32_e32 vcc, 1, v9
	s_and_saveexec_b64 s[2:3], vcc
	s_xor_b64 s[2:3], exec, s[2:3]
	s_cbranch_execz .LBB421_145
; %bb.144:
	s_waitcnt lgkmcnt(0)
	v_cmp_lt_i64_e32 vcc, v[3:4], v[1:2]
                                        ; implicit-def: $vgpr17
                                        ; implicit-def: $vgpr8
	v_cndmask_b32_e32 v2, v2, v4, vcc
	v_cndmask_b32_e32 v1, v1, v3, vcc
                                        ; implicit-def: $vgpr3_vgpr4
.LBB421_145:
	s_or_saveexec_b64 s[2:3], s[2:3]
	v_mov_b32_e32 v9, 1
	s_xor_b64 exec, exec, s[2:3]
	s_cbranch_execz .LBB421_147
; %bb.146:
	v_and_b32_e32 v9, 1, v17
	v_cmp_eq_u32_e32 vcc, 1, v9
	s_waitcnt lgkmcnt(1)
	v_cndmask_b32_e32 v1, v3, v1, vcc
	v_and_b32_e32 v3, 0xff, v8
	s_waitcnt lgkmcnt(0)
	v_cndmask_b32_e32 v2, v4, v2, vcc
	v_cndmask_b32_e64 v9, v3, 1, vcc
.LBB421_147:
	s_or_b64 exec, exec, s[2:3]
	v_mov_b32_e32 v17, v9
.LBB421_148:
	;; [unrolled: 47-line block ×4, first 2 shown]
	s_or_b64 exec, exec, s[0:1]
	s_waitcnt lgkmcnt(2)
	v_lshlrev_b32_e32 v8, 2, v5
	s_waitcnt lgkmcnt(0)
	v_or_b32_e32 v4, 0x80, v8
	ds_bpermute_b32 v9, v4, v17
	ds_bpermute_b32 v3, v4, v1
	;; [unrolled: 1-line block ×3, first 2 shown]
	v_add_u32_e32 v6, 32, v6
	v_cmp_lt_u32_e32 vcc, v6, v7
	v_mov_b32_e32 v6, v17
	s_and_saveexec_b64 s[0:1], vcc
	s_cbranch_execz .LBB421_166
; %bb.161:
	s_waitcnt lgkmcnt(2)
	v_and_b32_e32 v6, v17, v9
	v_and_b32_e32 v6, 1, v6
	v_cmp_eq_u32_e32 vcc, 1, v6
	s_and_saveexec_b64 s[2:3], vcc
	s_xor_b64 s[2:3], exec, s[2:3]
	s_cbranch_execz .LBB421_163
; %bb.162:
	s_waitcnt lgkmcnt(0)
	v_cmp_lt_i64_e32 vcc, v[3:4], v[1:2]
                                        ; implicit-def: $vgpr17
                                        ; implicit-def: $vgpr9
	v_cndmask_b32_e32 v2, v2, v4, vcc
	v_cndmask_b32_e32 v1, v1, v3, vcc
                                        ; implicit-def: $vgpr3_vgpr4
.LBB421_163:
	s_or_saveexec_b64 s[2:3], s[2:3]
	v_mov_b32_e32 v6, 1
	s_xor_b64 exec, exec, s[2:3]
	s_cbranch_execz .LBB421_165
; %bb.164:
	v_and_b32_e32 v6, 1, v17
	v_cmp_eq_u32_e32 vcc, 1, v6
	v_cndmask_b32_e64 v6, v9, 1, vcc
	s_waitcnt lgkmcnt(0)
	v_cndmask_b32_e32 v2, v4, v2, vcc
	v_cndmask_b32_e32 v1, v3, v1, vcc
.LBB421_165:
	s_or_b64 exec, exec, s[2:3]
	v_and_b32_e32 v17, 0xff, v6
.LBB421_166:
	s_or_b64 exec, exec, s[0:1]
	v_cmp_eq_u32_e32 vcc, 0, v5
	s_and_saveexec_b64 s[0:1], vcc
	s_cbranch_execz .LBB421_168
; %bb.167:
	s_waitcnt lgkmcnt(1)
	v_lshrrev_b32_e32 v3, 2, v0
	v_and_b32_e32 v3, 16, v3
	ds_write_b8 v3, v6 offset:128
	ds_write_b64 v3, v[1:2] offset:136
.LBB421_168:
	s_or_b64 exec, exec, s[0:1]
	v_cmp_gt_u32_e32 vcc, 2, v0
	s_waitcnt lgkmcnt(0)
	s_barrier
	s_and_saveexec_b64 s[0:1], vcc
	s_cbranch_execz .LBB421_176
; %bb.169:
	v_lshlrev_b32_e32 v1, 4, v5
	ds_read_u8 v6, v1 offset:128
	ds_read_b64 v[1:2], v1 offset:136
	v_or_b32_e32 v4, 4, v8
	s_add_i32 s8, s8, 63
	v_and_b32_e32 v5, 1, v5
	s_waitcnt lgkmcnt(1)
	v_and_b32_e32 v17, 0xff, v6
	s_waitcnt lgkmcnt(0)
	ds_bpermute_b32 v3, v4, v1
	ds_bpermute_b32 v7, v4, v17
	;; [unrolled: 1-line block ×3, first 2 shown]
	s_lshr_b32 s2, s8, 6
	v_add_u32_e32 v5, 1, v5
	v_cmp_gt_u32_e32 vcc, s2, v5
	s_and_saveexec_b64 s[2:3], vcc
	s_cbranch_execz .LBB421_175
; %bb.170:
	s_waitcnt lgkmcnt(1)
	v_and_b32_e32 v5, v17, v7
	v_and_b32_e32 v5, 1, v5
	v_cmp_eq_u32_e32 vcc, 1, v5
	s_and_saveexec_b64 s[8:9], vcc
	s_xor_b64 s[8:9], exec, s[8:9]
	s_cbranch_execz .LBB421_172
; %bb.171:
	s_waitcnt lgkmcnt(0)
	v_cmp_lt_i64_e32 vcc, v[3:4], v[1:2]
                                        ; implicit-def: $vgpr6
                                        ; implicit-def: $vgpr7
	v_cndmask_b32_e32 v2, v2, v4, vcc
	v_cndmask_b32_e32 v1, v1, v3, vcc
                                        ; implicit-def: $vgpr3_vgpr4
.LBB421_172:
	s_or_saveexec_b64 s[8:9], s[8:9]
	v_mov_b32_e32 v17, 1
	s_xor_b64 exec, exec, s[8:9]
	s_cbranch_execz .LBB421_174
; %bb.173:
	v_and_b32_e32 v5, 1, v6
	v_cmp_eq_u32_e32 vcc, 1, v5
	s_waitcnt lgkmcnt(0)
	v_cndmask_b32_e32 v2, v4, v2, vcc
	v_cndmask_b32_e32 v1, v3, v1, vcc
	v_cndmask_b32_e64 v17, v7, 1, vcc
.LBB421_174:
	s_or_b64 exec, exec, s[8:9]
.LBB421_175:
	s_or_b64 exec, exec, s[2:3]
.LBB421_176:
	s_or_b64 exec, exec, s[0:1]
.LBB421_177:
	v_cmp_eq_u32_e32 vcc, 0, v0
	s_mov_b64 s[14:15], 0
                                        ; implicit-def: $vgpr3_vgpr4
                                        ; implicit-def: $vgpr5
	s_and_saveexec_b64 s[0:1], vcc
	s_xor_b64 s[8:9], exec, s[0:1]
	s_cbranch_execz .LBB421_181
; %bb.178:
	s_waitcnt lgkmcnt(0)
	v_mov_b32_e32 v3, s18
	s_cmp_eq_u64 s[22:23], 0
	v_mov_b32_e32 v4, s19
	v_mov_b32_e32 v5, s28
	s_cbranch_scc1 .LBB421_180
; %bb.179:
	v_and_b32_e32 v3, 1, v17
	v_cmp_gt_i64_e64 s[0:1], s[18:19], v[1:2]
	s_bitcmp1_b32 s28, 0
	v_cmp_eq_u32_e32 vcc, 1, v3
	s_cselect_b64 s[2:3], -1, 0
	v_mov_b32_e32 v3, s18
	s_and_b64 vcc, vcc, s[0:1]
	v_mov_b32_e32 v4, s19
	v_cndmask_b32_e32 v3, v3, v1, vcc
	v_cndmask_b32_e32 v4, v4, v2, vcc
	v_cndmask_b32_e64 v5, v17, 1, s[2:3]
	v_cndmask_b32_e64 v4, v2, v4, s[2:3]
	;; [unrolled: 1-line block ×3, first 2 shown]
.LBB421_180:
	s_mov_b64 s[14:15], exec
.LBB421_181:
	s_or_b64 exec, exec, s[8:9]
	v_mov_b32_e32 v1, s6
	v_mov_b32_e32 v2, s7
	s_and_b64 vcc, exec, s[24:25]
	s_cbranch_vccnz .LBB421_40
.LBB421_182:
	s_branch .LBB421_334
.LBB421_183:
	v_lshlrev_b32_e32 v13, 4, v13
	global_load_ubyte v10, v13, s[8:9]
	global_load_dwordx2 v[3:4], v13, s[8:9] offset:8
	s_or_b64 exec, exec, s[10:11]
	s_and_saveexec_b64 s[10:11], s[2:3]
	s_cbranch_execz .LBB421_92
.LBB421_184:
	s_waitcnt vmcnt(1)
	v_and_b32_e32 v9, 1, v9
	v_cmp_eq_u32_e64 s[2:3], 1, v9
	v_and_b32_e32 v9, 1, v12
	v_cmp_eq_u32_e64 s[8:9], 1, v9
	s_and_b64 s[8:9], s[2:3], s[8:9]
	s_xor_b64 s[8:9], s[8:9], -1
                                        ; implicit-def: $vgpr9
	s_and_saveexec_b64 s[16:17], s[8:9]
	s_xor_b64 s[8:9], exec, s[16:17]
	s_cbranch_execz .LBB421_186
; %bb.185:
	v_and_b32_e32 v9, 0xff, v12
	v_cndmask_b32_e64 v9, v9, 1, s[2:3]
	s_waitcnt vmcnt(0)
	v_cndmask_b32_e64 v2, v8, v2, s[2:3]
	v_cndmask_b32_e64 v1, v7, v1, s[2:3]
                                        ; implicit-def: $vgpr7_vgpr8
.LBB421_186:
	s_andn2_saveexec_b64 s[8:9], s[8:9]
	s_cbranch_execz .LBB421_188
; %bb.187:
	s_waitcnt vmcnt(0)
	v_cmp_lt_i64_e64 s[2:3], v[7:8], v[1:2]
	v_mov_b32_e32 v9, 1
	v_cndmask_b32_e64 v2, v2, v8, s[2:3]
	v_cndmask_b32_e64 v1, v1, v7, s[2:3]
.LBB421_188:
	s_or_b64 exec, exec, s[8:9]
	s_or_b64 exec, exec, s[10:11]
	s_and_saveexec_b64 s[8:9], s[0:1]
	s_cbranch_execz .LBB421_93
.LBB421_189:
	s_waitcnt vmcnt(0)
	v_and_b32_e32 v7, 1, v9
	v_cmp_eq_u32_e64 s[0:1], 1, v7
	v_and_b32_e32 v7, 1, v11
	v_cmp_eq_u32_e64 s[2:3], 1, v7
	s_and_b64 s[2:3], s[0:1], s[2:3]
	s_xor_b64 s[2:3], s[2:3], -1
                                        ; implicit-def: $vgpr9
	s_and_saveexec_b64 s[10:11], s[2:3]
	s_xor_b64 s[2:3], exec, s[10:11]
; %bb.190:
	v_and_b32_e32 v7, 0xff, v11
	v_cndmask_b32_e64 v9, v7, 1, s[0:1]
	v_cndmask_b32_e64 v2, v6, v2, s[0:1]
	;; [unrolled: 1-line block ×3, first 2 shown]
                                        ; implicit-def: $vgpr5_vgpr6
; %bb.191:
	s_andn2_saveexec_b64 s[2:3], s[2:3]
; %bb.192:
	v_cmp_lt_i64_e64 s[0:1], v[5:6], v[1:2]
	v_mov_b32_e32 v9, 1
	v_cndmask_b32_e64 v2, v2, v6, s[0:1]
	v_cndmask_b32_e64 v1, v1, v5, s[0:1]
; %bb.193:
	s_or_b64 exec, exec, s[2:3]
	s_or_b64 exec, exec, s[8:9]
	s_and_saveexec_b64 s[2:3], vcc
	s_cbranch_execz .LBB421_199
.LBB421_194:
	s_waitcnt vmcnt(0)
	v_and_b32_e32 v5, 1, v9
	v_cmp_eq_u32_e32 vcc, 1, v5
	v_and_b32_e32 v5, 1, v10
	v_cmp_eq_u32_e64 s[0:1], 1, v5
	s_and_b64 s[0:1], vcc, s[0:1]
	s_xor_b64 s[0:1], s[0:1], -1
                                        ; implicit-def: $vgpr9
	s_and_saveexec_b64 s[8:9], s[0:1]
	s_xor_b64 s[0:1], exec, s[8:9]
; %bb.195:
	v_and_b32_e32 v5, 0xff, v10
	v_cndmask_b32_e64 v9, v5, 1, vcc
	v_cndmask_b32_e32 v2, v4, v2, vcc
	v_cndmask_b32_e32 v1, v3, v1, vcc
                                        ; implicit-def: $vgpr3_vgpr4
; %bb.196:
	s_andn2_saveexec_b64 s[0:1], s[0:1]
; %bb.197:
	v_cmp_lt_i64_e32 vcc, v[3:4], v[1:2]
	v_mov_b32_e32 v9, 1
	v_cndmask_b32_e32 v2, v2, v4, vcc
	v_cndmask_b32_e32 v1, v1, v3, vcc
; %bb.198:
	s_or_b64 exec, exec, s[0:1]
.LBB421_199:
	s_or_b64 exec, exec, s[2:3]
	s_waitcnt vmcnt(0)
	v_mbcnt_lo_u32_b32 v3, -1, 0
	v_mbcnt_hi_u32_b32 v5, -1, v3
	v_and_b32_e32 v6, 63, v5
	v_cmp_ne_u32_e32 vcc, 63, v6
	v_addc_co_u32_e32 v3, vcc, 0, v5, vcc
	v_lshlrev_b32_e32 v4, 2, v3
	ds_bpermute_b32 v8, v4, v9
	ds_bpermute_b32 v3, v4, v1
	;; [unrolled: 1-line block ×3, first 2 shown]
	s_min_u32 s8, s12, 0x80
	v_and_b32_e32 v7, 64, v0
	v_sub_u32_e64 v7, s8, v7 clamp
	v_add_u32_e32 v10, 1, v6
	v_cmp_lt_u32_e32 vcc, v10, v7
	s_and_saveexec_b64 s[0:1], vcc
	s_xor_b64 s[0:1], exec, s[0:1]
	s_cbranch_execz .LBB421_205
; %bb.200:
	s_waitcnt lgkmcnt(2)
	v_and_b32_e32 v10, v8, v9
	v_cmp_ne_u32_e32 vcc, 0, v10
	s_and_saveexec_b64 s[2:3], vcc
	s_xor_b64 s[2:3], exec, s[2:3]
	s_cbranch_execz .LBB421_202
; %bb.201:
	s_waitcnt lgkmcnt(0)
	v_cmp_lt_i64_e32 vcc, v[3:4], v[1:2]
                                        ; implicit-def: $vgpr9
                                        ; implicit-def: $vgpr8
	v_cndmask_b32_e32 v2, v2, v4, vcc
	v_cndmask_b32_e32 v1, v1, v3, vcc
                                        ; implicit-def: $vgpr3_vgpr4
.LBB421_202:
	s_or_saveexec_b64 s[2:3], s[2:3]
	v_mov_b32_e32 v10, 1
	s_xor_b64 exec, exec, s[2:3]
	s_cbranch_execz .LBB421_204
; %bb.203:
	v_and_b32_e32 v9, 1, v9
	v_cmp_eq_u32_e32 vcc, 1, v9
	s_waitcnt lgkmcnt(1)
	v_cndmask_b32_e32 v1, v3, v1, vcc
	v_and_b32_e32 v3, 0xff, v8
	s_waitcnt lgkmcnt(0)
	v_cndmask_b32_e32 v2, v4, v2, vcc
	v_cndmask_b32_e64 v10, v3, 1, vcc
.LBB421_204:
	s_or_b64 exec, exec, s[2:3]
	v_mov_b32_e32 v9, v10
.LBB421_205:
	s_or_b64 exec, exec, s[0:1]
	v_cmp_gt_u32_e32 vcc, 62, v6
	s_waitcnt lgkmcnt(1)
	v_cndmask_b32_e64 v3, 0, 2, vcc
	s_waitcnt lgkmcnt(0)
	v_add_lshl_u32 v4, v3, v5, 2
	ds_bpermute_b32 v8, v4, v9
	ds_bpermute_b32 v3, v4, v1
	ds_bpermute_b32 v4, v4, v2
	v_add_u32_e32 v10, 2, v6
	v_cmp_lt_u32_e32 vcc, v10, v7
	s_and_saveexec_b64 s[0:1], vcc
	s_cbranch_execz .LBB421_211
; %bb.206:
	s_waitcnt lgkmcnt(2)
	v_and_b32_e32 v10, v9, v8
	v_and_b32_e32 v10, 1, v10
	v_cmp_eq_u32_e32 vcc, 1, v10
	s_and_saveexec_b64 s[2:3], vcc
	s_xor_b64 s[2:3], exec, s[2:3]
	s_cbranch_execz .LBB421_208
; %bb.207:
	s_waitcnt lgkmcnt(0)
	v_cmp_lt_i64_e32 vcc, v[3:4], v[1:2]
                                        ; implicit-def: $vgpr9
                                        ; implicit-def: $vgpr8
	v_cndmask_b32_e32 v2, v2, v4, vcc
	v_cndmask_b32_e32 v1, v1, v3, vcc
                                        ; implicit-def: $vgpr3_vgpr4
.LBB421_208:
	s_or_saveexec_b64 s[2:3], s[2:3]
	v_mov_b32_e32 v10, 1
	s_xor_b64 exec, exec, s[2:3]
	s_cbranch_execz .LBB421_210
; %bb.209:
	v_and_b32_e32 v9, 1, v9
	v_cmp_eq_u32_e32 vcc, 1, v9
	s_waitcnt lgkmcnt(1)
	v_cndmask_b32_e32 v1, v3, v1, vcc
	v_and_b32_e32 v3, 0xff, v8
	s_waitcnt lgkmcnt(0)
	v_cndmask_b32_e32 v2, v4, v2, vcc
	v_cndmask_b32_e64 v10, v3, 1, vcc
.LBB421_210:
	s_or_b64 exec, exec, s[2:3]
	v_mov_b32_e32 v9, v10
.LBB421_211:
	s_or_b64 exec, exec, s[0:1]
	v_cmp_gt_u32_e32 vcc, 60, v6
	s_waitcnt lgkmcnt(1)
	v_cndmask_b32_e64 v3, 0, 4, vcc
	s_waitcnt lgkmcnt(0)
	v_add_lshl_u32 v4, v3, v5, 2
	ds_bpermute_b32 v8, v4, v9
	ds_bpermute_b32 v3, v4, v1
	ds_bpermute_b32 v4, v4, v2
	v_add_u32_e32 v10, 4, v6
	v_cmp_lt_u32_e32 vcc, v10, v7
	s_and_saveexec_b64 s[0:1], vcc
	s_cbranch_execz .LBB421_217
; %bb.212:
	s_waitcnt lgkmcnt(2)
	v_and_b32_e32 v10, v9, v8
	v_and_b32_e32 v10, 1, v10
	v_cmp_eq_u32_e32 vcc, 1, v10
	s_and_saveexec_b64 s[2:3], vcc
	s_xor_b64 s[2:3], exec, s[2:3]
	s_cbranch_execz .LBB421_214
; %bb.213:
	s_waitcnt lgkmcnt(0)
	v_cmp_lt_i64_e32 vcc, v[3:4], v[1:2]
                                        ; implicit-def: $vgpr9
                                        ; implicit-def: $vgpr8
	v_cndmask_b32_e32 v2, v2, v4, vcc
	v_cndmask_b32_e32 v1, v1, v3, vcc
                                        ; implicit-def: $vgpr3_vgpr4
.LBB421_214:
	s_or_saveexec_b64 s[2:3], s[2:3]
	v_mov_b32_e32 v10, 1
	s_xor_b64 exec, exec, s[2:3]
	s_cbranch_execz .LBB421_216
; %bb.215:
	v_and_b32_e32 v9, 1, v9
	v_cmp_eq_u32_e32 vcc, 1, v9
	s_waitcnt lgkmcnt(1)
	v_cndmask_b32_e32 v1, v3, v1, vcc
	v_and_b32_e32 v3, 0xff, v8
	s_waitcnt lgkmcnt(0)
	v_cndmask_b32_e32 v2, v4, v2, vcc
	v_cndmask_b32_e64 v10, v3, 1, vcc
.LBB421_216:
	s_or_b64 exec, exec, s[2:3]
	v_mov_b32_e32 v9, v10
.LBB421_217:
	s_or_b64 exec, exec, s[0:1]
	v_cmp_gt_u32_e32 vcc, 56, v6
	s_waitcnt lgkmcnt(1)
	v_cndmask_b32_e64 v3, 0, 8, vcc
	s_waitcnt lgkmcnt(0)
	v_add_lshl_u32 v4, v3, v5, 2
	ds_bpermute_b32 v8, v4, v9
	ds_bpermute_b32 v3, v4, v1
	ds_bpermute_b32 v4, v4, v2
	v_add_u32_e32 v10, 8, v6
	v_cmp_lt_u32_e32 vcc, v10, v7
	s_and_saveexec_b64 s[0:1], vcc
	s_cbranch_execz .LBB421_223
; %bb.218:
	s_waitcnt lgkmcnt(2)
	v_and_b32_e32 v10, v9, v8
	v_and_b32_e32 v10, 1, v10
	v_cmp_eq_u32_e32 vcc, 1, v10
	s_and_saveexec_b64 s[2:3], vcc
	s_xor_b64 s[2:3], exec, s[2:3]
	s_cbranch_execz .LBB421_220
; %bb.219:
	s_waitcnt lgkmcnt(0)
	v_cmp_lt_i64_e32 vcc, v[3:4], v[1:2]
                                        ; implicit-def: $vgpr9
                                        ; implicit-def: $vgpr8
	v_cndmask_b32_e32 v2, v2, v4, vcc
	v_cndmask_b32_e32 v1, v1, v3, vcc
                                        ; implicit-def: $vgpr3_vgpr4
.LBB421_220:
	s_or_saveexec_b64 s[2:3], s[2:3]
	v_mov_b32_e32 v10, 1
	s_xor_b64 exec, exec, s[2:3]
	s_cbranch_execz .LBB421_222
; %bb.221:
	v_and_b32_e32 v9, 1, v9
	v_cmp_eq_u32_e32 vcc, 1, v9
	s_waitcnt lgkmcnt(1)
	v_cndmask_b32_e32 v1, v3, v1, vcc
	v_and_b32_e32 v3, 0xff, v8
	s_waitcnt lgkmcnt(0)
	v_cndmask_b32_e32 v2, v4, v2, vcc
	v_cndmask_b32_e64 v10, v3, 1, vcc
.LBB421_222:
	s_or_b64 exec, exec, s[2:3]
	v_mov_b32_e32 v9, v10
.LBB421_223:
	s_or_b64 exec, exec, s[0:1]
	v_cmp_gt_u32_e32 vcc, 48, v6
	s_waitcnt lgkmcnt(1)
	v_cndmask_b32_e64 v3, 0, 16, vcc
	s_waitcnt lgkmcnt(0)
	v_add_lshl_u32 v4, v3, v5, 2
	ds_bpermute_b32 v8, v4, v9
	ds_bpermute_b32 v3, v4, v1
	ds_bpermute_b32 v4, v4, v2
	v_add_u32_e32 v10, 16, v6
	v_cmp_lt_u32_e32 vcc, v10, v7
	s_and_saveexec_b64 s[0:1], vcc
	s_cbranch_execz .LBB421_229
; %bb.224:
	s_waitcnt lgkmcnt(2)
	v_and_b32_e32 v10, v9, v8
	v_and_b32_e32 v10, 1, v10
	v_cmp_eq_u32_e32 vcc, 1, v10
	s_and_saveexec_b64 s[2:3], vcc
	s_xor_b64 s[2:3], exec, s[2:3]
	s_cbranch_execz .LBB421_226
; %bb.225:
	s_waitcnt lgkmcnt(0)
	v_cmp_lt_i64_e32 vcc, v[3:4], v[1:2]
                                        ; implicit-def: $vgpr9
                                        ; implicit-def: $vgpr8
	v_cndmask_b32_e32 v2, v2, v4, vcc
	v_cndmask_b32_e32 v1, v1, v3, vcc
                                        ; implicit-def: $vgpr3_vgpr4
.LBB421_226:
	s_or_saveexec_b64 s[2:3], s[2:3]
	v_mov_b32_e32 v10, 1
	s_xor_b64 exec, exec, s[2:3]
	s_cbranch_execz .LBB421_228
; %bb.227:
	v_and_b32_e32 v9, 1, v9
	v_cmp_eq_u32_e32 vcc, 1, v9
	s_waitcnt lgkmcnt(1)
	v_cndmask_b32_e32 v1, v3, v1, vcc
	v_and_b32_e32 v3, 0xff, v8
	s_waitcnt lgkmcnt(0)
	v_cndmask_b32_e32 v2, v4, v2, vcc
	v_cndmask_b32_e64 v10, v3, 1, vcc
.LBB421_228:
	s_or_b64 exec, exec, s[2:3]
	v_mov_b32_e32 v9, v10
.LBB421_229:
	s_or_b64 exec, exec, s[0:1]
	s_waitcnt lgkmcnt(2)
	v_lshlrev_b32_e32 v8, 2, v5
	s_waitcnt lgkmcnt(0)
	v_or_b32_e32 v4, 0x80, v8
	ds_bpermute_b32 v10, v4, v9
	ds_bpermute_b32 v3, v4, v1
	;; [unrolled: 1-line block ×3, first 2 shown]
	v_add_u32_e32 v6, 32, v6
	v_cmp_lt_u32_e32 vcc, v6, v7
	v_mov_b32_e32 v6, v9
	s_and_saveexec_b64 s[0:1], vcc
	s_cbranch_execz .LBB421_235
; %bb.230:
	s_waitcnt lgkmcnt(2)
	v_and_b32_e32 v6, v9, v10
	v_and_b32_e32 v6, 1, v6
	v_cmp_eq_u32_e32 vcc, 1, v6
	s_and_saveexec_b64 s[2:3], vcc
	s_xor_b64 s[2:3], exec, s[2:3]
	s_cbranch_execz .LBB421_232
; %bb.231:
	s_waitcnt lgkmcnt(0)
	v_cmp_lt_i64_e32 vcc, v[3:4], v[1:2]
                                        ; implicit-def: $vgpr9
                                        ; implicit-def: $vgpr10
	v_cndmask_b32_e32 v2, v2, v4, vcc
	v_cndmask_b32_e32 v1, v1, v3, vcc
                                        ; implicit-def: $vgpr3_vgpr4
.LBB421_232:
	s_or_saveexec_b64 s[2:3], s[2:3]
	v_mov_b32_e32 v6, 1
	s_xor_b64 exec, exec, s[2:3]
	s_cbranch_execz .LBB421_234
; %bb.233:
	v_and_b32_e32 v6, 1, v9
	v_cmp_eq_u32_e32 vcc, 1, v6
	v_cndmask_b32_e64 v6, v10, 1, vcc
	s_waitcnt lgkmcnt(0)
	v_cndmask_b32_e32 v2, v4, v2, vcc
	v_cndmask_b32_e32 v1, v3, v1, vcc
.LBB421_234:
	s_or_b64 exec, exec, s[2:3]
	v_and_b32_e32 v9, 0xff, v6
.LBB421_235:
	s_or_b64 exec, exec, s[0:1]
	v_cmp_eq_u32_e32 vcc, 0, v5
	s_and_saveexec_b64 s[0:1], vcc
	s_cbranch_execz .LBB421_237
; %bb.236:
	s_waitcnt lgkmcnt(1)
	v_lshrrev_b32_e32 v3, 2, v0
	v_and_b32_e32 v3, 16, v3
	ds_write_b8 v3, v6 offset:128
	ds_write_b64 v3, v[1:2] offset:136
.LBB421_237:
	s_or_b64 exec, exec, s[0:1]
	v_cmp_gt_u32_e32 vcc, 2, v0
	s_waitcnt lgkmcnt(0)
	s_barrier
	s_and_saveexec_b64 s[0:1], vcc
	s_cbranch_execz .LBB421_245
; %bb.238:
	v_lshlrev_b32_e32 v1, 4, v5
	ds_read_u8 v6, v1 offset:128
	ds_read_b64 v[1:2], v1 offset:136
	v_or_b32_e32 v4, 4, v8
	s_add_i32 s8, s8, 63
	v_and_b32_e32 v5, 1, v5
	s_waitcnt lgkmcnt(1)
	v_and_b32_e32 v9, 0xff, v6
	s_waitcnt lgkmcnt(0)
	ds_bpermute_b32 v3, v4, v1
	ds_bpermute_b32 v7, v4, v9
	;; [unrolled: 1-line block ×3, first 2 shown]
	s_lshr_b32 s2, s8, 6
	v_add_u32_e32 v5, 1, v5
	v_cmp_gt_u32_e32 vcc, s2, v5
	s_and_saveexec_b64 s[2:3], vcc
	s_cbranch_execz .LBB421_244
; %bb.239:
	s_waitcnt lgkmcnt(1)
	v_and_b32_e32 v5, v9, v7
	v_and_b32_e32 v5, 1, v5
	v_cmp_eq_u32_e32 vcc, 1, v5
	s_and_saveexec_b64 s[8:9], vcc
	s_xor_b64 s[8:9], exec, s[8:9]
	s_cbranch_execz .LBB421_241
; %bb.240:
	s_waitcnt lgkmcnt(0)
	v_cmp_lt_i64_e32 vcc, v[3:4], v[1:2]
                                        ; implicit-def: $vgpr6
                                        ; implicit-def: $vgpr7
	v_cndmask_b32_e32 v2, v2, v4, vcc
	v_cndmask_b32_e32 v1, v1, v3, vcc
                                        ; implicit-def: $vgpr3_vgpr4
.LBB421_241:
	s_or_saveexec_b64 s[8:9], s[8:9]
	v_mov_b32_e32 v9, 1
	s_xor_b64 exec, exec, s[8:9]
	s_cbranch_execz .LBB421_243
; %bb.242:
	v_and_b32_e32 v5, 1, v6
	v_cmp_eq_u32_e32 vcc, 1, v5
	s_waitcnt lgkmcnt(0)
	v_cndmask_b32_e32 v2, v4, v2, vcc
	v_cndmask_b32_e32 v1, v3, v1, vcc
	v_cndmask_b32_e64 v9, v7, 1, vcc
.LBB421_243:
	s_or_b64 exec, exec, s[8:9]
.LBB421_244:
	s_or_b64 exec, exec, s[2:3]
.LBB421_245:
	s_or_b64 exec, exec, s[0:1]
.LBB421_246:
	v_cmp_eq_u32_e32 vcc, 0, v0
                                        ; implicit-def: $vgpr3_vgpr4
                                        ; implicit-def: $vgpr5
	s_and_saveexec_b64 s[0:1], vcc
	s_xor_b64 s[8:9], exec, s[0:1]
	s_cbranch_execz .LBB421_250
; %bb.247:
	s_waitcnt lgkmcnt(0)
	v_mov_b32_e32 v3, s18
	s_cmp_eq_u64 s[22:23], 0
	v_mov_b32_e32 v4, s19
	v_mov_b32_e32 v5, s28
	s_cbranch_scc1 .LBB421_249
; %bb.248:
	v_and_b32_e32 v3, 1, v9
	v_cmp_gt_i64_e64 s[0:1], s[18:19], v[1:2]
	s_bitcmp1_b32 s28, 0
	v_cmp_eq_u32_e32 vcc, 1, v3
	s_cselect_b64 s[2:3], -1, 0
	v_mov_b32_e32 v3, s18
	s_and_b64 vcc, vcc, s[0:1]
	v_mov_b32_e32 v4, s19
	v_cndmask_b32_e32 v3, v3, v1, vcc
	v_cndmask_b32_e32 v4, v4, v2, vcc
	v_cndmask_b32_e64 v5, v9, 1, s[2:3]
	v_cndmask_b32_e64 v4, v2, v4, s[2:3]
	;; [unrolled: 1-line block ×3, first 2 shown]
.LBB421_249:
	s_or_b64 s[14:15], s[14:15], exec
.LBB421_250:
	s_or_b64 exec, exec, s[8:9]
	v_mov_b32_e32 v1, s6
	v_mov_b32_e32 v2, s7
	s_branch .LBB421_334
.LBB421_251:
	s_cmp_gt_i32 s29, 1
	s_cbranch_scc0 .LBB421_263
; %bb.252:
	s_cmp_eq_u32 s29, 2
	s_cbranch_scc0 .LBB421_264
; %bb.253:
	s_mov_b32 s7, 0
	s_lshl_b32 s24, s6, 8
	s_mov_b32 s25, s7
	s_lshr_b64 s[0:1], s[22:23], 8
	s_lshl_b64 s[2:3], s[24:25], 4
	s_add_u32 s16, s20, s2
	s_addc_u32 s17, s21, s3
	s_cmp_lg_u64 s[0:1], s[6:7]
	s_cbranch_scc0 .LBB421_265
; %bb.254:
	s_waitcnt lgkmcnt(2)
	v_lshlrev_b32_e32 v3, 4, v0
	s_waitcnt lgkmcnt(0)
	global_load_ubyte v4, v3, s[16:17]
	global_load_ubyte v8, v3, s[16:17] offset:2048
	global_load_dwordx2 v[1:2], v3, s[16:17] offset:8
	global_load_dwordx2 v[6:7], v3, s[16:17] offset:2056
	v_mbcnt_lo_u32_b32 v3, -1, 0
	v_mbcnt_hi_u32_b32 v3, -1, v3
	v_lshlrev_b32_e32 v5, 2, v3
	v_or_b32_e32 v10, 0xfc, v5
	s_waitcnt vmcnt(3)
	v_and_b32_e32 v4, 1, v4
	s_waitcnt vmcnt(2)
	v_and_b32_e32 v9, 1, v8
	v_cmp_eq_u32_e64 s[0:1], 1, v9
	s_waitcnt vmcnt(0)
	v_cmp_lt_i64_e32 vcc, v[6:7], v[1:2]
	v_cmp_eq_u32_e64 s[2:3], 1, v4
	s_and_b64 vcc, s[0:1], vcc
	v_cndmask_b32_e32 v1, v1, v6, vcc
	v_cndmask_b32_e32 v2, v2, v7, vcc
	v_cndmask_b32_e64 v1, v6, v1, s[2:3]
	v_cndmask_b32_e64 v2, v7, v2, s[2:3]
	;; [unrolled: 1-line block ×3, first 2 shown]
	v_mov_b32_dpp v6, v1 quad_perm:[1,0,3,2] row_mask:0xf bank_mask:0xf bound_ctrl:1
	v_mov_b32_dpp v7, v2 quad_perm:[1,0,3,2] row_mask:0xf bank_mask:0xf bound_ctrl:1
	v_and_b32_e32 v4, 1, v4
	v_cmp_lt_i64_e64 s[0:1], v[1:2], v[6:7]
	v_cmp_eq_u32_e32 vcc, 1, v4
	v_mov_b32_dpp v8, v4 quad_perm:[1,0,3,2] row_mask:0xf bank_mask:0xf bound_ctrl:1
	v_and_b32_e32 v8, 1, v8
	s_and_b64 vcc, vcc, s[0:1]
	v_cndmask_b32_e32 v6, v6, v1, vcc
	v_cndmask_b32_e32 v7, v7, v2, vcc
	v_cmp_eq_u32_e32 vcc, 1, v8
	v_cndmask_b32_e32 v2, v2, v7, vcc
	v_cndmask_b32_e32 v1, v1, v6, vcc
	v_cndmask_b32_e64 v4, v4, 1, vcc
	v_mov_b32_dpp v7, v2 quad_perm:[2,3,0,1] row_mask:0xf bank_mask:0xf bound_ctrl:1
	v_mov_b32_dpp v6, v1 quad_perm:[2,3,0,1] row_mask:0xf bank_mask:0xf bound_ctrl:1
	v_and_b32_e32 v9, 1, v4
	v_cmp_lt_i64_e64 s[0:1], v[1:2], v[6:7]
	v_mov_b32_dpp v8, v4 quad_perm:[2,3,0,1] row_mask:0xf bank_mask:0xf bound_ctrl:1
	v_cmp_eq_u32_e32 vcc, 1, v9
	v_and_b32_e32 v8, 1, v8
	s_and_b64 vcc, vcc, s[0:1]
	v_cmp_eq_u32_e64 s[2:3], 1, v8
	v_cndmask_b32_e32 v6, v6, v1, vcc
	v_cndmask_b32_e32 v7, v7, v2, vcc
	v_cndmask_b32_e64 v1, v1, v6, s[2:3]
	v_cndmask_b32_e64 v2, v2, v7, s[2:3]
	;; [unrolled: 1-line block ×3, first 2 shown]
	v_mov_b32_dpp v6, v1 row_ror:4 row_mask:0xf bank_mask:0xf bound_ctrl:1
	v_mov_b32_dpp v7, v2 row_ror:4 row_mask:0xf bank_mask:0xf bound_ctrl:1
	v_and_b32_e32 v9, 1, v4
	v_cmp_lt_i64_e64 s[2:3], v[1:2], v[6:7]
	v_mov_b32_dpp v8, v4 row_ror:4 row_mask:0xf bank_mask:0xf bound_ctrl:1
	v_cmp_eq_u32_e32 vcc, 1, v9
	v_and_b32_e32 v8, 1, v8
	s_and_b64 vcc, vcc, s[2:3]
	v_cmp_eq_u32_e64 s[0:1], 1, v8
	v_cndmask_b32_e32 v6, v6, v1, vcc
	v_cndmask_b32_e32 v7, v7, v2, vcc
	v_cndmask_b32_e64 v1, v1, v6, s[0:1]
	v_cndmask_b32_e64 v2, v2, v7, s[0:1]
	;; [unrolled: 1-line block ×3, first 2 shown]
	v_mov_b32_dpp v6, v1 row_ror:8 row_mask:0xf bank_mask:0xf bound_ctrl:1
	v_mov_b32_dpp v7, v2 row_ror:8 row_mask:0xf bank_mask:0xf bound_ctrl:1
	v_and_b32_e32 v9, 1, v4
	v_cmp_lt_i64_e64 s[2:3], v[1:2], v[6:7]
	v_mov_b32_dpp v8, v4 row_ror:8 row_mask:0xf bank_mask:0xf bound_ctrl:1
	v_cmp_eq_u32_e64 s[8:9], 1, v9
	v_and_b32_e32 v8, 1, v8
	s_and_b64 s[2:3], s[8:9], s[2:3]
	v_cmp_eq_u32_e64 s[10:11], 1, v8
	v_cndmask_b32_e64 v6, v6, v1, s[2:3]
	v_cndmask_b32_e64 v7, v7, v2, s[2:3]
	;; [unrolled: 1-line block ×5, first 2 shown]
	v_mov_b32_dpp v8, v4 row_bcast:15 row_mask:0xf bank_mask:0xf bound_ctrl:1
	v_mov_b32_dpp v6, v1 row_bcast:15 row_mask:0xf bank_mask:0xf bound_ctrl:1
	;; [unrolled: 1-line block ×3, first 2 shown]
	v_and_b32_e32 v9, 1, v4
	v_and_b32_e32 v8, 1, v8
	v_cmp_lt_i64_e64 s[2:3], v[1:2], v[6:7]
	v_cmp_eq_u32_e32 vcc, 1, v9
	v_cmp_eq_u32_e64 s[0:1], 1, v8
	v_cndmask_b32_e64 v4, v4, 1, s[0:1]
	s_and_b64 vcc, vcc, s[2:3]
	v_cndmask_b32_e32 v6, v6, v1, vcc
	v_mov_b32_dpp v8, v4 row_bcast:31 row_mask:0xf bank_mask:0xf bound_ctrl:1
	v_cndmask_b32_e32 v7, v7, v2, vcc
	v_and_b32_e32 v9, 1, v4
	v_and_b32_e32 v8, 1, v8
	v_cndmask_b32_e64 v1, v1, v6, s[0:1]
	v_cndmask_b32_e64 v2, v2, v7, s[0:1]
	v_cmp_eq_u32_e64 s[12:13], 1, v9
	v_cmp_eq_u32_e64 s[8:9], 1, v8
	v_mov_b32_dpp v8, v1 row_bcast:31 row_mask:0xf bank_mask:0xf bound_ctrl:1
	v_mov_b32_dpp v9, v2 row_bcast:31 row_mask:0xf bank_mask:0xf bound_ctrl:1
	v_cmp_lt_i64_e32 vcc, v[1:2], v[8:9]
	v_cndmask_b32_e64 v4, v4, 1, s[8:9]
	s_and_b64 vcc, s[12:13], vcc
	ds_bpermute_b32 v7, v10, v4
	v_cndmask_b32_e32 v4, v8, v1, vcc
	v_cndmask_b32_e32 v6, v9, v2, vcc
	v_cndmask_b32_e64 v1, v1, v4, s[8:9]
	v_cndmask_b32_e64 v2, v2, v6, s[8:9]
	ds_bpermute_b32 v1, v10, v1
	ds_bpermute_b32 v2, v10, v2
	v_cmp_eq_u32_e32 vcc, 0, v3
	s_and_saveexec_b64 s[0:1], vcc
	s_cbranch_execz .LBB421_256
; %bb.255:
	v_lshrrev_b32_e32 v4, 2, v0
	v_and_b32_e32 v4, 16, v4
	s_waitcnt lgkmcnt(2)
	ds_write_b8 v4, v7 offset:32
	s_waitcnt lgkmcnt(1)
	ds_write_b64 v4, v[1:2] offset:40
.LBB421_256:
	s_or_b64 exec, exec, s[0:1]
	v_cmp_gt_u32_e32 vcc, 64, v0
	s_waitcnt lgkmcnt(0)
	s_barrier
	s_and_saveexec_b64 s[0:1], vcc
	s_cbranch_execz .LBB421_262
; %bb.257:
	v_and_b32_e32 v1, 1, v3
	v_lshlrev_b32_e32 v1, 4, v1
	ds_read_u8 v8, v1 offset:32
	ds_read_b64 v[3:4], v1 offset:40
	v_or_b32_e32 v2, 4, v5
	s_waitcnt lgkmcnt(1)
	v_and_b32_e32 v1, 0xff, v8
	ds_bpermute_b32 v9, v2, v1
	s_waitcnt lgkmcnt(1)
	ds_bpermute_b32 v5, v2, v3
	ds_bpermute_b32 v6, v2, v4
	s_waitcnt lgkmcnt(2)
	v_and_b32_e32 v1, v8, v9
	v_and_b32_e32 v1, 1, v1
	v_cmp_eq_u32_e32 vcc, 1, v1
                                        ; implicit-def: $vgpr1_vgpr2
	s_and_saveexec_b64 s[2:3], vcc
	s_xor_b64 s[2:3], exec, s[2:3]
	s_cbranch_execz .LBB421_259
; %bb.258:
	s_waitcnt lgkmcnt(0)
	v_cmp_lt_i64_e32 vcc, v[5:6], v[3:4]
                                        ; implicit-def: $vgpr8
                                        ; implicit-def: $vgpr9
	v_cndmask_b32_e32 v2, v4, v6, vcc
	v_cndmask_b32_e32 v1, v3, v5, vcc
                                        ; implicit-def: $vgpr5_vgpr6
                                        ; implicit-def: $vgpr3_vgpr4
.LBB421_259:
	s_or_saveexec_b64 s[2:3], s[2:3]
	v_mov_b32_e32 v7, 1
	s_xor_b64 exec, exec, s[2:3]
	s_cbranch_execz .LBB421_261
; %bb.260:
	v_and_b32_e32 v1, 1, v8
	v_cmp_eq_u32_e32 vcc, 1, v1
	s_waitcnt lgkmcnt(0)
	v_cndmask_b32_e32 v2, v6, v4, vcc
	v_cndmask_b32_e32 v1, v5, v3, vcc
	v_cndmask_b32_e64 v7, v9, 1, vcc
.LBB421_261:
	s_or_b64 exec, exec, s[2:3]
.LBB421_262:
	s_or_b64 exec, exec, s[0:1]
	s_branch .LBB421_317
.LBB421_263:
                                        ; implicit-def: $vgpr3_vgpr4
                                        ; implicit-def: $vgpr5
                                        ; implicit-def: $vgpr1_vgpr2
	s_cbranch_execnz .LBB421_322
	s_branch .LBB421_334
.LBB421_264:
                                        ; implicit-def: $vgpr3_vgpr4
                                        ; implicit-def: $vgpr5
                                        ; implicit-def: $vgpr1_vgpr2
	s_branch .LBB421_334
.LBB421_265:
                                        ; implicit-def: $vgpr1_vgpr2
                                        ; implicit-def: $vgpr7
	s_cbranch_execz .LBB421_317
; %bb.266:
	s_sub_i32 s10, s22, s24
	s_waitcnt lgkmcnt(0)
	v_mov_b32_e32 v3, 0
	v_mov_b32_e32 v1, 0
	v_cmp_gt_u32_e32 vcc, s10, v0
	v_mov_b32_e32 v5, 0
	v_mov_b32_e32 v4, 0
	;; [unrolled: 1-line block ×4, first 2 shown]
	s_and_saveexec_b64 s[0:1], vcc
	s_cbranch_execz .LBB421_268
; %bb.267:
	v_lshlrev_b32_e32 v7, 4, v0
	global_load_ubyte v6, v7, s[16:17]
	global_load_dwordx2 v[1:2], v7, s[16:17] offset:8
.LBB421_268:
	s_or_b64 exec, exec, s[0:1]
	v_or_b32_e32 v7, 0x80, v0
	v_cmp_gt_u32_e32 vcc, s10, v7
	s_and_saveexec_b64 s[0:1], vcc
	s_cbranch_execz .LBB421_270
; %bb.269:
	v_lshlrev_b32_e32 v7, 4, v0
	global_load_ubyte v5, v7, s[16:17] offset:2048
	global_load_dwordx2 v[3:4], v7, s[16:17] offset:2056
.LBB421_270:
	s_or_b64 exec, exec, s[0:1]
	s_waitcnt vmcnt(1)
	v_and_b32_e32 v8, 0xff, v5
	v_and_b32_e32 v5, 1, v5
	s_waitcnt vmcnt(0)
	v_cmp_lt_i64_e64 s[2:3], v[3:4], v[1:2]
	v_cmp_eq_u32_e64 s[0:1], 1, v5
	v_and_b32_e32 v5, 1, v6
	v_cmp_eq_u32_e64 s[8:9], 1, v5
	s_and_b64 s[0:1], s[0:1], s[2:3]
	v_cndmask_b32_e64 v5, v8, 1, s[8:9]
	v_cndmask_b32_e64 v8, v1, v3, s[0:1]
	;; [unrolled: 1-line block ×3, first 2 shown]
	v_and_b32_e32 v7, 0xff, v6
	v_cndmask_b32_e32 v1, v1, v3, vcc
	v_mbcnt_lo_u32_b32 v3, -1, 0
	v_cndmask_b32_e64 v6, v2, v4, s[0:1]
	v_cndmask_b32_e32 v7, v7, v5, vcc
	v_mbcnt_hi_u32_b32 v5, -1, v3
	v_cndmask_b32_e64 v4, v4, v6, s[8:9]
	v_and_b32_e32 v6, 63, v5
	v_cndmask_b32_e32 v2, v2, v4, vcc
	v_cmp_ne_u32_e32 vcc, 63, v6
	v_addc_co_u32_e32 v3, vcc, 0, v5, vcc
	v_lshlrev_b32_e32 v4, 2, v3
	ds_bpermute_b32 v9, v4, v7
	ds_bpermute_b32 v3, v4, v1
	;; [unrolled: 1-line block ×3, first 2 shown]
	s_min_u32 s8, s10, 0x80
	v_and_b32_e32 v8, 64, v0
	v_sub_u32_e64 v8, s8, v8 clamp
	v_add_u32_e32 v10, 1, v6
	v_cmp_lt_u32_e32 vcc, v10, v8
	s_and_saveexec_b64 s[0:1], vcc
	s_cbranch_execz .LBB421_276
; %bb.271:
	s_waitcnt lgkmcnt(2)
	v_and_b32_e32 v10, v9, v7
	v_cmp_ne_u32_e32 vcc, 0, v10
	s_and_saveexec_b64 s[2:3], vcc
	s_xor_b64 s[2:3], exec, s[2:3]
	s_cbranch_execz .LBB421_273
; %bb.272:
	s_waitcnt lgkmcnt(0)
	v_cmp_lt_i64_e32 vcc, v[3:4], v[1:2]
                                        ; implicit-def: $vgpr7
                                        ; implicit-def: $vgpr9
	v_cndmask_b32_e32 v2, v2, v4, vcc
	v_cndmask_b32_e32 v1, v1, v3, vcc
                                        ; implicit-def: $vgpr3_vgpr4
.LBB421_273:
	s_or_saveexec_b64 s[2:3], s[2:3]
	v_mov_b32_e32 v10, 1
	s_xor_b64 exec, exec, s[2:3]
	s_cbranch_execz .LBB421_275
; %bb.274:
	v_and_b32_e32 v7, 1, v7
	v_cmp_eq_u32_e32 vcc, 1, v7
	s_waitcnt lgkmcnt(1)
	v_cndmask_b32_e32 v1, v3, v1, vcc
	v_and_b32_e32 v3, 0xff, v9
	s_waitcnt lgkmcnt(0)
	v_cndmask_b32_e32 v2, v4, v2, vcc
	v_cndmask_b32_e64 v10, v3, 1, vcc
.LBB421_275:
	s_or_b64 exec, exec, s[2:3]
	v_mov_b32_e32 v7, v10
.LBB421_276:
	s_or_b64 exec, exec, s[0:1]
	v_cmp_gt_u32_e32 vcc, 62, v6
	s_waitcnt lgkmcnt(1)
	v_cndmask_b32_e64 v3, 0, 2, vcc
	s_waitcnt lgkmcnt(0)
	v_add_lshl_u32 v4, v3, v5, 2
	ds_bpermute_b32 v9, v4, v7
	ds_bpermute_b32 v3, v4, v1
	ds_bpermute_b32 v4, v4, v2
	v_add_u32_e32 v10, 2, v6
	v_cmp_lt_u32_e32 vcc, v10, v8
	s_and_saveexec_b64 s[0:1], vcc
	s_cbranch_execz .LBB421_282
; %bb.277:
	s_waitcnt lgkmcnt(2)
	v_and_b32_e32 v10, v7, v9
	v_and_b32_e32 v10, 1, v10
	v_cmp_eq_u32_e32 vcc, 1, v10
	s_and_saveexec_b64 s[2:3], vcc
	s_xor_b64 s[2:3], exec, s[2:3]
	s_cbranch_execz .LBB421_279
; %bb.278:
	s_waitcnt lgkmcnt(0)
	v_cmp_lt_i64_e32 vcc, v[3:4], v[1:2]
                                        ; implicit-def: $vgpr7
                                        ; implicit-def: $vgpr9
	v_cndmask_b32_e32 v2, v2, v4, vcc
	v_cndmask_b32_e32 v1, v1, v3, vcc
                                        ; implicit-def: $vgpr3_vgpr4
.LBB421_279:
	s_or_saveexec_b64 s[2:3], s[2:3]
	v_mov_b32_e32 v10, 1
	s_xor_b64 exec, exec, s[2:3]
	s_cbranch_execz .LBB421_281
; %bb.280:
	v_and_b32_e32 v7, 1, v7
	v_cmp_eq_u32_e32 vcc, 1, v7
	s_waitcnt lgkmcnt(1)
	v_cndmask_b32_e32 v1, v3, v1, vcc
	v_and_b32_e32 v3, 0xff, v9
	s_waitcnt lgkmcnt(0)
	v_cndmask_b32_e32 v2, v4, v2, vcc
	v_cndmask_b32_e64 v10, v3, 1, vcc
.LBB421_281:
	s_or_b64 exec, exec, s[2:3]
	v_mov_b32_e32 v7, v10
.LBB421_282:
	s_or_b64 exec, exec, s[0:1]
	v_cmp_gt_u32_e32 vcc, 60, v6
	s_waitcnt lgkmcnt(1)
	v_cndmask_b32_e64 v3, 0, 4, vcc
	s_waitcnt lgkmcnt(0)
	v_add_lshl_u32 v4, v3, v5, 2
	ds_bpermute_b32 v9, v4, v7
	ds_bpermute_b32 v3, v4, v1
	ds_bpermute_b32 v4, v4, v2
	v_add_u32_e32 v10, 4, v6
	v_cmp_lt_u32_e32 vcc, v10, v8
	s_and_saveexec_b64 s[0:1], vcc
	s_cbranch_execz .LBB421_288
; %bb.283:
	s_waitcnt lgkmcnt(2)
	v_and_b32_e32 v10, v7, v9
	v_and_b32_e32 v10, 1, v10
	v_cmp_eq_u32_e32 vcc, 1, v10
	s_and_saveexec_b64 s[2:3], vcc
	s_xor_b64 s[2:3], exec, s[2:3]
	s_cbranch_execz .LBB421_285
; %bb.284:
	s_waitcnt lgkmcnt(0)
	v_cmp_lt_i64_e32 vcc, v[3:4], v[1:2]
                                        ; implicit-def: $vgpr7
                                        ; implicit-def: $vgpr9
	v_cndmask_b32_e32 v2, v2, v4, vcc
	v_cndmask_b32_e32 v1, v1, v3, vcc
                                        ; implicit-def: $vgpr3_vgpr4
.LBB421_285:
	s_or_saveexec_b64 s[2:3], s[2:3]
	v_mov_b32_e32 v10, 1
	s_xor_b64 exec, exec, s[2:3]
	s_cbranch_execz .LBB421_287
; %bb.286:
	v_and_b32_e32 v7, 1, v7
	v_cmp_eq_u32_e32 vcc, 1, v7
	s_waitcnt lgkmcnt(1)
	v_cndmask_b32_e32 v1, v3, v1, vcc
	v_and_b32_e32 v3, 0xff, v9
	s_waitcnt lgkmcnt(0)
	v_cndmask_b32_e32 v2, v4, v2, vcc
	v_cndmask_b32_e64 v10, v3, 1, vcc
.LBB421_287:
	s_or_b64 exec, exec, s[2:3]
	v_mov_b32_e32 v7, v10
.LBB421_288:
	;; [unrolled: 47-line block ×4, first 2 shown]
	s_or_b64 exec, exec, s[0:1]
	s_waitcnt lgkmcnt(2)
	v_lshlrev_b32_e32 v9, 2, v5
	s_waitcnt lgkmcnt(0)
	v_or_b32_e32 v4, 0x80, v9
	ds_bpermute_b32 v10, v4, v7
	ds_bpermute_b32 v3, v4, v1
	;; [unrolled: 1-line block ×3, first 2 shown]
	v_add_u32_e32 v6, 32, v6
	v_cmp_lt_u32_e32 vcc, v6, v8
	v_mov_b32_e32 v6, v7
	s_and_saveexec_b64 s[0:1], vcc
	s_cbranch_execz .LBB421_306
; %bb.301:
	s_waitcnt lgkmcnt(2)
	v_and_b32_e32 v6, v7, v10
	v_and_b32_e32 v6, 1, v6
	v_cmp_eq_u32_e32 vcc, 1, v6
	s_and_saveexec_b64 s[2:3], vcc
	s_xor_b64 s[2:3], exec, s[2:3]
	s_cbranch_execz .LBB421_303
; %bb.302:
	s_waitcnt lgkmcnt(0)
	v_cmp_lt_i64_e32 vcc, v[3:4], v[1:2]
                                        ; implicit-def: $vgpr7
                                        ; implicit-def: $vgpr10
	v_cndmask_b32_e32 v2, v2, v4, vcc
	v_cndmask_b32_e32 v1, v1, v3, vcc
                                        ; implicit-def: $vgpr3_vgpr4
.LBB421_303:
	s_or_saveexec_b64 s[2:3], s[2:3]
	v_mov_b32_e32 v6, 1
	s_xor_b64 exec, exec, s[2:3]
	s_cbranch_execz .LBB421_305
; %bb.304:
	v_and_b32_e32 v6, 1, v7
	v_cmp_eq_u32_e32 vcc, 1, v6
	v_cndmask_b32_e64 v6, v10, 1, vcc
	s_waitcnt lgkmcnt(0)
	v_cndmask_b32_e32 v2, v4, v2, vcc
	v_cndmask_b32_e32 v1, v3, v1, vcc
.LBB421_305:
	s_or_b64 exec, exec, s[2:3]
	v_and_b32_e32 v7, 0xff, v6
.LBB421_306:
	s_or_b64 exec, exec, s[0:1]
	v_cmp_eq_u32_e32 vcc, 0, v5
	s_and_saveexec_b64 s[0:1], vcc
	s_cbranch_execz .LBB421_308
; %bb.307:
	s_waitcnt lgkmcnt(1)
	v_lshrrev_b32_e32 v3, 2, v0
	v_and_b32_e32 v3, 16, v3
	ds_write_b8 v3, v6 offset:128
	ds_write_b64 v3, v[1:2] offset:136
.LBB421_308:
	s_or_b64 exec, exec, s[0:1]
	v_cmp_gt_u32_e32 vcc, 2, v0
	s_waitcnt lgkmcnt(0)
	s_barrier
	s_and_saveexec_b64 s[0:1], vcc
	s_cbranch_execz .LBB421_316
; %bb.309:
	v_lshlrev_b32_e32 v1, 4, v5
	ds_read_u8 v6, v1 offset:128
	ds_read_b64 v[1:2], v1 offset:136
	v_or_b32_e32 v4, 4, v9
	s_add_i32 s8, s8, 63
	v_and_b32_e32 v5, 1, v5
	s_waitcnt lgkmcnt(1)
	v_and_b32_e32 v7, 0xff, v6
	s_waitcnt lgkmcnt(0)
	ds_bpermute_b32 v3, v4, v1
	ds_bpermute_b32 v8, v4, v7
	;; [unrolled: 1-line block ×3, first 2 shown]
	s_lshr_b32 s2, s8, 6
	v_add_u32_e32 v5, 1, v5
	v_cmp_gt_u32_e32 vcc, s2, v5
	s_and_saveexec_b64 s[2:3], vcc
	s_cbranch_execz .LBB421_315
; %bb.310:
	s_waitcnt lgkmcnt(1)
	v_and_b32_e32 v5, v7, v8
	v_and_b32_e32 v5, 1, v5
	v_cmp_eq_u32_e32 vcc, 1, v5
	s_and_saveexec_b64 s[8:9], vcc
	s_xor_b64 s[8:9], exec, s[8:9]
	s_cbranch_execz .LBB421_312
; %bb.311:
	s_waitcnt lgkmcnt(0)
	v_cmp_lt_i64_e32 vcc, v[3:4], v[1:2]
                                        ; implicit-def: $vgpr6
                                        ; implicit-def: $vgpr8
	v_cndmask_b32_e32 v2, v2, v4, vcc
	v_cndmask_b32_e32 v1, v1, v3, vcc
                                        ; implicit-def: $vgpr3_vgpr4
.LBB421_312:
	s_or_saveexec_b64 s[8:9], s[8:9]
	v_mov_b32_e32 v7, 1
	s_xor_b64 exec, exec, s[8:9]
	s_cbranch_execz .LBB421_314
; %bb.313:
	v_and_b32_e32 v5, 1, v6
	v_cmp_eq_u32_e32 vcc, 1, v5
	s_waitcnt lgkmcnt(0)
	v_cndmask_b32_e32 v2, v4, v2, vcc
	v_cndmask_b32_e32 v1, v3, v1, vcc
	v_cndmask_b32_e64 v7, v8, 1, vcc
.LBB421_314:
	s_or_b64 exec, exec, s[8:9]
.LBB421_315:
	s_or_b64 exec, exec, s[2:3]
.LBB421_316:
	s_or_b64 exec, exec, s[0:1]
.LBB421_317:
	v_cmp_eq_u32_e32 vcc, 0, v0
                                        ; implicit-def: $vgpr3_vgpr4
                                        ; implicit-def: $vgpr5
	s_and_saveexec_b64 s[0:1], vcc
	s_xor_b64 s[8:9], exec, s[0:1]
	s_cbranch_execz .LBB421_321
; %bb.318:
	s_waitcnt lgkmcnt(0)
	v_mov_b32_e32 v3, s18
	s_cmp_eq_u64 s[22:23], 0
	v_mov_b32_e32 v4, s19
	v_mov_b32_e32 v5, s28
	s_cbranch_scc1 .LBB421_320
; %bb.319:
	v_and_b32_e32 v3, 1, v7
	v_cmp_gt_i64_e64 s[0:1], s[18:19], v[1:2]
	s_bitcmp1_b32 s28, 0
	v_cmp_eq_u32_e32 vcc, 1, v3
	s_cselect_b64 s[2:3], -1, 0
	v_mov_b32_e32 v3, s18
	s_and_b64 vcc, vcc, s[0:1]
	v_mov_b32_e32 v4, s19
	v_cndmask_b32_e32 v3, v3, v1, vcc
	v_cndmask_b32_e32 v4, v4, v2, vcc
	v_cndmask_b32_e64 v5, v7, 1, s[2:3]
	v_cndmask_b32_e64 v4, v2, v4, s[2:3]
	;; [unrolled: 1-line block ×3, first 2 shown]
.LBB421_320:
	s_or_b64 s[14:15], s[14:15], exec
.LBB421_321:
	s_or_b64 exec, exec, s[8:9]
	v_mov_b32_e32 v1, s6
	v_mov_b32_e32 v2, s7
	s_branch .LBB421_334
.LBB421_322:
	s_cmp_eq_u32 s29, 1
	s_cbranch_scc0 .LBB421_333
; %bb.323:
	s_mov_b32 s17, 0
	s_lshl_b32 s16, s6, 7
	s_mov_b32 s7, s17
	s_lshr_b64 s[0:1], s[22:23], 7
	s_cmp_lg_u64 s[0:1], s[6:7]
	s_waitcnt lgkmcnt(1)
	v_mbcnt_lo_u32_b32 v8, -1, 0
	s_cbranch_scc0 .LBB421_337
; %bb.324:
	s_lshl_b64 s[0:1], s[16:17], 4
	s_add_u32 s0, s20, s0
	s_addc_u32 s1, s21, s1
	v_lshlrev_b32_e32 v3, 4, v0
	s_waitcnt lgkmcnt(0)
	global_load_ubyte v4, v3, s[0:1]
	global_load_dwordx2 v[1:2], v3, s[0:1] offset:8
	v_mbcnt_hi_u32_b32 v3, -1, v8
	v_lshlrev_b32_e32 v5, 2, v3
	v_or_b32_e32 v11, 0xfc, v5
	s_waitcnt vmcnt(1)
	v_and_b32_e32 v4, 1, v4
	s_waitcnt vmcnt(0)
	v_mov_b32_dpp v6, v1 quad_perm:[1,0,3,2] row_mask:0xf bank_mask:0xf bound_ctrl:1
	v_mov_b32_dpp v7, v2 quad_perm:[1,0,3,2] row_mask:0xf bank_mask:0xf bound_ctrl:1
	v_cmp_lt_i64_e64 s[0:1], v[1:2], v[6:7]
	v_mov_b32_dpp v9, v4 quad_perm:[1,0,3,2] row_mask:0xf bank_mask:0xf bound_ctrl:1
	v_cmp_eq_u32_e32 vcc, 1, v4
	v_and_b32_e32 v9, 1, v9
	s_and_b64 vcc, vcc, s[0:1]
	v_cndmask_b32_e32 v6, v6, v1, vcc
	v_cndmask_b32_e32 v7, v7, v2, vcc
	v_cmp_eq_u32_e32 vcc, 1, v9
	v_cndmask_b32_e32 v2, v2, v7, vcc
	v_cndmask_b32_e32 v1, v1, v6, vcc
	v_cndmask_b32_e64 v4, v4, 1, vcc
	v_mov_b32_dpp v7, v2 quad_perm:[2,3,0,1] row_mask:0xf bank_mask:0xf bound_ctrl:1
	v_mov_b32_dpp v6, v1 quad_perm:[2,3,0,1] row_mask:0xf bank_mask:0xf bound_ctrl:1
	v_and_b32_e32 v10, 1, v4
	v_cmp_lt_i64_e64 s[0:1], v[1:2], v[6:7]
	v_mov_b32_dpp v9, v4 quad_perm:[2,3,0,1] row_mask:0xf bank_mask:0xf bound_ctrl:1
	v_cmp_eq_u32_e32 vcc, 1, v10
	v_and_b32_e32 v9, 1, v9
	s_and_b64 vcc, vcc, s[0:1]
	v_cmp_eq_u32_e64 s[2:3], 1, v9
	v_cndmask_b32_e32 v6, v6, v1, vcc
	v_cndmask_b32_e32 v7, v7, v2, vcc
	v_cndmask_b32_e64 v1, v1, v6, s[2:3]
	v_cndmask_b32_e64 v2, v2, v7, s[2:3]
	;; [unrolled: 1-line block ×3, first 2 shown]
	v_mov_b32_dpp v6, v1 row_ror:4 row_mask:0xf bank_mask:0xf bound_ctrl:1
	v_mov_b32_dpp v7, v2 row_ror:4 row_mask:0xf bank_mask:0xf bound_ctrl:1
	v_and_b32_e32 v10, 1, v4
	v_cmp_lt_i64_e64 s[2:3], v[1:2], v[6:7]
	v_mov_b32_dpp v9, v4 row_ror:4 row_mask:0xf bank_mask:0xf bound_ctrl:1
	v_cmp_eq_u32_e32 vcc, 1, v10
	v_and_b32_e32 v9, 1, v9
	s_and_b64 vcc, vcc, s[2:3]
	v_cmp_eq_u32_e64 s[0:1], 1, v9
	v_cndmask_b32_e32 v6, v6, v1, vcc
	v_cndmask_b32_e32 v7, v7, v2, vcc
	v_cndmask_b32_e64 v1, v1, v6, s[0:1]
	v_cndmask_b32_e64 v2, v2, v7, s[0:1]
	;; [unrolled: 1-line block ×3, first 2 shown]
	v_mov_b32_dpp v6, v1 row_ror:8 row_mask:0xf bank_mask:0xf bound_ctrl:1
	v_mov_b32_dpp v7, v2 row_ror:8 row_mask:0xf bank_mask:0xf bound_ctrl:1
	v_and_b32_e32 v10, 1, v4
	v_cmp_lt_i64_e64 s[2:3], v[1:2], v[6:7]
	v_mov_b32_dpp v9, v4 row_ror:8 row_mask:0xf bank_mask:0xf bound_ctrl:1
	v_cmp_eq_u32_e64 s[8:9], 1, v10
	v_and_b32_e32 v9, 1, v9
	s_and_b64 s[2:3], s[8:9], s[2:3]
	v_cmp_eq_u32_e64 s[10:11], 1, v9
	v_cndmask_b32_e64 v6, v6, v1, s[2:3]
	v_cndmask_b32_e64 v7, v7, v2, s[2:3]
	;; [unrolled: 1-line block ×5, first 2 shown]
	v_mov_b32_dpp v9, v4 row_bcast:15 row_mask:0xf bank_mask:0xf bound_ctrl:1
	v_mov_b32_dpp v6, v1 row_bcast:15 row_mask:0xf bank_mask:0xf bound_ctrl:1
	;; [unrolled: 1-line block ×3, first 2 shown]
	v_and_b32_e32 v10, 1, v4
	v_and_b32_e32 v9, 1, v9
	v_cmp_lt_i64_e64 s[2:3], v[1:2], v[6:7]
	v_cmp_eq_u32_e32 vcc, 1, v10
	v_cmp_eq_u32_e64 s[0:1], 1, v9
	v_cndmask_b32_e64 v4, v4, 1, s[0:1]
	s_and_b64 vcc, vcc, s[2:3]
	v_cndmask_b32_e32 v6, v6, v1, vcc
	v_mov_b32_dpp v9, v4 row_bcast:31 row_mask:0xf bank_mask:0xf bound_ctrl:1
	v_cndmask_b32_e32 v7, v7, v2, vcc
	v_and_b32_e32 v10, 1, v4
	v_and_b32_e32 v9, 1, v9
	v_cndmask_b32_e64 v1, v1, v6, s[0:1]
	v_cndmask_b32_e64 v2, v2, v7, s[0:1]
	v_cmp_eq_u32_e64 s[12:13], 1, v10
	v_cmp_eq_u32_e64 s[8:9], 1, v9
	v_mov_b32_dpp v9, v1 row_bcast:31 row_mask:0xf bank_mask:0xf bound_ctrl:1
	v_mov_b32_dpp v10, v2 row_bcast:31 row_mask:0xf bank_mask:0xf bound_ctrl:1
	v_cmp_lt_i64_e32 vcc, v[1:2], v[9:10]
	v_cndmask_b32_e64 v4, v4, 1, s[8:9]
	s_and_b64 vcc, s[12:13], vcc
	ds_bpermute_b32 v7, v11, v4
	v_cndmask_b32_e32 v4, v9, v1, vcc
	v_cndmask_b32_e32 v6, v10, v2, vcc
	v_cndmask_b32_e64 v1, v1, v4, s[8:9]
	v_cndmask_b32_e64 v2, v2, v6, s[8:9]
	ds_bpermute_b32 v1, v11, v1
	ds_bpermute_b32 v2, v11, v2
	v_cmp_eq_u32_e32 vcc, 0, v3
	s_and_saveexec_b64 s[0:1], vcc
	s_cbranch_execz .LBB421_326
; %bb.325:
	v_lshrrev_b32_e32 v4, 2, v0
	v_and_b32_e32 v4, 16, v4
	s_waitcnt lgkmcnt(2)
	ds_write_b8 v4, v7
	s_waitcnt lgkmcnt(1)
	ds_write_b64 v4, v[1:2] offset:8
.LBB421_326:
	s_or_b64 exec, exec, s[0:1]
	v_cmp_gt_u32_e32 vcc, 64, v0
	s_waitcnt lgkmcnt(0)
	s_barrier
	s_and_saveexec_b64 s[0:1], vcc
	s_cbranch_execz .LBB421_332
; %bb.327:
	v_and_b32_e32 v1, 1, v3
	v_lshlrev_b32_e32 v1, 4, v1
	ds_read_u8 v9, v1
	ds_read_b64 v[3:4], v1 offset:8
	v_or_b32_e32 v2, 4, v5
	s_waitcnt lgkmcnt(1)
	v_and_b32_e32 v1, 0xff, v9
	ds_bpermute_b32 v10, v2, v1
	s_waitcnt lgkmcnt(1)
	ds_bpermute_b32 v5, v2, v3
	ds_bpermute_b32 v6, v2, v4
	s_waitcnt lgkmcnt(2)
	v_and_b32_e32 v1, v9, v10
	v_and_b32_e32 v1, 1, v1
	v_cmp_eq_u32_e32 vcc, 1, v1
                                        ; implicit-def: $vgpr1_vgpr2
	s_and_saveexec_b64 s[2:3], vcc
	s_xor_b64 s[2:3], exec, s[2:3]
	s_cbranch_execz .LBB421_329
; %bb.328:
	s_waitcnt lgkmcnt(0)
	v_cmp_lt_i64_e32 vcc, v[5:6], v[3:4]
                                        ; implicit-def: $vgpr9
                                        ; implicit-def: $vgpr10
	v_cndmask_b32_e32 v2, v4, v6, vcc
	v_cndmask_b32_e32 v1, v3, v5, vcc
                                        ; implicit-def: $vgpr5_vgpr6
                                        ; implicit-def: $vgpr3_vgpr4
.LBB421_329:
	s_or_saveexec_b64 s[2:3], s[2:3]
	v_mov_b32_e32 v7, 1
	s_xor_b64 exec, exec, s[2:3]
	s_cbranch_execz .LBB421_331
; %bb.330:
	v_and_b32_e32 v1, 1, v9
	v_cmp_eq_u32_e32 vcc, 1, v1
	s_waitcnt lgkmcnt(0)
	v_cndmask_b32_e32 v2, v6, v4, vcc
	v_cndmask_b32_e32 v1, v5, v3, vcc
	v_cndmask_b32_e64 v7, v10, 1, vcc
.LBB421_331:
	s_or_b64 exec, exec, s[2:3]
.LBB421_332:
	s_or_b64 exec, exec, s[0:1]
	s_branch .LBB421_387
.LBB421_333:
                                        ; implicit-def: $vgpr3_vgpr4
                                        ; implicit-def: $vgpr5
                                        ; implicit-def: $vgpr1_vgpr2
.LBB421_334:
	s_and_saveexec_b64 s[0:1], s[14:15]
	s_cbranch_execz .LBB421_336
.LBB421_335:
	s_load_dwordx2 s[0:1], s[4:5], 0x18
	v_lshlrev_b64 v[0:1], 4, v[1:2]
	s_waitcnt lgkmcnt(0)
	v_mov_b32_e32 v2, s1
	v_add_co_u32_e32 v0, vcc, s0, v0
	v_addc_co_u32_e32 v1, vcc, v2, v1, vcc
	global_store_byte v[0:1], v5, off
	global_store_dwordx2 v[0:1], v[3:4], off offset:8
.LBB421_336:
	s_endpgm
.LBB421_337:
                                        ; implicit-def: $vgpr1_vgpr2
                                        ; implicit-def: $vgpr7
	s_cbranch_execz .LBB421_387
; %bb.338:
	s_sub_i32 s2, s22, s16
	v_mov_b32_e32 v1, 0
	v_cmp_gt_u32_e32 vcc, s2, v0
	v_mov_b32_e32 v2, 0
	v_mov_b32_e32 v9, 0
	s_and_saveexec_b64 s[0:1], vcc
	s_cbranch_execz .LBB421_340
; %bb.339:
	s_lshl_b64 s[8:9], s[16:17], 4
	s_add_u32 s8, s20, s8
	s_addc_u32 s9, s21, s9
	v_lshlrev_b32_e32 v3, 4, v0
	global_load_ubyte v9, v3, s[8:9]
	global_load_dwordx2 v[1:2], v3, s[8:9] offset:8
.LBB421_340:
	s_or_b64 exec, exec, s[0:1]
	s_waitcnt lgkmcnt(1)
	v_mbcnt_hi_u32_b32 v5, -1, v8
	s_waitcnt lgkmcnt(0)
	v_and_b32_e32 v6, 63, v5
	v_cmp_ne_u32_e32 vcc, 63, v6
	v_addc_co_u32_e32 v3, vcc, 0, v5, vcc
	s_waitcnt vmcnt(1)
	v_and_b32_e32 v7, 0xff, v9
	v_lshlrev_b32_e32 v4, 2, v3
	ds_bpermute_b32 v10, v4, v7
	s_waitcnt vmcnt(0)
	ds_bpermute_b32 v3, v4, v1
	ds_bpermute_b32 v4, v4, v2
	s_min_u32 s8, s2, 0x80
	v_and_b32_e32 v8, 64, v0
	v_sub_u32_e64 v8, s8, v8 clamp
	v_add_u32_e32 v11, 1, v6
	v_cmp_lt_u32_e32 vcc, v11, v8
	s_and_saveexec_b64 s[0:1], vcc
	s_cbranch_execz .LBB421_346
; %bb.341:
	s_waitcnt lgkmcnt(2)
	v_and_b32_e32 v7, v10, v7
	v_cmp_ne_u32_e32 vcc, 0, v7
	s_and_saveexec_b64 s[2:3], vcc
	s_xor_b64 s[2:3], exec, s[2:3]
	s_cbranch_execz .LBB421_343
; %bb.342:
	s_waitcnt lgkmcnt(0)
	v_cmp_lt_i64_e32 vcc, v[3:4], v[1:2]
                                        ; implicit-def: $vgpr9
                                        ; implicit-def: $vgpr10
	v_cndmask_b32_e32 v2, v2, v4, vcc
	v_cndmask_b32_e32 v1, v1, v3, vcc
                                        ; implicit-def: $vgpr3_vgpr4
.LBB421_343:
	s_or_saveexec_b64 s[2:3], s[2:3]
	v_mov_b32_e32 v7, 1
	s_xor_b64 exec, exec, s[2:3]
	s_cbranch_execz .LBB421_345
; %bb.344:
	v_and_b32_e32 v7, 1, v9
	v_cmp_eq_u32_e32 vcc, 1, v7
	s_waitcnt lgkmcnt(1)
	v_cndmask_b32_e32 v1, v3, v1, vcc
	v_and_b32_e32 v3, 0xff, v10
	s_waitcnt lgkmcnt(0)
	v_cndmask_b32_e32 v2, v4, v2, vcc
	v_cndmask_b32_e64 v7, v3, 1, vcc
.LBB421_345:
	s_or_b64 exec, exec, s[2:3]
.LBB421_346:
	s_or_b64 exec, exec, s[0:1]
	v_cmp_gt_u32_e32 vcc, 62, v6
	s_waitcnt lgkmcnt(1)
	v_cndmask_b32_e64 v3, 0, 2, vcc
	s_waitcnt lgkmcnt(0)
	v_add_lshl_u32 v4, v3, v5, 2
	ds_bpermute_b32 v9, v4, v7
	ds_bpermute_b32 v3, v4, v1
	ds_bpermute_b32 v4, v4, v2
	v_add_u32_e32 v10, 2, v6
	v_cmp_lt_u32_e32 vcc, v10, v8
	s_and_saveexec_b64 s[0:1], vcc
	s_cbranch_execz .LBB421_352
; %bb.347:
	s_waitcnt lgkmcnt(2)
	v_and_b32_e32 v10, v7, v9
	v_and_b32_e32 v10, 1, v10
	v_cmp_eq_u32_e32 vcc, 1, v10
	s_and_saveexec_b64 s[2:3], vcc
	s_xor_b64 s[2:3], exec, s[2:3]
	s_cbranch_execz .LBB421_349
; %bb.348:
	s_waitcnt lgkmcnt(0)
	v_cmp_lt_i64_e32 vcc, v[3:4], v[1:2]
                                        ; implicit-def: $vgpr7
                                        ; implicit-def: $vgpr9
	v_cndmask_b32_e32 v2, v2, v4, vcc
	v_cndmask_b32_e32 v1, v1, v3, vcc
                                        ; implicit-def: $vgpr3_vgpr4
.LBB421_349:
	s_or_saveexec_b64 s[2:3], s[2:3]
	v_mov_b32_e32 v10, 1
	s_xor_b64 exec, exec, s[2:3]
	s_cbranch_execz .LBB421_351
; %bb.350:
	v_and_b32_e32 v7, 1, v7
	v_cmp_eq_u32_e32 vcc, 1, v7
	s_waitcnt lgkmcnt(1)
	v_cndmask_b32_e32 v1, v3, v1, vcc
	v_and_b32_e32 v3, 0xff, v9
	s_waitcnt lgkmcnt(0)
	v_cndmask_b32_e32 v2, v4, v2, vcc
	v_cndmask_b32_e64 v10, v3, 1, vcc
.LBB421_351:
	s_or_b64 exec, exec, s[2:3]
	v_mov_b32_e32 v7, v10
.LBB421_352:
	s_or_b64 exec, exec, s[0:1]
	v_cmp_gt_u32_e32 vcc, 60, v6
	s_waitcnt lgkmcnt(1)
	v_cndmask_b32_e64 v3, 0, 4, vcc
	s_waitcnt lgkmcnt(0)
	v_add_lshl_u32 v4, v3, v5, 2
	ds_bpermute_b32 v9, v4, v7
	ds_bpermute_b32 v3, v4, v1
	ds_bpermute_b32 v4, v4, v2
	v_add_u32_e32 v10, 4, v6
	v_cmp_lt_u32_e32 vcc, v10, v8
	s_and_saveexec_b64 s[0:1], vcc
	s_cbranch_execz .LBB421_358
; %bb.353:
	s_waitcnt lgkmcnt(2)
	v_and_b32_e32 v10, v7, v9
	v_and_b32_e32 v10, 1, v10
	v_cmp_eq_u32_e32 vcc, 1, v10
	s_and_saveexec_b64 s[2:3], vcc
	s_xor_b64 s[2:3], exec, s[2:3]
	s_cbranch_execz .LBB421_355
; %bb.354:
	s_waitcnt lgkmcnt(0)
	v_cmp_lt_i64_e32 vcc, v[3:4], v[1:2]
                                        ; implicit-def: $vgpr7
                                        ; implicit-def: $vgpr9
	v_cndmask_b32_e32 v2, v2, v4, vcc
	v_cndmask_b32_e32 v1, v1, v3, vcc
                                        ; implicit-def: $vgpr3_vgpr4
.LBB421_355:
	s_or_saveexec_b64 s[2:3], s[2:3]
	v_mov_b32_e32 v10, 1
	s_xor_b64 exec, exec, s[2:3]
	s_cbranch_execz .LBB421_357
; %bb.356:
	v_and_b32_e32 v7, 1, v7
	v_cmp_eq_u32_e32 vcc, 1, v7
	s_waitcnt lgkmcnt(1)
	v_cndmask_b32_e32 v1, v3, v1, vcc
	v_and_b32_e32 v3, 0xff, v9
	s_waitcnt lgkmcnt(0)
	v_cndmask_b32_e32 v2, v4, v2, vcc
	v_cndmask_b32_e64 v10, v3, 1, vcc
.LBB421_357:
	s_or_b64 exec, exec, s[2:3]
	v_mov_b32_e32 v7, v10
.LBB421_358:
	;; [unrolled: 47-line block ×4, first 2 shown]
	s_or_b64 exec, exec, s[0:1]
	s_waitcnt lgkmcnt(2)
	v_lshlrev_b32_e32 v9, 2, v5
	s_waitcnt lgkmcnt(0)
	v_or_b32_e32 v4, 0x80, v9
	ds_bpermute_b32 v10, v4, v7
	ds_bpermute_b32 v3, v4, v1
	;; [unrolled: 1-line block ×3, first 2 shown]
	v_add_u32_e32 v6, 32, v6
	v_cmp_lt_u32_e32 vcc, v6, v8
	v_mov_b32_e32 v6, v7
	s_and_saveexec_b64 s[0:1], vcc
	s_cbranch_execz .LBB421_376
; %bb.371:
	s_waitcnt lgkmcnt(2)
	v_and_b32_e32 v6, v7, v10
	v_and_b32_e32 v6, 1, v6
	v_cmp_eq_u32_e32 vcc, 1, v6
	s_and_saveexec_b64 s[2:3], vcc
	s_xor_b64 s[2:3], exec, s[2:3]
	s_cbranch_execz .LBB421_373
; %bb.372:
	s_waitcnt lgkmcnt(0)
	v_cmp_lt_i64_e32 vcc, v[3:4], v[1:2]
                                        ; implicit-def: $vgpr7
                                        ; implicit-def: $vgpr10
	v_cndmask_b32_e32 v2, v2, v4, vcc
	v_cndmask_b32_e32 v1, v1, v3, vcc
                                        ; implicit-def: $vgpr3_vgpr4
.LBB421_373:
	s_or_saveexec_b64 s[2:3], s[2:3]
	v_mov_b32_e32 v6, 1
	s_xor_b64 exec, exec, s[2:3]
	s_cbranch_execz .LBB421_375
; %bb.374:
	v_and_b32_e32 v6, 1, v7
	v_cmp_eq_u32_e32 vcc, 1, v6
	v_cndmask_b32_e64 v6, v10, 1, vcc
	s_waitcnt lgkmcnt(0)
	v_cndmask_b32_e32 v2, v4, v2, vcc
	v_cndmask_b32_e32 v1, v3, v1, vcc
.LBB421_375:
	s_or_b64 exec, exec, s[2:3]
	v_and_b32_e32 v7, 0xff, v6
.LBB421_376:
	s_or_b64 exec, exec, s[0:1]
	v_cmp_eq_u32_e32 vcc, 0, v5
	s_and_saveexec_b64 s[0:1], vcc
	s_cbranch_execz .LBB421_378
; %bb.377:
	s_waitcnt lgkmcnt(1)
	v_lshrrev_b32_e32 v3, 2, v0
	v_and_b32_e32 v3, 16, v3
	ds_write_b8 v3, v6 offset:128
	ds_write_b64 v3, v[1:2] offset:136
.LBB421_378:
	s_or_b64 exec, exec, s[0:1]
	v_cmp_gt_u32_e32 vcc, 2, v0
	s_waitcnt lgkmcnt(0)
	s_barrier
	s_and_saveexec_b64 s[0:1], vcc
	s_cbranch_execz .LBB421_386
; %bb.379:
	v_lshlrev_b32_e32 v1, 4, v5
	ds_read_u8 v6, v1 offset:128
	ds_read_b64 v[1:2], v1 offset:136
	v_or_b32_e32 v4, 4, v9
	s_add_i32 s8, s8, 63
	v_and_b32_e32 v5, 1, v5
	s_waitcnt lgkmcnt(1)
	v_and_b32_e32 v7, 0xff, v6
	s_waitcnt lgkmcnt(0)
	ds_bpermute_b32 v3, v4, v1
	ds_bpermute_b32 v8, v4, v7
	;; [unrolled: 1-line block ×3, first 2 shown]
	s_lshr_b32 s2, s8, 6
	v_add_u32_e32 v5, 1, v5
	v_cmp_gt_u32_e32 vcc, s2, v5
	s_and_saveexec_b64 s[2:3], vcc
	s_cbranch_execz .LBB421_385
; %bb.380:
	s_waitcnt lgkmcnt(1)
	v_and_b32_e32 v5, v7, v8
	v_and_b32_e32 v5, 1, v5
	v_cmp_eq_u32_e32 vcc, 1, v5
	s_and_saveexec_b64 s[8:9], vcc
	s_xor_b64 s[8:9], exec, s[8:9]
	s_cbranch_execz .LBB421_382
; %bb.381:
	s_waitcnt lgkmcnt(0)
	v_cmp_lt_i64_e32 vcc, v[3:4], v[1:2]
                                        ; implicit-def: $vgpr6
                                        ; implicit-def: $vgpr8
	v_cndmask_b32_e32 v2, v2, v4, vcc
	v_cndmask_b32_e32 v1, v1, v3, vcc
                                        ; implicit-def: $vgpr3_vgpr4
.LBB421_382:
	s_or_saveexec_b64 s[8:9], s[8:9]
	v_mov_b32_e32 v7, 1
	s_xor_b64 exec, exec, s[8:9]
	s_cbranch_execz .LBB421_384
; %bb.383:
	v_and_b32_e32 v5, 1, v6
	v_cmp_eq_u32_e32 vcc, 1, v5
	s_waitcnt lgkmcnt(0)
	v_cndmask_b32_e32 v2, v4, v2, vcc
	v_cndmask_b32_e32 v1, v3, v1, vcc
	v_cndmask_b32_e64 v7, v8, 1, vcc
.LBB421_384:
	s_or_b64 exec, exec, s[8:9]
.LBB421_385:
	s_or_b64 exec, exec, s[2:3]
.LBB421_386:
	s_or_b64 exec, exec, s[0:1]
.LBB421_387:
	v_cmp_eq_u32_e32 vcc, 0, v0
                                        ; implicit-def: $vgpr3_vgpr4
                                        ; implicit-def: $vgpr5
	s_and_saveexec_b64 s[8:9], vcc
	s_cbranch_execz .LBB421_391
; %bb.388:
	s_waitcnt lgkmcnt(0)
	v_mov_b32_e32 v3, s18
	s_cmp_eq_u64 s[22:23], 0
	v_mov_b32_e32 v4, s19
	v_mov_b32_e32 v5, s28
	s_cbranch_scc1 .LBB421_390
; %bb.389:
	v_and_b32_e32 v0, 1, v7
	v_cmp_gt_i64_e64 s[0:1], s[18:19], v[1:2]
	s_bitcmp1_b32 s28, 0
	v_cmp_eq_u32_e32 vcc, 1, v0
	s_cselect_b64 s[2:3], -1, 0
	v_mov_b32_e32 v0, s18
	s_and_b64 vcc, vcc, s[0:1]
	v_mov_b32_e32 v3, s19
	v_cndmask_b32_e32 v0, v0, v1, vcc
	v_cndmask_b32_e32 v3, v3, v2, vcc
	v_cndmask_b32_e64 v5, v7, 1, s[2:3]
	v_cndmask_b32_e64 v4, v2, v3, s[2:3]
	;; [unrolled: 1-line block ×3, first 2 shown]
.LBB421_390:
	s_or_b64 s[14:15], s[14:15], exec
.LBB421_391:
	s_or_b64 exec, exec, s[8:9]
	v_mov_b32_e32 v1, s6
	v_mov_b32_e32 v2, s7
	s_and_saveexec_b64 s[0:1], s[14:15]
	s_cbranch_execnz .LBB421_335
	s_branch .LBB421_336
	.section	.rodata,"a",@progbits
	.p2align	6, 0x0
	.amdhsa_kernel _ZN7rocprim17ROCPRIM_400000_NS6detail17trampoline_kernelINS0_14default_configENS1_22reduce_config_selectorIN6thrust23THRUST_200600_302600_NS5tupleIblNS6_9null_typeES8_S8_S8_S8_S8_S8_S8_EEEEZNS1_11reduce_implILb1ES3_PS9_SC_S9_NS6_11hip_rocprim9__find_if7functorIS9_EEEE10hipError_tPvRmT1_T2_T3_mT4_P12ihipStream_tbEUlT_E1_NS1_11comp_targetILNS1_3genE2ELNS1_11target_archE906ELNS1_3gpuE6ELNS1_3repE0EEENS1_30default_config_static_selectorELNS0_4arch9wavefront6targetE1EEEvSK_
		.amdhsa_group_segment_fixed_size 160
		.amdhsa_private_segment_fixed_size 0
		.amdhsa_kernarg_size 56
		.amdhsa_user_sgpr_count 6
		.amdhsa_user_sgpr_private_segment_buffer 1
		.amdhsa_user_sgpr_dispatch_ptr 0
		.amdhsa_user_sgpr_queue_ptr 0
		.amdhsa_user_sgpr_kernarg_segment_ptr 1
		.amdhsa_user_sgpr_dispatch_id 0
		.amdhsa_user_sgpr_flat_scratch_init 0
		.amdhsa_user_sgpr_private_segment_size 0
		.amdhsa_uses_dynamic_stack 0
		.amdhsa_system_sgpr_private_segment_wavefront_offset 0
		.amdhsa_system_sgpr_workgroup_id_x 1
		.amdhsa_system_sgpr_workgroup_id_y 0
		.amdhsa_system_sgpr_workgroup_id_z 0
		.amdhsa_system_sgpr_workgroup_info 0
		.amdhsa_system_vgpr_workitem_id 0
		.amdhsa_next_free_vgpr 27
		.amdhsa_next_free_sgpr 36
		.amdhsa_reserve_vcc 1
		.amdhsa_reserve_flat_scratch 0
		.amdhsa_float_round_mode_32 0
		.amdhsa_float_round_mode_16_64 0
		.amdhsa_float_denorm_mode_32 3
		.amdhsa_float_denorm_mode_16_64 3
		.amdhsa_dx10_clamp 1
		.amdhsa_ieee_mode 1
		.amdhsa_fp16_overflow 0
		.amdhsa_exception_fp_ieee_invalid_op 0
		.amdhsa_exception_fp_denorm_src 0
		.amdhsa_exception_fp_ieee_div_zero 0
		.amdhsa_exception_fp_ieee_overflow 0
		.amdhsa_exception_fp_ieee_underflow 0
		.amdhsa_exception_fp_ieee_inexact 0
		.amdhsa_exception_int_div_zero 0
	.end_amdhsa_kernel
	.section	.text._ZN7rocprim17ROCPRIM_400000_NS6detail17trampoline_kernelINS0_14default_configENS1_22reduce_config_selectorIN6thrust23THRUST_200600_302600_NS5tupleIblNS6_9null_typeES8_S8_S8_S8_S8_S8_S8_EEEEZNS1_11reduce_implILb1ES3_PS9_SC_S9_NS6_11hip_rocprim9__find_if7functorIS9_EEEE10hipError_tPvRmT1_T2_T3_mT4_P12ihipStream_tbEUlT_E1_NS1_11comp_targetILNS1_3genE2ELNS1_11target_archE906ELNS1_3gpuE6ELNS1_3repE0EEENS1_30default_config_static_selectorELNS0_4arch9wavefront6targetE1EEEvSK_,"axG",@progbits,_ZN7rocprim17ROCPRIM_400000_NS6detail17trampoline_kernelINS0_14default_configENS1_22reduce_config_selectorIN6thrust23THRUST_200600_302600_NS5tupleIblNS6_9null_typeES8_S8_S8_S8_S8_S8_S8_EEEEZNS1_11reduce_implILb1ES3_PS9_SC_S9_NS6_11hip_rocprim9__find_if7functorIS9_EEEE10hipError_tPvRmT1_T2_T3_mT4_P12ihipStream_tbEUlT_E1_NS1_11comp_targetILNS1_3genE2ELNS1_11target_archE906ELNS1_3gpuE6ELNS1_3repE0EEENS1_30default_config_static_selectorELNS0_4arch9wavefront6targetE1EEEvSK_,comdat
.Lfunc_end421:
	.size	_ZN7rocprim17ROCPRIM_400000_NS6detail17trampoline_kernelINS0_14default_configENS1_22reduce_config_selectorIN6thrust23THRUST_200600_302600_NS5tupleIblNS6_9null_typeES8_S8_S8_S8_S8_S8_S8_EEEEZNS1_11reduce_implILb1ES3_PS9_SC_S9_NS6_11hip_rocprim9__find_if7functorIS9_EEEE10hipError_tPvRmT1_T2_T3_mT4_P12ihipStream_tbEUlT_E1_NS1_11comp_targetILNS1_3genE2ELNS1_11target_archE906ELNS1_3gpuE6ELNS1_3repE0EEENS1_30default_config_static_selectorELNS0_4arch9wavefront6targetE1EEEvSK_, .Lfunc_end421-_ZN7rocprim17ROCPRIM_400000_NS6detail17trampoline_kernelINS0_14default_configENS1_22reduce_config_selectorIN6thrust23THRUST_200600_302600_NS5tupleIblNS6_9null_typeES8_S8_S8_S8_S8_S8_S8_EEEEZNS1_11reduce_implILb1ES3_PS9_SC_S9_NS6_11hip_rocprim9__find_if7functorIS9_EEEE10hipError_tPvRmT1_T2_T3_mT4_P12ihipStream_tbEUlT_E1_NS1_11comp_targetILNS1_3genE2ELNS1_11target_archE906ELNS1_3gpuE6ELNS1_3repE0EEENS1_30default_config_static_selectorELNS0_4arch9wavefront6targetE1EEEvSK_
                                        ; -- End function
	.set _ZN7rocprim17ROCPRIM_400000_NS6detail17trampoline_kernelINS0_14default_configENS1_22reduce_config_selectorIN6thrust23THRUST_200600_302600_NS5tupleIblNS6_9null_typeES8_S8_S8_S8_S8_S8_S8_EEEEZNS1_11reduce_implILb1ES3_PS9_SC_S9_NS6_11hip_rocprim9__find_if7functorIS9_EEEE10hipError_tPvRmT1_T2_T3_mT4_P12ihipStream_tbEUlT_E1_NS1_11comp_targetILNS1_3genE2ELNS1_11target_archE906ELNS1_3gpuE6ELNS1_3repE0EEENS1_30default_config_static_selectorELNS0_4arch9wavefront6targetE1EEEvSK_.num_vgpr, 27
	.set _ZN7rocprim17ROCPRIM_400000_NS6detail17trampoline_kernelINS0_14default_configENS1_22reduce_config_selectorIN6thrust23THRUST_200600_302600_NS5tupleIblNS6_9null_typeES8_S8_S8_S8_S8_S8_S8_EEEEZNS1_11reduce_implILb1ES3_PS9_SC_S9_NS6_11hip_rocprim9__find_if7functorIS9_EEEE10hipError_tPvRmT1_T2_T3_mT4_P12ihipStream_tbEUlT_E1_NS1_11comp_targetILNS1_3genE2ELNS1_11target_archE906ELNS1_3gpuE6ELNS1_3repE0EEENS1_30default_config_static_selectorELNS0_4arch9wavefront6targetE1EEEvSK_.num_agpr, 0
	.set _ZN7rocprim17ROCPRIM_400000_NS6detail17trampoline_kernelINS0_14default_configENS1_22reduce_config_selectorIN6thrust23THRUST_200600_302600_NS5tupleIblNS6_9null_typeES8_S8_S8_S8_S8_S8_S8_EEEEZNS1_11reduce_implILb1ES3_PS9_SC_S9_NS6_11hip_rocprim9__find_if7functorIS9_EEEE10hipError_tPvRmT1_T2_T3_mT4_P12ihipStream_tbEUlT_E1_NS1_11comp_targetILNS1_3genE2ELNS1_11target_archE906ELNS1_3gpuE6ELNS1_3repE0EEENS1_30default_config_static_selectorELNS0_4arch9wavefront6targetE1EEEvSK_.numbered_sgpr, 36
	.set _ZN7rocprim17ROCPRIM_400000_NS6detail17trampoline_kernelINS0_14default_configENS1_22reduce_config_selectorIN6thrust23THRUST_200600_302600_NS5tupleIblNS6_9null_typeES8_S8_S8_S8_S8_S8_S8_EEEEZNS1_11reduce_implILb1ES3_PS9_SC_S9_NS6_11hip_rocprim9__find_if7functorIS9_EEEE10hipError_tPvRmT1_T2_T3_mT4_P12ihipStream_tbEUlT_E1_NS1_11comp_targetILNS1_3genE2ELNS1_11target_archE906ELNS1_3gpuE6ELNS1_3repE0EEENS1_30default_config_static_selectorELNS0_4arch9wavefront6targetE1EEEvSK_.num_named_barrier, 0
	.set _ZN7rocprim17ROCPRIM_400000_NS6detail17trampoline_kernelINS0_14default_configENS1_22reduce_config_selectorIN6thrust23THRUST_200600_302600_NS5tupleIblNS6_9null_typeES8_S8_S8_S8_S8_S8_S8_EEEEZNS1_11reduce_implILb1ES3_PS9_SC_S9_NS6_11hip_rocprim9__find_if7functorIS9_EEEE10hipError_tPvRmT1_T2_T3_mT4_P12ihipStream_tbEUlT_E1_NS1_11comp_targetILNS1_3genE2ELNS1_11target_archE906ELNS1_3gpuE6ELNS1_3repE0EEENS1_30default_config_static_selectorELNS0_4arch9wavefront6targetE1EEEvSK_.private_seg_size, 0
	.set _ZN7rocprim17ROCPRIM_400000_NS6detail17trampoline_kernelINS0_14default_configENS1_22reduce_config_selectorIN6thrust23THRUST_200600_302600_NS5tupleIblNS6_9null_typeES8_S8_S8_S8_S8_S8_S8_EEEEZNS1_11reduce_implILb1ES3_PS9_SC_S9_NS6_11hip_rocprim9__find_if7functorIS9_EEEE10hipError_tPvRmT1_T2_T3_mT4_P12ihipStream_tbEUlT_E1_NS1_11comp_targetILNS1_3genE2ELNS1_11target_archE906ELNS1_3gpuE6ELNS1_3repE0EEENS1_30default_config_static_selectorELNS0_4arch9wavefront6targetE1EEEvSK_.uses_vcc, 1
	.set _ZN7rocprim17ROCPRIM_400000_NS6detail17trampoline_kernelINS0_14default_configENS1_22reduce_config_selectorIN6thrust23THRUST_200600_302600_NS5tupleIblNS6_9null_typeES8_S8_S8_S8_S8_S8_S8_EEEEZNS1_11reduce_implILb1ES3_PS9_SC_S9_NS6_11hip_rocprim9__find_if7functorIS9_EEEE10hipError_tPvRmT1_T2_T3_mT4_P12ihipStream_tbEUlT_E1_NS1_11comp_targetILNS1_3genE2ELNS1_11target_archE906ELNS1_3gpuE6ELNS1_3repE0EEENS1_30default_config_static_selectorELNS0_4arch9wavefront6targetE1EEEvSK_.uses_flat_scratch, 0
	.set _ZN7rocprim17ROCPRIM_400000_NS6detail17trampoline_kernelINS0_14default_configENS1_22reduce_config_selectorIN6thrust23THRUST_200600_302600_NS5tupleIblNS6_9null_typeES8_S8_S8_S8_S8_S8_S8_EEEEZNS1_11reduce_implILb1ES3_PS9_SC_S9_NS6_11hip_rocprim9__find_if7functorIS9_EEEE10hipError_tPvRmT1_T2_T3_mT4_P12ihipStream_tbEUlT_E1_NS1_11comp_targetILNS1_3genE2ELNS1_11target_archE906ELNS1_3gpuE6ELNS1_3repE0EEENS1_30default_config_static_selectorELNS0_4arch9wavefront6targetE1EEEvSK_.has_dyn_sized_stack, 0
	.set _ZN7rocprim17ROCPRIM_400000_NS6detail17trampoline_kernelINS0_14default_configENS1_22reduce_config_selectorIN6thrust23THRUST_200600_302600_NS5tupleIblNS6_9null_typeES8_S8_S8_S8_S8_S8_S8_EEEEZNS1_11reduce_implILb1ES3_PS9_SC_S9_NS6_11hip_rocprim9__find_if7functorIS9_EEEE10hipError_tPvRmT1_T2_T3_mT4_P12ihipStream_tbEUlT_E1_NS1_11comp_targetILNS1_3genE2ELNS1_11target_archE906ELNS1_3gpuE6ELNS1_3repE0EEENS1_30default_config_static_selectorELNS0_4arch9wavefront6targetE1EEEvSK_.has_recursion, 0
	.set _ZN7rocprim17ROCPRIM_400000_NS6detail17trampoline_kernelINS0_14default_configENS1_22reduce_config_selectorIN6thrust23THRUST_200600_302600_NS5tupleIblNS6_9null_typeES8_S8_S8_S8_S8_S8_S8_EEEEZNS1_11reduce_implILb1ES3_PS9_SC_S9_NS6_11hip_rocprim9__find_if7functorIS9_EEEE10hipError_tPvRmT1_T2_T3_mT4_P12ihipStream_tbEUlT_E1_NS1_11comp_targetILNS1_3genE2ELNS1_11target_archE906ELNS1_3gpuE6ELNS1_3repE0EEENS1_30default_config_static_selectorELNS0_4arch9wavefront6targetE1EEEvSK_.has_indirect_call, 0
	.section	.AMDGPU.csdata,"",@progbits
; Kernel info:
; codeLenInByte = 13204
; TotalNumSgprs: 40
; NumVgprs: 27
; ScratchSize: 0
; MemoryBound: 0
; FloatMode: 240
; IeeeMode: 1
; LDSByteSize: 160 bytes/workgroup (compile time only)
; SGPRBlocks: 4
; VGPRBlocks: 6
; NumSGPRsForWavesPerEU: 40
; NumVGPRsForWavesPerEU: 27
; Occupancy: 9
; WaveLimiterHint : 1
; COMPUTE_PGM_RSRC2:SCRATCH_EN: 0
; COMPUTE_PGM_RSRC2:USER_SGPR: 6
; COMPUTE_PGM_RSRC2:TRAP_HANDLER: 0
; COMPUTE_PGM_RSRC2:TGID_X_EN: 1
; COMPUTE_PGM_RSRC2:TGID_Y_EN: 0
; COMPUTE_PGM_RSRC2:TGID_Z_EN: 0
; COMPUTE_PGM_RSRC2:TIDIG_COMP_CNT: 0
	.section	.text._ZN7rocprim17ROCPRIM_400000_NS6detail17trampoline_kernelINS0_14default_configENS1_22reduce_config_selectorIN6thrust23THRUST_200600_302600_NS5tupleIblNS6_9null_typeES8_S8_S8_S8_S8_S8_S8_EEEEZNS1_11reduce_implILb1ES3_PS9_SC_S9_NS6_11hip_rocprim9__find_if7functorIS9_EEEE10hipError_tPvRmT1_T2_T3_mT4_P12ihipStream_tbEUlT_E1_NS1_11comp_targetILNS1_3genE10ELNS1_11target_archE1201ELNS1_3gpuE5ELNS1_3repE0EEENS1_30default_config_static_selectorELNS0_4arch9wavefront6targetE1EEEvSK_,"axG",@progbits,_ZN7rocprim17ROCPRIM_400000_NS6detail17trampoline_kernelINS0_14default_configENS1_22reduce_config_selectorIN6thrust23THRUST_200600_302600_NS5tupleIblNS6_9null_typeES8_S8_S8_S8_S8_S8_S8_EEEEZNS1_11reduce_implILb1ES3_PS9_SC_S9_NS6_11hip_rocprim9__find_if7functorIS9_EEEE10hipError_tPvRmT1_T2_T3_mT4_P12ihipStream_tbEUlT_E1_NS1_11comp_targetILNS1_3genE10ELNS1_11target_archE1201ELNS1_3gpuE5ELNS1_3repE0EEENS1_30default_config_static_selectorELNS0_4arch9wavefront6targetE1EEEvSK_,comdat
	.protected	_ZN7rocprim17ROCPRIM_400000_NS6detail17trampoline_kernelINS0_14default_configENS1_22reduce_config_selectorIN6thrust23THRUST_200600_302600_NS5tupleIblNS6_9null_typeES8_S8_S8_S8_S8_S8_S8_EEEEZNS1_11reduce_implILb1ES3_PS9_SC_S9_NS6_11hip_rocprim9__find_if7functorIS9_EEEE10hipError_tPvRmT1_T2_T3_mT4_P12ihipStream_tbEUlT_E1_NS1_11comp_targetILNS1_3genE10ELNS1_11target_archE1201ELNS1_3gpuE5ELNS1_3repE0EEENS1_30default_config_static_selectorELNS0_4arch9wavefront6targetE1EEEvSK_ ; -- Begin function _ZN7rocprim17ROCPRIM_400000_NS6detail17trampoline_kernelINS0_14default_configENS1_22reduce_config_selectorIN6thrust23THRUST_200600_302600_NS5tupleIblNS6_9null_typeES8_S8_S8_S8_S8_S8_S8_EEEEZNS1_11reduce_implILb1ES3_PS9_SC_S9_NS6_11hip_rocprim9__find_if7functorIS9_EEEE10hipError_tPvRmT1_T2_T3_mT4_P12ihipStream_tbEUlT_E1_NS1_11comp_targetILNS1_3genE10ELNS1_11target_archE1201ELNS1_3gpuE5ELNS1_3repE0EEENS1_30default_config_static_selectorELNS0_4arch9wavefront6targetE1EEEvSK_
	.globl	_ZN7rocprim17ROCPRIM_400000_NS6detail17trampoline_kernelINS0_14default_configENS1_22reduce_config_selectorIN6thrust23THRUST_200600_302600_NS5tupleIblNS6_9null_typeES8_S8_S8_S8_S8_S8_S8_EEEEZNS1_11reduce_implILb1ES3_PS9_SC_S9_NS6_11hip_rocprim9__find_if7functorIS9_EEEE10hipError_tPvRmT1_T2_T3_mT4_P12ihipStream_tbEUlT_E1_NS1_11comp_targetILNS1_3genE10ELNS1_11target_archE1201ELNS1_3gpuE5ELNS1_3repE0EEENS1_30default_config_static_selectorELNS0_4arch9wavefront6targetE1EEEvSK_
	.p2align	8
	.type	_ZN7rocprim17ROCPRIM_400000_NS6detail17trampoline_kernelINS0_14default_configENS1_22reduce_config_selectorIN6thrust23THRUST_200600_302600_NS5tupleIblNS6_9null_typeES8_S8_S8_S8_S8_S8_S8_EEEEZNS1_11reduce_implILb1ES3_PS9_SC_S9_NS6_11hip_rocprim9__find_if7functorIS9_EEEE10hipError_tPvRmT1_T2_T3_mT4_P12ihipStream_tbEUlT_E1_NS1_11comp_targetILNS1_3genE10ELNS1_11target_archE1201ELNS1_3gpuE5ELNS1_3repE0EEENS1_30default_config_static_selectorELNS0_4arch9wavefront6targetE1EEEvSK_,@function
_ZN7rocprim17ROCPRIM_400000_NS6detail17trampoline_kernelINS0_14default_configENS1_22reduce_config_selectorIN6thrust23THRUST_200600_302600_NS5tupleIblNS6_9null_typeES8_S8_S8_S8_S8_S8_S8_EEEEZNS1_11reduce_implILb1ES3_PS9_SC_S9_NS6_11hip_rocprim9__find_if7functorIS9_EEEE10hipError_tPvRmT1_T2_T3_mT4_P12ihipStream_tbEUlT_E1_NS1_11comp_targetILNS1_3genE10ELNS1_11target_archE1201ELNS1_3gpuE5ELNS1_3repE0EEENS1_30default_config_static_selectorELNS0_4arch9wavefront6targetE1EEEvSK_: ; @_ZN7rocprim17ROCPRIM_400000_NS6detail17trampoline_kernelINS0_14default_configENS1_22reduce_config_selectorIN6thrust23THRUST_200600_302600_NS5tupleIblNS6_9null_typeES8_S8_S8_S8_S8_S8_S8_EEEEZNS1_11reduce_implILb1ES3_PS9_SC_S9_NS6_11hip_rocprim9__find_if7functorIS9_EEEE10hipError_tPvRmT1_T2_T3_mT4_P12ihipStream_tbEUlT_E1_NS1_11comp_targetILNS1_3genE10ELNS1_11target_archE1201ELNS1_3gpuE5ELNS1_3repE0EEENS1_30default_config_static_selectorELNS0_4arch9wavefront6targetE1EEEvSK_
; %bb.0:
	.section	.rodata,"a",@progbits
	.p2align	6, 0x0
	.amdhsa_kernel _ZN7rocprim17ROCPRIM_400000_NS6detail17trampoline_kernelINS0_14default_configENS1_22reduce_config_selectorIN6thrust23THRUST_200600_302600_NS5tupleIblNS6_9null_typeES8_S8_S8_S8_S8_S8_S8_EEEEZNS1_11reduce_implILb1ES3_PS9_SC_S9_NS6_11hip_rocprim9__find_if7functorIS9_EEEE10hipError_tPvRmT1_T2_T3_mT4_P12ihipStream_tbEUlT_E1_NS1_11comp_targetILNS1_3genE10ELNS1_11target_archE1201ELNS1_3gpuE5ELNS1_3repE0EEENS1_30default_config_static_selectorELNS0_4arch9wavefront6targetE1EEEvSK_
		.amdhsa_group_segment_fixed_size 0
		.amdhsa_private_segment_fixed_size 0
		.amdhsa_kernarg_size 56
		.amdhsa_user_sgpr_count 6
		.amdhsa_user_sgpr_private_segment_buffer 1
		.amdhsa_user_sgpr_dispatch_ptr 0
		.amdhsa_user_sgpr_queue_ptr 0
		.amdhsa_user_sgpr_kernarg_segment_ptr 1
		.amdhsa_user_sgpr_dispatch_id 0
		.amdhsa_user_sgpr_flat_scratch_init 0
		.amdhsa_user_sgpr_private_segment_size 0
		.amdhsa_uses_dynamic_stack 0
		.amdhsa_system_sgpr_private_segment_wavefront_offset 0
		.amdhsa_system_sgpr_workgroup_id_x 1
		.amdhsa_system_sgpr_workgroup_id_y 0
		.amdhsa_system_sgpr_workgroup_id_z 0
		.amdhsa_system_sgpr_workgroup_info 0
		.amdhsa_system_vgpr_workitem_id 0
		.amdhsa_next_free_vgpr 1
		.amdhsa_next_free_sgpr 0
		.amdhsa_reserve_vcc 0
		.amdhsa_reserve_flat_scratch 0
		.amdhsa_float_round_mode_32 0
		.amdhsa_float_round_mode_16_64 0
		.amdhsa_float_denorm_mode_32 3
		.amdhsa_float_denorm_mode_16_64 3
		.amdhsa_dx10_clamp 1
		.amdhsa_ieee_mode 1
		.amdhsa_fp16_overflow 0
		.amdhsa_exception_fp_ieee_invalid_op 0
		.amdhsa_exception_fp_denorm_src 0
		.amdhsa_exception_fp_ieee_div_zero 0
		.amdhsa_exception_fp_ieee_overflow 0
		.amdhsa_exception_fp_ieee_underflow 0
		.amdhsa_exception_fp_ieee_inexact 0
		.amdhsa_exception_int_div_zero 0
	.end_amdhsa_kernel
	.section	.text._ZN7rocprim17ROCPRIM_400000_NS6detail17trampoline_kernelINS0_14default_configENS1_22reduce_config_selectorIN6thrust23THRUST_200600_302600_NS5tupleIblNS6_9null_typeES8_S8_S8_S8_S8_S8_S8_EEEEZNS1_11reduce_implILb1ES3_PS9_SC_S9_NS6_11hip_rocprim9__find_if7functorIS9_EEEE10hipError_tPvRmT1_T2_T3_mT4_P12ihipStream_tbEUlT_E1_NS1_11comp_targetILNS1_3genE10ELNS1_11target_archE1201ELNS1_3gpuE5ELNS1_3repE0EEENS1_30default_config_static_selectorELNS0_4arch9wavefront6targetE1EEEvSK_,"axG",@progbits,_ZN7rocprim17ROCPRIM_400000_NS6detail17trampoline_kernelINS0_14default_configENS1_22reduce_config_selectorIN6thrust23THRUST_200600_302600_NS5tupleIblNS6_9null_typeES8_S8_S8_S8_S8_S8_S8_EEEEZNS1_11reduce_implILb1ES3_PS9_SC_S9_NS6_11hip_rocprim9__find_if7functorIS9_EEEE10hipError_tPvRmT1_T2_T3_mT4_P12ihipStream_tbEUlT_E1_NS1_11comp_targetILNS1_3genE10ELNS1_11target_archE1201ELNS1_3gpuE5ELNS1_3repE0EEENS1_30default_config_static_selectorELNS0_4arch9wavefront6targetE1EEEvSK_,comdat
.Lfunc_end422:
	.size	_ZN7rocprim17ROCPRIM_400000_NS6detail17trampoline_kernelINS0_14default_configENS1_22reduce_config_selectorIN6thrust23THRUST_200600_302600_NS5tupleIblNS6_9null_typeES8_S8_S8_S8_S8_S8_S8_EEEEZNS1_11reduce_implILb1ES3_PS9_SC_S9_NS6_11hip_rocprim9__find_if7functorIS9_EEEE10hipError_tPvRmT1_T2_T3_mT4_P12ihipStream_tbEUlT_E1_NS1_11comp_targetILNS1_3genE10ELNS1_11target_archE1201ELNS1_3gpuE5ELNS1_3repE0EEENS1_30default_config_static_selectorELNS0_4arch9wavefront6targetE1EEEvSK_, .Lfunc_end422-_ZN7rocprim17ROCPRIM_400000_NS6detail17trampoline_kernelINS0_14default_configENS1_22reduce_config_selectorIN6thrust23THRUST_200600_302600_NS5tupleIblNS6_9null_typeES8_S8_S8_S8_S8_S8_S8_EEEEZNS1_11reduce_implILb1ES3_PS9_SC_S9_NS6_11hip_rocprim9__find_if7functorIS9_EEEE10hipError_tPvRmT1_T2_T3_mT4_P12ihipStream_tbEUlT_E1_NS1_11comp_targetILNS1_3genE10ELNS1_11target_archE1201ELNS1_3gpuE5ELNS1_3repE0EEENS1_30default_config_static_selectorELNS0_4arch9wavefront6targetE1EEEvSK_
                                        ; -- End function
	.set _ZN7rocprim17ROCPRIM_400000_NS6detail17trampoline_kernelINS0_14default_configENS1_22reduce_config_selectorIN6thrust23THRUST_200600_302600_NS5tupleIblNS6_9null_typeES8_S8_S8_S8_S8_S8_S8_EEEEZNS1_11reduce_implILb1ES3_PS9_SC_S9_NS6_11hip_rocprim9__find_if7functorIS9_EEEE10hipError_tPvRmT1_T2_T3_mT4_P12ihipStream_tbEUlT_E1_NS1_11comp_targetILNS1_3genE10ELNS1_11target_archE1201ELNS1_3gpuE5ELNS1_3repE0EEENS1_30default_config_static_selectorELNS0_4arch9wavefront6targetE1EEEvSK_.num_vgpr, 0
	.set _ZN7rocprim17ROCPRIM_400000_NS6detail17trampoline_kernelINS0_14default_configENS1_22reduce_config_selectorIN6thrust23THRUST_200600_302600_NS5tupleIblNS6_9null_typeES8_S8_S8_S8_S8_S8_S8_EEEEZNS1_11reduce_implILb1ES3_PS9_SC_S9_NS6_11hip_rocprim9__find_if7functorIS9_EEEE10hipError_tPvRmT1_T2_T3_mT4_P12ihipStream_tbEUlT_E1_NS1_11comp_targetILNS1_3genE10ELNS1_11target_archE1201ELNS1_3gpuE5ELNS1_3repE0EEENS1_30default_config_static_selectorELNS0_4arch9wavefront6targetE1EEEvSK_.num_agpr, 0
	.set _ZN7rocprim17ROCPRIM_400000_NS6detail17trampoline_kernelINS0_14default_configENS1_22reduce_config_selectorIN6thrust23THRUST_200600_302600_NS5tupleIblNS6_9null_typeES8_S8_S8_S8_S8_S8_S8_EEEEZNS1_11reduce_implILb1ES3_PS9_SC_S9_NS6_11hip_rocprim9__find_if7functorIS9_EEEE10hipError_tPvRmT1_T2_T3_mT4_P12ihipStream_tbEUlT_E1_NS1_11comp_targetILNS1_3genE10ELNS1_11target_archE1201ELNS1_3gpuE5ELNS1_3repE0EEENS1_30default_config_static_selectorELNS0_4arch9wavefront6targetE1EEEvSK_.numbered_sgpr, 0
	.set _ZN7rocprim17ROCPRIM_400000_NS6detail17trampoline_kernelINS0_14default_configENS1_22reduce_config_selectorIN6thrust23THRUST_200600_302600_NS5tupleIblNS6_9null_typeES8_S8_S8_S8_S8_S8_S8_EEEEZNS1_11reduce_implILb1ES3_PS9_SC_S9_NS6_11hip_rocprim9__find_if7functorIS9_EEEE10hipError_tPvRmT1_T2_T3_mT4_P12ihipStream_tbEUlT_E1_NS1_11comp_targetILNS1_3genE10ELNS1_11target_archE1201ELNS1_3gpuE5ELNS1_3repE0EEENS1_30default_config_static_selectorELNS0_4arch9wavefront6targetE1EEEvSK_.num_named_barrier, 0
	.set _ZN7rocprim17ROCPRIM_400000_NS6detail17trampoline_kernelINS0_14default_configENS1_22reduce_config_selectorIN6thrust23THRUST_200600_302600_NS5tupleIblNS6_9null_typeES8_S8_S8_S8_S8_S8_S8_EEEEZNS1_11reduce_implILb1ES3_PS9_SC_S9_NS6_11hip_rocprim9__find_if7functorIS9_EEEE10hipError_tPvRmT1_T2_T3_mT4_P12ihipStream_tbEUlT_E1_NS1_11comp_targetILNS1_3genE10ELNS1_11target_archE1201ELNS1_3gpuE5ELNS1_3repE0EEENS1_30default_config_static_selectorELNS0_4arch9wavefront6targetE1EEEvSK_.private_seg_size, 0
	.set _ZN7rocprim17ROCPRIM_400000_NS6detail17trampoline_kernelINS0_14default_configENS1_22reduce_config_selectorIN6thrust23THRUST_200600_302600_NS5tupleIblNS6_9null_typeES8_S8_S8_S8_S8_S8_S8_EEEEZNS1_11reduce_implILb1ES3_PS9_SC_S9_NS6_11hip_rocprim9__find_if7functorIS9_EEEE10hipError_tPvRmT1_T2_T3_mT4_P12ihipStream_tbEUlT_E1_NS1_11comp_targetILNS1_3genE10ELNS1_11target_archE1201ELNS1_3gpuE5ELNS1_3repE0EEENS1_30default_config_static_selectorELNS0_4arch9wavefront6targetE1EEEvSK_.uses_vcc, 0
	.set _ZN7rocprim17ROCPRIM_400000_NS6detail17trampoline_kernelINS0_14default_configENS1_22reduce_config_selectorIN6thrust23THRUST_200600_302600_NS5tupleIblNS6_9null_typeES8_S8_S8_S8_S8_S8_S8_EEEEZNS1_11reduce_implILb1ES3_PS9_SC_S9_NS6_11hip_rocprim9__find_if7functorIS9_EEEE10hipError_tPvRmT1_T2_T3_mT4_P12ihipStream_tbEUlT_E1_NS1_11comp_targetILNS1_3genE10ELNS1_11target_archE1201ELNS1_3gpuE5ELNS1_3repE0EEENS1_30default_config_static_selectorELNS0_4arch9wavefront6targetE1EEEvSK_.uses_flat_scratch, 0
	.set _ZN7rocprim17ROCPRIM_400000_NS6detail17trampoline_kernelINS0_14default_configENS1_22reduce_config_selectorIN6thrust23THRUST_200600_302600_NS5tupleIblNS6_9null_typeES8_S8_S8_S8_S8_S8_S8_EEEEZNS1_11reduce_implILb1ES3_PS9_SC_S9_NS6_11hip_rocprim9__find_if7functorIS9_EEEE10hipError_tPvRmT1_T2_T3_mT4_P12ihipStream_tbEUlT_E1_NS1_11comp_targetILNS1_3genE10ELNS1_11target_archE1201ELNS1_3gpuE5ELNS1_3repE0EEENS1_30default_config_static_selectorELNS0_4arch9wavefront6targetE1EEEvSK_.has_dyn_sized_stack, 0
	.set _ZN7rocprim17ROCPRIM_400000_NS6detail17trampoline_kernelINS0_14default_configENS1_22reduce_config_selectorIN6thrust23THRUST_200600_302600_NS5tupleIblNS6_9null_typeES8_S8_S8_S8_S8_S8_S8_EEEEZNS1_11reduce_implILb1ES3_PS9_SC_S9_NS6_11hip_rocprim9__find_if7functorIS9_EEEE10hipError_tPvRmT1_T2_T3_mT4_P12ihipStream_tbEUlT_E1_NS1_11comp_targetILNS1_3genE10ELNS1_11target_archE1201ELNS1_3gpuE5ELNS1_3repE0EEENS1_30default_config_static_selectorELNS0_4arch9wavefront6targetE1EEEvSK_.has_recursion, 0
	.set _ZN7rocprim17ROCPRIM_400000_NS6detail17trampoline_kernelINS0_14default_configENS1_22reduce_config_selectorIN6thrust23THRUST_200600_302600_NS5tupleIblNS6_9null_typeES8_S8_S8_S8_S8_S8_S8_EEEEZNS1_11reduce_implILb1ES3_PS9_SC_S9_NS6_11hip_rocprim9__find_if7functorIS9_EEEE10hipError_tPvRmT1_T2_T3_mT4_P12ihipStream_tbEUlT_E1_NS1_11comp_targetILNS1_3genE10ELNS1_11target_archE1201ELNS1_3gpuE5ELNS1_3repE0EEENS1_30default_config_static_selectorELNS0_4arch9wavefront6targetE1EEEvSK_.has_indirect_call, 0
	.section	.AMDGPU.csdata,"",@progbits
; Kernel info:
; codeLenInByte = 0
; TotalNumSgprs: 4
; NumVgprs: 0
; ScratchSize: 0
; MemoryBound: 0
; FloatMode: 240
; IeeeMode: 1
; LDSByteSize: 0 bytes/workgroup (compile time only)
; SGPRBlocks: 0
; VGPRBlocks: 0
; NumSGPRsForWavesPerEU: 4
; NumVGPRsForWavesPerEU: 1
; Occupancy: 10
; WaveLimiterHint : 0
; COMPUTE_PGM_RSRC2:SCRATCH_EN: 0
; COMPUTE_PGM_RSRC2:USER_SGPR: 6
; COMPUTE_PGM_RSRC2:TRAP_HANDLER: 0
; COMPUTE_PGM_RSRC2:TGID_X_EN: 1
; COMPUTE_PGM_RSRC2:TGID_Y_EN: 0
; COMPUTE_PGM_RSRC2:TGID_Z_EN: 0
; COMPUTE_PGM_RSRC2:TIDIG_COMP_CNT: 0
	.section	.text._ZN7rocprim17ROCPRIM_400000_NS6detail17trampoline_kernelINS0_14default_configENS1_22reduce_config_selectorIN6thrust23THRUST_200600_302600_NS5tupleIblNS6_9null_typeES8_S8_S8_S8_S8_S8_S8_EEEEZNS1_11reduce_implILb1ES3_PS9_SC_S9_NS6_11hip_rocprim9__find_if7functorIS9_EEEE10hipError_tPvRmT1_T2_T3_mT4_P12ihipStream_tbEUlT_E1_NS1_11comp_targetILNS1_3genE10ELNS1_11target_archE1200ELNS1_3gpuE4ELNS1_3repE0EEENS1_30default_config_static_selectorELNS0_4arch9wavefront6targetE1EEEvSK_,"axG",@progbits,_ZN7rocprim17ROCPRIM_400000_NS6detail17trampoline_kernelINS0_14default_configENS1_22reduce_config_selectorIN6thrust23THRUST_200600_302600_NS5tupleIblNS6_9null_typeES8_S8_S8_S8_S8_S8_S8_EEEEZNS1_11reduce_implILb1ES3_PS9_SC_S9_NS6_11hip_rocprim9__find_if7functorIS9_EEEE10hipError_tPvRmT1_T2_T3_mT4_P12ihipStream_tbEUlT_E1_NS1_11comp_targetILNS1_3genE10ELNS1_11target_archE1200ELNS1_3gpuE4ELNS1_3repE0EEENS1_30default_config_static_selectorELNS0_4arch9wavefront6targetE1EEEvSK_,comdat
	.protected	_ZN7rocprim17ROCPRIM_400000_NS6detail17trampoline_kernelINS0_14default_configENS1_22reduce_config_selectorIN6thrust23THRUST_200600_302600_NS5tupleIblNS6_9null_typeES8_S8_S8_S8_S8_S8_S8_EEEEZNS1_11reduce_implILb1ES3_PS9_SC_S9_NS6_11hip_rocprim9__find_if7functorIS9_EEEE10hipError_tPvRmT1_T2_T3_mT4_P12ihipStream_tbEUlT_E1_NS1_11comp_targetILNS1_3genE10ELNS1_11target_archE1200ELNS1_3gpuE4ELNS1_3repE0EEENS1_30default_config_static_selectorELNS0_4arch9wavefront6targetE1EEEvSK_ ; -- Begin function _ZN7rocprim17ROCPRIM_400000_NS6detail17trampoline_kernelINS0_14default_configENS1_22reduce_config_selectorIN6thrust23THRUST_200600_302600_NS5tupleIblNS6_9null_typeES8_S8_S8_S8_S8_S8_S8_EEEEZNS1_11reduce_implILb1ES3_PS9_SC_S9_NS6_11hip_rocprim9__find_if7functorIS9_EEEE10hipError_tPvRmT1_T2_T3_mT4_P12ihipStream_tbEUlT_E1_NS1_11comp_targetILNS1_3genE10ELNS1_11target_archE1200ELNS1_3gpuE4ELNS1_3repE0EEENS1_30default_config_static_selectorELNS0_4arch9wavefront6targetE1EEEvSK_
	.globl	_ZN7rocprim17ROCPRIM_400000_NS6detail17trampoline_kernelINS0_14default_configENS1_22reduce_config_selectorIN6thrust23THRUST_200600_302600_NS5tupleIblNS6_9null_typeES8_S8_S8_S8_S8_S8_S8_EEEEZNS1_11reduce_implILb1ES3_PS9_SC_S9_NS6_11hip_rocprim9__find_if7functorIS9_EEEE10hipError_tPvRmT1_T2_T3_mT4_P12ihipStream_tbEUlT_E1_NS1_11comp_targetILNS1_3genE10ELNS1_11target_archE1200ELNS1_3gpuE4ELNS1_3repE0EEENS1_30default_config_static_selectorELNS0_4arch9wavefront6targetE1EEEvSK_
	.p2align	8
	.type	_ZN7rocprim17ROCPRIM_400000_NS6detail17trampoline_kernelINS0_14default_configENS1_22reduce_config_selectorIN6thrust23THRUST_200600_302600_NS5tupleIblNS6_9null_typeES8_S8_S8_S8_S8_S8_S8_EEEEZNS1_11reduce_implILb1ES3_PS9_SC_S9_NS6_11hip_rocprim9__find_if7functorIS9_EEEE10hipError_tPvRmT1_T2_T3_mT4_P12ihipStream_tbEUlT_E1_NS1_11comp_targetILNS1_3genE10ELNS1_11target_archE1200ELNS1_3gpuE4ELNS1_3repE0EEENS1_30default_config_static_selectorELNS0_4arch9wavefront6targetE1EEEvSK_,@function
_ZN7rocprim17ROCPRIM_400000_NS6detail17trampoline_kernelINS0_14default_configENS1_22reduce_config_selectorIN6thrust23THRUST_200600_302600_NS5tupleIblNS6_9null_typeES8_S8_S8_S8_S8_S8_S8_EEEEZNS1_11reduce_implILb1ES3_PS9_SC_S9_NS6_11hip_rocprim9__find_if7functorIS9_EEEE10hipError_tPvRmT1_T2_T3_mT4_P12ihipStream_tbEUlT_E1_NS1_11comp_targetILNS1_3genE10ELNS1_11target_archE1200ELNS1_3gpuE4ELNS1_3repE0EEENS1_30default_config_static_selectorELNS0_4arch9wavefront6targetE1EEEvSK_: ; @_ZN7rocprim17ROCPRIM_400000_NS6detail17trampoline_kernelINS0_14default_configENS1_22reduce_config_selectorIN6thrust23THRUST_200600_302600_NS5tupleIblNS6_9null_typeES8_S8_S8_S8_S8_S8_S8_EEEEZNS1_11reduce_implILb1ES3_PS9_SC_S9_NS6_11hip_rocprim9__find_if7functorIS9_EEEE10hipError_tPvRmT1_T2_T3_mT4_P12ihipStream_tbEUlT_E1_NS1_11comp_targetILNS1_3genE10ELNS1_11target_archE1200ELNS1_3gpuE4ELNS1_3repE0EEENS1_30default_config_static_selectorELNS0_4arch9wavefront6targetE1EEEvSK_
; %bb.0:
	.section	.rodata,"a",@progbits
	.p2align	6, 0x0
	.amdhsa_kernel _ZN7rocprim17ROCPRIM_400000_NS6detail17trampoline_kernelINS0_14default_configENS1_22reduce_config_selectorIN6thrust23THRUST_200600_302600_NS5tupleIblNS6_9null_typeES8_S8_S8_S8_S8_S8_S8_EEEEZNS1_11reduce_implILb1ES3_PS9_SC_S9_NS6_11hip_rocprim9__find_if7functorIS9_EEEE10hipError_tPvRmT1_T2_T3_mT4_P12ihipStream_tbEUlT_E1_NS1_11comp_targetILNS1_3genE10ELNS1_11target_archE1200ELNS1_3gpuE4ELNS1_3repE0EEENS1_30default_config_static_selectorELNS0_4arch9wavefront6targetE1EEEvSK_
		.amdhsa_group_segment_fixed_size 0
		.amdhsa_private_segment_fixed_size 0
		.amdhsa_kernarg_size 56
		.amdhsa_user_sgpr_count 6
		.amdhsa_user_sgpr_private_segment_buffer 1
		.amdhsa_user_sgpr_dispatch_ptr 0
		.amdhsa_user_sgpr_queue_ptr 0
		.amdhsa_user_sgpr_kernarg_segment_ptr 1
		.amdhsa_user_sgpr_dispatch_id 0
		.amdhsa_user_sgpr_flat_scratch_init 0
		.amdhsa_user_sgpr_private_segment_size 0
		.amdhsa_uses_dynamic_stack 0
		.amdhsa_system_sgpr_private_segment_wavefront_offset 0
		.amdhsa_system_sgpr_workgroup_id_x 1
		.amdhsa_system_sgpr_workgroup_id_y 0
		.amdhsa_system_sgpr_workgroup_id_z 0
		.amdhsa_system_sgpr_workgroup_info 0
		.amdhsa_system_vgpr_workitem_id 0
		.amdhsa_next_free_vgpr 1
		.amdhsa_next_free_sgpr 0
		.amdhsa_reserve_vcc 0
		.amdhsa_reserve_flat_scratch 0
		.amdhsa_float_round_mode_32 0
		.amdhsa_float_round_mode_16_64 0
		.amdhsa_float_denorm_mode_32 3
		.amdhsa_float_denorm_mode_16_64 3
		.amdhsa_dx10_clamp 1
		.amdhsa_ieee_mode 1
		.amdhsa_fp16_overflow 0
		.amdhsa_exception_fp_ieee_invalid_op 0
		.amdhsa_exception_fp_denorm_src 0
		.amdhsa_exception_fp_ieee_div_zero 0
		.amdhsa_exception_fp_ieee_overflow 0
		.amdhsa_exception_fp_ieee_underflow 0
		.amdhsa_exception_fp_ieee_inexact 0
		.amdhsa_exception_int_div_zero 0
	.end_amdhsa_kernel
	.section	.text._ZN7rocprim17ROCPRIM_400000_NS6detail17trampoline_kernelINS0_14default_configENS1_22reduce_config_selectorIN6thrust23THRUST_200600_302600_NS5tupleIblNS6_9null_typeES8_S8_S8_S8_S8_S8_S8_EEEEZNS1_11reduce_implILb1ES3_PS9_SC_S9_NS6_11hip_rocprim9__find_if7functorIS9_EEEE10hipError_tPvRmT1_T2_T3_mT4_P12ihipStream_tbEUlT_E1_NS1_11comp_targetILNS1_3genE10ELNS1_11target_archE1200ELNS1_3gpuE4ELNS1_3repE0EEENS1_30default_config_static_selectorELNS0_4arch9wavefront6targetE1EEEvSK_,"axG",@progbits,_ZN7rocprim17ROCPRIM_400000_NS6detail17trampoline_kernelINS0_14default_configENS1_22reduce_config_selectorIN6thrust23THRUST_200600_302600_NS5tupleIblNS6_9null_typeES8_S8_S8_S8_S8_S8_S8_EEEEZNS1_11reduce_implILb1ES3_PS9_SC_S9_NS6_11hip_rocprim9__find_if7functorIS9_EEEE10hipError_tPvRmT1_T2_T3_mT4_P12ihipStream_tbEUlT_E1_NS1_11comp_targetILNS1_3genE10ELNS1_11target_archE1200ELNS1_3gpuE4ELNS1_3repE0EEENS1_30default_config_static_selectorELNS0_4arch9wavefront6targetE1EEEvSK_,comdat
.Lfunc_end423:
	.size	_ZN7rocprim17ROCPRIM_400000_NS6detail17trampoline_kernelINS0_14default_configENS1_22reduce_config_selectorIN6thrust23THRUST_200600_302600_NS5tupleIblNS6_9null_typeES8_S8_S8_S8_S8_S8_S8_EEEEZNS1_11reduce_implILb1ES3_PS9_SC_S9_NS6_11hip_rocprim9__find_if7functorIS9_EEEE10hipError_tPvRmT1_T2_T3_mT4_P12ihipStream_tbEUlT_E1_NS1_11comp_targetILNS1_3genE10ELNS1_11target_archE1200ELNS1_3gpuE4ELNS1_3repE0EEENS1_30default_config_static_selectorELNS0_4arch9wavefront6targetE1EEEvSK_, .Lfunc_end423-_ZN7rocprim17ROCPRIM_400000_NS6detail17trampoline_kernelINS0_14default_configENS1_22reduce_config_selectorIN6thrust23THRUST_200600_302600_NS5tupleIblNS6_9null_typeES8_S8_S8_S8_S8_S8_S8_EEEEZNS1_11reduce_implILb1ES3_PS9_SC_S9_NS6_11hip_rocprim9__find_if7functorIS9_EEEE10hipError_tPvRmT1_T2_T3_mT4_P12ihipStream_tbEUlT_E1_NS1_11comp_targetILNS1_3genE10ELNS1_11target_archE1200ELNS1_3gpuE4ELNS1_3repE0EEENS1_30default_config_static_selectorELNS0_4arch9wavefront6targetE1EEEvSK_
                                        ; -- End function
	.set _ZN7rocprim17ROCPRIM_400000_NS6detail17trampoline_kernelINS0_14default_configENS1_22reduce_config_selectorIN6thrust23THRUST_200600_302600_NS5tupleIblNS6_9null_typeES8_S8_S8_S8_S8_S8_S8_EEEEZNS1_11reduce_implILb1ES3_PS9_SC_S9_NS6_11hip_rocprim9__find_if7functorIS9_EEEE10hipError_tPvRmT1_T2_T3_mT4_P12ihipStream_tbEUlT_E1_NS1_11comp_targetILNS1_3genE10ELNS1_11target_archE1200ELNS1_3gpuE4ELNS1_3repE0EEENS1_30default_config_static_selectorELNS0_4arch9wavefront6targetE1EEEvSK_.num_vgpr, 0
	.set _ZN7rocprim17ROCPRIM_400000_NS6detail17trampoline_kernelINS0_14default_configENS1_22reduce_config_selectorIN6thrust23THRUST_200600_302600_NS5tupleIblNS6_9null_typeES8_S8_S8_S8_S8_S8_S8_EEEEZNS1_11reduce_implILb1ES3_PS9_SC_S9_NS6_11hip_rocprim9__find_if7functorIS9_EEEE10hipError_tPvRmT1_T2_T3_mT4_P12ihipStream_tbEUlT_E1_NS1_11comp_targetILNS1_3genE10ELNS1_11target_archE1200ELNS1_3gpuE4ELNS1_3repE0EEENS1_30default_config_static_selectorELNS0_4arch9wavefront6targetE1EEEvSK_.num_agpr, 0
	.set _ZN7rocprim17ROCPRIM_400000_NS6detail17trampoline_kernelINS0_14default_configENS1_22reduce_config_selectorIN6thrust23THRUST_200600_302600_NS5tupleIblNS6_9null_typeES8_S8_S8_S8_S8_S8_S8_EEEEZNS1_11reduce_implILb1ES3_PS9_SC_S9_NS6_11hip_rocprim9__find_if7functorIS9_EEEE10hipError_tPvRmT1_T2_T3_mT4_P12ihipStream_tbEUlT_E1_NS1_11comp_targetILNS1_3genE10ELNS1_11target_archE1200ELNS1_3gpuE4ELNS1_3repE0EEENS1_30default_config_static_selectorELNS0_4arch9wavefront6targetE1EEEvSK_.numbered_sgpr, 0
	.set _ZN7rocprim17ROCPRIM_400000_NS6detail17trampoline_kernelINS0_14default_configENS1_22reduce_config_selectorIN6thrust23THRUST_200600_302600_NS5tupleIblNS6_9null_typeES8_S8_S8_S8_S8_S8_S8_EEEEZNS1_11reduce_implILb1ES3_PS9_SC_S9_NS6_11hip_rocprim9__find_if7functorIS9_EEEE10hipError_tPvRmT1_T2_T3_mT4_P12ihipStream_tbEUlT_E1_NS1_11comp_targetILNS1_3genE10ELNS1_11target_archE1200ELNS1_3gpuE4ELNS1_3repE0EEENS1_30default_config_static_selectorELNS0_4arch9wavefront6targetE1EEEvSK_.num_named_barrier, 0
	.set _ZN7rocprim17ROCPRIM_400000_NS6detail17trampoline_kernelINS0_14default_configENS1_22reduce_config_selectorIN6thrust23THRUST_200600_302600_NS5tupleIblNS6_9null_typeES8_S8_S8_S8_S8_S8_S8_EEEEZNS1_11reduce_implILb1ES3_PS9_SC_S9_NS6_11hip_rocprim9__find_if7functorIS9_EEEE10hipError_tPvRmT1_T2_T3_mT4_P12ihipStream_tbEUlT_E1_NS1_11comp_targetILNS1_3genE10ELNS1_11target_archE1200ELNS1_3gpuE4ELNS1_3repE0EEENS1_30default_config_static_selectorELNS0_4arch9wavefront6targetE1EEEvSK_.private_seg_size, 0
	.set _ZN7rocprim17ROCPRIM_400000_NS6detail17trampoline_kernelINS0_14default_configENS1_22reduce_config_selectorIN6thrust23THRUST_200600_302600_NS5tupleIblNS6_9null_typeES8_S8_S8_S8_S8_S8_S8_EEEEZNS1_11reduce_implILb1ES3_PS9_SC_S9_NS6_11hip_rocprim9__find_if7functorIS9_EEEE10hipError_tPvRmT1_T2_T3_mT4_P12ihipStream_tbEUlT_E1_NS1_11comp_targetILNS1_3genE10ELNS1_11target_archE1200ELNS1_3gpuE4ELNS1_3repE0EEENS1_30default_config_static_selectorELNS0_4arch9wavefront6targetE1EEEvSK_.uses_vcc, 0
	.set _ZN7rocprim17ROCPRIM_400000_NS6detail17trampoline_kernelINS0_14default_configENS1_22reduce_config_selectorIN6thrust23THRUST_200600_302600_NS5tupleIblNS6_9null_typeES8_S8_S8_S8_S8_S8_S8_EEEEZNS1_11reduce_implILb1ES3_PS9_SC_S9_NS6_11hip_rocprim9__find_if7functorIS9_EEEE10hipError_tPvRmT1_T2_T3_mT4_P12ihipStream_tbEUlT_E1_NS1_11comp_targetILNS1_3genE10ELNS1_11target_archE1200ELNS1_3gpuE4ELNS1_3repE0EEENS1_30default_config_static_selectorELNS0_4arch9wavefront6targetE1EEEvSK_.uses_flat_scratch, 0
	.set _ZN7rocprim17ROCPRIM_400000_NS6detail17trampoline_kernelINS0_14default_configENS1_22reduce_config_selectorIN6thrust23THRUST_200600_302600_NS5tupleIblNS6_9null_typeES8_S8_S8_S8_S8_S8_S8_EEEEZNS1_11reduce_implILb1ES3_PS9_SC_S9_NS6_11hip_rocprim9__find_if7functorIS9_EEEE10hipError_tPvRmT1_T2_T3_mT4_P12ihipStream_tbEUlT_E1_NS1_11comp_targetILNS1_3genE10ELNS1_11target_archE1200ELNS1_3gpuE4ELNS1_3repE0EEENS1_30default_config_static_selectorELNS0_4arch9wavefront6targetE1EEEvSK_.has_dyn_sized_stack, 0
	.set _ZN7rocprim17ROCPRIM_400000_NS6detail17trampoline_kernelINS0_14default_configENS1_22reduce_config_selectorIN6thrust23THRUST_200600_302600_NS5tupleIblNS6_9null_typeES8_S8_S8_S8_S8_S8_S8_EEEEZNS1_11reduce_implILb1ES3_PS9_SC_S9_NS6_11hip_rocprim9__find_if7functorIS9_EEEE10hipError_tPvRmT1_T2_T3_mT4_P12ihipStream_tbEUlT_E1_NS1_11comp_targetILNS1_3genE10ELNS1_11target_archE1200ELNS1_3gpuE4ELNS1_3repE0EEENS1_30default_config_static_selectorELNS0_4arch9wavefront6targetE1EEEvSK_.has_recursion, 0
	.set _ZN7rocprim17ROCPRIM_400000_NS6detail17trampoline_kernelINS0_14default_configENS1_22reduce_config_selectorIN6thrust23THRUST_200600_302600_NS5tupleIblNS6_9null_typeES8_S8_S8_S8_S8_S8_S8_EEEEZNS1_11reduce_implILb1ES3_PS9_SC_S9_NS6_11hip_rocprim9__find_if7functorIS9_EEEE10hipError_tPvRmT1_T2_T3_mT4_P12ihipStream_tbEUlT_E1_NS1_11comp_targetILNS1_3genE10ELNS1_11target_archE1200ELNS1_3gpuE4ELNS1_3repE0EEENS1_30default_config_static_selectorELNS0_4arch9wavefront6targetE1EEEvSK_.has_indirect_call, 0
	.section	.AMDGPU.csdata,"",@progbits
; Kernel info:
; codeLenInByte = 0
; TotalNumSgprs: 4
; NumVgprs: 0
; ScratchSize: 0
; MemoryBound: 0
; FloatMode: 240
; IeeeMode: 1
; LDSByteSize: 0 bytes/workgroup (compile time only)
; SGPRBlocks: 0
; VGPRBlocks: 0
; NumSGPRsForWavesPerEU: 4
; NumVGPRsForWavesPerEU: 1
; Occupancy: 10
; WaveLimiterHint : 0
; COMPUTE_PGM_RSRC2:SCRATCH_EN: 0
; COMPUTE_PGM_RSRC2:USER_SGPR: 6
; COMPUTE_PGM_RSRC2:TRAP_HANDLER: 0
; COMPUTE_PGM_RSRC2:TGID_X_EN: 1
; COMPUTE_PGM_RSRC2:TGID_Y_EN: 0
; COMPUTE_PGM_RSRC2:TGID_Z_EN: 0
; COMPUTE_PGM_RSRC2:TIDIG_COMP_CNT: 0
	.section	.text._ZN7rocprim17ROCPRIM_400000_NS6detail17trampoline_kernelINS0_14default_configENS1_22reduce_config_selectorIN6thrust23THRUST_200600_302600_NS5tupleIblNS6_9null_typeES8_S8_S8_S8_S8_S8_S8_EEEEZNS1_11reduce_implILb1ES3_PS9_SC_S9_NS6_11hip_rocprim9__find_if7functorIS9_EEEE10hipError_tPvRmT1_T2_T3_mT4_P12ihipStream_tbEUlT_E1_NS1_11comp_targetILNS1_3genE9ELNS1_11target_archE1100ELNS1_3gpuE3ELNS1_3repE0EEENS1_30default_config_static_selectorELNS0_4arch9wavefront6targetE1EEEvSK_,"axG",@progbits,_ZN7rocprim17ROCPRIM_400000_NS6detail17trampoline_kernelINS0_14default_configENS1_22reduce_config_selectorIN6thrust23THRUST_200600_302600_NS5tupleIblNS6_9null_typeES8_S8_S8_S8_S8_S8_S8_EEEEZNS1_11reduce_implILb1ES3_PS9_SC_S9_NS6_11hip_rocprim9__find_if7functorIS9_EEEE10hipError_tPvRmT1_T2_T3_mT4_P12ihipStream_tbEUlT_E1_NS1_11comp_targetILNS1_3genE9ELNS1_11target_archE1100ELNS1_3gpuE3ELNS1_3repE0EEENS1_30default_config_static_selectorELNS0_4arch9wavefront6targetE1EEEvSK_,comdat
	.protected	_ZN7rocprim17ROCPRIM_400000_NS6detail17trampoline_kernelINS0_14default_configENS1_22reduce_config_selectorIN6thrust23THRUST_200600_302600_NS5tupleIblNS6_9null_typeES8_S8_S8_S8_S8_S8_S8_EEEEZNS1_11reduce_implILb1ES3_PS9_SC_S9_NS6_11hip_rocprim9__find_if7functorIS9_EEEE10hipError_tPvRmT1_T2_T3_mT4_P12ihipStream_tbEUlT_E1_NS1_11comp_targetILNS1_3genE9ELNS1_11target_archE1100ELNS1_3gpuE3ELNS1_3repE0EEENS1_30default_config_static_selectorELNS0_4arch9wavefront6targetE1EEEvSK_ ; -- Begin function _ZN7rocprim17ROCPRIM_400000_NS6detail17trampoline_kernelINS0_14default_configENS1_22reduce_config_selectorIN6thrust23THRUST_200600_302600_NS5tupleIblNS6_9null_typeES8_S8_S8_S8_S8_S8_S8_EEEEZNS1_11reduce_implILb1ES3_PS9_SC_S9_NS6_11hip_rocprim9__find_if7functorIS9_EEEE10hipError_tPvRmT1_T2_T3_mT4_P12ihipStream_tbEUlT_E1_NS1_11comp_targetILNS1_3genE9ELNS1_11target_archE1100ELNS1_3gpuE3ELNS1_3repE0EEENS1_30default_config_static_selectorELNS0_4arch9wavefront6targetE1EEEvSK_
	.globl	_ZN7rocprim17ROCPRIM_400000_NS6detail17trampoline_kernelINS0_14default_configENS1_22reduce_config_selectorIN6thrust23THRUST_200600_302600_NS5tupleIblNS6_9null_typeES8_S8_S8_S8_S8_S8_S8_EEEEZNS1_11reduce_implILb1ES3_PS9_SC_S9_NS6_11hip_rocprim9__find_if7functorIS9_EEEE10hipError_tPvRmT1_T2_T3_mT4_P12ihipStream_tbEUlT_E1_NS1_11comp_targetILNS1_3genE9ELNS1_11target_archE1100ELNS1_3gpuE3ELNS1_3repE0EEENS1_30default_config_static_selectorELNS0_4arch9wavefront6targetE1EEEvSK_
	.p2align	8
	.type	_ZN7rocprim17ROCPRIM_400000_NS6detail17trampoline_kernelINS0_14default_configENS1_22reduce_config_selectorIN6thrust23THRUST_200600_302600_NS5tupleIblNS6_9null_typeES8_S8_S8_S8_S8_S8_S8_EEEEZNS1_11reduce_implILb1ES3_PS9_SC_S9_NS6_11hip_rocprim9__find_if7functorIS9_EEEE10hipError_tPvRmT1_T2_T3_mT4_P12ihipStream_tbEUlT_E1_NS1_11comp_targetILNS1_3genE9ELNS1_11target_archE1100ELNS1_3gpuE3ELNS1_3repE0EEENS1_30default_config_static_selectorELNS0_4arch9wavefront6targetE1EEEvSK_,@function
_ZN7rocprim17ROCPRIM_400000_NS6detail17trampoline_kernelINS0_14default_configENS1_22reduce_config_selectorIN6thrust23THRUST_200600_302600_NS5tupleIblNS6_9null_typeES8_S8_S8_S8_S8_S8_S8_EEEEZNS1_11reduce_implILb1ES3_PS9_SC_S9_NS6_11hip_rocprim9__find_if7functorIS9_EEEE10hipError_tPvRmT1_T2_T3_mT4_P12ihipStream_tbEUlT_E1_NS1_11comp_targetILNS1_3genE9ELNS1_11target_archE1100ELNS1_3gpuE3ELNS1_3repE0EEENS1_30default_config_static_selectorELNS0_4arch9wavefront6targetE1EEEvSK_: ; @_ZN7rocprim17ROCPRIM_400000_NS6detail17trampoline_kernelINS0_14default_configENS1_22reduce_config_selectorIN6thrust23THRUST_200600_302600_NS5tupleIblNS6_9null_typeES8_S8_S8_S8_S8_S8_S8_EEEEZNS1_11reduce_implILb1ES3_PS9_SC_S9_NS6_11hip_rocprim9__find_if7functorIS9_EEEE10hipError_tPvRmT1_T2_T3_mT4_P12ihipStream_tbEUlT_E1_NS1_11comp_targetILNS1_3genE9ELNS1_11target_archE1100ELNS1_3gpuE3ELNS1_3repE0EEENS1_30default_config_static_selectorELNS0_4arch9wavefront6targetE1EEEvSK_
; %bb.0:
	.section	.rodata,"a",@progbits
	.p2align	6, 0x0
	.amdhsa_kernel _ZN7rocprim17ROCPRIM_400000_NS6detail17trampoline_kernelINS0_14default_configENS1_22reduce_config_selectorIN6thrust23THRUST_200600_302600_NS5tupleIblNS6_9null_typeES8_S8_S8_S8_S8_S8_S8_EEEEZNS1_11reduce_implILb1ES3_PS9_SC_S9_NS6_11hip_rocprim9__find_if7functorIS9_EEEE10hipError_tPvRmT1_T2_T3_mT4_P12ihipStream_tbEUlT_E1_NS1_11comp_targetILNS1_3genE9ELNS1_11target_archE1100ELNS1_3gpuE3ELNS1_3repE0EEENS1_30default_config_static_selectorELNS0_4arch9wavefront6targetE1EEEvSK_
		.amdhsa_group_segment_fixed_size 0
		.amdhsa_private_segment_fixed_size 0
		.amdhsa_kernarg_size 56
		.amdhsa_user_sgpr_count 6
		.amdhsa_user_sgpr_private_segment_buffer 1
		.amdhsa_user_sgpr_dispatch_ptr 0
		.amdhsa_user_sgpr_queue_ptr 0
		.amdhsa_user_sgpr_kernarg_segment_ptr 1
		.amdhsa_user_sgpr_dispatch_id 0
		.amdhsa_user_sgpr_flat_scratch_init 0
		.amdhsa_user_sgpr_private_segment_size 0
		.amdhsa_uses_dynamic_stack 0
		.amdhsa_system_sgpr_private_segment_wavefront_offset 0
		.amdhsa_system_sgpr_workgroup_id_x 1
		.amdhsa_system_sgpr_workgroup_id_y 0
		.amdhsa_system_sgpr_workgroup_id_z 0
		.amdhsa_system_sgpr_workgroup_info 0
		.amdhsa_system_vgpr_workitem_id 0
		.amdhsa_next_free_vgpr 1
		.amdhsa_next_free_sgpr 0
		.amdhsa_reserve_vcc 0
		.amdhsa_reserve_flat_scratch 0
		.amdhsa_float_round_mode_32 0
		.amdhsa_float_round_mode_16_64 0
		.amdhsa_float_denorm_mode_32 3
		.amdhsa_float_denorm_mode_16_64 3
		.amdhsa_dx10_clamp 1
		.amdhsa_ieee_mode 1
		.amdhsa_fp16_overflow 0
		.amdhsa_exception_fp_ieee_invalid_op 0
		.amdhsa_exception_fp_denorm_src 0
		.amdhsa_exception_fp_ieee_div_zero 0
		.amdhsa_exception_fp_ieee_overflow 0
		.amdhsa_exception_fp_ieee_underflow 0
		.amdhsa_exception_fp_ieee_inexact 0
		.amdhsa_exception_int_div_zero 0
	.end_amdhsa_kernel
	.section	.text._ZN7rocprim17ROCPRIM_400000_NS6detail17trampoline_kernelINS0_14default_configENS1_22reduce_config_selectorIN6thrust23THRUST_200600_302600_NS5tupleIblNS6_9null_typeES8_S8_S8_S8_S8_S8_S8_EEEEZNS1_11reduce_implILb1ES3_PS9_SC_S9_NS6_11hip_rocprim9__find_if7functorIS9_EEEE10hipError_tPvRmT1_T2_T3_mT4_P12ihipStream_tbEUlT_E1_NS1_11comp_targetILNS1_3genE9ELNS1_11target_archE1100ELNS1_3gpuE3ELNS1_3repE0EEENS1_30default_config_static_selectorELNS0_4arch9wavefront6targetE1EEEvSK_,"axG",@progbits,_ZN7rocprim17ROCPRIM_400000_NS6detail17trampoline_kernelINS0_14default_configENS1_22reduce_config_selectorIN6thrust23THRUST_200600_302600_NS5tupleIblNS6_9null_typeES8_S8_S8_S8_S8_S8_S8_EEEEZNS1_11reduce_implILb1ES3_PS9_SC_S9_NS6_11hip_rocprim9__find_if7functorIS9_EEEE10hipError_tPvRmT1_T2_T3_mT4_P12ihipStream_tbEUlT_E1_NS1_11comp_targetILNS1_3genE9ELNS1_11target_archE1100ELNS1_3gpuE3ELNS1_3repE0EEENS1_30default_config_static_selectorELNS0_4arch9wavefront6targetE1EEEvSK_,comdat
.Lfunc_end424:
	.size	_ZN7rocprim17ROCPRIM_400000_NS6detail17trampoline_kernelINS0_14default_configENS1_22reduce_config_selectorIN6thrust23THRUST_200600_302600_NS5tupleIblNS6_9null_typeES8_S8_S8_S8_S8_S8_S8_EEEEZNS1_11reduce_implILb1ES3_PS9_SC_S9_NS6_11hip_rocprim9__find_if7functorIS9_EEEE10hipError_tPvRmT1_T2_T3_mT4_P12ihipStream_tbEUlT_E1_NS1_11comp_targetILNS1_3genE9ELNS1_11target_archE1100ELNS1_3gpuE3ELNS1_3repE0EEENS1_30default_config_static_selectorELNS0_4arch9wavefront6targetE1EEEvSK_, .Lfunc_end424-_ZN7rocprim17ROCPRIM_400000_NS6detail17trampoline_kernelINS0_14default_configENS1_22reduce_config_selectorIN6thrust23THRUST_200600_302600_NS5tupleIblNS6_9null_typeES8_S8_S8_S8_S8_S8_S8_EEEEZNS1_11reduce_implILb1ES3_PS9_SC_S9_NS6_11hip_rocprim9__find_if7functorIS9_EEEE10hipError_tPvRmT1_T2_T3_mT4_P12ihipStream_tbEUlT_E1_NS1_11comp_targetILNS1_3genE9ELNS1_11target_archE1100ELNS1_3gpuE3ELNS1_3repE0EEENS1_30default_config_static_selectorELNS0_4arch9wavefront6targetE1EEEvSK_
                                        ; -- End function
	.set _ZN7rocprim17ROCPRIM_400000_NS6detail17trampoline_kernelINS0_14default_configENS1_22reduce_config_selectorIN6thrust23THRUST_200600_302600_NS5tupleIblNS6_9null_typeES8_S8_S8_S8_S8_S8_S8_EEEEZNS1_11reduce_implILb1ES3_PS9_SC_S9_NS6_11hip_rocprim9__find_if7functorIS9_EEEE10hipError_tPvRmT1_T2_T3_mT4_P12ihipStream_tbEUlT_E1_NS1_11comp_targetILNS1_3genE9ELNS1_11target_archE1100ELNS1_3gpuE3ELNS1_3repE0EEENS1_30default_config_static_selectorELNS0_4arch9wavefront6targetE1EEEvSK_.num_vgpr, 0
	.set _ZN7rocprim17ROCPRIM_400000_NS6detail17trampoline_kernelINS0_14default_configENS1_22reduce_config_selectorIN6thrust23THRUST_200600_302600_NS5tupleIblNS6_9null_typeES8_S8_S8_S8_S8_S8_S8_EEEEZNS1_11reduce_implILb1ES3_PS9_SC_S9_NS6_11hip_rocprim9__find_if7functorIS9_EEEE10hipError_tPvRmT1_T2_T3_mT4_P12ihipStream_tbEUlT_E1_NS1_11comp_targetILNS1_3genE9ELNS1_11target_archE1100ELNS1_3gpuE3ELNS1_3repE0EEENS1_30default_config_static_selectorELNS0_4arch9wavefront6targetE1EEEvSK_.num_agpr, 0
	.set _ZN7rocprim17ROCPRIM_400000_NS6detail17trampoline_kernelINS0_14default_configENS1_22reduce_config_selectorIN6thrust23THRUST_200600_302600_NS5tupleIblNS6_9null_typeES8_S8_S8_S8_S8_S8_S8_EEEEZNS1_11reduce_implILb1ES3_PS9_SC_S9_NS6_11hip_rocprim9__find_if7functorIS9_EEEE10hipError_tPvRmT1_T2_T3_mT4_P12ihipStream_tbEUlT_E1_NS1_11comp_targetILNS1_3genE9ELNS1_11target_archE1100ELNS1_3gpuE3ELNS1_3repE0EEENS1_30default_config_static_selectorELNS0_4arch9wavefront6targetE1EEEvSK_.numbered_sgpr, 0
	.set _ZN7rocprim17ROCPRIM_400000_NS6detail17trampoline_kernelINS0_14default_configENS1_22reduce_config_selectorIN6thrust23THRUST_200600_302600_NS5tupleIblNS6_9null_typeES8_S8_S8_S8_S8_S8_S8_EEEEZNS1_11reduce_implILb1ES3_PS9_SC_S9_NS6_11hip_rocprim9__find_if7functorIS9_EEEE10hipError_tPvRmT1_T2_T3_mT4_P12ihipStream_tbEUlT_E1_NS1_11comp_targetILNS1_3genE9ELNS1_11target_archE1100ELNS1_3gpuE3ELNS1_3repE0EEENS1_30default_config_static_selectorELNS0_4arch9wavefront6targetE1EEEvSK_.num_named_barrier, 0
	.set _ZN7rocprim17ROCPRIM_400000_NS6detail17trampoline_kernelINS0_14default_configENS1_22reduce_config_selectorIN6thrust23THRUST_200600_302600_NS5tupleIblNS6_9null_typeES8_S8_S8_S8_S8_S8_S8_EEEEZNS1_11reduce_implILb1ES3_PS9_SC_S9_NS6_11hip_rocprim9__find_if7functorIS9_EEEE10hipError_tPvRmT1_T2_T3_mT4_P12ihipStream_tbEUlT_E1_NS1_11comp_targetILNS1_3genE9ELNS1_11target_archE1100ELNS1_3gpuE3ELNS1_3repE0EEENS1_30default_config_static_selectorELNS0_4arch9wavefront6targetE1EEEvSK_.private_seg_size, 0
	.set _ZN7rocprim17ROCPRIM_400000_NS6detail17trampoline_kernelINS0_14default_configENS1_22reduce_config_selectorIN6thrust23THRUST_200600_302600_NS5tupleIblNS6_9null_typeES8_S8_S8_S8_S8_S8_S8_EEEEZNS1_11reduce_implILb1ES3_PS9_SC_S9_NS6_11hip_rocprim9__find_if7functorIS9_EEEE10hipError_tPvRmT1_T2_T3_mT4_P12ihipStream_tbEUlT_E1_NS1_11comp_targetILNS1_3genE9ELNS1_11target_archE1100ELNS1_3gpuE3ELNS1_3repE0EEENS1_30default_config_static_selectorELNS0_4arch9wavefront6targetE1EEEvSK_.uses_vcc, 0
	.set _ZN7rocprim17ROCPRIM_400000_NS6detail17trampoline_kernelINS0_14default_configENS1_22reduce_config_selectorIN6thrust23THRUST_200600_302600_NS5tupleIblNS6_9null_typeES8_S8_S8_S8_S8_S8_S8_EEEEZNS1_11reduce_implILb1ES3_PS9_SC_S9_NS6_11hip_rocprim9__find_if7functorIS9_EEEE10hipError_tPvRmT1_T2_T3_mT4_P12ihipStream_tbEUlT_E1_NS1_11comp_targetILNS1_3genE9ELNS1_11target_archE1100ELNS1_3gpuE3ELNS1_3repE0EEENS1_30default_config_static_selectorELNS0_4arch9wavefront6targetE1EEEvSK_.uses_flat_scratch, 0
	.set _ZN7rocprim17ROCPRIM_400000_NS6detail17trampoline_kernelINS0_14default_configENS1_22reduce_config_selectorIN6thrust23THRUST_200600_302600_NS5tupleIblNS6_9null_typeES8_S8_S8_S8_S8_S8_S8_EEEEZNS1_11reduce_implILb1ES3_PS9_SC_S9_NS6_11hip_rocprim9__find_if7functorIS9_EEEE10hipError_tPvRmT1_T2_T3_mT4_P12ihipStream_tbEUlT_E1_NS1_11comp_targetILNS1_3genE9ELNS1_11target_archE1100ELNS1_3gpuE3ELNS1_3repE0EEENS1_30default_config_static_selectorELNS0_4arch9wavefront6targetE1EEEvSK_.has_dyn_sized_stack, 0
	.set _ZN7rocprim17ROCPRIM_400000_NS6detail17trampoline_kernelINS0_14default_configENS1_22reduce_config_selectorIN6thrust23THRUST_200600_302600_NS5tupleIblNS6_9null_typeES8_S8_S8_S8_S8_S8_S8_EEEEZNS1_11reduce_implILb1ES3_PS9_SC_S9_NS6_11hip_rocprim9__find_if7functorIS9_EEEE10hipError_tPvRmT1_T2_T3_mT4_P12ihipStream_tbEUlT_E1_NS1_11comp_targetILNS1_3genE9ELNS1_11target_archE1100ELNS1_3gpuE3ELNS1_3repE0EEENS1_30default_config_static_selectorELNS0_4arch9wavefront6targetE1EEEvSK_.has_recursion, 0
	.set _ZN7rocprim17ROCPRIM_400000_NS6detail17trampoline_kernelINS0_14default_configENS1_22reduce_config_selectorIN6thrust23THRUST_200600_302600_NS5tupleIblNS6_9null_typeES8_S8_S8_S8_S8_S8_S8_EEEEZNS1_11reduce_implILb1ES3_PS9_SC_S9_NS6_11hip_rocprim9__find_if7functorIS9_EEEE10hipError_tPvRmT1_T2_T3_mT4_P12ihipStream_tbEUlT_E1_NS1_11comp_targetILNS1_3genE9ELNS1_11target_archE1100ELNS1_3gpuE3ELNS1_3repE0EEENS1_30default_config_static_selectorELNS0_4arch9wavefront6targetE1EEEvSK_.has_indirect_call, 0
	.section	.AMDGPU.csdata,"",@progbits
; Kernel info:
; codeLenInByte = 0
; TotalNumSgprs: 4
; NumVgprs: 0
; ScratchSize: 0
; MemoryBound: 0
; FloatMode: 240
; IeeeMode: 1
; LDSByteSize: 0 bytes/workgroup (compile time only)
; SGPRBlocks: 0
; VGPRBlocks: 0
; NumSGPRsForWavesPerEU: 4
; NumVGPRsForWavesPerEU: 1
; Occupancy: 10
; WaveLimiterHint : 0
; COMPUTE_PGM_RSRC2:SCRATCH_EN: 0
; COMPUTE_PGM_RSRC2:USER_SGPR: 6
; COMPUTE_PGM_RSRC2:TRAP_HANDLER: 0
; COMPUTE_PGM_RSRC2:TGID_X_EN: 1
; COMPUTE_PGM_RSRC2:TGID_Y_EN: 0
; COMPUTE_PGM_RSRC2:TGID_Z_EN: 0
; COMPUTE_PGM_RSRC2:TIDIG_COMP_CNT: 0
	.section	.text._ZN7rocprim17ROCPRIM_400000_NS6detail17trampoline_kernelINS0_14default_configENS1_22reduce_config_selectorIN6thrust23THRUST_200600_302600_NS5tupleIblNS6_9null_typeES8_S8_S8_S8_S8_S8_S8_EEEEZNS1_11reduce_implILb1ES3_PS9_SC_S9_NS6_11hip_rocprim9__find_if7functorIS9_EEEE10hipError_tPvRmT1_T2_T3_mT4_P12ihipStream_tbEUlT_E1_NS1_11comp_targetILNS1_3genE8ELNS1_11target_archE1030ELNS1_3gpuE2ELNS1_3repE0EEENS1_30default_config_static_selectorELNS0_4arch9wavefront6targetE1EEEvSK_,"axG",@progbits,_ZN7rocprim17ROCPRIM_400000_NS6detail17trampoline_kernelINS0_14default_configENS1_22reduce_config_selectorIN6thrust23THRUST_200600_302600_NS5tupleIblNS6_9null_typeES8_S8_S8_S8_S8_S8_S8_EEEEZNS1_11reduce_implILb1ES3_PS9_SC_S9_NS6_11hip_rocprim9__find_if7functorIS9_EEEE10hipError_tPvRmT1_T2_T3_mT4_P12ihipStream_tbEUlT_E1_NS1_11comp_targetILNS1_3genE8ELNS1_11target_archE1030ELNS1_3gpuE2ELNS1_3repE0EEENS1_30default_config_static_selectorELNS0_4arch9wavefront6targetE1EEEvSK_,comdat
	.protected	_ZN7rocprim17ROCPRIM_400000_NS6detail17trampoline_kernelINS0_14default_configENS1_22reduce_config_selectorIN6thrust23THRUST_200600_302600_NS5tupleIblNS6_9null_typeES8_S8_S8_S8_S8_S8_S8_EEEEZNS1_11reduce_implILb1ES3_PS9_SC_S9_NS6_11hip_rocprim9__find_if7functorIS9_EEEE10hipError_tPvRmT1_T2_T3_mT4_P12ihipStream_tbEUlT_E1_NS1_11comp_targetILNS1_3genE8ELNS1_11target_archE1030ELNS1_3gpuE2ELNS1_3repE0EEENS1_30default_config_static_selectorELNS0_4arch9wavefront6targetE1EEEvSK_ ; -- Begin function _ZN7rocprim17ROCPRIM_400000_NS6detail17trampoline_kernelINS0_14default_configENS1_22reduce_config_selectorIN6thrust23THRUST_200600_302600_NS5tupleIblNS6_9null_typeES8_S8_S8_S8_S8_S8_S8_EEEEZNS1_11reduce_implILb1ES3_PS9_SC_S9_NS6_11hip_rocprim9__find_if7functorIS9_EEEE10hipError_tPvRmT1_T2_T3_mT4_P12ihipStream_tbEUlT_E1_NS1_11comp_targetILNS1_3genE8ELNS1_11target_archE1030ELNS1_3gpuE2ELNS1_3repE0EEENS1_30default_config_static_selectorELNS0_4arch9wavefront6targetE1EEEvSK_
	.globl	_ZN7rocprim17ROCPRIM_400000_NS6detail17trampoline_kernelINS0_14default_configENS1_22reduce_config_selectorIN6thrust23THRUST_200600_302600_NS5tupleIblNS6_9null_typeES8_S8_S8_S8_S8_S8_S8_EEEEZNS1_11reduce_implILb1ES3_PS9_SC_S9_NS6_11hip_rocprim9__find_if7functorIS9_EEEE10hipError_tPvRmT1_T2_T3_mT4_P12ihipStream_tbEUlT_E1_NS1_11comp_targetILNS1_3genE8ELNS1_11target_archE1030ELNS1_3gpuE2ELNS1_3repE0EEENS1_30default_config_static_selectorELNS0_4arch9wavefront6targetE1EEEvSK_
	.p2align	8
	.type	_ZN7rocprim17ROCPRIM_400000_NS6detail17trampoline_kernelINS0_14default_configENS1_22reduce_config_selectorIN6thrust23THRUST_200600_302600_NS5tupleIblNS6_9null_typeES8_S8_S8_S8_S8_S8_S8_EEEEZNS1_11reduce_implILb1ES3_PS9_SC_S9_NS6_11hip_rocprim9__find_if7functorIS9_EEEE10hipError_tPvRmT1_T2_T3_mT4_P12ihipStream_tbEUlT_E1_NS1_11comp_targetILNS1_3genE8ELNS1_11target_archE1030ELNS1_3gpuE2ELNS1_3repE0EEENS1_30default_config_static_selectorELNS0_4arch9wavefront6targetE1EEEvSK_,@function
_ZN7rocprim17ROCPRIM_400000_NS6detail17trampoline_kernelINS0_14default_configENS1_22reduce_config_selectorIN6thrust23THRUST_200600_302600_NS5tupleIblNS6_9null_typeES8_S8_S8_S8_S8_S8_S8_EEEEZNS1_11reduce_implILb1ES3_PS9_SC_S9_NS6_11hip_rocprim9__find_if7functorIS9_EEEE10hipError_tPvRmT1_T2_T3_mT4_P12ihipStream_tbEUlT_E1_NS1_11comp_targetILNS1_3genE8ELNS1_11target_archE1030ELNS1_3gpuE2ELNS1_3repE0EEENS1_30default_config_static_selectorELNS0_4arch9wavefront6targetE1EEEvSK_: ; @_ZN7rocprim17ROCPRIM_400000_NS6detail17trampoline_kernelINS0_14default_configENS1_22reduce_config_selectorIN6thrust23THRUST_200600_302600_NS5tupleIblNS6_9null_typeES8_S8_S8_S8_S8_S8_S8_EEEEZNS1_11reduce_implILb1ES3_PS9_SC_S9_NS6_11hip_rocprim9__find_if7functorIS9_EEEE10hipError_tPvRmT1_T2_T3_mT4_P12ihipStream_tbEUlT_E1_NS1_11comp_targetILNS1_3genE8ELNS1_11target_archE1030ELNS1_3gpuE2ELNS1_3repE0EEENS1_30default_config_static_selectorELNS0_4arch9wavefront6targetE1EEEvSK_
; %bb.0:
	.section	.rodata,"a",@progbits
	.p2align	6, 0x0
	.amdhsa_kernel _ZN7rocprim17ROCPRIM_400000_NS6detail17trampoline_kernelINS0_14default_configENS1_22reduce_config_selectorIN6thrust23THRUST_200600_302600_NS5tupleIblNS6_9null_typeES8_S8_S8_S8_S8_S8_S8_EEEEZNS1_11reduce_implILb1ES3_PS9_SC_S9_NS6_11hip_rocprim9__find_if7functorIS9_EEEE10hipError_tPvRmT1_T2_T3_mT4_P12ihipStream_tbEUlT_E1_NS1_11comp_targetILNS1_3genE8ELNS1_11target_archE1030ELNS1_3gpuE2ELNS1_3repE0EEENS1_30default_config_static_selectorELNS0_4arch9wavefront6targetE1EEEvSK_
		.amdhsa_group_segment_fixed_size 0
		.amdhsa_private_segment_fixed_size 0
		.amdhsa_kernarg_size 56
		.amdhsa_user_sgpr_count 6
		.amdhsa_user_sgpr_private_segment_buffer 1
		.amdhsa_user_sgpr_dispatch_ptr 0
		.amdhsa_user_sgpr_queue_ptr 0
		.amdhsa_user_sgpr_kernarg_segment_ptr 1
		.amdhsa_user_sgpr_dispatch_id 0
		.amdhsa_user_sgpr_flat_scratch_init 0
		.amdhsa_user_sgpr_private_segment_size 0
		.amdhsa_uses_dynamic_stack 0
		.amdhsa_system_sgpr_private_segment_wavefront_offset 0
		.amdhsa_system_sgpr_workgroup_id_x 1
		.amdhsa_system_sgpr_workgroup_id_y 0
		.amdhsa_system_sgpr_workgroup_id_z 0
		.amdhsa_system_sgpr_workgroup_info 0
		.amdhsa_system_vgpr_workitem_id 0
		.amdhsa_next_free_vgpr 1
		.amdhsa_next_free_sgpr 0
		.amdhsa_reserve_vcc 0
		.amdhsa_reserve_flat_scratch 0
		.amdhsa_float_round_mode_32 0
		.amdhsa_float_round_mode_16_64 0
		.amdhsa_float_denorm_mode_32 3
		.amdhsa_float_denorm_mode_16_64 3
		.amdhsa_dx10_clamp 1
		.amdhsa_ieee_mode 1
		.amdhsa_fp16_overflow 0
		.amdhsa_exception_fp_ieee_invalid_op 0
		.amdhsa_exception_fp_denorm_src 0
		.amdhsa_exception_fp_ieee_div_zero 0
		.amdhsa_exception_fp_ieee_overflow 0
		.amdhsa_exception_fp_ieee_underflow 0
		.amdhsa_exception_fp_ieee_inexact 0
		.amdhsa_exception_int_div_zero 0
	.end_amdhsa_kernel
	.section	.text._ZN7rocprim17ROCPRIM_400000_NS6detail17trampoline_kernelINS0_14default_configENS1_22reduce_config_selectorIN6thrust23THRUST_200600_302600_NS5tupleIblNS6_9null_typeES8_S8_S8_S8_S8_S8_S8_EEEEZNS1_11reduce_implILb1ES3_PS9_SC_S9_NS6_11hip_rocprim9__find_if7functorIS9_EEEE10hipError_tPvRmT1_T2_T3_mT4_P12ihipStream_tbEUlT_E1_NS1_11comp_targetILNS1_3genE8ELNS1_11target_archE1030ELNS1_3gpuE2ELNS1_3repE0EEENS1_30default_config_static_selectorELNS0_4arch9wavefront6targetE1EEEvSK_,"axG",@progbits,_ZN7rocprim17ROCPRIM_400000_NS6detail17trampoline_kernelINS0_14default_configENS1_22reduce_config_selectorIN6thrust23THRUST_200600_302600_NS5tupleIblNS6_9null_typeES8_S8_S8_S8_S8_S8_S8_EEEEZNS1_11reduce_implILb1ES3_PS9_SC_S9_NS6_11hip_rocprim9__find_if7functorIS9_EEEE10hipError_tPvRmT1_T2_T3_mT4_P12ihipStream_tbEUlT_E1_NS1_11comp_targetILNS1_3genE8ELNS1_11target_archE1030ELNS1_3gpuE2ELNS1_3repE0EEENS1_30default_config_static_selectorELNS0_4arch9wavefront6targetE1EEEvSK_,comdat
.Lfunc_end425:
	.size	_ZN7rocprim17ROCPRIM_400000_NS6detail17trampoline_kernelINS0_14default_configENS1_22reduce_config_selectorIN6thrust23THRUST_200600_302600_NS5tupleIblNS6_9null_typeES8_S8_S8_S8_S8_S8_S8_EEEEZNS1_11reduce_implILb1ES3_PS9_SC_S9_NS6_11hip_rocprim9__find_if7functorIS9_EEEE10hipError_tPvRmT1_T2_T3_mT4_P12ihipStream_tbEUlT_E1_NS1_11comp_targetILNS1_3genE8ELNS1_11target_archE1030ELNS1_3gpuE2ELNS1_3repE0EEENS1_30default_config_static_selectorELNS0_4arch9wavefront6targetE1EEEvSK_, .Lfunc_end425-_ZN7rocprim17ROCPRIM_400000_NS6detail17trampoline_kernelINS0_14default_configENS1_22reduce_config_selectorIN6thrust23THRUST_200600_302600_NS5tupleIblNS6_9null_typeES8_S8_S8_S8_S8_S8_S8_EEEEZNS1_11reduce_implILb1ES3_PS9_SC_S9_NS6_11hip_rocprim9__find_if7functorIS9_EEEE10hipError_tPvRmT1_T2_T3_mT4_P12ihipStream_tbEUlT_E1_NS1_11comp_targetILNS1_3genE8ELNS1_11target_archE1030ELNS1_3gpuE2ELNS1_3repE0EEENS1_30default_config_static_selectorELNS0_4arch9wavefront6targetE1EEEvSK_
                                        ; -- End function
	.set _ZN7rocprim17ROCPRIM_400000_NS6detail17trampoline_kernelINS0_14default_configENS1_22reduce_config_selectorIN6thrust23THRUST_200600_302600_NS5tupleIblNS6_9null_typeES8_S8_S8_S8_S8_S8_S8_EEEEZNS1_11reduce_implILb1ES3_PS9_SC_S9_NS6_11hip_rocprim9__find_if7functorIS9_EEEE10hipError_tPvRmT1_T2_T3_mT4_P12ihipStream_tbEUlT_E1_NS1_11comp_targetILNS1_3genE8ELNS1_11target_archE1030ELNS1_3gpuE2ELNS1_3repE0EEENS1_30default_config_static_selectorELNS0_4arch9wavefront6targetE1EEEvSK_.num_vgpr, 0
	.set _ZN7rocprim17ROCPRIM_400000_NS6detail17trampoline_kernelINS0_14default_configENS1_22reduce_config_selectorIN6thrust23THRUST_200600_302600_NS5tupleIblNS6_9null_typeES8_S8_S8_S8_S8_S8_S8_EEEEZNS1_11reduce_implILb1ES3_PS9_SC_S9_NS6_11hip_rocprim9__find_if7functorIS9_EEEE10hipError_tPvRmT1_T2_T3_mT4_P12ihipStream_tbEUlT_E1_NS1_11comp_targetILNS1_3genE8ELNS1_11target_archE1030ELNS1_3gpuE2ELNS1_3repE0EEENS1_30default_config_static_selectorELNS0_4arch9wavefront6targetE1EEEvSK_.num_agpr, 0
	.set _ZN7rocprim17ROCPRIM_400000_NS6detail17trampoline_kernelINS0_14default_configENS1_22reduce_config_selectorIN6thrust23THRUST_200600_302600_NS5tupleIblNS6_9null_typeES8_S8_S8_S8_S8_S8_S8_EEEEZNS1_11reduce_implILb1ES3_PS9_SC_S9_NS6_11hip_rocprim9__find_if7functorIS9_EEEE10hipError_tPvRmT1_T2_T3_mT4_P12ihipStream_tbEUlT_E1_NS1_11comp_targetILNS1_3genE8ELNS1_11target_archE1030ELNS1_3gpuE2ELNS1_3repE0EEENS1_30default_config_static_selectorELNS0_4arch9wavefront6targetE1EEEvSK_.numbered_sgpr, 0
	.set _ZN7rocprim17ROCPRIM_400000_NS6detail17trampoline_kernelINS0_14default_configENS1_22reduce_config_selectorIN6thrust23THRUST_200600_302600_NS5tupleIblNS6_9null_typeES8_S8_S8_S8_S8_S8_S8_EEEEZNS1_11reduce_implILb1ES3_PS9_SC_S9_NS6_11hip_rocprim9__find_if7functorIS9_EEEE10hipError_tPvRmT1_T2_T3_mT4_P12ihipStream_tbEUlT_E1_NS1_11comp_targetILNS1_3genE8ELNS1_11target_archE1030ELNS1_3gpuE2ELNS1_3repE0EEENS1_30default_config_static_selectorELNS0_4arch9wavefront6targetE1EEEvSK_.num_named_barrier, 0
	.set _ZN7rocprim17ROCPRIM_400000_NS6detail17trampoline_kernelINS0_14default_configENS1_22reduce_config_selectorIN6thrust23THRUST_200600_302600_NS5tupleIblNS6_9null_typeES8_S8_S8_S8_S8_S8_S8_EEEEZNS1_11reduce_implILb1ES3_PS9_SC_S9_NS6_11hip_rocprim9__find_if7functorIS9_EEEE10hipError_tPvRmT1_T2_T3_mT4_P12ihipStream_tbEUlT_E1_NS1_11comp_targetILNS1_3genE8ELNS1_11target_archE1030ELNS1_3gpuE2ELNS1_3repE0EEENS1_30default_config_static_selectorELNS0_4arch9wavefront6targetE1EEEvSK_.private_seg_size, 0
	.set _ZN7rocprim17ROCPRIM_400000_NS6detail17trampoline_kernelINS0_14default_configENS1_22reduce_config_selectorIN6thrust23THRUST_200600_302600_NS5tupleIblNS6_9null_typeES8_S8_S8_S8_S8_S8_S8_EEEEZNS1_11reduce_implILb1ES3_PS9_SC_S9_NS6_11hip_rocprim9__find_if7functorIS9_EEEE10hipError_tPvRmT1_T2_T3_mT4_P12ihipStream_tbEUlT_E1_NS1_11comp_targetILNS1_3genE8ELNS1_11target_archE1030ELNS1_3gpuE2ELNS1_3repE0EEENS1_30default_config_static_selectorELNS0_4arch9wavefront6targetE1EEEvSK_.uses_vcc, 0
	.set _ZN7rocprim17ROCPRIM_400000_NS6detail17trampoline_kernelINS0_14default_configENS1_22reduce_config_selectorIN6thrust23THRUST_200600_302600_NS5tupleIblNS6_9null_typeES8_S8_S8_S8_S8_S8_S8_EEEEZNS1_11reduce_implILb1ES3_PS9_SC_S9_NS6_11hip_rocprim9__find_if7functorIS9_EEEE10hipError_tPvRmT1_T2_T3_mT4_P12ihipStream_tbEUlT_E1_NS1_11comp_targetILNS1_3genE8ELNS1_11target_archE1030ELNS1_3gpuE2ELNS1_3repE0EEENS1_30default_config_static_selectorELNS0_4arch9wavefront6targetE1EEEvSK_.uses_flat_scratch, 0
	.set _ZN7rocprim17ROCPRIM_400000_NS6detail17trampoline_kernelINS0_14default_configENS1_22reduce_config_selectorIN6thrust23THRUST_200600_302600_NS5tupleIblNS6_9null_typeES8_S8_S8_S8_S8_S8_S8_EEEEZNS1_11reduce_implILb1ES3_PS9_SC_S9_NS6_11hip_rocprim9__find_if7functorIS9_EEEE10hipError_tPvRmT1_T2_T3_mT4_P12ihipStream_tbEUlT_E1_NS1_11comp_targetILNS1_3genE8ELNS1_11target_archE1030ELNS1_3gpuE2ELNS1_3repE0EEENS1_30default_config_static_selectorELNS0_4arch9wavefront6targetE1EEEvSK_.has_dyn_sized_stack, 0
	.set _ZN7rocprim17ROCPRIM_400000_NS6detail17trampoline_kernelINS0_14default_configENS1_22reduce_config_selectorIN6thrust23THRUST_200600_302600_NS5tupleIblNS6_9null_typeES8_S8_S8_S8_S8_S8_S8_EEEEZNS1_11reduce_implILb1ES3_PS9_SC_S9_NS6_11hip_rocprim9__find_if7functorIS9_EEEE10hipError_tPvRmT1_T2_T3_mT4_P12ihipStream_tbEUlT_E1_NS1_11comp_targetILNS1_3genE8ELNS1_11target_archE1030ELNS1_3gpuE2ELNS1_3repE0EEENS1_30default_config_static_selectorELNS0_4arch9wavefront6targetE1EEEvSK_.has_recursion, 0
	.set _ZN7rocprim17ROCPRIM_400000_NS6detail17trampoline_kernelINS0_14default_configENS1_22reduce_config_selectorIN6thrust23THRUST_200600_302600_NS5tupleIblNS6_9null_typeES8_S8_S8_S8_S8_S8_S8_EEEEZNS1_11reduce_implILb1ES3_PS9_SC_S9_NS6_11hip_rocprim9__find_if7functorIS9_EEEE10hipError_tPvRmT1_T2_T3_mT4_P12ihipStream_tbEUlT_E1_NS1_11comp_targetILNS1_3genE8ELNS1_11target_archE1030ELNS1_3gpuE2ELNS1_3repE0EEENS1_30default_config_static_selectorELNS0_4arch9wavefront6targetE1EEEvSK_.has_indirect_call, 0
	.section	.AMDGPU.csdata,"",@progbits
; Kernel info:
; codeLenInByte = 0
; TotalNumSgprs: 4
; NumVgprs: 0
; ScratchSize: 0
; MemoryBound: 0
; FloatMode: 240
; IeeeMode: 1
; LDSByteSize: 0 bytes/workgroup (compile time only)
; SGPRBlocks: 0
; VGPRBlocks: 0
; NumSGPRsForWavesPerEU: 4
; NumVGPRsForWavesPerEU: 1
; Occupancy: 10
; WaveLimiterHint : 0
; COMPUTE_PGM_RSRC2:SCRATCH_EN: 0
; COMPUTE_PGM_RSRC2:USER_SGPR: 6
; COMPUTE_PGM_RSRC2:TRAP_HANDLER: 0
; COMPUTE_PGM_RSRC2:TGID_X_EN: 1
; COMPUTE_PGM_RSRC2:TGID_Y_EN: 0
; COMPUTE_PGM_RSRC2:TGID_Z_EN: 0
; COMPUTE_PGM_RSRC2:TIDIG_COMP_CNT: 0
	.section	.text._ZN7rocprim17ROCPRIM_400000_NS6detail17trampoline_kernelINS0_14default_configENS1_22reduce_config_selectorIN6thrust23THRUST_200600_302600_NS5tupleIblNS6_9null_typeES8_S8_S8_S8_S8_S8_S8_EEEEZNS1_11reduce_implILb1ES3_NS6_12zip_iteratorINS7_INS6_11hip_rocprim26transform_input_iterator_tIbNSD_35transform_pair_of_input_iterators_tIbNS6_6detail15normal_iteratorINS6_10device_ptrIKdEEEESL_NS6_8equal_toIdEEEENSG_9not_fun_tINSD_8identityEEEEENSD_19counting_iterator_tIlEES8_S8_S8_S8_S8_S8_S8_S8_EEEEPS9_S9_NSD_9__find_if7functorIS9_EEEE10hipError_tPvRmT1_T2_T3_mT4_P12ihipStream_tbEUlT_E0_NS1_11comp_targetILNS1_3genE0ELNS1_11target_archE4294967295ELNS1_3gpuE0ELNS1_3repE0EEENS1_30default_config_static_selectorELNS0_4arch9wavefront6targetE1EEEvS14_,"axG",@progbits,_ZN7rocprim17ROCPRIM_400000_NS6detail17trampoline_kernelINS0_14default_configENS1_22reduce_config_selectorIN6thrust23THRUST_200600_302600_NS5tupleIblNS6_9null_typeES8_S8_S8_S8_S8_S8_S8_EEEEZNS1_11reduce_implILb1ES3_NS6_12zip_iteratorINS7_INS6_11hip_rocprim26transform_input_iterator_tIbNSD_35transform_pair_of_input_iterators_tIbNS6_6detail15normal_iteratorINS6_10device_ptrIKdEEEESL_NS6_8equal_toIdEEEENSG_9not_fun_tINSD_8identityEEEEENSD_19counting_iterator_tIlEES8_S8_S8_S8_S8_S8_S8_S8_EEEEPS9_S9_NSD_9__find_if7functorIS9_EEEE10hipError_tPvRmT1_T2_T3_mT4_P12ihipStream_tbEUlT_E0_NS1_11comp_targetILNS1_3genE0ELNS1_11target_archE4294967295ELNS1_3gpuE0ELNS1_3repE0EEENS1_30default_config_static_selectorELNS0_4arch9wavefront6targetE1EEEvS14_,comdat
	.protected	_ZN7rocprim17ROCPRIM_400000_NS6detail17trampoline_kernelINS0_14default_configENS1_22reduce_config_selectorIN6thrust23THRUST_200600_302600_NS5tupleIblNS6_9null_typeES8_S8_S8_S8_S8_S8_S8_EEEEZNS1_11reduce_implILb1ES3_NS6_12zip_iteratorINS7_INS6_11hip_rocprim26transform_input_iterator_tIbNSD_35transform_pair_of_input_iterators_tIbNS6_6detail15normal_iteratorINS6_10device_ptrIKdEEEESL_NS6_8equal_toIdEEEENSG_9not_fun_tINSD_8identityEEEEENSD_19counting_iterator_tIlEES8_S8_S8_S8_S8_S8_S8_S8_EEEEPS9_S9_NSD_9__find_if7functorIS9_EEEE10hipError_tPvRmT1_T2_T3_mT4_P12ihipStream_tbEUlT_E0_NS1_11comp_targetILNS1_3genE0ELNS1_11target_archE4294967295ELNS1_3gpuE0ELNS1_3repE0EEENS1_30default_config_static_selectorELNS0_4arch9wavefront6targetE1EEEvS14_ ; -- Begin function _ZN7rocprim17ROCPRIM_400000_NS6detail17trampoline_kernelINS0_14default_configENS1_22reduce_config_selectorIN6thrust23THRUST_200600_302600_NS5tupleIblNS6_9null_typeES8_S8_S8_S8_S8_S8_S8_EEEEZNS1_11reduce_implILb1ES3_NS6_12zip_iteratorINS7_INS6_11hip_rocprim26transform_input_iterator_tIbNSD_35transform_pair_of_input_iterators_tIbNS6_6detail15normal_iteratorINS6_10device_ptrIKdEEEESL_NS6_8equal_toIdEEEENSG_9not_fun_tINSD_8identityEEEEENSD_19counting_iterator_tIlEES8_S8_S8_S8_S8_S8_S8_S8_EEEEPS9_S9_NSD_9__find_if7functorIS9_EEEE10hipError_tPvRmT1_T2_T3_mT4_P12ihipStream_tbEUlT_E0_NS1_11comp_targetILNS1_3genE0ELNS1_11target_archE4294967295ELNS1_3gpuE0ELNS1_3repE0EEENS1_30default_config_static_selectorELNS0_4arch9wavefront6targetE1EEEvS14_
	.globl	_ZN7rocprim17ROCPRIM_400000_NS6detail17trampoline_kernelINS0_14default_configENS1_22reduce_config_selectorIN6thrust23THRUST_200600_302600_NS5tupleIblNS6_9null_typeES8_S8_S8_S8_S8_S8_S8_EEEEZNS1_11reduce_implILb1ES3_NS6_12zip_iteratorINS7_INS6_11hip_rocprim26transform_input_iterator_tIbNSD_35transform_pair_of_input_iterators_tIbNS6_6detail15normal_iteratorINS6_10device_ptrIKdEEEESL_NS6_8equal_toIdEEEENSG_9not_fun_tINSD_8identityEEEEENSD_19counting_iterator_tIlEES8_S8_S8_S8_S8_S8_S8_S8_EEEEPS9_S9_NSD_9__find_if7functorIS9_EEEE10hipError_tPvRmT1_T2_T3_mT4_P12ihipStream_tbEUlT_E0_NS1_11comp_targetILNS1_3genE0ELNS1_11target_archE4294967295ELNS1_3gpuE0ELNS1_3repE0EEENS1_30default_config_static_selectorELNS0_4arch9wavefront6targetE1EEEvS14_
	.p2align	8
	.type	_ZN7rocprim17ROCPRIM_400000_NS6detail17trampoline_kernelINS0_14default_configENS1_22reduce_config_selectorIN6thrust23THRUST_200600_302600_NS5tupleIblNS6_9null_typeES8_S8_S8_S8_S8_S8_S8_EEEEZNS1_11reduce_implILb1ES3_NS6_12zip_iteratorINS7_INS6_11hip_rocprim26transform_input_iterator_tIbNSD_35transform_pair_of_input_iterators_tIbNS6_6detail15normal_iteratorINS6_10device_ptrIKdEEEESL_NS6_8equal_toIdEEEENSG_9not_fun_tINSD_8identityEEEEENSD_19counting_iterator_tIlEES8_S8_S8_S8_S8_S8_S8_S8_EEEEPS9_S9_NSD_9__find_if7functorIS9_EEEE10hipError_tPvRmT1_T2_T3_mT4_P12ihipStream_tbEUlT_E0_NS1_11comp_targetILNS1_3genE0ELNS1_11target_archE4294967295ELNS1_3gpuE0ELNS1_3repE0EEENS1_30default_config_static_selectorELNS0_4arch9wavefront6targetE1EEEvS14_,@function
_ZN7rocprim17ROCPRIM_400000_NS6detail17trampoline_kernelINS0_14default_configENS1_22reduce_config_selectorIN6thrust23THRUST_200600_302600_NS5tupleIblNS6_9null_typeES8_S8_S8_S8_S8_S8_S8_EEEEZNS1_11reduce_implILb1ES3_NS6_12zip_iteratorINS7_INS6_11hip_rocprim26transform_input_iterator_tIbNSD_35transform_pair_of_input_iterators_tIbNS6_6detail15normal_iteratorINS6_10device_ptrIKdEEEESL_NS6_8equal_toIdEEEENSG_9not_fun_tINSD_8identityEEEEENSD_19counting_iterator_tIlEES8_S8_S8_S8_S8_S8_S8_S8_EEEEPS9_S9_NSD_9__find_if7functorIS9_EEEE10hipError_tPvRmT1_T2_T3_mT4_P12ihipStream_tbEUlT_E0_NS1_11comp_targetILNS1_3genE0ELNS1_11target_archE4294967295ELNS1_3gpuE0ELNS1_3repE0EEENS1_30default_config_static_selectorELNS0_4arch9wavefront6targetE1EEEvS14_: ; @_ZN7rocprim17ROCPRIM_400000_NS6detail17trampoline_kernelINS0_14default_configENS1_22reduce_config_selectorIN6thrust23THRUST_200600_302600_NS5tupleIblNS6_9null_typeES8_S8_S8_S8_S8_S8_S8_EEEEZNS1_11reduce_implILb1ES3_NS6_12zip_iteratorINS7_INS6_11hip_rocprim26transform_input_iterator_tIbNSD_35transform_pair_of_input_iterators_tIbNS6_6detail15normal_iteratorINS6_10device_ptrIKdEEEESL_NS6_8equal_toIdEEEENSG_9not_fun_tINSD_8identityEEEEENSD_19counting_iterator_tIlEES8_S8_S8_S8_S8_S8_S8_S8_EEEEPS9_S9_NSD_9__find_if7functorIS9_EEEE10hipError_tPvRmT1_T2_T3_mT4_P12ihipStream_tbEUlT_E0_NS1_11comp_targetILNS1_3genE0ELNS1_11target_archE4294967295ELNS1_3gpuE0ELNS1_3repE0EEENS1_30default_config_static_selectorELNS0_4arch9wavefront6targetE1EEEvS14_
; %bb.0:
	.section	.rodata,"a",@progbits
	.p2align	6, 0x0
	.amdhsa_kernel _ZN7rocprim17ROCPRIM_400000_NS6detail17trampoline_kernelINS0_14default_configENS1_22reduce_config_selectorIN6thrust23THRUST_200600_302600_NS5tupleIblNS6_9null_typeES8_S8_S8_S8_S8_S8_S8_EEEEZNS1_11reduce_implILb1ES3_NS6_12zip_iteratorINS7_INS6_11hip_rocprim26transform_input_iterator_tIbNSD_35transform_pair_of_input_iterators_tIbNS6_6detail15normal_iteratorINS6_10device_ptrIKdEEEESL_NS6_8equal_toIdEEEENSG_9not_fun_tINSD_8identityEEEEENSD_19counting_iterator_tIlEES8_S8_S8_S8_S8_S8_S8_S8_EEEEPS9_S9_NSD_9__find_if7functorIS9_EEEE10hipError_tPvRmT1_T2_T3_mT4_P12ihipStream_tbEUlT_E0_NS1_11comp_targetILNS1_3genE0ELNS1_11target_archE4294967295ELNS1_3gpuE0ELNS1_3repE0EEENS1_30default_config_static_selectorELNS0_4arch9wavefront6targetE1EEEvS14_
		.amdhsa_group_segment_fixed_size 0
		.amdhsa_private_segment_fixed_size 0
		.amdhsa_kernarg_size 104
		.amdhsa_user_sgpr_count 6
		.amdhsa_user_sgpr_private_segment_buffer 1
		.amdhsa_user_sgpr_dispatch_ptr 0
		.amdhsa_user_sgpr_queue_ptr 0
		.amdhsa_user_sgpr_kernarg_segment_ptr 1
		.amdhsa_user_sgpr_dispatch_id 0
		.amdhsa_user_sgpr_flat_scratch_init 0
		.amdhsa_user_sgpr_private_segment_size 0
		.amdhsa_uses_dynamic_stack 0
		.amdhsa_system_sgpr_private_segment_wavefront_offset 0
		.amdhsa_system_sgpr_workgroup_id_x 1
		.amdhsa_system_sgpr_workgroup_id_y 0
		.amdhsa_system_sgpr_workgroup_id_z 0
		.amdhsa_system_sgpr_workgroup_info 0
		.amdhsa_system_vgpr_workitem_id 0
		.amdhsa_next_free_vgpr 1
		.amdhsa_next_free_sgpr 0
		.amdhsa_reserve_vcc 0
		.amdhsa_reserve_flat_scratch 0
		.amdhsa_float_round_mode_32 0
		.amdhsa_float_round_mode_16_64 0
		.amdhsa_float_denorm_mode_32 3
		.amdhsa_float_denorm_mode_16_64 3
		.amdhsa_dx10_clamp 1
		.amdhsa_ieee_mode 1
		.amdhsa_fp16_overflow 0
		.amdhsa_exception_fp_ieee_invalid_op 0
		.amdhsa_exception_fp_denorm_src 0
		.amdhsa_exception_fp_ieee_div_zero 0
		.amdhsa_exception_fp_ieee_overflow 0
		.amdhsa_exception_fp_ieee_underflow 0
		.amdhsa_exception_fp_ieee_inexact 0
		.amdhsa_exception_int_div_zero 0
	.end_amdhsa_kernel
	.section	.text._ZN7rocprim17ROCPRIM_400000_NS6detail17trampoline_kernelINS0_14default_configENS1_22reduce_config_selectorIN6thrust23THRUST_200600_302600_NS5tupleIblNS6_9null_typeES8_S8_S8_S8_S8_S8_S8_EEEEZNS1_11reduce_implILb1ES3_NS6_12zip_iteratorINS7_INS6_11hip_rocprim26transform_input_iterator_tIbNSD_35transform_pair_of_input_iterators_tIbNS6_6detail15normal_iteratorINS6_10device_ptrIKdEEEESL_NS6_8equal_toIdEEEENSG_9not_fun_tINSD_8identityEEEEENSD_19counting_iterator_tIlEES8_S8_S8_S8_S8_S8_S8_S8_EEEEPS9_S9_NSD_9__find_if7functorIS9_EEEE10hipError_tPvRmT1_T2_T3_mT4_P12ihipStream_tbEUlT_E0_NS1_11comp_targetILNS1_3genE0ELNS1_11target_archE4294967295ELNS1_3gpuE0ELNS1_3repE0EEENS1_30default_config_static_selectorELNS0_4arch9wavefront6targetE1EEEvS14_,"axG",@progbits,_ZN7rocprim17ROCPRIM_400000_NS6detail17trampoline_kernelINS0_14default_configENS1_22reduce_config_selectorIN6thrust23THRUST_200600_302600_NS5tupleIblNS6_9null_typeES8_S8_S8_S8_S8_S8_S8_EEEEZNS1_11reduce_implILb1ES3_NS6_12zip_iteratorINS7_INS6_11hip_rocprim26transform_input_iterator_tIbNSD_35transform_pair_of_input_iterators_tIbNS6_6detail15normal_iteratorINS6_10device_ptrIKdEEEESL_NS6_8equal_toIdEEEENSG_9not_fun_tINSD_8identityEEEEENSD_19counting_iterator_tIlEES8_S8_S8_S8_S8_S8_S8_S8_EEEEPS9_S9_NSD_9__find_if7functorIS9_EEEE10hipError_tPvRmT1_T2_T3_mT4_P12ihipStream_tbEUlT_E0_NS1_11comp_targetILNS1_3genE0ELNS1_11target_archE4294967295ELNS1_3gpuE0ELNS1_3repE0EEENS1_30default_config_static_selectorELNS0_4arch9wavefront6targetE1EEEvS14_,comdat
.Lfunc_end426:
	.size	_ZN7rocprim17ROCPRIM_400000_NS6detail17trampoline_kernelINS0_14default_configENS1_22reduce_config_selectorIN6thrust23THRUST_200600_302600_NS5tupleIblNS6_9null_typeES8_S8_S8_S8_S8_S8_S8_EEEEZNS1_11reduce_implILb1ES3_NS6_12zip_iteratorINS7_INS6_11hip_rocprim26transform_input_iterator_tIbNSD_35transform_pair_of_input_iterators_tIbNS6_6detail15normal_iteratorINS6_10device_ptrIKdEEEESL_NS6_8equal_toIdEEEENSG_9not_fun_tINSD_8identityEEEEENSD_19counting_iterator_tIlEES8_S8_S8_S8_S8_S8_S8_S8_EEEEPS9_S9_NSD_9__find_if7functorIS9_EEEE10hipError_tPvRmT1_T2_T3_mT4_P12ihipStream_tbEUlT_E0_NS1_11comp_targetILNS1_3genE0ELNS1_11target_archE4294967295ELNS1_3gpuE0ELNS1_3repE0EEENS1_30default_config_static_selectorELNS0_4arch9wavefront6targetE1EEEvS14_, .Lfunc_end426-_ZN7rocprim17ROCPRIM_400000_NS6detail17trampoline_kernelINS0_14default_configENS1_22reduce_config_selectorIN6thrust23THRUST_200600_302600_NS5tupleIblNS6_9null_typeES8_S8_S8_S8_S8_S8_S8_EEEEZNS1_11reduce_implILb1ES3_NS6_12zip_iteratorINS7_INS6_11hip_rocprim26transform_input_iterator_tIbNSD_35transform_pair_of_input_iterators_tIbNS6_6detail15normal_iteratorINS6_10device_ptrIKdEEEESL_NS6_8equal_toIdEEEENSG_9not_fun_tINSD_8identityEEEEENSD_19counting_iterator_tIlEES8_S8_S8_S8_S8_S8_S8_S8_EEEEPS9_S9_NSD_9__find_if7functorIS9_EEEE10hipError_tPvRmT1_T2_T3_mT4_P12ihipStream_tbEUlT_E0_NS1_11comp_targetILNS1_3genE0ELNS1_11target_archE4294967295ELNS1_3gpuE0ELNS1_3repE0EEENS1_30default_config_static_selectorELNS0_4arch9wavefront6targetE1EEEvS14_
                                        ; -- End function
	.set _ZN7rocprim17ROCPRIM_400000_NS6detail17trampoline_kernelINS0_14default_configENS1_22reduce_config_selectorIN6thrust23THRUST_200600_302600_NS5tupleIblNS6_9null_typeES8_S8_S8_S8_S8_S8_S8_EEEEZNS1_11reduce_implILb1ES3_NS6_12zip_iteratorINS7_INS6_11hip_rocprim26transform_input_iterator_tIbNSD_35transform_pair_of_input_iterators_tIbNS6_6detail15normal_iteratorINS6_10device_ptrIKdEEEESL_NS6_8equal_toIdEEEENSG_9not_fun_tINSD_8identityEEEEENSD_19counting_iterator_tIlEES8_S8_S8_S8_S8_S8_S8_S8_EEEEPS9_S9_NSD_9__find_if7functorIS9_EEEE10hipError_tPvRmT1_T2_T3_mT4_P12ihipStream_tbEUlT_E0_NS1_11comp_targetILNS1_3genE0ELNS1_11target_archE4294967295ELNS1_3gpuE0ELNS1_3repE0EEENS1_30default_config_static_selectorELNS0_4arch9wavefront6targetE1EEEvS14_.num_vgpr, 0
	.set _ZN7rocprim17ROCPRIM_400000_NS6detail17trampoline_kernelINS0_14default_configENS1_22reduce_config_selectorIN6thrust23THRUST_200600_302600_NS5tupleIblNS6_9null_typeES8_S8_S8_S8_S8_S8_S8_EEEEZNS1_11reduce_implILb1ES3_NS6_12zip_iteratorINS7_INS6_11hip_rocprim26transform_input_iterator_tIbNSD_35transform_pair_of_input_iterators_tIbNS6_6detail15normal_iteratorINS6_10device_ptrIKdEEEESL_NS6_8equal_toIdEEEENSG_9not_fun_tINSD_8identityEEEEENSD_19counting_iterator_tIlEES8_S8_S8_S8_S8_S8_S8_S8_EEEEPS9_S9_NSD_9__find_if7functorIS9_EEEE10hipError_tPvRmT1_T2_T3_mT4_P12ihipStream_tbEUlT_E0_NS1_11comp_targetILNS1_3genE0ELNS1_11target_archE4294967295ELNS1_3gpuE0ELNS1_3repE0EEENS1_30default_config_static_selectorELNS0_4arch9wavefront6targetE1EEEvS14_.num_agpr, 0
	.set _ZN7rocprim17ROCPRIM_400000_NS6detail17trampoline_kernelINS0_14default_configENS1_22reduce_config_selectorIN6thrust23THRUST_200600_302600_NS5tupleIblNS6_9null_typeES8_S8_S8_S8_S8_S8_S8_EEEEZNS1_11reduce_implILb1ES3_NS6_12zip_iteratorINS7_INS6_11hip_rocprim26transform_input_iterator_tIbNSD_35transform_pair_of_input_iterators_tIbNS6_6detail15normal_iteratorINS6_10device_ptrIKdEEEESL_NS6_8equal_toIdEEEENSG_9not_fun_tINSD_8identityEEEEENSD_19counting_iterator_tIlEES8_S8_S8_S8_S8_S8_S8_S8_EEEEPS9_S9_NSD_9__find_if7functorIS9_EEEE10hipError_tPvRmT1_T2_T3_mT4_P12ihipStream_tbEUlT_E0_NS1_11comp_targetILNS1_3genE0ELNS1_11target_archE4294967295ELNS1_3gpuE0ELNS1_3repE0EEENS1_30default_config_static_selectorELNS0_4arch9wavefront6targetE1EEEvS14_.numbered_sgpr, 0
	.set _ZN7rocprim17ROCPRIM_400000_NS6detail17trampoline_kernelINS0_14default_configENS1_22reduce_config_selectorIN6thrust23THRUST_200600_302600_NS5tupleIblNS6_9null_typeES8_S8_S8_S8_S8_S8_S8_EEEEZNS1_11reduce_implILb1ES3_NS6_12zip_iteratorINS7_INS6_11hip_rocprim26transform_input_iterator_tIbNSD_35transform_pair_of_input_iterators_tIbNS6_6detail15normal_iteratorINS6_10device_ptrIKdEEEESL_NS6_8equal_toIdEEEENSG_9not_fun_tINSD_8identityEEEEENSD_19counting_iterator_tIlEES8_S8_S8_S8_S8_S8_S8_S8_EEEEPS9_S9_NSD_9__find_if7functorIS9_EEEE10hipError_tPvRmT1_T2_T3_mT4_P12ihipStream_tbEUlT_E0_NS1_11comp_targetILNS1_3genE0ELNS1_11target_archE4294967295ELNS1_3gpuE0ELNS1_3repE0EEENS1_30default_config_static_selectorELNS0_4arch9wavefront6targetE1EEEvS14_.num_named_barrier, 0
	.set _ZN7rocprim17ROCPRIM_400000_NS6detail17trampoline_kernelINS0_14default_configENS1_22reduce_config_selectorIN6thrust23THRUST_200600_302600_NS5tupleIblNS6_9null_typeES8_S8_S8_S8_S8_S8_S8_EEEEZNS1_11reduce_implILb1ES3_NS6_12zip_iteratorINS7_INS6_11hip_rocprim26transform_input_iterator_tIbNSD_35transform_pair_of_input_iterators_tIbNS6_6detail15normal_iteratorINS6_10device_ptrIKdEEEESL_NS6_8equal_toIdEEEENSG_9not_fun_tINSD_8identityEEEEENSD_19counting_iterator_tIlEES8_S8_S8_S8_S8_S8_S8_S8_EEEEPS9_S9_NSD_9__find_if7functorIS9_EEEE10hipError_tPvRmT1_T2_T3_mT4_P12ihipStream_tbEUlT_E0_NS1_11comp_targetILNS1_3genE0ELNS1_11target_archE4294967295ELNS1_3gpuE0ELNS1_3repE0EEENS1_30default_config_static_selectorELNS0_4arch9wavefront6targetE1EEEvS14_.private_seg_size, 0
	.set _ZN7rocprim17ROCPRIM_400000_NS6detail17trampoline_kernelINS0_14default_configENS1_22reduce_config_selectorIN6thrust23THRUST_200600_302600_NS5tupleIblNS6_9null_typeES8_S8_S8_S8_S8_S8_S8_EEEEZNS1_11reduce_implILb1ES3_NS6_12zip_iteratorINS7_INS6_11hip_rocprim26transform_input_iterator_tIbNSD_35transform_pair_of_input_iterators_tIbNS6_6detail15normal_iteratorINS6_10device_ptrIKdEEEESL_NS6_8equal_toIdEEEENSG_9not_fun_tINSD_8identityEEEEENSD_19counting_iterator_tIlEES8_S8_S8_S8_S8_S8_S8_S8_EEEEPS9_S9_NSD_9__find_if7functorIS9_EEEE10hipError_tPvRmT1_T2_T3_mT4_P12ihipStream_tbEUlT_E0_NS1_11comp_targetILNS1_3genE0ELNS1_11target_archE4294967295ELNS1_3gpuE0ELNS1_3repE0EEENS1_30default_config_static_selectorELNS0_4arch9wavefront6targetE1EEEvS14_.uses_vcc, 0
	.set _ZN7rocprim17ROCPRIM_400000_NS6detail17trampoline_kernelINS0_14default_configENS1_22reduce_config_selectorIN6thrust23THRUST_200600_302600_NS5tupleIblNS6_9null_typeES8_S8_S8_S8_S8_S8_S8_EEEEZNS1_11reduce_implILb1ES3_NS6_12zip_iteratorINS7_INS6_11hip_rocprim26transform_input_iterator_tIbNSD_35transform_pair_of_input_iterators_tIbNS6_6detail15normal_iteratorINS6_10device_ptrIKdEEEESL_NS6_8equal_toIdEEEENSG_9not_fun_tINSD_8identityEEEEENSD_19counting_iterator_tIlEES8_S8_S8_S8_S8_S8_S8_S8_EEEEPS9_S9_NSD_9__find_if7functorIS9_EEEE10hipError_tPvRmT1_T2_T3_mT4_P12ihipStream_tbEUlT_E0_NS1_11comp_targetILNS1_3genE0ELNS1_11target_archE4294967295ELNS1_3gpuE0ELNS1_3repE0EEENS1_30default_config_static_selectorELNS0_4arch9wavefront6targetE1EEEvS14_.uses_flat_scratch, 0
	.set _ZN7rocprim17ROCPRIM_400000_NS6detail17trampoline_kernelINS0_14default_configENS1_22reduce_config_selectorIN6thrust23THRUST_200600_302600_NS5tupleIblNS6_9null_typeES8_S8_S8_S8_S8_S8_S8_EEEEZNS1_11reduce_implILb1ES3_NS6_12zip_iteratorINS7_INS6_11hip_rocprim26transform_input_iterator_tIbNSD_35transform_pair_of_input_iterators_tIbNS6_6detail15normal_iteratorINS6_10device_ptrIKdEEEESL_NS6_8equal_toIdEEEENSG_9not_fun_tINSD_8identityEEEEENSD_19counting_iterator_tIlEES8_S8_S8_S8_S8_S8_S8_S8_EEEEPS9_S9_NSD_9__find_if7functorIS9_EEEE10hipError_tPvRmT1_T2_T3_mT4_P12ihipStream_tbEUlT_E0_NS1_11comp_targetILNS1_3genE0ELNS1_11target_archE4294967295ELNS1_3gpuE0ELNS1_3repE0EEENS1_30default_config_static_selectorELNS0_4arch9wavefront6targetE1EEEvS14_.has_dyn_sized_stack, 0
	.set _ZN7rocprim17ROCPRIM_400000_NS6detail17trampoline_kernelINS0_14default_configENS1_22reduce_config_selectorIN6thrust23THRUST_200600_302600_NS5tupleIblNS6_9null_typeES8_S8_S8_S8_S8_S8_S8_EEEEZNS1_11reduce_implILb1ES3_NS6_12zip_iteratorINS7_INS6_11hip_rocprim26transform_input_iterator_tIbNSD_35transform_pair_of_input_iterators_tIbNS6_6detail15normal_iteratorINS6_10device_ptrIKdEEEESL_NS6_8equal_toIdEEEENSG_9not_fun_tINSD_8identityEEEEENSD_19counting_iterator_tIlEES8_S8_S8_S8_S8_S8_S8_S8_EEEEPS9_S9_NSD_9__find_if7functorIS9_EEEE10hipError_tPvRmT1_T2_T3_mT4_P12ihipStream_tbEUlT_E0_NS1_11comp_targetILNS1_3genE0ELNS1_11target_archE4294967295ELNS1_3gpuE0ELNS1_3repE0EEENS1_30default_config_static_selectorELNS0_4arch9wavefront6targetE1EEEvS14_.has_recursion, 0
	.set _ZN7rocprim17ROCPRIM_400000_NS6detail17trampoline_kernelINS0_14default_configENS1_22reduce_config_selectorIN6thrust23THRUST_200600_302600_NS5tupleIblNS6_9null_typeES8_S8_S8_S8_S8_S8_S8_EEEEZNS1_11reduce_implILb1ES3_NS6_12zip_iteratorINS7_INS6_11hip_rocprim26transform_input_iterator_tIbNSD_35transform_pair_of_input_iterators_tIbNS6_6detail15normal_iteratorINS6_10device_ptrIKdEEEESL_NS6_8equal_toIdEEEENSG_9not_fun_tINSD_8identityEEEEENSD_19counting_iterator_tIlEES8_S8_S8_S8_S8_S8_S8_S8_EEEEPS9_S9_NSD_9__find_if7functorIS9_EEEE10hipError_tPvRmT1_T2_T3_mT4_P12ihipStream_tbEUlT_E0_NS1_11comp_targetILNS1_3genE0ELNS1_11target_archE4294967295ELNS1_3gpuE0ELNS1_3repE0EEENS1_30default_config_static_selectorELNS0_4arch9wavefront6targetE1EEEvS14_.has_indirect_call, 0
	.section	.AMDGPU.csdata,"",@progbits
; Kernel info:
; codeLenInByte = 0
; TotalNumSgprs: 4
; NumVgprs: 0
; ScratchSize: 0
; MemoryBound: 0
; FloatMode: 240
; IeeeMode: 1
; LDSByteSize: 0 bytes/workgroup (compile time only)
; SGPRBlocks: 0
; VGPRBlocks: 0
; NumSGPRsForWavesPerEU: 4
; NumVGPRsForWavesPerEU: 1
; Occupancy: 10
; WaveLimiterHint : 0
; COMPUTE_PGM_RSRC2:SCRATCH_EN: 0
; COMPUTE_PGM_RSRC2:USER_SGPR: 6
; COMPUTE_PGM_RSRC2:TRAP_HANDLER: 0
; COMPUTE_PGM_RSRC2:TGID_X_EN: 1
; COMPUTE_PGM_RSRC2:TGID_Y_EN: 0
; COMPUTE_PGM_RSRC2:TGID_Z_EN: 0
; COMPUTE_PGM_RSRC2:TIDIG_COMP_CNT: 0
	.section	.text._ZN7rocprim17ROCPRIM_400000_NS6detail17trampoline_kernelINS0_14default_configENS1_22reduce_config_selectorIN6thrust23THRUST_200600_302600_NS5tupleIblNS6_9null_typeES8_S8_S8_S8_S8_S8_S8_EEEEZNS1_11reduce_implILb1ES3_NS6_12zip_iteratorINS7_INS6_11hip_rocprim26transform_input_iterator_tIbNSD_35transform_pair_of_input_iterators_tIbNS6_6detail15normal_iteratorINS6_10device_ptrIKdEEEESL_NS6_8equal_toIdEEEENSG_9not_fun_tINSD_8identityEEEEENSD_19counting_iterator_tIlEES8_S8_S8_S8_S8_S8_S8_S8_EEEEPS9_S9_NSD_9__find_if7functorIS9_EEEE10hipError_tPvRmT1_T2_T3_mT4_P12ihipStream_tbEUlT_E0_NS1_11comp_targetILNS1_3genE5ELNS1_11target_archE942ELNS1_3gpuE9ELNS1_3repE0EEENS1_30default_config_static_selectorELNS0_4arch9wavefront6targetE1EEEvS14_,"axG",@progbits,_ZN7rocprim17ROCPRIM_400000_NS6detail17trampoline_kernelINS0_14default_configENS1_22reduce_config_selectorIN6thrust23THRUST_200600_302600_NS5tupleIblNS6_9null_typeES8_S8_S8_S8_S8_S8_S8_EEEEZNS1_11reduce_implILb1ES3_NS6_12zip_iteratorINS7_INS6_11hip_rocprim26transform_input_iterator_tIbNSD_35transform_pair_of_input_iterators_tIbNS6_6detail15normal_iteratorINS6_10device_ptrIKdEEEESL_NS6_8equal_toIdEEEENSG_9not_fun_tINSD_8identityEEEEENSD_19counting_iterator_tIlEES8_S8_S8_S8_S8_S8_S8_S8_EEEEPS9_S9_NSD_9__find_if7functorIS9_EEEE10hipError_tPvRmT1_T2_T3_mT4_P12ihipStream_tbEUlT_E0_NS1_11comp_targetILNS1_3genE5ELNS1_11target_archE942ELNS1_3gpuE9ELNS1_3repE0EEENS1_30default_config_static_selectorELNS0_4arch9wavefront6targetE1EEEvS14_,comdat
	.protected	_ZN7rocprim17ROCPRIM_400000_NS6detail17trampoline_kernelINS0_14default_configENS1_22reduce_config_selectorIN6thrust23THRUST_200600_302600_NS5tupleIblNS6_9null_typeES8_S8_S8_S8_S8_S8_S8_EEEEZNS1_11reduce_implILb1ES3_NS6_12zip_iteratorINS7_INS6_11hip_rocprim26transform_input_iterator_tIbNSD_35transform_pair_of_input_iterators_tIbNS6_6detail15normal_iteratorINS6_10device_ptrIKdEEEESL_NS6_8equal_toIdEEEENSG_9not_fun_tINSD_8identityEEEEENSD_19counting_iterator_tIlEES8_S8_S8_S8_S8_S8_S8_S8_EEEEPS9_S9_NSD_9__find_if7functorIS9_EEEE10hipError_tPvRmT1_T2_T3_mT4_P12ihipStream_tbEUlT_E0_NS1_11comp_targetILNS1_3genE5ELNS1_11target_archE942ELNS1_3gpuE9ELNS1_3repE0EEENS1_30default_config_static_selectorELNS0_4arch9wavefront6targetE1EEEvS14_ ; -- Begin function _ZN7rocprim17ROCPRIM_400000_NS6detail17trampoline_kernelINS0_14default_configENS1_22reduce_config_selectorIN6thrust23THRUST_200600_302600_NS5tupleIblNS6_9null_typeES8_S8_S8_S8_S8_S8_S8_EEEEZNS1_11reduce_implILb1ES3_NS6_12zip_iteratorINS7_INS6_11hip_rocprim26transform_input_iterator_tIbNSD_35transform_pair_of_input_iterators_tIbNS6_6detail15normal_iteratorINS6_10device_ptrIKdEEEESL_NS6_8equal_toIdEEEENSG_9not_fun_tINSD_8identityEEEEENSD_19counting_iterator_tIlEES8_S8_S8_S8_S8_S8_S8_S8_EEEEPS9_S9_NSD_9__find_if7functorIS9_EEEE10hipError_tPvRmT1_T2_T3_mT4_P12ihipStream_tbEUlT_E0_NS1_11comp_targetILNS1_3genE5ELNS1_11target_archE942ELNS1_3gpuE9ELNS1_3repE0EEENS1_30default_config_static_selectorELNS0_4arch9wavefront6targetE1EEEvS14_
	.globl	_ZN7rocprim17ROCPRIM_400000_NS6detail17trampoline_kernelINS0_14default_configENS1_22reduce_config_selectorIN6thrust23THRUST_200600_302600_NS5tupleIblNS6_9null_typeES8_S8_S8_S8_S8_S8_S8_EEEEZNS1_11reduce_implILb1ES3_NS6_12zip_iteratorINS7_INS6_11hip_rocprim26transform_input_iterator_tIbNSD_35transform_pair_of_input_iterators_tIbNS6_6detail15normal_iteratorINS6_10device_ptrIKdEEEESL_NS6_8equal_toIdEEEENSG_9not_fun_tINSD_8identityEEEEENSD_19counting_iterator_tIlEES8_S8_S8_S8_S8_S8_S8_S8_EEEEPS9_S9_NSD_9__find_if7functorIS9_EEEE10hipError_tPvRmT1_T2_T3_mT4_P12ihipStream_tbEUlT_E0_NS1_11comp_targetILNS1_3genE5ELNS1_11target_archE942ELNS1_3gpuE9ELNS1_3repE0EEENS1_30default_config_static_selectorELNS0_4arch9wavefront6targetE1EEEvS14_
	.p2align	8
	.type	_ZN7rocprim17ROCPRIM_400000_NS6detail17trampoline_kernelINS0_14default_configENS1_22reduce_config_selectorIN6thrust23THRUST_200600_302600_NS5tupleIblNS6_9null_typeES8_S8_S8_S8_S8_S8_S8_EEEEZNS1_11reduce_implILb1ES3_NS6_12zip_iteratorINS7_INS6_11hip_rocprim26transform_input_iterator_tIbNSD_35transform_pair_of_input_iterators_tIbNS6_6detail15normal_iteratorINS6_10device_ptrIKdEEEESL_NS6_8equal_toIdEEEENSG_9not_fun_tINSD_8identityEEEEENSD_19counting_iterator_tIlEES8_S8_S8_S8_S8_S8_S8_S8_EEEEPS9_S9_NSD_9__find_if7functorIS9_EEEE10hipError_tPvRmT1_T2_T3_mT4_P12ihipStream_tbEUlT_E0_NS1_11comp_targetILNS1_3genE5ELNS1_11target_archE942ELNS1_3gpuE9ELNS1_3repE0EEENS1_30default_config_static_selectorELNS0_4arch9wavefront6targetE1EEEvS14_,@function
_ZN7rocprim17ROCPRIM_400000_NS6detail17trampoline_kernelINS0_14default_configENS1_22reduce_config_selectorIN6thrust23THRUST_200600_302600_NS5tupleIblNS6_9null_typeES8_S8_S8_S8_S8_S8_S8_EEEEZNS1_11reduce_implILb1ES3_NS6_12zip_iteratorINS7_INS6_11hip_rocprim26transform_input_iterator_tIbNSD_35transform_pair_of_input_iterators_tIbNS6_6detail15normal_iteratorINS6_10device_ptrIKdEEEESL_NS6_8equal_toIdEEEENSG_9not_fun_tINSD_8identityEEEEENSD_19counting_iterator_tIlEES8_S8_S8_S8_S8_S8_S8_S8_EEEEPS9_S9_NSD_9__find_if7functorIS9_EEEE10hipError_tPvRmT1_T2_T3_mT4_P12ihipStream_tbEUlT_E0_NS1_11comp_targetILNS1_3genE5ELNS1_11target_archE942ELNS1_3gpuE9ELNS1_3repE0EEENS1_30default_config_static_selectorELNS0_4arch9wavefront6targetE1EEEvS14_: ; @_ZN7rocprim17ROCPRIM_400000_NS6detail17trampoline_kernelINS0_14default_configENS1_22reduce_config_selectorIN6thrust23THRUST_200600_302600_NS5tupleIblNS6_9null_typeES8_S8_S8_S8_S8_S8_S8_EEEEZNS1_11reduce_implILb1ES3_NS6_12zip_iteratorINS7_INS6_11hip_rocprim26transform_input_iterator_tIbNSD_35transform_pair_of_input_iterators_tIbNS6_6detail15normal_iteratorINS6_10device_ptrIKdEEEESL_NS6_8equal_toIdEEEENSG_9not_fun_tINSD_8identityEEEEENSD_19counting_iterator_tIlEES8_S8_S8_S8_S8_S8_S8_S8_EEEEPS9_S9_NSD_9__find_if7functorIS9_EEEE10hipError_tPvRmT1_T2_T3_mT4_P12ihipStream_tbEUlT_E0_NS1_11comp_targetILNS1_3genE5ELNS1_11target_archE942ELNS1_3gpuE9ELNS1_3repE0EEENS1_30default_config_static_selectorELNS0_4arch9wavefront6targetE1EEEvS14_
; %bb.0:
	.section	.rodata,"a",@progbits
	.p2align	6, 0x0
	.amdhsa_kernel _ZN7rocprim17ROCPRIM_400000_NS6detail17trampoline_kernelINS0_14default_configENS1_22reduce_config_selectorIN6thrust23THRUST_200600_302600_NS5tupleIblNS6_9null_typeES8_S8_S8_S8_S8_S8_S8_EEEEZNS1_11reduce_implILb1ES3_NS6_12zip_iteratorINS7_INS6_11hip_rocprim26transform_input_iterator_tIbNSD_35transform_pair_of_input_iterators_tIbNS6_6detail15normal_iteratorINS6_10device_ptrIKdEEEESL_NS6_8equal_toIdEEEENSG_9not_fun_tINSD_8identityEEEEENSD_19counting_iterator_tIlEES8_S8_S8_S8_S8_S8_S8_S8_EEEEPS9_S9_NSD_9__find_if7functorIS9_EEEE10hipError_tPvRmT1_T2_T3_mT4_P12ihipStream_tbEUlT_E0_NS1_11comp_targetILNS1_3genE5ELNS1_11target_archE942ELNS1_3gpuE9ELNS1_3repE0EEENS1_30default_config_static_selectorELNS0_4arch9wavefront6targetE1EEEvS14_
		.amdhsa_group_segment_fixed_size 0
		.amdhsa_private_segment_fixed_size 0
		.amdhsa_kernarg_size 104
		.amdhsa_user_sgpr_count 6
		.amdhsa_user_sgpr_private_segment_buffer 1
		.amdhsa_user_sgpr_dispatch_ptr 0
		.amdhsa_user_sgpr_queue_ptr 0
		.amdhsa_user_sgpr_kernarg_segment_ptr 1
		.amdhsa_user_sgpr_dispatch_id 0
		.amdhsa_user_sgpr_flat_scratch_init 0
		.amdhsa_user_sgpr_private_segment_size 0
		.amdhsa_uses_dynamic_stack 0
		.amdhsa_system_sgpr_private_segment_wavefront_offset 0
		.amdhsa_system_sgpr_workgroup_id_x 1
		.amdhsa_system_sgpr_workgroup_id_y 0
		.amdhsa_system_sgpr_workgroup_id_z 0
		.amdhsa_system_sgpr_workgroup_info 0
		.amdhsa_system_vgpr_workitem_id 0
		.amdhsa_next_free_vgpr 1
		.amdhsa_next_free_sgpr 0
		.amdhsa_reserve_vcc 0
		.amdhsa_reserve_flat_scratch 0
		.amdhsa_float_round_mode_32 0
		.amdhsa_float_round_mode_16_64 0
		.amdhsa_float_denorm_mode_32 3
		.amdhsa_float_denorm_mode_16_64 3
		.amdhsa_dx10_clamp 1
		.amdhsa_ieee_mode 1
		.amdhsa_fp16_overflow 0
		.amdhsa_exception_fp_ieee_invalid_op 0
		.amdhsa_exception_fp_denorm_src 0
		.amdhsa_exception_fp_ieee_div_zero 0
		.amdhsa_exception_fp_ieee_overflow 0
		.amdhsa_exception_fp_ieee_underflow 0
		.amdhsa_exception_fp_ieee_inexact 0
		.amdhsa_exception_int_div_zero 0
	.end_amdhsa_kernel
	.section	.text._ZN7rocprim17ROCPRIM_400000_NS6detail17trampoline_kernelINS0_14default_configENS1_22reduce_config_selectorIN6thrust23THRUST_200600_302600_NS5tupleIblNS6_9null_typeES8_S8_S8_S8_S8_S8_S8_EEEEZNS1_11reduce_implILb1ES3_NS6_12zip_iteratorINS7_INS6_11hip_rocprim26transform_input_iterator_tIbNSD_35transform_pair_of_input_iterators_tIbNS6_6detail15normal_iteratorINS6_10device_ptrIKdEEEESL_NS6_8equal_toIdEEEENSG_9not_fun_tINSD_8identityEEEEENSD_19counting_iterator_tIlEES8_S8_S8_S8_S8_S8_S8_S8_EEEEPS9_S9_NSD_9__find_if7functorIS9_EEEE10hipError_tPvRmT1_T2_T3_mT4_P12ihipStream_tbEUlT_E0_NS1_11comp_targetILNS1_3genE5ELNS1_11target_archE942ELNS1_3gpuE9ELNS1_3repE0EEENS1_30default_config_static_selectorELNS0_4arch9wavefront6targetE1EEEvS14_,"axG",@progbits,_ZN7rocprim17ROCPRIM_400000_NS6detail17trampoline_kernelINS0_14default_configENS1_22reduce_config_selectorIN6thrust23THRUST_200600_302600_NS5tupleIblNS6_9null_typeES8_S8_S8_S8_S8_S8_S8_EEEEZNS1_11reduce_implILb1ES3_NS6_12zip_iteratorINS7_INS6_11hip_rocprim26transform_input_iterator_tIbNSD_35transform_pair_of_input_iterators_tIbNS6_6detail15normal_iteratorINS6_10device_ptrIKdEEEESL_NS6_8equal_toIdEEEENSG_9not_fun_tINSD_8identityEEEEENSD_19counting_iterator_tIlEES8_S8_S8_S8_S8_S8_S8_S8_EEEEPS9_S9_NSD_9__find_if7functorIS9_EEEE10hipError_tPvRmT1_T2_T3_mT4_P12ihipStream_tbEUlT_E0_NS1_11comp_targetILNS1_3genE5ELNS1_11target_archE942ELNS1_3gpuE9ELNS1_3repE0EEENS1_30default_config_static_selectorELNS0_4arch9wavefront6targetE1EEEvS14_,comdat
.Lfunc_end427:
	.size	_ZN7rocprim17ROCPRIM_400000_NS6detail17trampoline_kernelINS0_14default_configENS1_22reduce_config_selectorIN6thrust23THRUST_200600_302600_NS5tupleIblNS6_9null_typeES8_S8_S8_S8_S8_S8_S8_EEEEZNS1_11reduce_implILb1ES3_NS6_12zip_iteratorINS7_INS6_11hip_rocprim26transform_input_iterator_tIbNSD_35transform_pair_of_input_iterators_tIbNS6_6detail15normal_iteratorINS6_10device_ptrIKdEEEESL_NS6_8equal_toIdEEEENSG_9not_fun_tINSD_8identityEEEEENSD_19counting_iterator_tIlEES8_S8_S8_S8_S8_S8_S8_S8_EEEEPS9_S9_NSD_9__find_if7functorIS9_EEEE10hipError_tPvRmT1_T2_T3_mT4_P12ihipStream_tbEUlT_E0_NS1_11comp_targetILNS1_3genE5ELNS1_11target_archE942ELNS1_3gpuE9ELNS1_3repE0EEENS1_30default_config_static_selectorELNS0_4arch9wavefront6targetE1EEEvS14_, .Lfunc_end427-_ZN7rocprim17ROCPRIM_400000_NS6detail17trampoline_kernelINS0_14default_configENS1_22reduce_config_selectorIN6thrust23THRUST_200600_302600_NS5tupleIblNS6_9null_typeES8_S8_S8_S8_S8_S8_S8_EEEEZNS1_11reduce_implILb1ES3_NS6_12zip_iteratorINS7_INS6_11hip_rocprim26transform_input_iterator_tIbNSD_35transform_pair_of_input_iterators_tIbNS6_6detail15normal_iteratorINS6_10device_ptrIKdEEEESL_NS6_8equal_toIdEEEENSG_9not_fun_tINSD_8identityEEEEENSD_19counting_iterator_tIlEES8_S8_S8_S8_S8_S8_S8_S8_EEEEPS9_S9_NSD_9__find_if7functorIS9_EEEE10hipError_tPvRmT1_T2_T3_mT4_P12ihipStream_tbEUlT_E0_NS1_11comp_targetILNS1_3genE5ELNS1_11target_archE942ELNS1_3gpuE9ELNS1_3repE0EEENS1_30default_config_static_selectorELNS0_4arch9wavefront6targetE1EEEvS14_
                                        ; -- End function
	.set _ZN7rocprim17ROCPRIM_400000_NS6detail17trampoline_kernelINS0_14default_configENS1_22reduce_config_selectorIN6thrust23THRUST_200600_302600_NS5tupleIblNS6_9null_typeES8_S8_S8_S8_S8_S8_S8_EEEEZNS1_11reduce_implILb1ES3_NS6_12zip_iteratorINS7_INS6_11hip_rocprim26transform_input_iterator_tIbNSD_35transform_pair_of_input_iterators_tIbNS6_6detail15normal_iteratorINS6_10device_ptrIKdEEEESL_NS6_8equal_toIdEEEENSG_9not_fun_tINSD_8identityEEEEENSD_19counting_iterator_tIlEES8_S8_S8_S8_S8_S8_S8_S8_EEEEPS9_S9_NSD_9__find_if7functorIS9_EEEE10hipError_tPvRmT1_T2_T3_mT4_P12ihipStream_tbEUlT_E0_NS1_11comp_targetILNS1_3genE5ELNS1_11target_archE942ELNS1_3gpuE9ELNS1_3repE0EEENS1_30default_config_static_selectorELNS0_4arch9wavefront6targetE1EEEvS14_.num_vgpr, 0
	.set _ZN7rocprim17ROCPRIM_400000_NS6detail17trampoline_kernelINS0_14default_configENS1_22reduce_config_selectorIN6thrust23THRUST_200600_302600_NS5tupleIblNS6_9null_typeES8_S8_S8_S8_S8_S8_S8_EEEEZNS1_11reduce_implILb1ES3_NS6_12zip_iteratorINS7_INS6_11hip_rocprim26transform_input_iterator_tIbNSD_35transform_pair_of_input_iterators_tIbNS6_6detail15normal_iteratorINS6_10device_ptrIKdEEEESL_NS6_8equal_toIdEEEENSG_9not_fun_tINSD_8identityEEEEENSD_19counting_iterator_tIlEES8_S8_S8_S8_S8_S8_S8_S8_EEEEPS9_S9_NSD_9__find_if7functorIS9_EEEE10hipError_tPvRmT1_T2_T3_mT4_P12ihipStream_tbEUlT_E0_NS1_11comp_targetILNS1_3genE5ELNS1_11target_archE942ELNS1_3gpuE9ELNS1_3repE0EEENS1_30default_config_static_selectorELNS0_4arch9wavefront6targetE1EEEvS14_.num_agpr, 0
	.set _ZN7rocprim17ROCPRIM_400000_NS6detail17trampoline_kernelINS0_14default_configENS1_22reduce_config_selectorIN6thrust23THRUST_200600_302600_NS5tupleIblNS6_9null_typeES8_S8_S8_S8_S8_S8_S8_EEEEZNS1_11reduce_implILb1ES3_NS6_12zip_iteratorINS7_INS6_11hip_rocprim26transform_input_iterator_tIbNSD_35transform_pair_of_input_iterators_tIbNS6_6detail15normal_iteratorINS6_10device_ptrIKdEEEESL_NS6_8equal_toIdEEEENSG_9not_fun_tINSD_8identityEEEEENSD_19counting_iterator_tIlEES8_S8_S8_S8_S8_S8_S8_S8_EEEEPS9_S9_NSD_9__find_if7functorIS9_EEEE10hipError_tPvRmT1_T2_T3_mT4_P12ihipStream_tbEUlT_E0_NS1_11comp_targetILNS1_3genE5ELNS1_11target_archE942ELNS1_3gpuE9ELNS1_3repE0EEENS1_30default_config_static_selectorELNS0_4arch9wavefront6targetE1EEEvS14_.numbered_sgpr, 0
	.set _ZN7rocprim17ROCPRIM_400000_NS6detail17trampoline_kernelINS0_14default_configENS1_22reduce_config_selectorIN6thrust23THRUST_200600_302600_NS5tupleIblNS6_9null_typeES8_S8_S8_S8_S8_S8_S8_EEEEZNS1_11reduce_implILb1ES3_NS6_12zip_iteratorINS7_INS6_11hip_rocprim26transform_input_iterator_tIbNSD_35transform_pair_of_input_iterators_tIbNS6_6detail15normal_iteratorINS6_10device_ptrIKdEEEESL_NS6_8equal_toIdEEEENSG_9not_fun_tINSD_8identityEEEEENSD_19counting_iterator_tIlEES8_S8_S8_S8_S8_S8_S8_S8_EEEEPS9_S9_NSD_9__find_if7functorIS9_EEEE10hipError_tPvRmT1_T2_T3_mT4_P12ihipStream_tbEUlT_E0_NS1_11comp_targetILNS1_3genE5ELNS1_11target_archE942ELNS1_3gpuE9ELNS1_3repE0EEENS1_30default_config_static_selectorELNS0_4arch9wavefront6targetE1EEEvS14_.num_named_barrier, 0
	.set _ZN7rocprim17ROCPRIM_400000_NS6detail17trampoline_kernelINS0_14default_configENS1_22reduce_config_selectorIN6thrust23THRUST_200600_302600_NS5tupleIblNS6_9null_typeES8_S8_S8_S8_S8_S8_S8_EEEEZNS1_11reduce_implILb1ES3_NS6_12zip_iteratorINS7_INS6_11hip_rocprim26transform_input_iterator_tIbNSD_35transform_pair_of_input_iterators_tIbNS6_6detail15normal_iteratorINS6_10device_ptrIKdEEEESL_NS6_8equal_toIdEEEENSG_9not_fun_tINSD_8identityEEEEENSD_19counting_iterator_tIlEES8_S8_S8_S8_S8_S8_S8_S8_EEEEPS9_S9_NSD_9__find_if7functorIS9_EEEE10hipError_tPvRmT1_T2_T3_mT4_P12ihipStream_tbEUlT_E0_NS1_11comp_targetILNS1_3genE5ELNS1_11target_archE942ELNS1_3gpuE9ELNS1_3repE0EEENS1_30default_config_static_selectorELNS0_4arch9wavefront6targetE1EEEvS14_.private_seg_size, 0
	.set _ZN7rocprim17ROCPRIM_400000_NS6detail17trampoline_kernelINS0_14default_configENS1_22reduce_config_selectorIN6thrust23THRUST_200600_302600_NS5tupleIblNS6_9null_typeES8_S8_S8_S8_S8_S8_S8_EEEEZNS1_11reduce_implILb1ES3_NS6_12zip_iteratorINS7_INS6_11hip_rocprim26transform_input_iterator_tIbNSD_35transform_pair_of_input_iterators_tIbNS6_6detail15normal_iteratorINS6_10device_ptrIKdEEEESL_NS6_8equal_toIdEEEENSG_9not_fun_tINSD_8identityEEEEENSD_19counting_iterator_tIlEES8_S8_S8_S8_S8_S8_S8_S8_EEEEPS9_S9_NSD_9__find_if7functorIS9_EEEE10hipError_tPvRmT1_T2_T3_mT4_P12ihipStream_tbEUlT_E0_NS1_11comp_targetILNS1_3genE5ELNS1_11target_archE942ELNS1_3gpuE9ELNS1_3repE0EEENS1_30default_config_static_selectorELNS0_4arch9wavefront6targetE1EEEvS14_.uses_vcc, 0
	.set _ZN7rocprim17ROCPRIM_400000_NS6detail17trampoline_kernelINS0_14default_configENS1_22reduce_config_selectorIN6thrust23THRUST_200600_302600_NS5tupleIblNS6_9null_typeES8_S8_S8_S8_S8_S8_S8_EEEEZNS1_11reduce_implILb1ES3_NS6_12zip_iteratorINS7_INS6_11hip_rocprim26transform_input_iterator_tIbNSD_35transform_pair_of_input_iterators_tIbNS6_6detail15normal_iteratorINS6_10device_ptrIKdEEEESL_NS6_8equal_toIdEEEENSG_9not_fun_tINSD_8identityEEEEENSD_19counting_iterator_tIlEES8_S8_S8_S8_S8_S8_S8_S8_EEEEPS9_S9_NSD_9__find_if7functorIS9_EEEE10hipError_tPvRmT1_T2_T3_mT4_P12ihipStream_tbEUlT_E0_NS1_11comp_targetILNS1_3genE5ELNS1_11target_archE942ELNS1_3gpuE9ELNS1_3repE0EEENS1_30default_config_static_selectorELNS0_4arch9wavefront6targetE1EEEvS14_.uses_flat_scratch, 0
	.set _ZN7rocprim17ROCPRIM_400000_NS6detail17trampoline_kernelINS0_14default_configENS1_22reduce_config_selectorIN6thrust23THRUST_200600_302600_NS5tupleIblNS6_9null_typeES8_S8_S8_S8_S8_S8_S8_EEEEZNS1_11reduce_implILb1ES3_NS6_12zip_iteratorINS7_INS6_11hip_rocprim26transform_input_iterator_tIbNSD_35transform_pair_of_input_iterators_tIbNS6_6detail15normal_iteratorINS6_10device_ptrIKdEEEESL_NS6_8equal_toIdEEEENSG_9not_fun_tINSD_8identityEEEEENSD_19counting_iterator_tIlEES8_S8_S8_S8_S8_S8_S8_S8_EEEEPS9_S9_NSD_9__find_if7functorIS9_EEEE10hipError_tPvRmT1_T2_T3_mT4_P12ihipStream_tbEUlT_E0_NS1_11comp_targetILNS1_3genE5ELNS1_11target_archE942ELNS1_3gpuE9ELNS1_3repE0EEENS1_30default_config_static_selectorELNS0_4arch9wavefront6targetE1EEEvS14_.has_dyn_sized_stack, 0
	.set _ZN7rocprim17ROCPRIM_400000_NS6detail17trampoline_kernelINS0_14default_configENS1_22reduce_config_selectorIN6thrust23THRUST_200600_302600_NS5tupleIblNS6_9null_typeES8_S8_S8_S8_S8_S8_S8_EEEEZNS1_11reduce_implILb1ES3_NS6_12zip_iteratorINS7_INS6_11hip_rocprim26transform_input_iterator_tIbNSD_35transform_pair_of_input_iterators_tIbNS6_6detail15normal_iteratorINS6_10device_ptrIKdEEEESL_NS6_8equal_toIdEEEENSG_9not_fun_tINSD_8identityEEEEENSD_19counting_iterator_tIlEES8_S8_S8_S8_S8_S8_S8_S8_EEEEPS9_S9_NSD_9__find_if7functorIS9_EEEE10hipError_tPvRmT1_T2_T3_mT4_P12ihipStream_tbEUlT_E0_NS1_11comp_targetILNS1_3genE5ELNS1_11target_archE942ELNS1_3gpuE9ELNS1_3repE0EEENS1_30default_config_static_selectorELNS0_4arch9wavefront6targetE1EEEvS14_.has_recursion, 0
	.set _ZN7rocprim17ROCPRIM_400000_NS6detail17trampoline_kernelINS0_14default_configENS1_22reduce_config_selectorIN6thrust23THRUST_200600_302600_NS5tupleIblNS6_9null_typeES8_S8_S8_S8_S8_S8_S8_EEEEZNS1_11reduce_implILb1ES3_NS6_12zip_iteratorINS7_INS6_11hip_rocprim26transform_input_iterator_tIbNSD_35transform_pair_of_input_iterators_tIbNS6_6detail15normal_iteratorINS6_10device_ptrIKdEEEESL_NS6_8equal_toIdEEEENSG_9not_fun_tINSD_8identityEEEEENSD_19counting_iterator_tIlEES8_S8_S8_S8_S8_S8_S8_S8_EEEEPS9_S9_NSD_9__find_if7functorIS9_EEEE10hipError_tPvRmT1_T2_T3_mT4_P12ihipStream_tbEUlT_E0_NS1_11comp_targetILNS1_3genE5ELNS1_11target_archE942ELNS1_3gpuE9ELNS1_3repE0EEENS1_30default_config_static_selectorELNS0_4arch9wavefront6targetE1EEEvS14_.has_indirect_call, 0
	.section	.AMDGPU.csdata,"",@progbits
; Kernel info:
; codeLenInByte = 0
; TotalNumSgprs: 4
; NumVgprs: 0
; ScratchSize: 0
; MemoryBound: 0
; FloatMode: 240
; IeeeMode: 1
; LDSByteSize: 0 bytes/workgroup (compile time only)
; SGPRBlocks: 0
; VGPRBlocks: 0
; NumSGPRsForWavesPerEU: 4
; NumVGPRsForWavesPerEU: 1
; Occupancy: 10
; WaveLimiterHint : 0
; COMPUTE_PGM_RSRC2:SCRATCH_EN: 0
; COMPUTE_PGM_RSRC2:USER_SGPR: 6
; COMPUTE_PGM_RSRC2:TRAP_HANDLER: 0
; COMPUTE_PGM_RSRC2:TGID_X_EN: 1
; COMPUTE_PGM_RSRC2:TGID_Y_EN: 0
; COMPUTE_PGM_RSRC2:TGID_Z_EN: 0
; COMPUTE_PGM_RSRC2:TIDIG_COMP_CNT: 0
	.section	.text._ZN7rocprim17ROCPRIM_400000_NS6detail17trampoline_kernelINS0_14default_configENS1_22reduce_config_selectorIN6thrust23THRUST_200600_302600_NS5tupleIblNS6_9null_typeES8_S8_S8_S8_S8_S8_S8_EEEEZNS1_11reduce_implILb1ES3_NS6_12zip_iteratorINS7_INS6_11hip_rocprim26transform_input_iterator_tIbNSD_35transform_pair_of_input_iterators_tIbNS6_6detail15normal_iteratorINS6_10device_ptrIKdEEEESL_NS6_8equal_toIdEEEENSG_9not_fun_tINSD_8identityEEEEENSD_19counting_iterator_tIlEES8_S8_S8_S8_S8_S8_S8_S8_EEEEPS9_S9_NSD_9__find_if7functorIS9_EEEE10hipError_tPvRmT1_T2_T3_mT4_P12ihipStream_tbEUlT_E0_NS1_11comp_targetILNS1_3genE4ELNS1_11target_archE910ELNS1_3gpuE8ELNS1_3repE0EEENS1_30default_config_static_selectorELNS0_4arch9wavefront6targetE1EEEvS14_,"axG",@progbits,_ZN7rocprim17ROCPRIM_400000_NS6detail17trampoline_kernelINS0_14default_configENS1_22reduce_config_selectorIN6thrust23THRUST_200600_302600_NS5tupleIblNS6_9null_typeES8_S8_S8_S8_S8_S8_S8_EEEEZNS1_11reduce_implILb1ES3_NS6_12zip_iteratorINS7_INS6_11hip_rocprim26transform_input_iterator_tIbNSD_35transform_pair_of_input_iterators_tIbNS6_6detail15normal_iteratorINS6_10device_ptrIKdEEEESL_NS6_8equal_toIdEEEENSG_9not_fun_tINSD_8identityEEEEENSD_19counting_iterator_tIlEES8_S8_S8_S8_S8_S8_S8_S8_EEEEPS9_S9_NSD_9__find_if7functorIS9_EEEE10hipError_tPvRmT1_T2_T3_mT4_P12ihipStream_tbEUlT_E0_NS1_11comp_targetILNS1_3genE4ELNS1_11target_archE910ELNS1_3gpuE8ELNS1_3repE0EEENS1_30default_config_static_selectorELNS0_4arch9wavefront6targetE1EEEvS14_,comdat
	.protected	_ZN7rocprim17ROCPRIM_400000_NS6detail17trampoline_kernelINS0_14default_configENS1_22reduce_config_selectorIN6thrust23THRUST_200600_302600_NS5tupleIblNS6_9null_typeES8_S8_S8_S8_S8_S8_S8_EEEEZNS1_11reduce_implILb1ES3_NS6_12zip_iteratorINS7_INS6_11hip_rocprim26transform_input_iterator_tIbNSD_35transform_pair_of_input_iterators_tIbNS6_6detail15normal_iteratorINS6_10device_ptrIKdEEEESL_NS6_8equal_toIdEEEENSG_9not_fun_tINSD_8identityEEEEENSD_19counting_iterator_tIlEES8_S8_S8_S8_S8_S8_S8_S8_EEEEPS9_S9_NSD_9__find_if7functorIS9_EEEE10hipError_tPvRmT1_T2_T3_mT4_P12ihipStream_tbEUlT_E0_NS1_11comp_targetILNS1_3genE4ELNS1_11target_archE910ELNS1_3gpuE8ELNS1_3repE0EEENS1_30default_config_static_selectorELNS0_4arch9wavefront6targetE1EEEvS14_ ; -- Begin function _ZN7rocprim17ROCPRIM_400000_NS6detail17trampoline_kernelINS0_14default_configENS1_22reduce_config_selectorIN6thrust23THRUST_200600_302600_NS5tupleIblNS6_9null_typeES8_S8_S8_S8_S8_S8_S8_EEEEZNS1_11reduce_implILb1ES3_NS6_12zip_iteratorINS7_INS6_11hip_rocprim26transform_input_iterator_tIbNSD_35transform_pair_of_input_iterators_tIbNS6_6detail15normal_iteratorINS6_10device_ptrIKdEEEESL_NS6_8equal_toIdEEEENSG_9not_fun_tINSD_8identityEEEEENSD_19counting_iterator_tIlEES8_S8_S8_S8_S8_S8_S8_S8_EEEEPS9_S9_NSD_9__find_if7functorIS9_EEEE10hipError_tPvRmT1_T2_T3_mT4_P12ihipStream_tbEUlT_E0_NS1_11comp_targetILNS1_3genE4ELNS1_11target_archE910ELNS1_3gpuE8ELNS1_3repE0EEENS1_30default_config_static_selectorELNS0_4arch9wavefront6targetE1EEEvS14_
	.globl	_ZN7rocprim17ROCPRIM_400000_NS6detail17trampoline_kernelINS0_14default_configENS1_22reduce_config_selectorIN6thrust23THRUST_200600_302600_NS5tupleIblNS6_9null_typeES8_S8_S8_S8_S8_S8_S8_EEEEZNS1_11reduce_implILb1ES3_NS6_12zip_iteratorINS7_INS6_11hip_rocprim26transform_input_iterator_tIbNSD_35transform_pair_of_input_iterators_tIbNS6_6detail15normal_iteratorINS6_10device_ptrIKdEEEESL_NS6_8equal_toIdEEEENSG_9not_fun_tINSD_8identityEEEEENSD_19counting_iterator_tIlEES8_S8_S8_S8_S8_S8_S8_S8_EEEEPS9_S9_NSD_9__find_if7functorIS9_EEEE10hipError_tPvRmT1_T2_T3_mT4_P12ihipStream_tbEUlT_E0_NS1_11comp_targetILNS1_3genE4ELNS1_11target_archE910ELNS1_3gpuE8ELNS1_3repE0EEENS1_30default_config_static_selectorELNS0_4arch9wavefront6targetE1EEEvS14_
	.p2align	8
	.type	_ZN7rocprim17ROCPRIM_400000_NS6detail17trampoline_kernelINS0_14default_configENS1_22reduce_config_selectorIN6thrust23THRUST_200600_302600_NS5tupleIblNS6_9null_typeES8_S8_S8_S8_S8_S8_S8_EEEEZNS1_11reduce_implILb1ES3_NS6_12zip_iteratorINS7_INS6_11hip_rocprim26transform_input_iterator_tIbNSD_35transform_pair_of_input_iterators_tIbNS6_6detail15normal_iteratorINS6_10device_ptrIKdEEEESL_NS6_8equal_toIdEEEENSG_9not_fun_tINSD_8identityEEEEENSD_19counting_iterator_tIlEES8_S8_S8_S8_S8_S8_S8_S8_EEEEPS9_S9_NSD_9__find_if7functorIS9_EEEE10hipError_tPvRmT1_T2_T3_mT4_P12ihipStream_tbEUlT_E0_NS1_11comp_targetILNS1_3genE4ELNS1_11target_archE910ELNS1_3gpuE8ELNS1_3repE0EEENS1_30default_config_static_selectorELNS0_4arch9wavefront6targetE1EEEvS14_,@function
_ZN7rocprim17ROCPRIM_400000_NS6detail17trampoline_kernelINS0_14default_configENS1_22reduce_config_selectorIN6thrust23THRUST_200600_302600_NS5tupleIblNS6_9null_typeES8_S8_S8_S8_S8_S8_S8_EEEEZNS1_11reduce_implILb1ES3_NS6_12zip_iteratorINS7_INS6_11hip_rocprim26transform_input_iterator_tIbNSD_35transform_pair_of_input_iterators_tIbNS6_6detail15normal_iteratorINS6_10device_ptrIKdEEEESL_NS6_8equal_toIdEEEENSG_9not_fun_tINSD_8identityEEEEENSD_19counting_iterator_tIlEES8_S8_S8_S8_S8_S8_S8_S8_EEEEPS9_S9_NSD_9__find_if7functorIS9_EEEE10hipError_tPvRmT1_T2_T3_mT4_P12ihipStream_tbEUlT_E0_NS1_11comp_targetILNS1_3genE4ELNS1_11target_archE910ELNS1_3gpuE8ELNS1_3repE0EEENS1_30default_config_static_selectorELNS0_4arch9wavefront6targetE1EEEvS14_: ; @_ZN7rocprim17ROCPRIM_400000_NS6detail17trampoline_kernelINS0_14default_configENS1_22reduce_config_selectorIN6thrust23THRUST_200600_302600_NS5tupleIblNS6_9null_typeES8_S8_S8_S8_S8_S8_S8_EEEEZNS1_11reduce_implILb1ES3_NS6_12zip_iteratorINS7_INS6_11hip_rocprim26transform_input_iterator_tIbNSD_35transform_pair_of_input_iterators_tIbNS6_6detail15normal_iteratorINS6_10device_ptrIKdEEEESL_NS6_8equal_toIdEEEENSG_9not_fun_tINSD_8identityEEEEENSD_19counting_iterator_tIlEES8_S8_S8_S8_S8_S8_S8_S8_EEEEPS9_S9_NSD_9__find_if7functorIS9_EEEE10hipError_tPvRmT1_T2_T3_mT4_P12ihipStream_tbEUlT_E0_NS1_11comp_targetILNS1_3genE4ELNS1_11target_archE910ELNS1_3gpuE8ELNS1_3repE0EEENS1_30default_config_static_selectorELNS0_4arch9wavefront6targetE1EEEvS14_
; %bb.0:
	.section	.rodata,"a",@progbits
	.p2align	6, 0x0
	.amdhsa_kernel _ZN7rocprim17ROCPRIM_400000_NS6detail17trampoline_kernelINS0_14default_configENS1_22reduce_config_selectorIN6thrust23THRUST_200600_302600_NS5tupleIblNS6_9null_typeES8_S8_S8_S8_S8_S8_S8_EEEEZNS1_11reduce_implILb1ES3_NS6_12zip_iteratorINS7_INS6_11hip_rocprim26transform_input_iterator_tIbNSD_35transform_pair_of_input_iterators_tIbNS6_6detail15normal_iteratorINS6_10device_ptrIKdEEEESL_NS6_8equal_toIdEEEENSG_9not_fun_tINSD_8identityEEEEENSD_19counting_iterator_tIlEES8_S8_S8_S8_S8_S8_S8_S8_EEEEPS9_S9_NSD_9__find_if7functorIS9_EEEE10hipError_tPvRmT1_T2_T3_mT4_P12ihipStream_tbEUlT_E0_NS1_11comp_targetILNS1_3genE4ELNS1_11target_archE910ELNS1_3gpuE8ELNS1_3repE0EEENS1_30default_config_static_selectorELNS0_4arch9wavefront6targetE1EEEvS14_
		.amdhsa_group_segment_fixed_size 0
		.amdhsa_private_segment_fixed_size 0
		.amdhsa_kernarg_size 104
		.amdhsa_user_sgpr_count 6
		.amdhsa_user_sgpr_private_segment_buffer 1
		.amdhsa_user_sgpr_dispatch_ptr 0
		.amdhsa_user_sgpr_queue_ptr 0
		.amdhsa_user_sgpr_kernarg_segment_ptr 1
		.amdhsa_user_sgpr_dispatch_id 0
		.amdhsa_user_sgpr_flat_scratch_init 0
		.amdhsa_user_sgpr_private_segment_size 0
		.amdhsa_uses_dynamic_stack 0
		.amdhsa_system_sgpr_private_segment_wavefront_offset 0
		.amdhsa_system_sgpr_workgroup_id_x 1
		.amdhsa_system_sgpr_workgroup_id_y 0
		.amdhsa_system_sgpr_workgroup_id_z 0
		.amdhsa_system_sgpr_workgroup_info 0
		.amdhsa_system_vgpr_workitem_id 0
		.amdhsa_next_free_vgpr 1
		.amdhsa_next_free_sgpr 0
		.amdhsa_reserve_vcc 0
		.amdhsa_reserve_flat_scratch 0
		.amdhsa_float_round_mode_32 0
		.amdhsa_float_round_mode_16_64 0
		.amdhsa_float_denorm_mode_32 3
		.amdhsa_float_denorm_mode_16_64 3
		.amdhsa_dx10_clamp 1
		.amdhsa_ieee_mode 1
		.amdhsa_fp16_overflow 0
		.amdhsa_exception_fp_ieee_invalid_op 0
		.amdhsa_exception_fp_denorm_src 0
		.amdhsa_exception_fp_ieee_div_zero 0
		.amdhsa_exception_fp_ieee_overflow 0
		.amdhsa_exception_fp_ieee_underflow 0
		.amdhsa_exception_fp_ieee_inexact 0
		.amdhsa_exception_int_div_zero 0
	.end_amdhsa_kernel
	.section	.text._ZN7rocprim17ROCPRIM_400000_NS6detail17trampoline_kernelINS0_14default_configENS1_22reduce_config_selectorIN6thrust23THRUST_200600_302600_NS5tupleIblNS6_9null_typeES8_S8_S8_S8_S8_S8_S8_EEEEZNS1_11reduce_implILb1ES3_NS6_12zip_iteratorINS7_INS6_11hip_rocprim26transform_input_iterator_tIbNSD_35transform_pair_of_input_iterators_tIbNS6_6detail15normal_iteratorINS6_10device_ptrIKdEEEESL_NS6_8equal_toIdEEEENSG_9not_fun_tINSD_8identityEEEEENSD_19counting_iterator_tIlEES8_S8_S8_S8_S8_S8_S8_S8_EEEEPS9_S9_NSD_9__find_if7functorIS9_EEEE10hipError_tPvRmT1_T2_T3_mT4_P12ihipStream_tbEUlT_E0_NS1_11comp_targetILNS1_3genE4ELNS1_11target_archE910ELNS1_3gpuE8ELNS1_3repE0EEENS1_30default_config_static_selectorELNS0_4arch9wavefront6targetE1EEEvS14_,"axG",@progbits,_ZN7rocprim17ROCPRIM_400000_NS6detail17trampoline_kernelINS0_14default_configENS1_22reduce_config_selectorIN6thrust23THRUST_200600_302600_NS5tupleIblNS6_9null_typeES8_S8_S8_S8_S8_S8_S8_EEEEZNS1_11reduce_implILb1ES3_NS6_12zip_iteratorINS7_INS6_11hip_rocprim26transform_input_iterator_tIbNSD_35transform_pair_of_input_iterators_tIbNS6_6detail15normal_iteratorINS6_10device_ptrIKdEEEESL_NS6_8equal_toIdEEEENSG_9not_fun_tINSD_8identityEEEEENSD_19counting_iterator_tIlEES8_S8_S8_S8_S8_S8_S8_S8_EEEEPS9_S9_NSD_9__find_if7functorIS9_EEEE10hipError_tPvRmT1_T2_T3_mT4_P12ihipStream_tbEUlT_E0_NS1_11comp_targetILNS1_3genE4ELNS1_11target_archE910ELNS1_3gpuE8ELNS1_3repE0EEENS1_30default_config_static_selectorELNS0_4arch9wavefront6targetE1EEEvS14_,comdat
.Lfunc_end428:
	.size	_ZN7rocprim17ROCPRIM_400000_NS6detail17trampoline_kernelINS0_14default_configENS1_22reduce_config_selectorIN6thrust23THRUST_200600_302600_NS5tupleIblNS6_9null_typeES8_S8_S8_S8_S8_S8_S8_EEEEZNS1_11reduce_implILb1ES3_NS6_12zip_iteratorINS7_INS6_11hip_rocprim26transform_input_iterator_tIbNSD_35transform_pair_of_input_iterators_tIbNS6_6detail15normal_iteratorINS6_10device_ptrIKdEEEESL_NS6_8equal_toIdEEEENSG_9not_fun_tINSD_8identityEEEEENSD_19counting_iterator_tIlEES8_S8_S8_S8_S8_S8_S8_S8_EEEEPS9_S9_NSD_9__find_if7functorIS9_EEEE10hipError_tPvRmT1_T2_T3_mT4_P12ihipStream_tbEUlT_E0_NS1_11comp_targetILNS1_3genE4ELNS1_11target_archE910ELNS1_3gpuE8ELNS1_3repE0EEENS1_30default_config_static_selectorELNS0_4arch9wavefront6targetE1EEEvS14_, .Lfunc_end428-_ZN7rocprim17ROCPRIM_400000_NS6detail17trampoline_kernelINS0_14default_configENS1_22reduce_config_selectorIN6thrust23THRUST_200600_302600_NS5tupleIblNS6_9null_typeES8_S8_S8_S8_S8_S8_S8_EEEEZNS1_11reduce_implILb1ES3_NS6_12zip_iteratorINS7_INS6_11hip_rocprim26transform_input_iterator_tIbNSD_35transform_pair_of_input_iterators_tIbNS6_6detail15normal_iteratorINS6_10device_ptrIKdEEEESL_NS6_8equal_toIdEEEENSG_9not_fun_tINSD_8identityEEEEENSD_19counting_iterator_tIlEES8_S8_S8_S8_S8_S8_S8_S8_EEEEPS9_S9_NSD_9__find_if7functorIS9_EEEE10hipError_tPvRmT1_T2_T3_mT4_P12ihipStream_tbEUlT_E0_NS1_11comp_targetILNS1_3genE4ELNS1_11target_archE910ELNS1_3gpuE8ELNS1_3repE0EEENS1_30default_config_static_selectorELNS0_4arch9wavefront6targetE1EEEvS14_
                                        ; -- End function
	.set _ZN7rocprim17ROCPRIM_400000_NS6detail17trampoline_kernelINS0_14default_configENS1_22reduce_config_selectorIN6thrust23THRUST_200600_302600_NS5tupleIblNS6_9null_typeES8_S8_S8_S8_S8_S8_S8_EEEEZNS1_11reduce_implILb1ES3_NS6_12zip_iteratorINS7_INS6_11hip_rocprim26transform_input_iterator_tIbNSD_35transform_pair_of_input_iterators_tIbNS6_6detail15normal_iteratorINS6_10device_ptrIKdEEEESL_NS6_8equal_toIdEEEENSG_9not_fun_tINSD_8identityEEEEENSD_19counting_iterator_tIlEES8_S8_S8_S8_S8_S8_S8_S8_EEEEPS9_S9_NSD_9__find_if7functorIS9_EEEE10hipError_tPvRmT1_T2_T3_mT4_P12ihipStream_tbEUlT_E0_NS1_11comp_targetILNS1_3genE4ELNS1_11target_archE910ELNS1_3gpuE8ELNS1_3repE0EEENS1_30default_config_static_selectorELNS0_4arch9wavefront6targetE1EEEvS14_.num_vgpr, 0
	.set _ZN7rocprim17ROCPRIM_400000_NS6detail17trampoline_kernelINS0_14default_configENS1_22reduce_config_selectorIN6thrust23THRUST_200600_302600_NS5tupleIblNS6_9null_typeES8_S8_S8_S8_S8_S8_S8_EEEEZNS1_11reduce_implILb1ES3_NS6_12zip_iteratorINS7_INS6_11hip_rocprim26transform_input_iterator_tIbNSD_35transform_pair_of_input_iterators_tIbNS6_6detail15normal_iteratorINS6_10device_ptrIKdEEEESL_NS6_8equal_toIdEEEENSG_9not_fun_tINSD_8identityEEEEENSD_19counting_iterator_tIlEES8_S8_S8_S8_S8_S8_S8_S8_EEEEPS9_S9_NSD_9__find_if7functorIS9_EEEE10hipError_tPvRmT1_T2_T3_mT4_P12ihipStream_tbEUlT_E0_NS1_11comp_targetILNS1_3genE4ELNS1_11target_archE910ELNS1_3gpuE8ELNS1_3repE0EEENS1_30default_config_static_selectorELNS0_4arch9wavefront6targetE1EEEvS14_.num_agpr, 0
	.set _ZN7rocprim17ROCPRIM_400000_NS6detail17trampoline_kernelINS0_14default_configENS1_22reduce_config_selectorIN6thrust23THRUST_200600_302600_NS5tupleIblNS6_9null_typeES8_S8_S8_S8_S8_S8_S8_EEEEZNS1_11reduce_implILb1ES3_NS6_12zip_iteratorINS7_INS6_11hip_rocprim26transform_input_iterator_tIbNSD_35transform_pair_of_input_iterators_tIbNS6_6detail15normal_iteratorINS6_10device_ptrIKdEEEESL_NS6_8equal_toIdEEEENSG_9not_fun_tINSD_8identityEEEEENSD_19counting_iterator_tIlEES8_S8_S8_S8_S8_S8_S8_S8_EEEEPS9_S9_NSD_9__find_if7functorIS9_EEEE10hipError_tPvRmT1_T2_T3_mT4_P12ihipStream_tbEUlT_E0_NS1_11comp_targetILNS1_3genE4ELNS1_11target_archE910ELNS1_3gpuE8ELNS1_3repE0EEENS1_30default_config_static_selectorELNS0_4arch9wavefront6targetE1EEEvS14_.numbered_sgpr, 0
	.set _ZN7rocprim17ROCPRIM_400000_NS6detail17trampoline_kernelINS0_14default_configENS1_22reduce_config_selectorIN6thrust23THRUST_200600_302600_NS5tupleIblNS6_9null_typeES8_S8_S8_S8_S8_S8_S8_EEEEZNS1_11reduce_implILb1ES3_NS6_12zip_iteratorINS7_INS6_11hip_rocprim26transform_input_iterator_tIbNSD_35transform_pair_of_input_iterators_tIbNS6_6detail15normal_iteratorINS6_10device_ptrIKdEEEESL_NS6_8equal_toIdEEEENSG_9not_fun_tINSD_8identityEEEEENSD_19counting_iterator_tIlEES8_S8_S8_S8_S8_S8_S8_S8_EEEEPS9_S9_NSD_9__find_if7functorIS9_EEEE10hipError_tPvRmT1_T2_T3_mT4_P12ihipStream_tbEUlT_E0_NS1_11comp_targetILNS1_3genE4ELNS1_11target_archE910ELNS1_3gpuE8ELNS1_3repE0EEENS1_30default_config_static_selectorELNS0_4arch9wavefront6targetE1EEEvS14_.num_named_barrier, 0
	.set _ZN7rocprim17ROCPRIM_400000_NS6detail17trampoline_kernelINS0_14default_configENS1_22reduce_config_selectorIN6thrust23THRUST_200600_302600_NS5tupleIblNS6_9null_typeES8_S8_S8_S8_S8_S8_S8_EEEEZNS1_11reduce_implILb1ES3_NS6_12zip_iteratorINS7_INS6_11hip_rocprim26transform_input_iterator_tIbNSD_35transform_pair_of_input_iterators_tIbNS6_6detail15normal_iteratorINS6_10device_ptrIKdEEEESL_NS6_8equal_toIdEEEENSG_9not_fun_tINSD_8identityEEEEENSD_19counting_iterator_tIlEES8_S8_S8_S8_S8_S8_S8_S8_EEEEPS9_S9_NSD_9__find_if7functorIS9_EEEE10hipError_tPvRmT1_T2_T3_mT4_P12ihipStream_tbEUlT_E0_NS1_11comp_targetILNS1_3genE4ELNS1_11target_archE910ELNS1_3gpuE8ELNS1_3repE0EEENS1_30default_config_static_selectorELNS0_4arch9wavefront6targetE1EEEvS14_.private_seg_size, 0
	.set _ZN7rocprim17ROCPRIM_400000_NS6detail17trampoline_kernelINS0_14default_configENS1_22reduce_config_selectorIN6thrust23THRUST_200600_302600_NS5tupleIblNS6_9null_typeES8_S8_S8_S8_S8_S8_S8_EEEEZNS1_11reduce_implILb1ES3_NS6_12zip_iteratorINS7_INS6_11hip_rocprim26transform_input_iterator_tIbNSD_35transform_pair_of_input_iterators_tIbNS6_6detail15normal_iteratorINS6_10device_ptrIKdEEEESL_NS6_8equal_toIdEEEENSG_9not_fun_tINSD_8identityEEEEENSD_19counting_iterator_tIlEES8_S8_S8_S8_S8_S8_S8_S8_EEEEPS9_S9_NSD_9__find_if7functorIS9_EEEE10hipError_tPvRmT1_T2_T3_mT4_P12ihipStream_tbEUlT_E0_NS1_11comp_targetILNS1_3genE4ELNS1_11target_archE910ELNS1_3gpuE8ELNS1_3repE0EEENS1_30default_config_static_selectorELNS0_4arch9wavefront6targetE1EEEvS14_.uses_vcc, 0
	.set _ZN7rocprim17ROCPRIM_400000_NS6detail17trampoline_kernelINS0_14default_configENS1_22reduce_config_selectorIN6thrust23THRUST_200600_302600_NS5tupleIblNS6_9null_typeES8_S8_S8_S8_S8_S8_S8_EEEEZNS1_11reduce_implILb1ES3_NS6_12zip_iteratorINS7_INS6_11hip_rocprim26transform_input_iterator_tIbNSD_35transform_pair_of_input_iterators_tIbNS6_6detail15normal_iteratorINS6_10device_ptrIKdEEEESL_NS6_8equal_toIdEEEENSG_9not_fun_tINSD_8identityEEEEENSD_19counting_iterator_tIlEES8_S8_S8_S8_S8_S8_S8_S8_EEEEPS9_S9_NSD_9__find_if7functorIS9_EEEE10hipError_tPvRmT1_T2_T3_mT4_P12ihipStream_tbEUlT_E0_NS1_11comp_targetILNS1_3genE4ELNS1_11target_archE910ELNS1_3gpuE8ELNS1_3repE0EEENS1_30default_config_static_selectorELNS0_4arch9wavefront6targetE1EEEvS14_.uses_flat_scratch, 0
	.set _ZN7rocprim17ROCPRIM_400000_NS6detail17trampoline_kernelINS0_14default_configENS1_22reduce_config_selectorIN6thrust23THRUST_200600_302600_NS5tupleIblNS6_9null_typeES8_S8_S8_S8_S8_S8_S8_EEEEZNS1_11reduce_implILb1ES3_NS6_12zip_iteratorINS7_INS6_11hip_rocprim26transform_input_iterator_tIbNSD_35transform_pair_of_input_iterators_tIbNS6_6detail15normal_iteratorINS6_10device_ptrIKdEEEESL_NS6_8equal_toIdEEEENSG_9not_fun_tINSD_8identityEEEEENSD_19counting_iterator_tIlEES8_S8_S8_S8_S8_S8_S8_S8_EEEEPS9_S9_NSD_9__find_if7functorIS9_EEEE10hipError_tPvRmT1_T2_T3_mT4_P12ihipStream_tbEUlT_E0_NS1_11comp_targetILNS1_3genE4ELNS1_11target_archE910ELNS1_3gpuE8ELNS1_3repE0EEENS1_30default_config_static_selectorELNS0_4arch9wavefront6targetE1EEEvS14_.has_dyn_sized_stack, 0
	.set _ZN7rocprim17ROCPRIM_400000_NS6detail17trampoline_kernelINS0_14default_configENS1_22reduce_config_selectorIN6thrust23THRUST_200600_302600_NS5tupleIblNS6_9null_typeES8_S8_S8_S8_S8_S8_S8_EEEEZNS1_11reduce_implILb1ES3_NS6_12zip_iteratorINS7_INS6_11hip_rocprim26transform_input_iterator_tIbNSD_35transform_pair_of_input_iterators_tIbNS6_6detail15normal_iteratorINS6_10device_ptrIKdEEEESL_NS6_8equal_toIdEEEENSG_9not_fun_tINSD_8identityEEEEENSD_19counting_iterator_tIlEES8_S8_S8_S8_S8_S8_S8_S8_EEEEPS9_S9_NSD_9__find_if7functorIS9_EEEE10hipError_tPvRmT1_T2_T3_mT4_P12ihipStream_tbEUlT_E0_NS1_11comp_targetILNS1_3genE4ELNS1_11target_archE910ELNS1_3gpuE8ELNS1_3repE0EEENS1_30default_config_static_selectorELNS0_4arch9wavefront6targetE1EEEvS14_.has_recursion, 0
	.set _ZN7rocprim17ROCPRIM_400000_NS6detail17trampoline_kernelINS0_14default_configENS1_22reduce_config_selectorIN6thrust23THRUST_200600_302600_NS5tupleIblNS6_9null_typeES8_S8_S8_S8_S8_S8_S8_EEEEZNS1_11reduce_implILb1ES3_NS6_12zip_iteratorINS7_INS6_11hip_rocprim26transform_input_iterator_tIbNSD_35transform_pair_of_input_iterators_tIbNS6_6detail15normal_iteratorINS6_10device_ptrIKdEEEESL_NS6_8equal_toIdEEEENSG_9not_fun_tINSD_8identityEEEEENSD_19counting_iterator_tIlEES8_S8_S8_S8_S8_S8_S8_S8_EEEEPS9_S9_NSD_9__find_if7functorIS9_EEEE10hipError_tPvRmT1_T2_T3_mT4_P12ihipStream_tbEUlT_E0_NS1_11comp_targetILNS1_3genE4ELNS1_11target_archE910ELNS1_3gpuE8ELNS1_3repE0EEENS1_30default_config_static_selectorELNS0_4arch9wavefront6targetE1EEEvS14_.has_indirect_call, 0
	.section	.AMDGPU.csdata,"",@progbits
; Kernel info:
; codeLenInByte = 0
; TotalNumSgprs: 4
; NumVgprs: 0
; ScratchSize: 0
; MemoryBound: 0
; FloatMode: 240
; IeeeMode: 1
; LDSByteSize: 0 bytes/workgroup (compile time only)
; SGPRBlocks: 0
; VGPRBlocks: 0
; NumSGPRsForWavesPerEU: 4
; NumVGPRsForWavesPerEU: 1
; Occupancy: 10
; WaveLimiterHint : 0
; COMPUTE_PGM_RSRC2:SCRATCH_EN: 0
; COMPUTE_PGM_RSRC2:USER_SGPR: 6
; COMPUTE_PGM_RSRC2:TRAP_HANDLER: 0
; COMPUTE_PGM_RSRC2:TGID_X_EN: 1
; COMPUTE_PGM_RSRC2:TGID_Y_EN: 0
; COMPUTE_PGM_RSRC2:TGID_Z_EN: 0
; COMPUTE_PGM_RSRC2:TIDIG_COMP_CNT: 0
	.section	.text._ZN7rocprim17ROCPRIM_400000_NS6detail17trampoline_kernelINS0_14default_configENS1_22reduce_config_selectorIN6thrust23THRUST_200600_302600_NS5tupleIblNS6_9null_typeES8_S8_S8_S8_S8_S8_S8_EEEEZNS1_11reduce_implILb1ES3_NS6_12zip_iteratorINS7_INS6_11hip_rocprim26transform_input_iterator_tIbNSD_35transform_pair_of_input_iterators_tIbNS6_6detail15normal_iteratorINS6_10device_ptrIKdEEEESL_NS6_8equal_toIdEEEENSG_9not_fun_tINSD_8identityEEEEENSD_19counting_iterator_tIlEES8_S8_S8_S8_S8_S8_S8_S8_EEEEPS9_S9_NSD_9__find_if7functorIS9_EEEE10hipError_tPvRmT1_T2_T3_mT4_P12ihipStream_tbEUlT_E0_NS1_11comp_targetILNS1_3genE3ELNS1_11target_archE908ELNS1_3gpuE7ELNS1_3repE0EEENS1_30default_config_static_selectorELNS0_4arch9wavefront6targetE1EEEvS14_,"axG",@progbits,_ZN7rocprim17ROCPRIM_400000_NS6detail17trampoline_kernelINS0_14default_configENS1_22reduce_config_selectorIN6thrust23THRUST_200600_302600_NS5tupleIblNS6_9null_typeES8_S8_S8_S8_S8_S8_S8_EEEEZNS1_11reduce_implILb1ES3_NS6_12zip_iteratorINS7_INS6_11hip_rocprim26transform_input_iterator_tIbNSD_35transform_pair_of_input_iterators_tIbNS6_6detail15normal_iteratorINS6_10device_ptrIKdEEEESL_NS6_8equal_toIdEEEENSG_9not_fun_tINSD_8identityEEEEENSD_19counting_iterator_tIlEES8_S8_S8_S8_S8_S8_S8_S8_EEEEPS9_S9_NSD_9__find_if7functorIS9_EEEE10hipError_tPvRmT1_T2_T3_mT4_P12ihipStream_tbEUlT_E0_NS1_11comp_targetILNS1_3genE3ELNS1_11target_archE908ELNS1_3gpuE7ELNS1_3repE0EEENS1_30default_config_static_selectorELNS0_4arch9wavefront6targetE1EEEvS14_,comdat
	.protected	_ZN7rocprim17ROCPRIM_400000_NS6detail17trampoline_kernelINS0_14default_configENS1_22reduce_config_selectorIN6thrust23THRUST_200600_302600_NS5tupleIblNS6_9null_typeES8_S8_S8_S8_S8_S8_S8_EEEEZNS1_11reduce_implILb1ES3_NS6_12zip_iteratorINS7_INS6_11hip_rocprim26transform_input_iterator_tIbNSD_35transform_pair_of_input_iterators_tIbNS6_6detail15normal_iteratorINS6_10device_ptrIKdEEEESL_NS6_8equal_toIdEEEENSG_9not_fun_tINSD_8identityEEEEENSD_19counting_iterator_tIlEES8_S8_S8_S8_S8_S8_S8_S8_EEEEPS9_S9_NSD_9__find_if7functorIS9_EEEE10hipError_tPvRmT1_T2_T3_mT4_P12ihipStream_tbEUlT_E0_NS1_11comp_targetILNS1_3genE3ELNS1_11target_archE908ELNS1_3gpuE7ELNS1_3repE0EEENS1_30default_config_static_selectorELNS0_4arch9wavefront6targetE1EEEvS14_ ; -- Begin function _ZN7rocprim17ROCPRIM_400000_NS6detail17trampoline_kernelINS0_14default_configENS1_22reduce_config_selectorIN6thrust23THRUST_200600_302600_NS5tupleIblNS6_9null_typeES8_S8_S8_S8_S8_S8_S8_EEEEZNS1_11reduce_implILb1ES3_NS6_12zip_iteratorINS7_INS6_11hip_rocprim26transform_input_iterator_tIbNSD_35transform_pair_of_input_iterators_tIbNS6_6detail15normal_iteratorINS6_10device_ptrIKdEEEESL_NS6_8equal_toIdEEEENSG_9not_fun_tINSD_8identityEEEEENSD_19counting_iterator_tIlEES8_S8_S8_S8_S8_S8_S8_S8_EEEEPS9_S9_NSD_9__find_if7functorIS9_EEEE10hipError_tPvRmT1_T2_T3_mT4_P12ihipStream_tbEUlT_E0_NS1_11comp_targetILNS1_3genE3ELNS1_11target_archE908ELNS1_3gpuE7ELNS1_3repE0EEENS1_30default_config_static_selectorELNS0_4arch9wavefront6targetE1EEEvS14_
	.globl	_ZN7rocprim17ROCPRIM_400000_NS6detail17trampoline_kernelINS0_14default_configENS1_22reduce_config_selectorIN6thrust23THRUST_200600_302600_NS5tupleIblNS6_9null_typeES8_S8_S8_S8_S8_S8_S8_EEEEZNS1_11reduce_implILb1ES3_NS6_12zip_iteratorINS7_INS6_11hip_rocprim26transform_input_iterator_tIbNSD_35transform_pair_of_input_iterators_tIbNS6_6detail15normal_iteratorINS6_10device_ptrIKdEEEESL_NS6_8equal_toIdEEEENSG_9not_fun_tINSD_8identityEEEEENSD_19counting_iterator_tIlEES8_S8_S8_S8_S8_S8_S8_S8_EEEEPS9_S9_NSD_9__find_if7functorIS9_EEEE10hipError_tPvRmT1_T2_T3_mT4_P12ihipStream_tbEUlT_E0_NS1_11comp_targetILNS1_3genE3ELNS1_11target_archE908ELNS1_3gpuE7ELNS1_3repE0EEENS1_30default_config_static_selectorELNS0_4arch9wavefront6targetE1EEEvS14_
	.p2align	8
	.type	_ZN7rocprim17ROCPRIM_400000_NS6detail17trampoline_kernelINS0_14default_configENS1_22reduce_config_selectorIN6thrust23THRUST_200600_302600_NS5tupleIblNS6_9null_typeES8_S8_S8_S8_S8_S8_S8_EEEEZNS1_11reduce_implILb1ES3_NS6_12zip_iteratorINS7_INS6_11hip_rocprim26transform_input_iterator_tIbNSD_35transform_pair_of_input_iterators_tIbNS6_6detail15normal_iteratorINS6_10device_ptrIKdEEEESL_NS6_8equal_toIdEEEENSG_9not_fun_tINSD_8identityEEEEENSD_19counting_iterator_tIlEES8_S8_S8_S8_S8_S8_S8_S8_EEEEPS9_S9_NSD_9__find_if7functorIS9_EEEE10hipError_tPvRmT1_T2_T3_mT4_P12ihipStream_tbEUlT_E0_NS1_11comp_targetILNS1_3genE3ELNS1_11target_archE908ELNS1_3gpuE7ELNS1_3repE0EEENS1_30default_config_static_selectorELNS0_4arch9wavefront6targetE1EEEvS14_,@function
_ZN7rocprim17ROCPRIM_400000_NS6detail17trampoline_kernelINS0_14default_configENS1_22reduce_config_selectorIN6thrust23THRUST_200600_302600_NS5tupleIblNS6_9null_typeES8_S8_S8_S8_S8_S8_S8_EEEEZNS1_11reduce_implILb1ES3_NS6_12zip_iteratorINS7_INS6_11hip_rocprim26transform_input_iterator_tIbNSD_35transform_pair_of_input_iterators_tIbNS6_6detail15normal_iteratorINS6_10device_ptrIKdEEEESL_NS6_8equal_toIdEEEENSG_9not_fun_tINSD_8identityEEEEENSD_19counting_iterator_tIlEES8_S8_S8_S8_S8_S8_S8_S8_EEEEPS9_S9_NSD_9__find_if7functorIS9_EEEE10hipError_tPvRmT1_T2_T3_mT4_P12ihipStream_tbEUlT_E0_NS1_11comp_targetILNS1_3genE3ELNS1_11target_archE908ELNS1_3gpuE7ELNS1_3repE0EEENS1_30default_config_static_selectorELNS0_4arch9wavefront6targetE1EEEvS14_: ; @_ZN7rocprim17ROCPRIM_400000_NS6detail17trampoline_kernelINS0_14default_configENS1_22reduce_config_selectorIN6thrust23THRUST_200600_302600_NS5tupleIblNS6_9null_typeES8_S8_S8_S8_S8_S8_S8_EEEEZNS1_11reduce_implILb1ES3_NS6_12zip_iteratorINS7_INS6_11hip_rocprim26transform_input_iterator_tIbNSD_35transform_pair_of_input_iterators_tIbNS6_6detail15normal_iteratorINS6_10device_ptrIKdEEEESL_NS6_8equal_toIdEEEENSG_9not_fun_tINSD_8identityEEEEENSD_19counting_iterator_tIlEES8_S8_S8_S8_S8_S8_S8_S8_EEEEPS9_S9_NSD_9__find_if7functorIS9_EEEE10hipError_tPvRmT1_T2_T3_mT4_P12ihipStream_tbEUlT_E0_NS1_11comp_targetILNS1_3genE3ELNS1_11target_archE908ELNS1_3gpuE7ELNS1_3repE0EEENS1_30default_config_static_selectorELNS0_4arch9wavefront6targetE1EEEvS14_
; %bb.0:
	.section	.rodata,"a",@progbits
	.p2align	6, 0x0
	.amdhsa_kernel _ZN7rocprim17ROCPRIM_400000_NS6detail17trampoline_kernelINS0_14default_configENS1_22reduce_config_selectorIN6thrust23THRUST_200600_302600_NS5tupleIblNS6_9null_typeES8_S8_S8_S8_S8_S8_S8_EEEEZNS1_11reduce_implILb1ES3_NS6_12zip_iteratorINS7_INS6_11hip_rocprim26transform_input_iterator_tIbNSD_35transform_pair_of_input_iterators_tIbNS6_6detail15normal_iteratorINS6_10device_ptrIKdEEEESL_NS6_8equal_toIdEEEENSG_9not_fun_tINSD_8identityEEEEENSD_19counting_iterator_tIlEES8_S8_S8_S8_S8_S8_S8_S8_EEEEPS9_S9_NSD_9__find_if7functorIS9_EEEE10hipError_tPvRmT1_T2_T3_mT4_P12ihipStream_tbEUlT_E0_NS1_11comp_targetILNS1_3genE3ELNS1_11target_archE908ELNS1_3gpuE7ELNS1_3repE0EEENS1_30default_config_static_selectorELNS0_4arch9wavefront6targetE1EEEvS14_
		.amdhsa_group_segment_fixed_size 0
		.amdhsa_private_segment_fixed_size 0
		.amdhsa_kernarg_size 104
		.amdhsa_user_sgpr_count 6
		.amdhsa_user_sgpr_private_segment_buffer 1
		.amdhsa_user_sgpr_dispatch_ptr 0
		.amdhsa_user_sgpr_queue_ptr 0
		.amdhsa_user_sgpr_kernarg_segment_ptr 1
		.amdhsa_user_sgpr_dispatch_id 0
		.amdhsa_user_sgpr_flat_scratch_init 0
		.amdhsa_user_sgpr_private_segment_size 0
		.amdhsa_uses_dynamic_stack 0
		.amdhsa_system_sgpr_private_segment_wavefront_offset 0
		.amdhsa_system_sgpr_workgroup_id_x 1
		.amdhsa_system_sgpr_workgroup_id_y 0
		.amdhsa_system_sgpr_workgroup_id_z 0
		.amdhsa_system_sgpr_workgroup_info 0
		.amdhsa_system_vgpr_workitem_id 0
		.amdhsa_next_free_vgpr 1
		.amdhsa_next_free_sgpr 0
		.amdhsa_reserve_vcc 0
		.amdhsa_reserve_flat_scratch 0
		.amdhsa_float_round_mode_32 0
		.amdhsa_float_round_mode_16_64 0
		.amdhsa_float_denorm_mode_32 3
		.amdhsa_float_denorm_mode_16_64 3
		.amdhsa_dx10_clamp 1
		.amdhsa_ieee_mode 1
		.amdhsa_fp16_overflow 0
		.amdhsa_exception_fp_ieee_invalid_op 0
		.amdhsa_exception_fp_denorm_src 0
		.amdhsa_exception_fp_ieee_div_zero 0
		.amdhsa_exception_fp_ieee_overflow 0
		.amdhsa_exception_fp_ieee_underflow 0
		.amdhsa_exception_fp_ieee_inexact 0
		.amdhsa_exception_int_div_zero 0
	.end_amdhsa_kernel
	.section	.text._ZN7rocprim17ROCPRIM_400000_NS6detail17trampoline_kernelINS0_14default_configENS1_22reduce_config_selectorIN6thrust23THRUST_200600_302600_NS5tupleIblNS6_9null_typeES8_S8_S8_S8_S8_S8_S8_EEEEZNS1_11reduce_implILb1ES3_NS6_12zip_iteratorINS7_INS6_11hip_rocprim26transform_input_iterator_tIbNSD_35transform_pair_of_input_iterators_tIbNS6_6detail15normal_iteratorINS6_10device_ptrIKdEEEESL_NS6_8equal_toIdEEEENSG_9not_fun_tINSD_8identityEEEEENSD_19counting_iterator_tIlEES8_S8_S8_S8_S8_S8_S8_S8_EEEEPS9_S9_NSD_9__find_if7functorIS9_EEEE10hipError_tPvRmT1_T2_T3_mT4_P12ihipStream_tbEUlT_E0_NS1_11comp_targetILNS1_3genE3ELNS1_11target_archE908ELNS1_3gpuE7ELNS1_3repE0EEENS1_30default_config_static_selectorELNS0_4arch9wavefront6targetE1EEEvS14_,"axG",@progbits,_ZN7rocprim17ROCPRIM_400000_NS6detail17trampoline_kernelINS0_14default_configENS1_22reduce_config_selectorIN6thrust23THRUST_200600_302600_NS5tupleIblNS6_9null_typeES8_S8_S8_S8_S8_S8_S8_EEEEZNS1_11reduce_implILb1ES3_NS6_12zip_iteratorINS7_INS6_11hip_rocprim26transform_input_iterator_tIbNSD_35transform_pair_of_input_iterators_tIbNS6_6detail15normal_iteratorINS6_10device_ptrIKdEEEESL_NS6_8equal_toIdEEEENSG_9not_fun_tINSD_8identityEEEEENSD_19counting_iterator_tIlEES8_S8_S8_S8_S8_S8_S8_S8_EEEEPS9_S9_NSD_9__find_if7functorIS9_EEEE10hipError_tPvRmT1_T2_T3_mT4_P12ihipStream_tbEUlT_E0_NS1_11comp_targetILNS1_3genE3ELNS1_11target_archE908ELNS1_3gpuE7ELNS1_3repE0EEENS1_30default_config_static_selectorELNS0_4arch9wavefront6targetE1EEEvS14_,comdat
.Lfunc_end429:
	.size	_ZN7rocprim17ROCPRIM_400000_NS6detail17trampoline_kernelINS0_14default_configENS1_22reduce_config_selectorIN6thrust23THRUST_200600_302600_NS5tupleIblNS6_9null_typeES8_S8_S8_S8_S8_S8_S8_EEEEZNS1_11reduce_implILb1ES3_NS6_12zip_iteratorINS7_INS6_11hip_rocprim26transform_input_iterator_tIbNSD_35transform_pair_of_input_iterators_tIbNS6_6detail15normal_iteratorINS6_10device_ptrIKdEEEESL_NS6_8equal_toIdEEEENSG_9not_fun_tINSD_8identityEEEEENSD_19counting_iterator_tIlEES8_S8_S8_S8_S8_S8_S8_S8_EEEEPS9_S9_NSD_9__find_if7functorIS9_EEEE10hipError_tPvRmT1_T2_T3_mT4_P12ihipStream_tbEUlT_E0_NS1_11comp_targetILNS1_3genE3ELNS1_11target_archE908ELNS1_3gpuE7ELNS1_3repE0EEENS1_30default_config_static_selectorELNS0_4arch9wavefront6targetE1EEEvS14_, .Lfunc_end429-_ZN7rocprim17ROCPRIM_400000_NS6detail17trampoline_kernelINS0_14default_configENS1_22reduce_config_selectorIN6thrust23THRUST_200600_302600_NS5tupleIblNS6_9null_typeES8_S8_S8_S8_S8_S8_S8_EEEEZNS1_11reduce_implILb1ES3_NS6_12zip_iteratorINS7_INS6_11hip_rocprim26transform_input_iterator_tIbNSD_35transform_pair_of_input_iterators_tIbNS6_6detail15normal_iteratorINS6_10device_ptrIKdEEEESL_NS6_8equal_toIdEEEENSG_9not_fun_tINSD_8identityEEEEENSD_19counting_iterator_tIlEES8_S8_S8_S8_S8_S8_S8_S8_EEEEPS9_S9_NSD_9__find_if7functorIS9_EEEE10hipError_tPvRmT1_T2_T3_mT4_P12ihipStream_tbEUlT_E0_NS1_11comp_targetILNS1_3genE3ELNS1_11target_archE908ELNS1_3gpuE7ELNS1_3repE0EEENS1_30default_config_static_selectorELNS0_4arch9wavefront6targetE1EEEvS14_
                                        ; -- End function
	.set _ZN7rocprim17ROCPRIM_400000_NS6detail17trampoline_kernelINS0_14default_configENS1_22reduce_config_selectorIN6thrust23THRUST_200600_302600_NS5tupleIblNS6_9null_typeES8_S8_S8_S8_S8_S8_S8_EEEEZNS1_11reduce_implILb1ES3_NS6_12zip_iteratorINS7_INS6_11hip_rocprim26transform_input_iterator_tIbNSD_35transform_pair_of_input_iterators_tIbNS6_6detail15normal_iteratorINS6_10device_ptrIKdEEEESL_NS6_8equal_toIdEEEENSG_9not_fun_tINSD_8identityEEEEENSD_19counting_iterator_tIlEES8_S8_S8_S8_S8_S8_S8_S8_EEEEPS9_S9_NSD_9__find_if7functorIS9_EEEE10hipError_tPvRmT1_T2_T3_mT4_P12ihipStream_tbEUlT_E0_NS1_11comp_targetILNS1_3genE3ELNS1_11target_archE908ELNS1_3gpuE7ELNS1_3repE0EEENS1_30default_config_static_selectorELNS0_4arch9wavefront6targetE1EEEvS14_.num_vgpr, 0
	.set _ZN7rocprim17ROCPRIM_400000_NS6detail17trampoline_kernelINS0_14default_configENS1_22reduce_config_selectorIN6thrust23THRUST_200600_302600_NS5tupleIblNS6_9null_typeES8_S8_S8_S8_S8_S8_S8_EEEEZNS1_11reduce_implILb1ES3_NS6_12zip_iteratorINS7_INS6_11hip_rocprim26transform_input_iterator_tIbNSD_35transform_pair_of_input_iterators_tIbNS6_6detail15normal_iteratorINS6_10device_ptrIKdEEEESL_NS6_8equal_toIdEEEENSG_9not_fun_tINSD_8identityEEEEENSD_19counting_iterator_tIlEES8_S8_S8_S8_S8_S8_S8_S8_EEEEPS9_S9_NSD_9__find_if7functorIS9_EEEE10hipError_tPvRmT1_T2_T3_mT4_P12ihipStream_tbEUlT_E0_NS1_11comp_targetILNS1_3genE3ELNS1_11target_archE908ELNS1_3gpuE7ELNS1_3repE0EEENS1_30default_config_static_selectorELNS0_4arch9wavefront6targetE1EEEvS14_.num_agpr, 0
	.set _ZN7rocprim17ROCPRIM_400000_NS6detail17trampoline_kernelINS0_14default_configENS1_22reduce_config_selectorIN6thrust23THRUST_200600_302600_NS5tupleIblNS6_9null_typeES8_S8_S8_S8_S8_S8_S8_EEEEZNS1_11reduce_implILb1ES3_NS6_12zip_iteratorINS7_INS6_11hip_rocprim26transform_input_iterator_tIbNSD_35transform_pair_of_input_iterators_tIbNS6_6detail15normal_iteratorINS6_10device_ptrIKdEEEESL_NS6_8equal_toIdEEEENSG_9not_fun_tINSD_8identityEEEEENSD_19counting_iterator_tIlEES8_S8_S8_S8_S8_S8_S8_S8_EEEEPS9_S9_NSD_9__find_if7functorIS9_EEEE10hipError_tPvRmT1_T2_T3_mT4_P12ihipStream_tbEUlT_E0_NS1_11comp_targetILNS1_3genE3ELNS1_11target_archE908ELNS1_3gpuE7ELNS1_3repE0EEENS1_30default_config_static_selectorELNS0_4arch9wavefront6targetE1EEEvS14_.numbered_sgpr, 0
	.set _ZN7rocprim17ROCPRIM_400000_NS6detail17trampoline_kernelINS0_14default_configENS1_22reduce_config_selectorIN6thrust23THRUST_200600_302600_NS5tupleIblNS6_9null_typeES8_S8_S8_S8_S8_S8_S8_EEEEZNS1_11reduce_implILb1ES3_NS6_12zip_iteratorINS7_INS6_11hip_rocprim26transform_input_iterator_tIbNSD_35transform_pair_of_input_iterators_tIbNS6_6detail15normal_iteratorINS6_10device_ptrIKdEEEESL_NS6_8equal_toIdEEEENSG_9not_fun_tINSD_8identityEEEEENSD_19counting_iterator_tIlEES8_S8_S8_S8_S8_S8_S8_S8_EEEEPS9_S9_NSD_9__find_if7functorIS9_EEEE10hipError_tPvRmT1_T2_T3_mT4_P12ihipStream_tbEUlT_E0_NS1_11comp_targetILNS1_3genE3ELNS1_11target_archE908ELNS1_3gpuE7ELNS1_3repE0EEENS1_30default_config_static_selectorELNS0_4arch9wavefront6targetE1EEEvS14_.num_named_barrier, 0
	.set _ZN7rocprim17ROCPRIM_400000_NS6detail17trampoline_kernelINS0_14default_configENS1_22reduce_config_selectorIN6thrust23THRUST_200600_302600_NS5tupleIblNS6_9null_typeES8_S8_S8_S8_S8_S8_S8_EEEEZNS1_11reduce_implILb1ES3_NS6_12zip_iteratorINS7_INS6_11hip_rocprim26transform_input_iterator_tIbNSD_35transform_pair_of_input_iterators_tIbNS6_6detail15normal_iteratorINS6_10device_ptrIKdEEEESL_NS6_8equal_toIdEEEENSG_9not_fun_tINSD_8identityEEEEENSD_19counting_iterator_tIlEES8_S8_S8_S8_S8_S8_S8_S8_EEEEPS9_S9_NSD_9__find_if7functorIS9_EEEE10hipError_tPvRmT1_T2_T3_mT4_P12ihipStream_tbEUlT_E0_NS1_11comp_targetILNS1_3genE3ELNS1_11target_archE908ELNS1_3gpuE7ELNS1_3repE0EEENS1_30default_config_static_selectorELNS0_4arch9wavefront6targetE1EEEvS14_.private_seg_size, 0
	.set _ZN7rocprim17ROCPRIM_400000_NS6detail17trampoline_kernelINS0_14default_configENS1_22reduce_config_selectorIN6thrust23THRUST_200600_302600_NS5tupleIblNS6_9null_typeES8_S8_S8_S8_S8_S8_S8_EEEEZNS1_11reduce_implILb1ES3_NS6_12zip_iteratorINS7_INS6_11hip_rocprim26transform_input_iterator_tIbNSD_35transform_pair_of_input_iterators_tIbNS6_6detail15normal_iteratorINS6_10device_ptrIKdEEEESL_NS6_8equal_toIdEEEENSG_9not_fun_tINSD_8identityEEEEENSD_19counting_iterator_tIlEES8_S8_S8_S8_S8_S8_S8_S8_EEEEPS9_S9_NSD_9__find_if7functorIS9_EEEE10hipError_tPvRmT1_T2_T3_mT4_P12ihipStream_tbEUlT_E0_NS1_11comp_targetILNS1_3genE3ELNS1_11target_archE908ELNS1_3gpuE7ELNS1_3repE0EEENS1_30default_config_static_selectorELNS0_4arch9wavefront6targetE1EEEvS14_.uses_vcc, 0
	.set _ZN7rocprim17ROCPRIM_400000_NS6detail17trampoline_kernelINS0_14default_configENS1_22reduce_config_selectorIN6thrust23THRUST_200600_302600_NS5tupleIblNS6_9null_typeES8_S8_S8_S8_S8_S8_S8_EEEEZNS1_11reduce_implILb1ES3_NS6_12zip_iteratorINS7_INS6_11hip_rocprim26transform_input_iterator_tIbNSD_35transform_pair_of_input_iterators_tIbNS6_6detail15normal_iteratorINS6_10device_ptrIKdEEEESL_NS6_8equal_toIdEEEENSG_9not_fun_tINSD_8identityEEEEENSD_19counting_iterator_tIlEES8_S8_S8_S8_S8_S8_S8_S8_EEEEPS9_S9_NSD_9__find_if7functorIS9_EEEE10hipError_tPvRmT1_T2_T3_mT4_P12ihipStream_tbEUlT_E0_NS1_11comp_targetILNS1_3genE3ELNS1_11target_archE908ELNS1_3gpuE7ELNS1_3repE0EEENS1_30default_config_static_selectorELNS0_4arch9wavefront6targetE1EEEvS14_.uses_flat_scratch, 0
	.set _ZN7rocprim17ROCPRIM_400000_NS6detail17trampoline_kernelINS0_14default_configENS1_22reduce_config_selectorIN6thrust23THRUST_200600_302600_NS5tupleIblNS6_9null_typeES8_S8_S8_S8_S8_S8_S8_EEEEZNS1_11reduce_implILb1ES3_NS6_12zip_iteratorINS7_INS6_11hip_rocprim26transform_input_iterator_tIbNSD_35transform_pair_of_input_iterators_tIbNS6_6detail15normal_iteratorINS6_10device_ptrIKdEEEESL_NS6_8equal_toIdEEEENSG_9not_fun_tINSD_8identityEEEEENSD_19counting_iterator_tIlEES8_S8_S8_S8_S8_S8_S8_S8_EEEEPS9_S9_NSD_9__find_if7functorIS9_EEEE10hipError_tPvRmT1_T2_T3_mT4_P12ihipStream_tbEUlT_E0_NS1_11comp_targetILNS1_3genE3ELNS1_11target_archE908ELNS1_3gpuE7ELNS1_3repE0EEENS1_30default_config_static_selectorELNS0_4arch9wavefront6targetE1EEEvS14_.has_dyn_sized_stack, 0
	.set _ZN7rocprim17ROCPRIM_400000_NS6detail17trampoline_kernelINS0_14default_configENS1_22reduce_config_selectorIN6thrust23THRUST_200600_302600_NS5tupleIblNS6_9null_typeES8_S8_S8_S8_S8_S8_S8_EEEEZNS1_11reduce_implILb1ES3_NS6_12zip_iteratorINS7_INS6_11hip_rocprim26transform_input_iterator_tIbNSD_35transform_pair_of_input_iterators_tIbNS6_6detail15normal_iteratorINS6_10device_ptrIKdEEEESL_NS6_8equal_toIdEEEENSG_9not_fun_tINSD_8identityEEEEENSD_19counting_iterator_tIlEES8_S8_S8_S8_S8_S8_S8_S8_EEEEPS9_S9_NSD_9__find_if7functorIS9_EEEE10hipError_tPvRmT1_T2_T3_mT4_P12ihipStream_tbEUlT_E0_NS1_11comp_targetILNS1_3genE3ELNS1_11target_archE908ELNS1_3gpuE7ELNS1_3repE0EEENS1_30default_config_static_selectorELNS0_4arch9wavefront6targetE1EEEvS14_.has_recursion, 0
	.set _ZN7rocprim17ROCPRIM_400000_NS6detail17trampoline_kernelINS0_14default_configENS1_22reduce_config_selectorIN6thrust23THRUST_200600_302600_NS5tupleIblNS6_9null_typeES8_S8_S8_S8_S8_S8_S8_EEEEZNS1_11reduce_implILb1ES3_NS6_12zip_iteratorINS7_INS6_11hip_rocprim26transform_input_iterator_tIbNSD_35transform_pair_of_input_iterators_tIbNS6_6detail15normal_iteratorINS6_10device_ptrIKdEEEESL_NS6_8equal_toIdEEEENSG_9not_fun_tINSD_8identityEEEEENSD_19counting_iterator_tIlEES8_S8_S8_S8_S8_S8_S8_S8_EEEEPS9_S9_NSD_9__find_if7functorIS9_EEEE10hipError_tPvRmT1_T2_T3_mT4_P12ihipStream_tbEUlT_E0_NS1_11comp_targetILNS1_3genE3ELNS1_11target_archE908ELNS1_3gpuE7ELNS1_3repE0EEENS1_30default_config_static_selectorELNS0_4arch9wavefront6targetE1EEEvS14_.has_indirect_call, 0
	.section	.AMDGPU.csdata,"",@progbits
; Kernel info:
; codeLenInByte = 0
; TotalNumSgprs: 4
; NumVgprs: 0
; ScratchSize: 0
; MemoryBound: 0
; FloatMode: 240
; IeeeMode: 1
; LDSByteSize: 0 bytes/workgroup (compile time only)
; SGPRBlocks: 0
; VGPRBlocks: 0
; NumSGPRsForWavesPerEU: 4
; NumVGPRsForWavesPerEU: 1
; Occupancy: 10
; WaveLimiterHint : 0
; COMPUTE_PGM_RSRC2:SCRATCH_EN: 0
; COMPUTE_PGM_RSRC2:USER_SGPR: 6
; COMPUTE_PGM_RSRC2:TRAP_HANDLER: 0
; COMPUTE_PGM_RSRC2:TGID_X_EN: 1
; COMPUTE_PGM_RSRC2:TGID_Y_EN: 0
; COMPUTE_PGM_RSRC2:TGID_Z_EN: 0
; COMPUTE_PGM_RSRC2:TIDIG_COMP_CNT: 0
	.section	.text._ZN7rocprim17ROCPRIM_400000_NS6detail17trampoline_kernelINS0_14default_configENS1_22reduce_config_selectorIN6thrust23THRUST_200600_302600_NS5tupleIblNS6_9null_typeES8_S8_S8_S8_S8_S8_S8_EEEEZNS1_11reduce_implILb1ES3_NS6_12zip_iteratorINS7_INS6_11hip_rocprim26transform_input_iterator_tIbNSD_35transform_pair_of_input_iterators_tIbNS6_6detail15normal_iteratorINS6_10device_ptrIKdEEEESL_NS6_8equal_toIdEEEENSG_9not_fun_tINSD_8identityEEEEENSD_19counting_iterator_tIlEES8_S8_S8_S8_S8_S8_S8_S8_EEEEPS9_S9_NSD_9__find_if7functorIS9_EEEE10hipError_tPvRmT1_T2_T3_mT4_P12ihipStream_tbEUlT_E0_NS1_11comp_targetILNS1_3genE2ELNS1_11target_archE906ELNS1_3gpuE6ELNS1_3repE0EEENS1_30default_config_static_selectorELNS0_4arch9wavefront6targetE1EEEvS14_,"axG",@progbits,_ZN7rocprim17ROCPRIM_400000_NS6detail17trampoline_kernelINS0_14default_configENS1_22reduce_config_selectorIN6thrust23THRUST_200600_302600_NS5tupleIblNS6_9null_typeES8_S8_S8_S8_S8_S8_S8_EEEEZNS1_11reduce_implILb1ES3_NS6_12zip_iteratorINS7_INS6_11hip_rocprim26transform_input_iterator_tIbNSD_35transform_pair_of_input_iterators_tIbNS6_6detail15normal_iteratorINS6_10device_ptrIKdEEEESL_NS6_8equal_toIdEEEENSG_9not_fun_tINSD_8identityEEEEENSD_19counting_iterator_tIlEES8_S8_S8_S8_S8_S8_S8_S8_EEEEPS9_S9_NSD_9__find_if7functorIS9_EEEE10hipError_tPvRmT1_T2_T3_mT4_P12ihipStream_tbEUlT_E0_NS1_11comp_targetILNS1_3genE2ELNS1_11target_archE906ELNS1_3gpuE6ELNS1_3repE0EEENS1_30default_config_static_selectorELNS0_4arch9wavefront6targetE1EEEvS14_,comdat
	.protected	_ZN7rocprim17ROCPRIM_400000_NS6detail17trampoline_kernelINS0_14default_configENS1_22reduce_config_selectorIN6thrust23THRUST_200600_302600_NS5tupleIblNS6_9null_typeES8_S8_S8_S8_S8_S8_S8_EEEEZNS1_11reduce_implILb1ES3_NS6_12zip_iteratorINS7_INS6_11hip_rocprim26transform_input_iterator_tIbNSD_35transform_pair_of_input_iterators_tIbNS6_6detail15normal_iteratorINS6_10device_ptrIKdEEEESL_NS6_8equal_toIdEEEENSG_9not_fun_tINSD_8identityEEEEENSD_19counting_iterator_tIlEES8_S8_S8_S8_S8_S8_S8_S8_EEEEPS9_S9_NSD_9__find_if7functorIS9_EEEE10hipError_tPvRmT1_T2_T3_mT4_P12ihipStream_tbEUlT_E0_NS1_11comp_targetILNS1_3genE2ELNS1_11target_archE906ELNS1_3gpuE6ELNS1_3repE0EEENS1_30default_config_static_selectorELNS0_4arch9wavefront6targetE1EEEvS14_ ; -- Begin function _ZN7rocprim17ROCPRIM_400000_NS6detail17trampoline_kernelINS0_14default_configENS1_22reduce_config_selectorIN6thrust23THRUST_200600_302600_NS5tupleIblNS6_9null_typeES8_S8_S8_S8_S8_S8_S8_EEEEZNS1_11reduce_implILb1ES3_NS6_12zip_iteratorINS7_INS6_11hip_rocprim26transform_input_iterator_tIbNSD_35transform_pair_of_input_iterators_tIbNS6_6detail15normal_iteratorINS6_10device_ptrIKdEEEESL_NS6_8equal_toIdEEEENSG_9not_fun_tINSD_8identityEEEEENSD_19counting_iterator_tIlEES8_S8_S8_S8_S8_S8_S8_S8_EEEEPS9_S9_NSD_9__find_if7functorIS9_EEEE10hipError_tPvRmT1_T2_T3_mT4_P12ihipStream_tbEUlT_E0_NS1_11comp_targetILNS1_3genE2ELNS1_11target_archE906ELNS1_3gpuE6ELNS1_3repE0EEENS1_30default_config_static_selectorELNS0_4arch9wavefront6targetE1EEEvS14_
	.globl	_ZN7rocprim17ROCPRIM_400000_NS6detail17trampoline_kernelINS0_14default_configENS1_22reduce_config_selectorIN6thrust23THRUST_200600_302600_NS5tupleIblNS6_9null_typeES8_S8_S8_S8_S8_S8_S8_EEEEZNS1_11reduce_implILb1ES3_NS6_12zip_iteratorINS7_INS6_11hip_rocprim26transform_input_iterator_tIbNSD_35transform_pair_of_input_iterators_tIbNS6_6detail15normal_iteratorINS6_10device_ptrIKdEEEESL_NS6_8equal_toIdEEEENSG_9not_fun_tINSD_8identityEEEEENSD_19counting_iterator_tIlEES8_S8_S8_S8_S8_S8_S8_S8_EEEEPS9_S9_NSD_9__find_if7functorIS9_EEEE10hipError_tPvRmT1_T2_T3_mT4_P12ihipStream_tbEUlT_E0_NS1_11comp_targetILNS1_3genE2ELNS1_11target_archE906ELNS1_3gpuE6ELNS1_3repE0EEENS1_30default_config_static_selectorELNS0_4arch9wavefront6targetE1EEEvS14_
	.p2align	8
	.type	_ZN7rocprim17ROCPRIM_400000_NS6detail17trampoline_kernelINS0_14default_configENS1_22reduce_config_selectorIN6thrust23THRUST_200600_302600_NS5tupleIblNS6_9null_typeES8_S8_S8_S8_S8_S8_S8_EEEEZNS1_11reduce_implILb1ES3_NS6_12zip_iteratorINS7_INS6_11hip_rocprim26transform_input_iterator_tIbNSD_35transform_pair_of_input_iterators_tIbNS6_6detail15normal_iteratorINS6_10device_ptrIKdEEEESL_NS6_8equal_toIdEEEENSG_9not_fun_tINSD_8identityEEEEENSD_19counting_iterator_tIlEES8_S8_S8_S8_S8_S8_S8_S8_EEEEPS9_S9_NSD_9__find_if7functorIS9_EEEE10hipError_tPvRmT1_T2_T3_mT4_P12ihipStream_tbEUlT_E0_NS1_11comp_targetILNS1_3genE2ELNS1_11target_archE906ELNS1_3gpuE6ELNS1_3repE0EEENS1_30default_config_static_selectorELNS0_4arch9wavefront6targetE1EEEvS14_,@function
_ZN7rocprim17ROCPRIM_400000_NS6detail17trampoline_kernelINS0_14default_configENS1_22reduce_config_selectorIN6thrust23THRUST_200600_302600_NS5tupleIblNS6_9null_typeES8_S8_S8_S8_S8_S8_S8_EEEEZNS1_11reduce_implILb1ES3_NS6_12zip_iteratorINS7_INS6_11hip_rocprim26transform_input_iterator_tIbNSD_35transform_pair_of_input_iterators_tIbNS6_6detail15normal_iteratorINS6_10device_ptrIKdEEEESL_NS6_8equal_toIdEEEENSG_9not_fun_tINSD_8identityEEEEENSD_19counting_iterator_tIlEES8_S8_S8_S8_S8_S8_S8_S8_EEEEPS9_S9_NSD_9__find_if7functorIS9_EEEE10hipError_tPvRmT1_T2_T3_mT4_P12ihipStream_tbEUlT_E0_NS1_11comp_targetILNS1_3genE2ELNS1_11target_archE906ELNS1_3gpuE6ELNS1_3repE0EEENS1_30default_config_static_selectorELNS0_4arch9wavefront6targetE1EEEvS14_: ; @_ZN7rocprim17ROCPRIM_400000_NS6detail17trampoline_kernelINS0_14default_configENS1_22reduce_config_selectorIN6thrust23THRUST_200600_302600_NS5tupleIblNS6_9null_typeES8_S8_S8_S8_S8_S8_S8_EEEEZNS1_11reduce_implILb1ES3_NS6_12zip_iteratorINS7_INS6_11hip_rocprim26transform_input_iterator_tIbNSD_35transform_pair_of_input_iterators_tIbNS6_6detail15normal_iteratorINS6_10device_ptrIKdEEEESL_NS6_8equal_toIdEEEENSG_9not_fun_tINSD_8identityEEEEENSD_19counting_iterator_tIlEES8_S8_S8_S8_S8_S8_S8_S8_EEEEPS9_S9_NSD_9__find_if7functorIS9_EEEE10hipError_tPvRmT1_T2_T3_mT4_P12ihipStream_tbEUlT_E0_NS1_11comp_targetILNS1_3genE2ELNS1_11target_archE906ELNS1_3gpuE6ELNS1_3repE0EEENS1_30default_config_static_selectorELNS0_4arch9wavefront6targetE1EEEvS14_
; %bb.0:
	s_load_dwordx8 s[12:19], s[4:5], 0x20
	s_load_dwordx4 s[0:3], s[4:5], 0x0
	s_load_dwordx4 s[20:23], s[4:5], 0x40
	s_mov_b32 s29, 0
	s_mov_b32 s7, s29
	s_waitcnt lgkmcnt(0)
	s_lshl_b64 s[8:9], s[14:15], 3
	s_add_u32 s10, s0, s8
	s_addc_u32 s11, s1, s9
	s_add_u32 s8, s2, s8
	s_addc_u32 s9, s3, s9
	s_lshl_b32 s28, s6, 8
	s_lshr_b64 s[0:1], s[16:17], 8
	s_lshl_b64 s[2:3], s[28:29], 3
	s_add_u32 s24, s10, s2
	s_addc_u32 s25, s11, s3
	s_add_u32 s26, s8, s2
	s_addc_u32 s27, s9, s3
	;; [unrolled: 2-line block ×4, first 2 shown]
	s_cmp_lg_u64 s[0:1], s[6:7]
	v_lshlrev_b32_e32 v9, 3, v0
	v_mbcnt_lo_u32_b32 v8, -1, 0
	s_cbranch_scc0 .LBB430_10
; %bb.1:
	global_load_dwordx2 v[1:2], v9, s[24:25]
	global_load_dwordx2 v[3:4], v9, s[26:27]
	global_load_dwordx2 v[5:6], v9, s[26:27] offset:1024
	global_load_dwordx2 v[10:11], v9, s[24:25] offset:1024
	v_mov_b32_e32 v7, s15
	v_add_co_u32_e32 v12, vcc, s14, v0
	v_addc_co_u32_e32 v7, vcc, 0, v7, vcc
	v_add_co_u32_e32 v13, vcc, 0x80, v12
	v_addc_co_u32_e32 v14, vcc, 0, v7, vcc
	s_waitcnt vmcnt(2)
	v_cmp_neq_f64_e32 vcc, v[1:2], v[3:4]
	v_mbcnt_hi_u32_b32 v3, -1, v8
	s_waitcnt vmcnt(0)
	v_cmp_neq_f64_e64 s[0:1], v[10:11], v[5:6]
	v_lshlrev_b32_e32 v5, 2, v3
	v_or_b32_e32 v4, 0xfc, v5
	v_cndmask_b32_e32 v2, v14, v7, vcc
	v_cndmask_b32_e32 v1, v13, v12, vcc
	s_nop 0
	v_mov_b32_dpp v7, v2 quad_perm:[1,0,3,2] row_mask:0xf bank_mask:0xf bound_ctrl:1
	s_or_b64 s[0:1], vcc, s[0:1]
	v_mov_b32_dpp v6, v1 quad_perm:[1,0,3,2] row_mask:0xf bank_mask:0xf bound_ctrl:1
	v_cndmask_b32_e64 v10, 0, 1, s[0:1]
	v_cmp_lt_i64_e32 vcc, v[1:2], v[6:7]
	s_and_b64 vcc, s[0:1], vcc
	v_mov_b32_dpp v11, v10 quad_perm:[1,0,3,2] row_mask:0xf bank_mask:0xf bound_ctrl:1
	v_and_b32_e32 v11, 1, v11
	v_cndmask_b32_e32 v6, v6, v1, vcc
	v_cndmask_b32_e32 v7, v7, v2, vcc
	v_cmp_eq_u32_e32 vcc, 1, v11
	v_cndmask_b32_e32 v2, v2, v7, vcc
	v_cndmask_b32_e32 v1, v1, v6, vcc
	v_cndmask_b32_e64 v10, v10, 1, vcc
	v_mov_b32_dpp v7, v2 quad_perm:[2,3,0,1] row_mask:0xf bank_mask:0xf bound_ctrl:1
	v_mov_b32_dpp v6, v1 quad_perm:[2,3,0,1] row_mask:0xf bank_mask:0xf bound_ctrl:1
	v_and_b32_e32 v12, 1, v10
	v_cmp_lt_i64_e64 s[0:1], v[1:2], v[6:7]
	v_mov_b32_dpp v11, v10 quad_perm:[2,3,0,1] row_mask:0xf bank_mask:0xf bound_ctrl:1
	v_cmp_eq_u32_e32 vcc, 1, v12
	v_and_b32_e32 v11, 1, v11
	s_and_b64 vcc, vcc, s[0:1]
	v_cmp_eq_u32_e64 s[2:3], 1, v11
	v_cndmask_b32_e32 v6, v6, v1, vcc
	v_cndmask_b32_e32 v7, v7, v2, vcc
	v_cndmask_b32_e64 v1, v1, v6, s[2:3]
	v_cndmask_b32_e64 v2, v2, v7, s[2:3]
	;; [unrolled: 1-line block ×3, first 2 shown]
	v_mov_b32_dpp v6, v1 row_ror:4 row_mask:0xf bank_mask:0xf bound_ctrl:1
	v_mov_b32_dpp v7, v2 row_ror:4 row_mask:0xf bank_mask:0xf bound_ctrl:1
	v_and_b32_e32 v12, 1, v10
	v_cmp_lt_i64_e64 s[2:3], v[1:2], v[6:7]
	v_mov_b32_dpp v11, v10 row_ror:4 row_mask:0xf bank_mask:0xf bound_ctrl:1
	v_cmp_eq_u32_e32 vcc, 1, v12
	v_and_b32_e32 v11, 1, v11
	s_and_b64 vcc, vcc, s[2:3]
	v_cmp_eq_u32_e64 s[0:1], 1, v11
	v_cndmask_b32_e32 v6, v6, v1, vcc
	v_cndmask_b32_e32 v7, v7, v2, vcc
	v_cndmask_b32_e64 v1, v1, v6, s[0:1]
	v_cndmask_b32_e64 v2, v2, v7, s[0:1]
	;; [unrolled: 1-line block ×3, first 2 shown]
	v_mov_b32_dpp v6, v1 row_ror:8 row_mask:0xf bank_mask:0xf bound_ctrl:1
	v_mov_b32_dpp v7, v2 row_ror:8 row_mask:0xf bank_mask:0xf bound_ctrl:1
	;; [unrolled: 1-line block ×3, first 2 shown]
	v_and_b32_e32 v12, 1, v10
	v_cmp_lt_i64_e64 s[2:3], v[1:2], v[6:7]
	v_and_b32_e32 v11, 1, v11
	v_cmp_eq_u32_e64 s[8:9], 1, v12
	v_cmp_eq_u32_e64 s[10:11], 1, v11
	s_and_b64 s[2:3], s[8:9], s[2:3]
	v_cndmask_b32_e64 v10, v10, 1, s[10:11]
	v_cndmask_b32_e64 v6, v6, v1, s[2:3]
	;; [unrolled: 1-line block ×3, first 2 shown]
	v_mov_b32_dpp v11, v10 row_bcast:15 row_mask:0xf bank_mask:0xf bound_ctrl:1
	v_cndmask_b32_e64 v1, v1, v6, s[10:11]
	v_cndmask_b32_e64 v2, v2, v7, s[10:11]
	v_and_b32_e32 v11, 1, v11
	v_mov_b32_dpp v6, v1 row_bcast:15 row_mask:0xf bank_mask:0xf bound_ctrl:1
	v_mov_b32_dpp v7, v2 row_bcast:15 row_mask:0xf bank_mask:0xf bound_ctrl:1
	v_and_b32_e32 v12, 1, v10
	v_cmp_eq_u32_e64 s[0:1], 1, v11
	v_cmp_lt_i64_e64 s[2:3], v[1:2], v[6:7]
	v_cmp_eq_u32_e32 vcc, 1, v12
	v_cndmask_b32_e64 v10, v10, 1, s[0:1]
	s_and_b64 vcc, vcc, s[2:3]
	v_cndmask_b32_e32 v6, v6, v1, vcc
	v_mov_b32_dpp v11, v10 row_bcast:31 row_mask:0xf bank_mask:0xf bound_ctrl:1
	v_and_b32_e32 v11, 1, v11
	v_cndmask_b32_e32 v7, v7, v2, vcc
	v_and_b32_e32 v12, 1, v10
	v_cmp_eq_u32_e64 s[8:9], 1, v11
	v_cndmask_b32_e64 v1, v1, v6, s[0:1]
	v_cndmask_b32_e64 v2, v2, v7, s[0:1]
	v_cmp_eq_u32_e64 s[12:13], 1, v12
	v_cndmask_b32_e64 v12, v10, 1, s[8:9]
	v_mov_b32_dpp v10, v1 row_bcast:31 row_mask:0xf bank_mask:0xf bound_ctrl:1
	v_mov_b32_dpp v11, v2 row_bcast:31 row_mask:0xf bank_mask:0xf bound_ctrl:1
	v_cmp_lt_i64_e32 vcc, v[1:2], v[10:11]
	ds_bpermute_b32 v7, v4, v12
	s_and_b64 vcc, s[12:13], vcc
	v_cndmask_b32_e32 v6, v10, v1, vcc
	v_cndmask_b32_e32 v10, v11, v2, vcc
	v_cndmask_b32_e64 v1, v1, v6, s[8:9]
	v_cndmask_b32_e64 v2, v2, v10, s[8:9]
	ds_bpermute_b32 v1, v4, v1
	ds_bpermute_b32 v2, v4, v2
	v_cmp_eq_u32_e32 vcc, 0, v3
	s_and_saveexec_b64 s[0:1], vcc
	s_cbranch_execz .LBB430_3
; %bb.2:
	v_lshrrev_b32_e32 v4, 2, v0
	v_and_b32_e32 v4, 16, v4
	s_waitcnt lgkmcnt(2)
	ds_write_b8 v4, v7
	s_waitcnt lgkmcnt(1)
	ds_write_b64 v4, v[1:2] offset:8
.LBB430_3:
	s_or_b64 exec, exec, s[0:1]
	v_cmp_gt_u32_e32 vcc, 64, v0
	s_waitcnt lgkmcnt(0)
	s_barrier
	s_and_saveexec_b64 s[0:1], vcc
	s_cbranch_execz .LBB430_9
; %bb.4:
	v_and_b32_e32 v1, 1, v3
	v_lshlrev_b32_e32 v1, 4, v1
	ds_read_u8 v10, v1
	ds_read_b64 v[3:4], v1 offset:8
	v_or_b32_e32 v2, 4, v5
	s_waitcnt lgkmcnt(1)
	v_and_b32_e32 v1, 0xff, v10
	ds_bpermute_b32 v11, v2, v1
	s_waitcnt lgkmcnt(1)
	ds_bpermute_b32 v5, v2, v3
	ds_bpermute_b32 v6, v2, v4
	s_waitcnt lgkmcnt(2)
	v_and_b32_e32 v1, v10, v11
	v_and_b32_e32 v1, 1, v1
	v_cmp_eq_u32_e32 vcc, 1, v1
                                        ; implicit-def: $vgpr1_vgpr2
	s_and_saveexec_b64 s[2:3], vcc
	s_xor_b64 s[2:3], exec, s[2:3]
	s_cbranch_execz .LBB430_6
; %bb.5:
	s_waitcnt lgkmcnt(0)
	v_cmp_lt_i64_e32 vcc, v[5:6], v[3:4]
                                        ; implicit-def: $vgpr10
                                        ; implicit-def: $vgpr11
	v_cndmask_b32_e32 v2, v4, v6, vcc
	v_cndmask_b32_e32 v1, v3, v5, vcc
                                        ; implicit-def: $vgpr5_vgpr6
                                        ; implicit-def: $vgpr3_vgpr4
.LBB430_6:
	s_or_saveexec_b64 s[2:3], s[2:3]
	v_mov_b32_e32 v7, 1
	s_xor_b64 exec, exec, s[2:3]
	s_cbranch_execz .LBB430_8
; %bb.7:
	v_and_b32_e32 v1, 1, v10
	v_cmp_eq_u32_e32 vcc, 1, v1
	s_waitcnt lgkmcnt(0)
	v_cndmask_b32_e32 v2, v6, v4, vcc
	v_cndmask_b32_e32 v1, v5, v3, vcc
	v_cndmask_b32_e64 v7, v11, 1, vcc
.LBB430_8:
	s_or_b64 exec, exec, s[2:3]
.LBB430_9:
	s_or_b64 exec, exec, s[0:1]
	s_load_dword s10, s[4:5], 0x50
	s_load_dwordx2 s[8:9], s[4:5], 0x58
	s_branch .LBB430_62
.LBB430_10:
                                        ; implicit-def: $vgpr1_vgpr2
                                        ; implicit-def: $vgpr7
	s_load_dword s10, s[4:5], 0x50
	s_load_dwordx2 s[8:9], s[4:5], 0x58
	s_cbranch_execz .LBB430_62
; %bb.11:
	s_sub_i32 s11, s16, s28
	v_mov_b32_e32 v3, 0
	v_mov_b32_e32 v1, 0
	v_cmp_gt_u32_e32 vcc, s11, v0
	s_waitcnt lgkmcnt(0)
	v_mov_b32_e32 v6, 0
	v_mov_b32_e32 v4, 0
	v_mov_b32_e32 v2, 0
	v_mov_b32_e32 v5, 0
	s_and_saveexec_b64 s[0:1], vcc
	s_cbranch_execz .LBB430_13
; %bb.12:
	global_load_dwordx2 v[10:11], v9, s[24:25]
	global_load_dwordx2 v[12:13], v9, s[26:27]
	v_mov_b32_e32 v2, s15
	v_add_co_u32_e32 v1, vcc, s14, v0
	v_addc_co_u32_e32 v2, vcc, 0, v2, vcc
	s_waitcnt vmcnt(0)
	v_cmp_neq_f64_e32 vcc, v[10:11], v[12:13]
	v_cndmask_b32_e64 v5, 0, 1, vcc
.LBB430_13:
	s_or_b64 exec, exec, s[0:1]
	v_or_b32_e32 v7, 0x80, v0
	v_cmp_gt_u32_e32 vcc, s11, v7
	s_and_saveexec_b64 s[2:3], vcc
	s_cbranch_execz .LBB430_15
; %bb.14:
	global_load_dwordx2 v[10:11], v9, s[24:25] offset:1024
	global_load_dwordx2 v[12:13], v9, s[26:27] offset:1024
	v_mov_b32_e32 v4, s15
	v_add_co_u32_e64 v3, s[0:1], s14, v7
	v_addc_co_u32_e64 v4, s[0:1], 0, v4, s[0:1]
	s_waitcnt vmcnt(0)
	v_cmp_neq_f64_e64 s[0:1], v[10:11], v[12:13]
	v_cndmask_b32_e64 v6, 0, 1, s[0:1]
.LBB430_15:
	s_or_b64 exec, exec, s[2:3]
	v_and_b32_e32 v7, 0xffff, v5
	v_and_b32_e32 v9, 0xffff, v6
	;; [unrolled: 1-line block ×4, first 2 shown]
	v_cmp_lt_i64_e64 s[2:3], v[3:4], v[1:2]
	v_cmp_eq_u32_e64 s[0:1], 1, v6
	v_cmp_eq_u32_e64 s[4:5], 1, v5
	v_cndmask_b32_e64 v5, v9, 1, s[4:5]
	s_and_b64 s[0:1], s[0:1], s[2:3]
	v_cndmask_b32_e64 v6, v2, v4, s[0:1]
	v_cndmask_b32_e64 v9, v1, v3, s[0:1]
	v_cndmask_b32_e32 v7, v7, v5, vcc
	v_mbcnt_hi_u32_b32 v5, -1, v8
	v_cndmask_b32_e64 v3, v3, v9, s[4:5]
	v_cndmask_b32_e64 v4, v4, v6, s[4:5]
	v_and_b32_e32 v6, 63, v5
	v_cndmask_b32_e32 v2, v2, v4, vcc
	v_cndmask_b32_e32 v1, v1, v3, vcc
	v_cmp_ne_u32_e32 vcc, 63, v6
	v_addc_co_u32_e32 v3, vcc, 0, v5, vcc
	v_lshlrev_b32_e32 v4, 2, v3
	ds_bpermute_b32 v9, v4, v7
	ds_bpermute_b32 v3, v4, v1
	;; [unrolled: 1-line block ×3, first 2 shown]
	s_min_u32 s4, s11, 0x80
	v_and_b32_e32 v8, 64, v0
	v_sub_u32_e64 v8, s4, v8 clamp
	v_add_u32_e32 v10, 1, v6
	v_cmp_lt_u32_e32 vcc, v10, v8
	s_and_saveexec_b64 s[0:1], vcc
	s_cbranch_execz .LBB430_21
; %bb.16:
	s_waitcnt lgkmcnt(2)
	v_and_b32_e32 v10, v9, v7
	v_cmp_ne_u32_e32 vcc, 0, v10
	s_and_saveexec_b64 s[2:3], vcc
	s_xor_b64 s[2:3], exec, s[2:3]
	s_cbranch_execz .LBB430_18
; %bb.17:
	s_waitcnt lgkmcnt(0)
	v_cmp_lt_i64_e32 vcc, v[3:4], v[1:2]
                                        ; implicit-def: $vgpr7
                                        ; implicit-def: $vgpr9
	v_cndmask_b32_e32 v2, v2, v4, vcc
	v_cndmask_b32_e32 v1, v1, v3, vcc
                                        ; implicit-def: $vgpr3_vgpr4
.LBB430_18:
	s_or_saveexec_b64 s[2:3], s[2:3]
	v_mov_b32_e32 v10, 1
	s_xor_b64 exec, exec, s[2:3]
	s_cbranch_execz .LBB430_20
; %bb.19:
	v_and_b32_e32 v7, 1, v7
	v_cmp_eq_u32_e32 vcc, 1, v7
	s_waitcnt lgkmcnt(1)
	v_cndmask_b32_e32 v1, v3, v1, vcc
	v_and_b32_e32 v3, 0xff, v9
	s_waitcnt lgkmcnt(0)
	v_cndmask_b32_e32 v2, v4, v2, vcc
	v_cndmask_b32_e64 v10, v3, 1, vcc
.LBB430_20:
	s_or_b64 exec, exec, s[2:3]
	v_mov_b32_e32 v7, v10
.LBB430_21:
	s_or_b64 exec, exec, s[0:1]
	v_cmp_gt_u32_e32 vcc, 62, v6
	s_waitcnt lgkmcnt(1)
	v_cndmask_b32_e64 v3, 0, 2, vcc
	s_waitcnt lgkmcnt(0)
	v_add_lshl_u32 v4, v3, v5, 2
	ds_bpermute_b32 v9, v4, v7
	ds_bpermute_b32 v3, v4, v1
	ds_bpermute_b32 v4, v4, v2
	v_add_u32_e32 v10, 2, v6
	v_cmp_lt_u32_e32 vcc, v10, v8
	s_and_saveexec_b64 s[0:1], vcc
	s_cbranch_execz .LBB430_27
; %bb.22:
	s_waitcnt lgkmcnt(2)
	v_and_b32_e32 v10, v7, v9
	v_and_b32_e32 v10, 1, v10
	v_cmp_eq_u32_e32 vcc, 1, v10
	s_and_saveexec_b64 s[2:3], vcc
	s_xor_b64 s[2:3], exec, s[2:3]
	s_cbranch_execz .LBB430_24
; %bb.23:
	s_waitcnt lgkmcnt(0)
	v_cmp_lt_i64_e32 vcc, v[3:4], v[1:2]
                                        ; implicit-def: $vgpr7
                                        ; implicit-def: $vgpr9
	v_cndmask_b32_e32 v2, v2, v4, vcc
	v_cndmask_b32_e32 v1, v1, v3, vcc
                                        ; implicit-def: $vgpr3_vgpr4
.LBB430_24:
	s_or_saveexec_b64 s[2:3], s[2:3]
	v_mov_b32_e32 v10, 1
	s_xor_b64 exec, exec, s[2:3]
	s_cbranch_execz .LBB430_26
; %bb.25:
	v_and_b32_e32 v7, 1, v7
	v_cmp_eq_u32_e32 vcc, 1, v7
	s_waitcnt lgkmcnt(1)
	v_cndmask_b32_e32 v1, v3, v1, vcc
	v_and_b32_e32 v3, 0xff, v9
	s_waitcnt lgkmcnt(0)
	v_cndmask_b32_e32 v2, v4, v2, vcc
	v_cndmask_b32_e64 v10, v3, 1, vcc
.LBB430_26:
	s_or_b64 exec, exec, s[2:3]
	v_mov_b32_e32 v7, v10
.LBB430_27:
	s_or_b64 exec, exec, s[0:1]
	v_cmp_gt_u32_e32 vcc, 60, v6
	s_waitcnt lgkmcnt(1)
	v_cndmask_b32_e64 v3, 0, 4, vcc
	s_waitcnt lgkmcnt(0)
	v_add_lshl_u32 v4, v3, v5, 2
	ds_bpermute_b32 v9, v4, v7
	ds_bpermute_b32 v3, v4, v1
	ds_bpermute_b32 v4, v4, v2
	v_add_u32_e32 v10, 4, v6
	v_cmp_lt_u32_e32 vcc, v10, v8
	s_and_saveexec_b64 s[0:1], vcc
	s_cbranch_execz .LBB430_33
; %bb.28:
	s_waitcnt lgkmcnt(2)
	v_and_b32_e32 v10, v7, v9
	v_and_b32_e32 v10, 1, v10
	v_cmp_eq_u32_e32 vcc, 1, v10
	s_and_saveexec_b64 s[2:3], vcc
	s_xor_b64 s[2:3], exec, s[2:3]
	s_cbranch_execz .LBB430_30
; %bb.29:
	s_waitcnt lgkmcnt(0)
	v_cmp_lt_i64_e32 vcc, v[3:4], v[1:2]
                                        ; implicit-def: $vgpr7
                                        ; implicit-def: $vgpr9
	v_cndmask_b32_e32 v2, v2, v4, vcc
	v_cndmask_b32_e32 v1, v1, v3, vcc
                                        ; implicit-def: $vgpr3_vgpr4
.LBB430_30:
	s_or_saveexec_b64 s[2:3], s[2:3]
	v_mov_b32_e32 v10, 1
	s_xor_b64 exec, exec, s[2:3]
	s_cbranch_execz .LBB430_32
; %bb.31:
	v_and_b32_e32 v7, 1, v7
	v_cmp_eq_u32_e32 vcc, 1, v7
	s_waitcnt lgkmcnt(1)
	v_cndmask_b32_e32 v1, v3, v1, vcc
	v_and_b32_e32 v3, 0xff, v9
	s_waitcnt lgkmcnt(0)
	v_cndmask_b32_e32 v2, v4, v2, vcc
	v_cndmask_b32_e64 v10, v3, 1, vcc
.LBB430_32:
	s_or_b64 exec, exec, s[2:3]
	v_mov_b32_e32 v7, v10
.LBB430_33:
	;; [unrolled: 47-line block ×4, first 2 shown]
	s_or_b64 exec, exec, s[0:1]
	s_waitcnt lgkmcnt(2)
	v_lshlrev_b32_e32 v9, 2, v5
	s_waitcnt lgkmcnt(0)
	v_or_b32_e32 v4, 0x80, v9
	ds_bpermute_b32 v10, v4, v7
	ds_bpermute_b32 v3, v4, v1
	;; [unrolled: 1-line block ×3, first 2 shown]
	v_add_u32_e32 v6, 32, v6
	v_cmp_lt_u32_e32 vcc, v6, v8
	v_mov_b32_e32 v6, v7
	s_and_saveexec_b64 s[0:1], vcc
	s_cbranch_execz .LBB430_51
; %bb.46:
	s_waitcnt lgkmcnt(2)
	v_and_b32_e32 v6, v7, v10
	v_and_b32_e32 v6, 1, v6
	v_cmp_eq_u32_e32 vcc, 1, v6
	s_and_saveexec_b64 s[2:3], vcc
	s_xor_b64 s[2:3], exec, s[2:3]
	s_cbranch_execz .LBB430_48
; %bb.47:
	s_waitcnt lgkmcnt(0)
	v_cmp_lt_i64_e32 vcc, v[3:4], v[1:2]
                                        ; implicit-def: $vgpr7
                                        ; implicit-def: $vgpr10
	v_cndmask_b32_e32 v2, v2, v4, vcc
	v_cndmask_b32_e32 v1, v1, v3, vcc
                                        ; implicit-def: $vgpr3_vgpr4
.LBB430_48:
	s_or_saveexec_b64 s[2:3], s[2:3]
	v_mov_b32_e32 v6, 1
	s_xor_b64 exec, exec, s[2:3]
	s_cbranch_execz .LBB430_50
; %bb.49:
	v_and_b32_e32 v6, 1, v7
	v_cmp_eq_u32_e32 vcc, 1, v6
	v_cndmask_b32_e64 v6, v10, 1, vcc
	s_waitcnt lgkmcnt(0)
	v_cndmask_b32_e32 v2, v4, v2, vcc
	v_cndmask_b32_e32 v1, v3, v1, vcc
.LBB430_50:
	s_or_b64 exec, exec, s[2:3]
	v_and_b32_e32 v7, 0xff, v6
.LBB430_51:
	s_or_b64 exec, exec, s[0:1]
	v_cmp_eq_u32_e32 vcc, 0, v5
	s_and_saveexec_b64 s[0:1], vcc
	s_cbranch_execz .LBB430_53
; %bb.52:
	s_waitcnt lgkmcnt(1)
	v_lshrrev_b32_e32 v3, 2, v0
	v_and_b32_e32 v3, 16, v3
	ds_write_b8 v3, v6 offset:32
	ds_write_b64 v3, v[1:2] offset:40
.LBB430_53:
	s_or_b64 exec, exec, s[0:1]
	v_cmp_gt_u32_e32 vcc, 2, v0
	s_waitcnt lgkmcnt(0)
	s_barrier
	s_and_saveexec_b64 s[0:1], vcc
	s_cbranch_execz .LBB430_61
; %bb.54:
	v_lshlrev_b32_e32 v1, 4, v5
	ds_read_u8 v6, v1 offset:32
	ds_read_b64 v[1:2], v1 offset:40
	v_or_b32_e32 v4, 4, v9
	s_add_i32 s4, s4, 63
	v_and_b32_e32 v5, 1, v5
	s_waitcnt lgkmcnt(1)
	v_and_b32_e32 v7, 0xff, v6
	s_waitcnt lgkmcnt(0)
	ds_bpermute_b32 v3, v4, v1
	ds_bpermute_b32 v8, v4, v7
	;; [unrolled: 1-line block ×3, first 2 shown]
	s_lshr_b32 s2, s4, 6
	v_add_u32_e32 v5, 1, v5
	v_cmp_gt_u32_e32 vcc, s2, v5
	s_and_saveexec_b64 s[2:3], vcc
	s_cbranch_execz .LBB430_60
; %bb.55:
	s_waitcnt lgkmcnt(1)
	v_and_b32_e32 v5, v7, v8
	v_and_b32_e32 v5, 1, v5
	v_cmp_eq_u32_e32 vcc, 1, v5
	s_and_saveexec_b64 s[4:5], vcc
	s_xor_b64 s[4:5], exec, s[4:5]
	s_cbranch_execz .LBB430_57
; %bb.56:
	s_waitcnt lgkmcnt(0)
	v_cmp_lt_i64_e32 vcc, v[3:4], v[1:2]
                                        ; implicit-def: $vgpr6
                                        ; implicit-def: $vgpr8
	v_cndmask_b32_e32 v2, v2, v4, vcc
	v_cndmask_b32_e32 v1, v1, v3, vcc
                                        ; implicit-def: $vgpr3_vgpr4
.LBB430_57:
	s_or_saveexec_b64 s[4:5], s[4:5]
	v_mov_b32_e32 v7, 1
	s_xor_b64 exec, exec, s[4:5]
	s_cbranch_execz .LBB430_59
; %bb.58:
	v_and_b32_e32 v5, 1, v6
	v_cmp_eq_u32_e32 vcc, 1, v5
	s_waitcnt lgkmcnt(0)
	v_cndmask_b32_e32 v2, v4, v2, vcc
	v_cndmask_b32_e32 v1, v3, v1, vcc
	v_cndmask_b32_e64 v7, v8, 1, vcc
.LBB430_59:
	s_or_b64 exec, exec, s[4:5]
.LBB430_60:
	s_or_b64 exec, exec, s[2:3]
.LBB430_61:
	s_or_b64 exec, exec, s[0:1]
.LBB430_62:
	v_cmp_eq_u32_e32 vcc, 0, v0
	s_and_saveexec_b64 s[0:1], vcc
	s_cbranch_execnz .LBB430_64
; %bb.63:
	s_endpgm
.LBB430_64:
	s_mul_i32 s0, s22, s21
	s_mul_hi_u32 s1, s22, s20
	s_add_i32 s0, s1, s0
	s_mul_i32 s1, s23, s20
	s_add_i32 s1, s0, s1
	s_mul_i32 s0, s22, s20
	s_lshl_b64 s[0:1], s[0:1], 4
	s_add_u32 s2, s18, s0
	s_addc_u32 s3, s19, s1
	s_cmp_eq_u64 s[16:17], 0
	s_waitcnt lgkmcnt(0)
	v_mov_b32_e32 v0, s9
	s_cselect_b64 vcc, -1, 0
	v_cndmask_b32_e32 v2, v2, v0, vcc
	v_mov_b32_e32 v0, s8
	s_lshl_b64 s[0:1], s[6:7], 4
	v_cndmask_b32_e32 v1, v1, v0, vcc
	v_mov_b32_e32 v0, s10
	s_add_u32 s0, s2, s0
	v_cndmask_b32_e32 v0, v7, v0, vcc
	s_addc_u32 s1, s3, s1
	v_mov_b32_e32 v3, 0
	global_store_byte v3, v0, s[0:1]
	global_store_dwordx2 v3, v[1:2], s[0:1] offset:8
	s_endpgm
	.section	.rodata,"a",@progbits
	.p2align	6, 0x0
	.amdhsa_kernel _ZN7rocprim17ROCPRIM_400000_NS6detail17trampoline_kernelINS0_14default_configENS1_22reduce_config_selectorIN6thrust23THRUST_200600_302600_NS5tupleIblNS6_9null_typeES8_S8_S8_S8_S8_S8_S8_EEEEZNS1_11reduce_implILb1ES3_NS6_12zip_iteratorINS7_INS6_11hip_rocprim26transform_input_iterator_tIbNSD_35transform_pair_of_input_iterators_tIbNS6_6detail15normal_iteratorINS6_10device_ptrIKdEEEESL_NS6_8equal_toIdEEEENSG_9not_fun_tINSD_8identityEEEEENSD_19counting_iterator_tIlEES8_S8_S8_S8_S8_S8_S8_S8_EEEEPS9_S9_NSD_9__find_if7functorIS9_EEEE10hipError_tPvRmT1_T2_T3_mT4_P12ihipStream_tbEUlT_E0_NS1_11comp_targetILNS1_3genE2ELNS1_11target_archE906ELNS1_3gpuE6ELNS1_3repE0EEENS1_30default_config_static_selectorELNS0_4arch9wavefront6targetE1EEEvS14_
		.amdhsa_group_segment_fixed_size 64
		.amdhsa_private_segment_fixed_size 0
		.amdhsa_kernarg_size 104
		.amdhsa_user_sgpr_count 6
		.amdhsa_user_sgpr_private_segment_buffer 1
		.amdhsa_user_sgpr_dispatch_ptr 0
		.amdhsa_user_sgpr_queue_ptr 0
		.amdhsa_user_sgpr_kernarg_segment_ptr 1
		.amdhsa_user_sgpr_dispatch_id 0
		.amdhsa_user_sgpr_flat_scratch_init 0
		.amdhsa_user_sgpr_private_segment_size 0
		.amdhsa_uses_dynamic_stack 0
		.amdhsa_system_sgpr_private_segment_wavefront_offset 0
		.amdhsa_system_sgpr_workgroup_id_x 1
		.amdhsa_system_sgpr_workgroup_id_y 0
		.amdhsa_system_sgpr_workgroup_id_z 0
		.amdhsa_system_sgpr_workgroup_info 0
		.amdhsa_system_vgpr_workitem_id 0
		.amdhsa_next_free_vgpr 15
		.amdhsa_next_free_sgpr 30
		.amdhsa_reserve_vcc 1
		.amdhsa_reserve_flat_scratch 0
		.amdhsa_float_round_mode_32 0
		.amdhsa_float_round_mode_16_64 0
		.amdhsa_float_denorm_mode_32 3
		.amdhsa_float_denorm_mode_16_64 3
		.amdhsa_dx10_clamp 1
		.amdhsa_ieee_mode 1
		.amdhsa_fp16_overflow 0
		.amdhsa_exception_fp_ieee_invalid_op 0
		.amdhsa_exception_fp_denorm_src 0
		.amdhsa_exception_fp_ieee_div_zero 0
		.amdhsa_exception_fp_ieee_overflow 0
		.amdhsa_exception_fp_ieee_underflow 0
		.amdhsa_exception_fp_ieee_inexact 0
		.amdhsa_exception_int_div_zero 0
	.end_amdhsa_kernel
	.section	.text._ZN7rocprim17ROCPRIM_400000_NS6detail17trampoline_kernelINS0_14default_configENS1_22reduce_config_selectorIN6thrust23THRUST_200600_302600_NS5tupleIblNS6_9null_typeES8_S8_S8_S8_S8_S8_S8_EEEEZNS1_11reduce_implILb1ES3_NS6_12zip_iteratorINS7_INS6_11hip_rocprim26transform_input_iterator_tIbNSD_35transform_pair_of_input_iterators_tIbNS6_6detail15normal_iteratorINS6_10device_ptrIKdEEEESL_NS6_8equal_toIdEEEENSG_9not_fun_tINSD_8identityEEEEENSD_19counting_iterator_tIlEES8_S8_S8_S8_S8_S8_S8_S8_EEEEPS9_S9_NSD_9__find_if7functorIS9_EEEE10hipError_tPvRmT1_T2_T3_mT4_P12ihipStream_tbEUlT_E0_NS1_11comp_targetILNS1_3genE2ELNS1_11target_archE906ELNS1_3gpuE6ELNS1_3repE0EEENS1_30default_config_static_selectorELNS0_4arch9wavefront6targetE1EEEvS14_,"axG",@progbits,_ZN7rocprim17ROCPRIM_400000_NS6detail17trampoline_kernelINS0_14default_configENS1_22reduce_config_selectorIN6thrust23THRUST_200600_302600_NS5tupleIblNS6_9null_typeES8_S8_S8_S8_S8_S8_S8_EEEEZNS1_11reduce_implILb1ES3_NS6_12zip_iteratorINS7_INS6_11hip_rocprim26transform_input_iterator_tIbNSD_35transform_pair_of_input_iterators_tIbNS6_6detail15normal_iteratorINS6_10device_ptrIKdEEEESL_NS6_8equal_toIdEEEENSG_9not_fun_tINSD_8identityEEEEENSD_19counting_iterator_tIlEES8_S8_S8_S8_S8_S8_S8_S8_EEEEPS9_S9_NSD_9__find_if7functorIS9_EEEE10hipError_tPvRmT1_T2_T3_mT4_P12ihipStream_tbEUlT_E0_NS1_11comp_targetILNS1_3genE2ELNS1_11target_archE906ELNS1_3gpuE6ELNS1_3repE0EEENS1_30default_config_static_selectorELNS0_4arch9wavefront6targetE1EEEvS14_,comdat
.Lfunc_end430:
	.size	_ZN7rocprim17ROCPRIM_400000_NS6detail17trampoline_kernelINS0_14default_configENS1_22reduce_config_selectorIN6thrust23THRUST_200600_302600_NS5tupleIblNS6_9null_typeES8_S8_S8_S8_S8_S8_S8_EEEEZNS1_11reduce_implILb1ES3_NS6_12zip_iteratorINS7_INS6_11hip_rocprim26transform_input_iterator_tIbNSD_35transform_pair_of_input_iterators_tIbNS6_6detail15normal_iteratorINS6_10device_ptrIKdEEEESL_NS6_8equal_toIdEEEENSG_9not_fun_tINSD_8identityEEEEENSD_19counting_iterator_tIlEES8_S8_S8_S8_S8_S8_S8_S8_EEEEPS9_S9_NSD_9__find_if7functorIS9_EEEE10hipError_tPvRmT1_T2_T3_mT4_P12ihipStream_tbEUlT_E0_NS1_11comp_targetILNS1_3genE2ELNS1_11target_archE906ELNS1_3gpuE6ELNS1_3repE0EEENS1_30default_config_static_selectorELNS0_4arch9wavefront6targetE1EEEvS14_, .Lfunc_end430-_ZN7rocprim17ROCPRIM_400000_NS6detail17trampoline_kernelINS0_14default_configENS1_22reduce_config_selectorIN6thrust23THRUST_200600_302600_NS5tupleIblNS6_9null_typeES8_S8_S8_S8_S8_S8_S8_EEEEZNS1_11reduce_implILb1ES3_NS6_12zip_iteratorINS7_INS6_11hip_rocprim26transform_input_iterator_tIbNSD_35transform_pair_of_input_iterators_tIbNS6_6detail15normal_iteratorINS6_10device_ptrIKdEEEESL_NS6_8equal_toIdEEEENSG_9not_fun_tINSD_8identityEEEEENSD_19counting_iterator_tIlEES8_S8_S8_S8_S8_S8_S8_S8_EEEEPS9_S9_NSD_9__find_if7functorIS9_EEEE10hipError_tPvRmT1_T2_T3_mT4_P12ihipStream_tbEUlT_E0_NS1_11comp_targetILNS1_3genE2ELNS1_11target_archE906ELNS1_3gpuE6ELNS1_3repE0EEENS1_30default_config_static_selectorELNS0_4arch9wavefront6targetE1EEEvS14_
                                        ; -- End function
	.set _ZN7rocprim17ROCPRIM_400000_NS6detail17trampoline_kernelINS0_14default_configENS1_22reduce_config_selectorIN6thrust23THRUST_200600_302600_NS5tupleIblNS6_9null_typeES8_S8_S8_S8_S8_S8_S8_EEEEZNS1_11reduce_implILb1ES3_NS6_12zip_iteratorINS7_INS6_11hip_rocprim26transform_input_iterator_tIbNSD_35transform_pair_of_input_iterators_tIbNS6_6detail15normal_iteratorINS6_10device_ptrIKdEEEESL_NS6_8equal_toIdEEEENSG_9not_fun_tINSD_8identityEEEEENSD_19counting_iterator_tIlEES8_S8_S8_S8_S8_S8_S8_S8_EEEEPS9_S9_NSD_9__find_if7functorIS9_EEEE10hipError_tPvRmT1_T2_T3_mT4_P12ihipStream_tbEUlT_E0_NS1_11comp_targetILNS1_3genE2ELNS1_11target_archE906ELNS1_3gpuE6ELNS1_3repE0EEENS1_30default_config_static_selectorELNS0_4arch9wavefront6targetE1EEEvS14_.num_vgpr, 15
	.set _ZN7rocprim17ROCPRIM_400000_NS6detail17trampoline_kernelINS0_14default_configENS1_22reduce_config_selectorIN6thrust23THRUST_200600_302600_NS5tupleIblNS6_9null_typeES8_S8_S8_S8_S8_S8_S8_EEEEZNS1_11reduce_implILb1ES3_NS6_12zip_iteratorINS7_INS6_11hip_rocprim26transform_input_iterator_tIbNSD_35transform_pair_of_input_iterators_tIbNS6_6detail15normal_iteratorINS6_10device_ptrIKdEEEESL_NS6_8equal_toIdEEEENSG_9not_fun_tINSD_8identityEEEEENSD_19counting_iterator_tIlEES8_S8_S8_S8_S8_S8_S8_S8_EEEEPS9_S9_NSD_9__find_if7functorIS9_EEEE10hipError_tPvRmT1_T2_T3_mT4_P12ihipStream_tbEUlT_E0_NS1_11comp_targetILNS1_3genE2ELNS1_11target_archE906ELNS1_3gpuE6ELNS1_3repE0EEENS1_30default_config_static_selectorELNS0_4arch9wavefront6targetE1EEEvS14_.num_agpr, 0
	.set _ZN7rocprim17ROCPRIM_400000_NS6detail17trampoline_kernelINS0_14default_configENS1_22reduce_config_selectorIN6thrust23THRUST_200600_302600_NS5tupleIblNS6_9null_typeES8_S8_S8_S8_S8_S8_S8_EEEEZNS1_11reduce_implILb1ES3_NS6_12zip_iteratorINS7_INS6_11hip_rocprim26transform_input_iterator_tIbNSD_35transform_pair_of_input_iterators_tIbNS6_6detail15normal_iteratorINS6_10device_ptrIKdEEEESL_NS6_8equal_toIdEEEENSG_9not_fun_tINSD_8identityEEEEENSD_19counting_iterator_tIlEES8_S8_S8_S8_S8_S8_S8_S8_EEEEPS9_S9_NSD_9__find_if7functorIS9_EEEE10hipError_tPvRmT1_T2_T3_mT4_P12ihipStream_tbEUlT_E0_NS1_11comp_targetILNS1_3genE2ELNS1_11target_archE906ELNS1_3gpuE6ELNS1_3repE0EEENS1_30default_config_static_selectorELNS0_4arch9wavefront6targetE1EEEvS14_.numbered_sgpr, 30
	.set _ZN7rocprim17ROCPRIM_400000_NS6detail17trampoline_kernelINS0_14default_configENS1_22reduce_config_selectorIN6thrust23THRUST_200600_302600_NS5tupleIblNS6_9null_typeES8_S8_S8_S8_S8_S8_S8_EEEEZNS1_11reduce_implILb1ES3_NS6_12zip_iteratorINS7_INS6_11hip_rocprim26transform_input_iterator_tIbNSD_35transform_pair_of_input_iterators_tIbNS6_6detail15normal_iteratorINS6_10device_ptrIKdEEEESL_NS6_8equal_toIdEEEENSG_9not_fun_tINSD_8identityEEEEENSD_19counting_iterator_tIlEES8_S8_S8_S8_S8_S8_S8_S8_EEEEPS9_S9_NSD_9__find_if7functorIS9_EEEE10hipError_tPvRmT1_T2_T3_mT4_P12ihipStream_tbEUlT_E0_NS1_11comp_targetILNS1_3genE2ELNS1_11target_archE906ELNS1_3gpuE6ELNS1_3repE0EEENS1_30default_config_static_selectorELNS0_4arch9wavefront6targetE1EEEvS14_.num_named_barrier, 0
	.set _ZN7rocprim17ROCPRIM_400000_NS6detail17trampoline_kernelINS0_14default_configENS1_22reduce_config_selectorIN6thrust23THRUST_200600_302600_NS5tupleIblNS6_9null_typeES8_S8_S8_S8_S8_S8_S8_EEEEZNS1_11reduce_implILb1ES3_NS6_12zip_iteratorINS7_INS6_11hip_rocprim26transform_input_iterator_tIbNSD_35transform_pair_of_input_iterators_tIbNS6_6detail15normal_iteratorINS6_10device_ptrIKdEEEESL_NS6_8equal_toIdEEEENSG_9not_fun_tINSD_8identityEEEEENSD_19counting_iterator_tIlEES8_S8_S8_S8_S8_S8_S8_S8_EEEEPS9_S9_NSD_9__find_if7functorIS9_EEEE10hipError_tPvRmT1_T2_T3_mT4_P12ihipStream_tbEUlT_E0_NS1_11comp_targetILNS1_3genE2ELNS1_11target_archE906ELNS1_3gpuE6ELNS1_3repE0EEENS1_30default_config_static_selectorELNS0_4arch9wavefront6targetE1EEEvS14_.private_seg_size, 0
	.set _ZN7rocprim17ROCPRIM_400000_NS6detail17trampoline_kernelINS0_14default_configENS1_22reduce_config_selectorIN6thrust23THRUST_200600_302600_NS5tupleIblNS6_9null_typeES8_S8_S8_S8_S8_S8_S8_EEEEZNS1_11reduce_implILb1ES3_NS6_12zip_iteratorINS7_INS6_11hip_rocprim26transform_input_iterator_tIbNSD_35transform_pair_of_input_iterators_tIbNS6_6detail15normal_iteratorINS6_10device_ptrIKdEEEESL_NS6_8equal_toIdEEEENSG_9not_fun_tINSD_8identityEEEEENSD_19counting_iterator_tIlEES8_S8_S8_S8_S8_S8_S8_S8_EEEEPS9_S9_NSD_9__find_if7functorIS9_EEEE10hipError_tPvRmT1_T2_T3_mT4_P12ihipStream_tbEUlT_E0_NS1_11comp_targetILNS1_3genE2ELNS1_11target_archE906ELNS1_3gpuE6ELNS1_3repE0EEENS1_30default_config_static_selectorELNS0_4arch9wavefront6targetE1EEEvS14_.uses_vcc, 1
	.set _ZN7rocprim17ROCPRIM_400000_NS6detail17trampoline_kernelINS0_14default_configENS1_22reduce_config_selectorIN6thrust23THRUST_200600_302600_NS5tupleIblNS6_9null_typeES8_S8_S8_S8_S8_S8_S8_EEEEZNS1_11reduce_implILb1ES3_NS6_12zip_iteratorINS7_INS6_11hip_rocprim26transform_input_iterator_tIbNSD_35transform_pair_of_input_iterators_tIbNS6_6detail15normal_iteratorINS6_10device_ptrIKdEEEESL_NS6_8equal_toIdEEEENSG_9not_fun_tINSD_8identityEEEEENSD_19counting_iterator_tIlEES8_S8_S8_S8_S8_S8_S8_S8_EEEEPS9_S9_NSD_9__find_if7functorIS9_EEEE10hipError_tPvRmT1_T2_T3_mT4_P12ihipStream_tbEUlT_E0_NS1_11comp_targetILNS1_3genE2ELNS1_11target_archE906ELNS1_3gpuE6ELNS1_3repE0EEENS1_30default_config_static_selectorELNS0_4arch9wavefront6targetE1EEEvS14_.uses_flat_scratch, 0
	.set _ZN7rocprim17ROCPRIM_400000_NS6detail17trampoline_kernelINS0_14default_configENS1_22reduce_config_selectorIN6thrust23THRUST_200600_302600_NS5tupleIblNS6_9null_typeES8_S8_S8_S8_S8_S8_S8_EEEEZNS1_11reduce_implILb1ES3_NS6_12zip_iteratorINS7_INS6_11hip_rocprim26transform_input_iterator_tIbNSD_35transform_pair_of_input_iterators_tIbNS6_6detail15normal_iteratorINS6_10device_ptrIKdEEEESL_NS6_8equal_toIdEEEENSG_9not_fun_tINSD_8identityEEEEENSD_19counting_iterator_tIlEES8_S8_S8_S8_S8_S8_S8_S8_EEEEPS9_S9_NSD_9__find_if7functorIS9_EEEE10hipError_tPvRmT1_T2_T3_mT4_P12ihipStream_tbEUlT_E0_NS1_11comp_targetILNS1_3genE2ELNS1_11target_archE906ELNS1_3gpuE6ELNS1_3repE0EEENS1_30default_config_static_selectorELNS0_4arch9wavefront6targetE1EEEvS14_.has_dyn_sized_stack, 0
	.set _ZN7rocprim17ROCPRIM_400000_NS6detail17trampoline_kernelINS0_14default_configENS1_22reduce_config_selectorIN6thrust23THRUST_200600_302600_NS5tupleIblNS6_9null_typeES8_S8_S8_S8_S8_S8_S8_EEEEZNS1_11reduce_implILb1ES3_NS6_12zip_iteratorINS7_INS6_11hip_rocprim26transform_input_iterator_tIbNSD_35transform_pair_of_input_iterators_tIbNS6_6detail15normal_iteratorINS6_10device_ptrIKdEEEESL_NS6_8equal_toIdEEEENSG_9not_fun_tINSD_8identityEEEEENSD_19counting_iterator_tIlEES8_S8_S8_S8_S8_S8_S8_S8_EEEEPS9_S9_NSD_9__find_if7functorIS9_EEEE10hipError_tPvRmT1_T2_T3_mT4_P12ihipStream_tbEUlT_E0_NS1_11comp_targetILNS1_3genE2ELNS1_11target_archE906ELNS1_3gpuE6ELNS1_3repE0EEENS1_30default_config_static_selectorELNS0_4arch9wavefront6targetE1EEEvS14_.has_recursion, 0
	.set _ZN7rocprim17ROCPRIM_400000_NS6detail17trampoline_kernelINS0_14default_configENS1_22reduce_config_selectorIN6thrust23THRUST_200600_302600_NS5tupleIblNS6_9null_typeES8_S8_S8_S8_S8_S8_S8_EEEEZNS1_11reduce_implILb1ES3_NS6_12zip_iteratorINS7_INS6_11hip_rocprim26transform_input_iterator_tIbNSD_35transform_pair_of_input_iterators_tIbNS6_6detail15normal_iteratorINS6_10device_ptrIKdEEEESL_NS6_8equal_toIdEEEENSG_9not_fun_tINSD_8identityEEEEENSD_19counting_iterator_tIlEES8_S8_S8_S8_S8_S8_S8_S8_EEEEPS9_S9_NSD_9__find_if7functorIS9_EEEE10hipError_tPvRmT1_T2_T3_mT4_P12ihipStream_tbEUlT_E0_NS1_11comp_targetILNS1_3genE2ELNS1_11target_archE906ELNS1_3gpuE6ELNS1_3repE0EEENS1_30default_config_static_selectorELNS0_4arch9wavefront6targetE1EEEvS14_.has_indirect_call, 0
	.section	.AMDGPU.csdata,"",@progbits
; Kernel info:
; codeLenInByte = 2788
; TotalNumSgprs: 34
; NumVgprs: 15
; ScratchSize: 0
; MemoryBound: 0
; FloatMode: 240
; IeeeMode: 1
; LDSByteSize: 64 bytes/workgroup (compile time only)
; SGPRBlocks: 4
; VGPRBlocks: 3
; NumSGPRsForWavesPerEU: 34
; NumVGPRsForWavesPerEU: 15
; Occupancy: 10
; WaveLimiterHint : 0
; COMPUTE_PGM_RSRC2:SCRATCH_EN: 0
; COMPUTE_PGM_RSRC2:USER_SGPR: 6
; COMPUTE_PGM_RSRC2:TRAP_HANDLER: 0
; COMPUTE_PGM_RSRC2:TGID_X_EN: 1
; COMPUTE_PGM_RSRC2:TGID_Y_EN: 0
; COMPUTE_PGM_RSRC2:TGID_Z_EN: 0
; COMPUTE_PGM_RSRC2:TIDIG_COMP_CNT: 0
	.section	.text._ZN7rocprim17ROCPRIM_400000_NS6detail17trampoline_kernelINS0_14default_configENS1_22reduce_config_selectorIN6thrust23THRUST_200600_302600_NS5tupleIblNS6_9null_typeES8_S8_S8_S8_S8_S8_S8_EEEEZNS1_11reduce_implILb1ES3_NS6_12zip_iteratorINS7_INS6_11hip_rocprim26transform_input_iterator_tIbNSD_35transform_pair_of_input_iterators_tIbNS6_6detail15normal_iteratorINS6_10device_ptrIKdEEEESL_NS6_8equal_toIdEEEENSG_9not_fun_tINSD_8identityEEEEENSD_19counting_iterator_tIlEES8_S8_S8_S8_S8_S8_S8_S8_EEEEPS9_S9_NSD_9__find_if7functorIS9_EEEE10hipError_tPvRmT1_T2_T3_mT4_P12ihipStream_tbEUlT_E0_NS1_11comp_targetILNS1_3genE10ELNS1_11target_archE1201ELNS1_3gpuE5ELNS1_3repE0EEENS1_30default_config_static_selectorELNS0_4arch9wavefront6targetE1EEEvS14_,"axG",@progbits,_ZN7rocprim17ROCPRIM_400000_NS6detail17trampoline_kernelINS0_14default_configENS1_22reduce_config_selectorIN6thrust23THRUST_200600_302600_NS5tupleIblNS6_9null_typeES8_S8_S8_S8_S8_S8_S8_EEEEZNS1_11reduce_implILb1ES3_NS6_12zip_iteratorINS7_INS6_11hip_rocprim26transform_input_iterator_tIbNSD_35transform_pair_of_input_iterators_tIbNS6_6detail15normal_iteratorINS6_10device_ptrIKdEEEESL_NS6_8equal_toIdEEEENSG_9not_fun_tINSD_8identityEEEEENSD_19counting_iterator_tIlEES8_S8_S8_S8_S8_S8_S8_S8_EEEEPS9_S9_NSD_9__find_if7functorIS9_EEEE10hipError_tPvRmT1_T2_T3_mT4_P12ihipStream_tbEUlT_E0_NS1_11comp_targetILNS1_3genE10ELNS1_11target_archE1201ELNS1_3gpuE5ELNS1_3repE0EEENS1_30default_config_static_selectorELNS0_4arch9wavefront6targetE1EEEvS14_,comdat
	.protected	_ZN7rocprim17ROCPRIM_400000_NS6detail17trampoline_kernelINS0_14default_configENS1_22reduce_config_selectorIN6thrust23THRUST_200600_302600_NS5tupleIblNS6_9null_typeES8_S8_S8_S8_S8_S8_S8_EEEEZNS1_11reduce_implILb1ES3_NS6_12zip_iteratorINS7_INS6_11hip_rocprim26transform_input_iterator_tIbNSD_35transform_pair_of_input_iterators_tIbNS6_6detail15normal_iteratorINS6_10device_ptrIKdEEEESL_NS6_8equal_toIdEEEENSG_9not_fun_tINSD_8identityEEEEENSD_19counting_iterator_tIlEES8_S8_S8_S8_S8_S8_S8_S8_EEEEPS9_S9_NSD_9__find_if7functorIS9_EEEE10hipError_tPvRmT1_T2_T3_mT4_P12ihipStream_tbEUlT_E0_NS1_11comp_targetILNS1_3genE10ELNS1_11target_archE1201ELNS1_3gpuE5ELNS1_3repE0EEENS1_30default_config_static_selectorELNS0_4arch9wavefront6targetE1EEEvS14_ ; -- Begin function _ZN7rocprim17ROCPRIM_400000_NS6detail17trampoline_kernelINS0_14default_configENS1_22reduce_config_selectorIN6thrust23THRUST_200600_302600_NS5tupleIblNS6_9null_typeES8_S8_S8_S8_S8_S8_S8_EEEEZNS1_11reduce_implILb1ES3_NS6_12zip_iteratorINS7_INS6_11hip_rocprim26transform_input_iterator_tIbNSD_35transform_pair_of_input_iterators_tIbNS6_6detail15normal_iteratorINS6_10device_ptrIKdEEEESL_NS6_8equal_toIdEEEENSG_9not_fun_tINSD_8identityEEEEENSD_19counting_iterator_tIlEES8_S8_S8_S8_S8_S8_S8_S8_EEEEPS9_S9_NSD_9__find_if7functorIS9_EEEE10hipError_tPvRmT1_T2_T3_mT4_P12ihipStream_tbEUlT_E0_NS1_11comp_targetILNS1_3genE10ELNS1_11target_archE1201ELNS1_3gpuE5ELNS1_3repE0EEENS1_30default_config_static_selectorELNS0_4arch9wavefront6targetE1EEEvS14_
	.globl	_ZN7rocprim17ROCPRIM_400000_NS6detail17trampoline_kernelINS0_14default_configENS1_22reduce_config_selectorIN6thrust23THRUST_200600_302600_NS5tupleIblNS6_9null_typeES8_S8_S8_S8_S8_S8_S8_EEEEZNS1_11reduce_implILb1ES3_NS6_12zip_iteratorINS7_INS6_11hip_rocprim26transform_input_iterator_tIbNSD_35transform_pair_of_input_iterators_tIbNS6_6detail15normal_iteratorINS6_10device_ptrIKdEEEESL_NS6_8equal_toIdEEEENSG_9not_fun_tINSD_8identityEEEEENSD_19counting_iterator_tIlEES8_S8_S8_S8_S8_S8_S8_S8_EEEEPS9_S9_NSD_9__find_if7functorIS9_EEEE10hipError_tPvRmT1_T2_T3_mT4_P12ihipStream_tbEUlT_E0_NS1_11comp_targetILNS1_3genE10ELNS1_11target_archE1201ELNS1_3gpuE5ELNS1_3repE0EEENS1_30default_config_static_selectorELNS0_4arch9wavefront6targetE1EEEvS14_
	.p2align	8
	.type	_ZN7rocprim17ROCPRIM_400000_NS6detail17trampoline_kernelINS0_14default_configENS1_22reduce_config_selectorIN6thrust23THRUST_200600_302600_NS5tupleIblNS6_9null_typeES8_S8_S8_S8_S8_S8_S8_EEEEZNS1_11reduce_implILb1ES3_NS6_12zip_iteratorINS7_INS6_11hip_rocprim26transform_input_iterator_tIbNSD_35transform_pair_of_input_iterators_tIbNS6_6detail15normal_iteratorINS6_10device_ptrIKdEEEESL_NS6_8equal_toIdEEEENSG_9not_fun_tINSD_8identityEEEEENSD_19counting_iterator_tIlEES8_S8_S8_S8_S8_S8_S8_S8_EEEEPS9_S9_NSD_9__find_if7functorIS9_EEEE10hipError_tPvRmT1_T2_T3_mT4_P12ihipStream_tbEUlT_E0_NS1_11comp_targetILNS1_3genE10ELNS1_11target_archE1201ELNS1_3gpuE5ELNS1_3repE0EEENS1_30default_config_static_selectorELNS0_4arch9wavefront6targetE1EEEvS14_,@function
_ZN7rocprim17ROCPRIM_400000_NS6detail17trampoline_kernelINS0_14default_configENS1_22reduce_config_selectorIN6thrust23THRUST_200600_302600_NS5tupleIblNS6_9null_typeES8_S8_S8_S8_S8_S8_S8_EEEEZNS1_11reduce_implILb1ES3_NS6_12zip_iteratorINS7_INS6_11hip_rocprim26transform_input_iterator_tIbNSD_35transform_pair_of_input_iterators_tIbNS6_6detail15normal_iteratorINS6_10device_ptrIKdEEEESL_NS6_8equal_toIdEEEENSG_9not_fun_tINSD_8identityEEEEENSD_19counting_iterator_tIlEES8_S8_S8_S8_S8_S8_S8_S8_EEEEPS9_S9_NSD_9__find_if7functorIS9_EEEE10hipError_tPvRmT1_T2_T3_mT4_P12ihipStream_tbEUlT_E0_NS1_11comp_targetILNS1_3genE10ELNS1_11target_archE1201ELNS1_3gpuE5ELNS1_3repE0EEENS1_30default_config_static_selectorELNS0_4arch9wavefront6targetE1EEEvS14_: ; @_ZN7rocprim17ROCPRIM_400000_NS6detail17trampoline_kernelINS0_14default_configENS1_22reduce_config_selectorIN6thrust23THRUST_200600_302600_NS5tupleIblNS6_9null_typeES8_S8_S8_S8_S8_S8_S8_EEEEZNS1_11reduce_implILb1ES3_NS6_12zip_iteratorINS7_INS6_11hip_rocprim26transform_input_iterator_tIbNSD_35transform_pair_of_input_iterators_tIbNS6_6detail15normal_iteratorINS6_10device_ptrIKdEEEESL_NS6_8equal_toIdEEEENSG_9not_fun_tINSD_8identityEEEEENSD_19counting_iterator_tIlEES8_S8_S8_S8_S8_S8_S8_S8_EEEEPS9_S9_NSD_9__find_if7functorIS9_EEEE10hipError_tPvRmT1_T2_T3_mT4_P12ihipStream_tbEUlT_E0_NS1_11comp_targetILNS1_3genE10ELNS1_11target_archE1201ELNS1_3gpuE5ELNS1_3repE0EEENS1_30default_config_static_selectorELNS0_4arch9wavefront6targetE1EEEvS14_
; %bb.0:
	.section	.rodata,"a",@progbits
	.p2align	6, 0x0
	.amdhsa_kernel _ZN7rocprim17ROCPRIM_400000_NS6detail17trampoline_kernelINS0_14default_configENS1_22reduce_config_selectorIN6thrust23THRUST_200600_302600_NS5tupleIblNS6_9null_typeES8_S8_S8_S8_S8_S8_S8_EEEEZNS1_11reduce_implILb1ES3_NS6_12zip_iteratorINS7_INS6_11hip_rocprim26transform_input_iterator_tIbNSD_35transform_pair_of_input_iterators_tIbNS6_6detail15normal_iteratorINS6_10device_ptrIKdEEEESL_NS6_8equal_toIdEEEENSG_9not_fun_tINSD_8identityEEEEENSD_19counting_iterator_tIlEES8_S8_S8_S8_S8_S8_S8_S8_EEEEPS9_S9_NSD_9__find_if7functorIS9_EEEE10hipError_tPvRmT1_T2_T3_mT4_P12ihipStream_tbEUlT_E0_NS1_11comp_targetILNS1_3genE10ELNS1_11target_archE1201ELNS1_3gpuE5ELNS1_3repE0EEENS1_30default_config_static_selectorELNS0_4arch9wavefront6targetE1EEEvS14_
		.amdhsa_group_segment_fixed_size 0
		.amdhsa_private_segment_fixed_size 0
		.amdhsa_kernarg_size 104
		.amdhsa_user_sgpr_count 6
		.amdhsa_user_sgpr_private_segment_buffer 1
		.amdhsa_user_sgpr_dispatch_ptr 0
		.amdhsa_user_sgpr_queue_ptr 0
		.amdhsa_user_sgpr_kernarg_segment_ptr 1
		.amdhsa_user_sgpr_dispatch_id 0
		.amdhsa_user_sgpr_flat_scratch_init 0
		.amdhsa_user_sgpr_private_segment_size 0
		.amdhsa_uses_dynamic_stack 0
		.amdhsa_system_sgpr_private_segment_wavefront_offset 0
		.amdhsa_system_sgpr_workgroup_id_x 1
		.amdhsa_system_sgpr_workgroup_id_y 0
		.amdhsa_system_sgpr_workgroup_id_z 0
		.amdhsa_system_sgpr_workgroup_info 0
		.amdhsa_system_vgpr_workitem_id 0
		.amdhsa_next_free_vgpr 1
		.amdhsa_next_free_sgpr 0
		.amdhsa_reserve_vcc 0
		.amdhsa_reserve_flat_scratch 0
		.amdhsa_float_round_mode_32 0
		.amdhsa_float_round_mode_16_64 0
		.amdhsa_float_denorm_mode_32 3
		.amdhsa_float_denorm_mode_16_64 3
		.amdhsa_dx10_clamp 1
		.amdhsa_ieee_mode 1
		.amdhsa_fp16_overflow 0
		.amdhsa_exception_fp_ieee_invalid_op 0
		.amdhsa_exception_fp_denorm_src 0
		.amdhsa_exception_fp_ieee_div_zero 0
		.amdhsa_exception_fp_ieee_overflow 0
		.amdhsa_exception_fp_ieee_underflow 0
		.amdhsa_exception_fp_ieee_inexact 0
		.amdhsa_exception_int_div_zero 0
	.end_amdhsa_kernel
	.section	.text._ZN7rocprim17ROCPRIM_400000_NS6detail17trampoline_kernelINS0_14default_configENS1_22reduce_config_selectorIN6thrust23THRUST_200600_302600_NS5tupleIblNS6_9null_typeES8_S8_S8_S8_S8_S8_S8_EEEEZNS1_11reduce_implILb1ES3_NS6_12zip_iteratorINS7_INS6_11hip_rocprim26transform_input_iterator_tIbNSD_35transform_pair_of_input_iterators_tIbNS6_6detail15normal_iteratorINS6_10device_ptrIKdEEEESL_NS6_8equal_toIdEEEENSG_9not_fun_tINSD_8identityEEEEENSD_19counting_iterator_tIlEES8_S8_S8_S8_S8_S8_S8_S8_EEEEPS9_S9_NSD_9__find_if7functorIS9_EEEE10hipError_tPvRmT1_T2_T3_mT4_P12ihipStream_tbEUlT_E0_NS1_11comp_targetILNS1_3genE10ELNS1_11target_archE1201ELNS1_3gpuE5ELNS1_3repE0EEENS1_30default_config_static_selectorELNS0_4arch9wavefront6targetE1EEEvS14_,"axG",@progbits,_ZN7rocprim17ROCPRIM_400000_NS6detail17trampoline_kernelINS0_14default_configENS1_22reduce_config_selectorIN6thrust23THRUST_200600_302600_NS5tupleIblNS6_9null_typeES8_S8_S8_S8_S8_S8_S8_EEEEZNS1_11reduce_implILb1ES3_NS6_12zip_iteratorINS7_INS6_11hip_rocprim26transform_input_iterator_tIbNSD_35transform_pair_of_input_iterators_tIbNS6_6detail15normal_iteratorINS6_10device_ptrIKdEEEESL_NS6_8equal_toIdEEEENSG_9not_fun_tINSD_8identityEEEEENSD_19counting_iterator_tIlEES8_S8_S8_S8_S8_S8_S8_S8_EEEEPS9_S9_NSD_9__find_if7functorIS9_EEEE10hipError_tPvRmT1_T2_T3_mT4_P12ihipStream_tbEUlT_E0_NS1_11comp_targetILNS1_3genE10ELNS1_11target_archE1201ELNS1_3gpuE5ELNS1_3repE0EEENS1_30default_config_static_selectorELNS0_4arch9wavefront6targetE1EEEvS14_,comdat
.Lfunc_end431:
	.size	_ZN7rocprim17ROCPRIM_400000_NS6detail17trampoline_kernelINS0_14default_configENS1_22reduce_config_selectorIN6thrust23THRUST_200600_302600_NS5tupleIblNS6_9null_typeES8_S8_S8_S8_S8_S8_S8_EEEEZNS1_11reduce_implILb1ES3_NS6_12zip_iteratorINS7_INS6_11hip_rocprim26transform_input_iterator_tIbNSD_35transform_pair_of_input_iterators_tIbNS6_6detail15normal_iteratorINS6_10device_ptrIKdEEEESL_NS6_8equal_toIdEEEENSG_9not_fun_tINSD_8identityEEEEENSD_19counting_iterator_tIlEES8_S8_S8_S8_S8_S8_S8_S8_EEEEPS9_S9_NSD_9__find_if7functorIS9_EEEE10hipError_tPvRmT1_T2_T3_mT4_P12ihipStream_tbEUlT_E0_NS1_11comp_targetILNS1_3genE10ELNS1_11target_archE1201ELNS1_3gpuE5ELNS1_3repE0EEENS1_30default_config_static_selectorELNS0_4arch9wavefront6targetE1EEEvS14_, .Lfunc_end431-_ZN7rocprim17ROCPRIM_400000_NS6detail17trampoline_kernelINS0_14default_configENS1_22reduce_config_selectorIN6thrust23THRUST_200600_302600_NS5tupleIblNS6_9null_typeES8_S8_S8_S8_S8_S8_S8_EEEEZNS1_11reduce_implILb1ES3_NS6_12zip_iteratorINS7_INS6_11hip_rocprim26transform_input_iterator_tIbNSD_35transform_pair_of_input_iterators_tIbNS6_6detail15normal_iteratorINS6_10device_ptrIKdEEEESL_NS6_8equal_toIdEEEENSG_9not_fun_tINSD_8identityEEEEENSD_19counting_iterator_tIlEES8_S8_S8_S8_S8_S8_S8_S8_EEEEPS9_S9_NSD_9__find_if7functorIS9_EEEE10hipError_tPvRmT1_T2_T3_mT4_P12ihipStream_tbEUlT_E0_NS1_11comp_targetILNS1_3genE10ELNS1_11target_archE1201ELNS1_3gpuE5ELNS1_3repE0EEENS1_30default_config_static_selectorELNS0_4arch9wavefront6targetE1EEEvS14_
                                        ; -- End function
	.set _ZN7rocprim17ROCPRIM_400000_NS6detail17trampoline_kernelINS0_14default_configENS1_22reduce_config_selectorIN6thrust23THRUST_200600_302600_NS5tupleIblNS6_9null_typeES8_S8_S8_S8_S8_S8_S8_EEEEZNS1_11reduce_implILb1ES3_NS6_12zip_iteratorINS7_INS6_11hip_rocprim26transform_input_iterator_tIbNSD_35transform_pair_of_input_iterators_tIbNS6_6detail15normal_iteratorINS6_10device_ptrIKdEEEESL_NS6_8equal_toIdEEEENSG_9not_fun_tINSD_8identityEEEEENSD_19counting_iterator_tIlEES8_S8_S8_S8_S8_S8_S8_S8_EEEEPS9_S9_NSD_9__find_if7functorIS9_EEEE10hipError_tPvRmT1_T2_T3_mT4_P12ihipStream_tbEUlT_E0_NS1_11comp_targetILNS1_3genE10ELNS1_11target_archE1201ELNS1_3gpuE5ELNS1_3repE0EEENS1_30default_config_static_selectorELNS0_4arch9wavefront6targetE1EEEvS14_.num_vgpr, 0
	.set _ZN7rocprim17ROCPRIM_400000_NS6detail17trampoline_kernelINS0_14default_configENS1_22reduce_config_selectorIN6thrust23THRUST_200600_302600_NS5tupleIblNS6_9null_typeES8_S8_S8_S8_S8_S8_S8_EEEEZNS1_11reduce_implILb1ES3_NS6_12zip_iteratorINS7_INS6_11hip_rocprim26transform_input_iterator_tIbNSD_35transform_pair_of_input_iterators_tIbNS6_6detail15normal_iteratorINS6_10device_ptrIKdEEEESL_NS6_8equal_toIdEEEENSG_9not_fun_tINSD_8identityEEEEENSD_19counting_iterator_tIlEES8_S8_S8_S8_S8_S8_S8_S8_EEEEPS9_S9_NSD_9__find_if7functorIS9_EEEE10hipError_tPvRmT1_T2_T3_mT4_P12ihipStream_tbEUlT_E0_NS1_11comp_targetILNS1_3genE10ELNS1_11target_archE1201ELNS1_3gpuE5ELNS1_3repE0EEENS1_30default_config_static_selectorELNS0_4arch9wavefront6targetE1EEEvS14_.num_agpr, 0
	.set _ZN7rocprim17ROCPRIM_400000_NS6detail17trampoline_kernelINS0_14default_configENS1_22reduce_config_selectorIN6thrust23THRUST_200600_302600_NS5tupleIblNS6_9null_typeES8_S8_S8_S8_S8_S8_S8_EEEEZNS1_11reduce_implILb1ES3_NS6_12zip_iteratorINS7_INS6_11hip_rocprim26transform_input_iterator_tIbNSD_35transform_pair_of_input_iterators_tIbNS6_6detail15normal_iteratorINS6_10device_ptrIKdEEEESL_NS6_8equal_toIdEEEENSG_9not_fun_tINSD_8identityEEEEENSD_19counting_iterator_tIlEES8_S8_S8_S8_S8_S8_S8_S8_EEEEPS9_S9_NSD_9__find_if7functorIS9_EEEE10hipError_tPvRmT1_T2_T3_mT4_P12ihipStream_tbEUlT_E0_NS1_11comp_targetILNS1_3genE10ELNS1_11target_archE1201ELNS1_3gpuE5ELNS1_3repE0EEENS1_30default_config_static_selectorELNS0_4arch9wavefront6targetE1EEEvS14_.numbered_sgpr, 0
	.set _ZN7rocprim17ROCPRIM_400000_NS6detail17trampoline_kernelINS0_14default_configENS1_22reduce_config_selectorIN6thrust23THRUST_200600_302600_NS5tupleIblNS6_9null_typeES8_S8_S8_S8_S8_S8_S8_EEEEZNS1_11reduce_implILb1ES3_NS6_12zip_iteratorINS7_INS6_11hip_rocprim26transform_input_iterator_tIbNSD_35transform_pair_of_input_iterators_tIbNS6_6detail15normal_iteratorINS6_10device_ptrIKdEEEESL_NS6_8equal_toIdEEEENSG_9not_fun_tINSD_8identityEEEEENSD_19counting_iterator_tIlEES8_S8_S8_S8_S8_S8_S8_S8_EEEEPS9_S9_NSD_9__find_if7functorIS9_EEEE10hipError_tPvRmT1_T2_T3_mT4_P12ihipStream_tbEUlT_E0_NS1_11comp_targetILNS1_3genE10ELNS1_11target_archE1201ELNS1_3gpuE5ELNS1_3repE0EEENS1_30default_config_static_selectorELNS0_4arch9wavefront6targetE1EEEvS14_.num_named_barrier, 0
	.set _ZN7rocprim17ROCPRIM_400000_NS6detail17trampoline_kernelINS0_14default_configENS1_22reduce_config_selectorIN6thrust23THRUST_200600_302600_NS5tupleIblNS6_9null_typeES8_S8_S8_S8_S8_S8_S8_EEEEZNS1_11reduce_implILb1ES3_NS6_12zip_iteratorINS7_INS6_11hip_rocprim26transform_input_iterator_tIbNSD_35transform_pair_of_input_iterators_tIbNS6_6detail15normal_iteratorINS6_10device_ptrIKdEEEESL_NS6_8equal_toIdEEEENSG_9not_fun_tINSD_8identityEEEEENSD_19counting_iterator_tIlEES8_S8_S8_S8_S8_S8_S8_S8_EEEEPS9_S9_NSD_9__find_if7functorIS9_EEEE10hipError_tPvRmT1_T2_T3_mT4_P12ihipStream_tbEUlT_E0_NS1_11comp_targetILNS1_3genE10ELNS1_11target_archE1201ELNS1_3gpuE5ELNS1_3repE0EEENS1_30default_config_static_selectorELNS0_4arch9wavefront6targetE1EEEvS14_.private_seg_size, 0
	.set _ZN7rocprim17ROCPRIM_400000_NS6detail17trampoline_kernelINS0_14default_configENS1_22reduce_config_selectorIN6thrust23THRUST_200600_302600_NS5tupleIblNS6_9null_typeES8_S8_S8_S8_S8_S8_S8_EEEEZNS1_11reduce_implILb1ES3_NS6_12zip_iteratorINS7_INS6_11hip_rocprim26transform_input_iterator_tIbNSD_35transform_pair_of_input_iterators_tIbNS6_6detail15normal_iteratorINS6_10device_ptrIKdEEEESL_NS6_8equal_toIdEEEENSG_9not_fun_tINSD_8identityEEEEENSD_19counting_iterator_tIlEES8_S8_S8_S8_S8_S8_S8_S8_EEEEPS9_S9_NSD_9__find_if7functorIS9_EEEE10hipError_tPvRmT1_T2_T3_mT4_P12ihipStream_tbEUlT_E0_NS1_11comp_targetILNS1_3genE10ELNS1_11target_archE1201ELNS1_3gpuE5ELNS1_3repE0EEENS1_30default_config_static_selectorELNS0_4arch9wavefront6targetE1EEEvS14_.uses_vcc, 0
	.set _ZN7rocprim17ROCPRIM_400000_NS6detail17trampoline_kernelINS0_14default_configENS1_22reduce_config_selectorIN6thrust23THRUST_200600_302600_NS5tupleIblNS6_9null_typeES8_S8_S8_S8_S8_S8_S8_EEEEZNS1_11reduce_implILb1ES3_NS6_12zip_iteratorINS7_INS6_11hip_rocprim26transform_input_iterator_tIbNSD_35transform_pair_of_input_iterators_tIbNS6_6detail15normal_iteratorINS6_10device_ptrIKdEEEESL_NS6_8equal_toIdEEEENSG_9not_fun_tINSD_8identityEEEEENSD_19counting_iterator_tIlEES8_S8_S8_S8_S8_S8_S8_S8_EEEEPS9_S9_NSD_9__find_if7functorIS9_EEEE10hipError_tPvRmT1_T2_T3_mT4_P12ihipStream_tbEUlT_E0_NS1_11comp_targetILNS1_3genE10ELNS1_11target_archE1201ELNS1_3gpuE5ELNS1_3repE0EEENS1_30default_config_static_selectorELNS0_4arch9wavefront6targetE1EEEvS14_.uses_flat_scratch, 0
	.set _ZN7rocprim17ROCPRIM_400000_NS6detail17trampoline_kernelINS0_14default_configENS1_22reduce_config_selectorIN6thrust23THRUST_200600_302600_NS5tupleIblNS6_9null_typeES8_S8_S8_S8_S8_S8_S8_EEEEZNS1_11reduce_implILb1ES3_NS6_12zip_iteratorINS7_INS6_11hip_rocprim26transform_input_iterator_tIbNSD_35transform_pair_of_input_iterators_tIbNS6_6detail15normal_iteratorINS6_10device_ptrIKdEEEESL_NS6_8equal_toIdEEEENSG_9not_fun_tINSD_8identityEEEEENSD_19counting_iterator_tIlEES8_S8_S8_S8_S8_S8_S8_S8_EEEEPS9_S9_NSD_9__find_if7functorIS9_EEEE10hipError_tPvRmT1_T2_T3_mT4_P12ihipStream_tbEUlT_E0_NS1_11comp_targetILNS1_3genE10ELNS1_11target_archE1201ELNS1_3gpuE5ELNS1_3repE0EEENS1_30default_config_static_selectorELNS0_4arch9wavefront6targetE1EEEvS14_.has_dyn_sized_stack, 0
	.set _ZN7rocprim17ROCPRIM_400000_NS6detail17trampoline_kernelINS0_14default_configENS1_22reduce_config_selectorIN6thrust23THRUST_200600_302600_NS5tupleIblNS6_9null_typeES8_S8_S8_S8_S8_S8_S8_EEEEZNS1_11reduce_implILb1ES3_NS6_12zip_iteratorINS7_INS6_11hip_rocprim26transform_input_iterator_tIbNSD_35transform_pair_of_input_iterators_tIbNS6_6detail15normal_iteratorINS6_10device_ptrIKdEEEESL_NS6_8equal_toIdEEEENSG_9not_fun_tINSD_8identityEEEEENSD_19counting_iterator_tIlEES8_S8_S8_S8_S8_S8_S8_S8_EEEEPS9_S9_NSD_9__find_if7functorIS9_EEEE10hipError_tPvRmT1_T2_T3_mT4_P12ihipStream_tbEUlT_E0_NS1_11comp_targetILNS1_3genE10ELNS1_11target_archE1201ELNS1_3gpuE5ELNS1_3repE0EEENS1_30default_config_static_selectorELNS0_4arch9wavefront6targetE1EEEvS14_.has_recursion, 0
	.set _ZN7rocprim17ROCPRIM_400000_NS6detail17trampoline_kernelINS0_14default_configENS1_22reduce_config_selectorIN6thrust23THRUST_200600_302600_NS5tupleIblNS6_9null_typeES8_S8_S8_S8_S8_S8_S8_EEEEZNS1_11reduce_implILb1ES3_NS6_12zip_iteratorINS7_INS6_11hip_rocprim26transform_input_iterator_tIbNSD_35transform_pair_of_input_iterators_tIbNS6_6detail15normal_iteratorINS6_10device_ptrIKdEEEESL_NS6_8equal_toIdEEEENSG_9not_fun_tINSD_8identityEEEEENSD_19counting_iterator_tIlEES8_S8_S8_S8_S8_S8_S8_S8_EEEEPS9_S9_NSD_9__find_if7functorIS9_EEEE10hipError_tPvRmT1_T2_T3_mT4_P12ihipStream_tbEUlT_E0_NS1_11comp_targetILNS1_3genE10ELNS1_11target_archE1201ELNS1_3gpuE5ELNS1_3repE0EEENS1_30default_config_static_selectorELNS0_4arch9wavefront6targetE1EEEvS14_.has_indirect_call, 0
	.section	.AMDGPU.csdata,"",@progbits
; Kernel info:
; codeLenInByte = 0
; TotalNumSgprs: 4
; NumVgprs: 0
; ScratchSize: 0
; MemoryBound: 0
; FloatMode: 240
; IeeeMode: 1
; LDSByteSize: 0 bytes/workgroup (compile time only)
; SGPRBlocks: 0
; VGPRBlocks: 0
; NumSGPRsForWavesPerEU: 4
; NumVGPRsForWavesPerEU: 1
; Occupancy: 10
; WaveLimiterHint : 0
; COMPUTE_PGM_RSRC2:SCRATCH_EN: 0
; COMPUTE_PGM_RSRC2:USER_SGPR: 6
; COMPUTE_PGM_RSRC2:TRAP_HANDLER: 0
; COMPUTE_PGM_RSRC2:TGID_X_EN: 1
; COMPUTE_PGM_RSRC2:TGID_Y_EN: 0
; COMPUTE_PGM_RSRC2:TGID_Z_EN: 0
; COMPUTE_PGM_RSRC2:TIDIG_COMP_CNT: 0
	.section	.text._ZN7rocprim17ROCPRIM_400000_NS6detail17trampoline_kernelINS0_14default_configENS1_22reduce_config_selectorIN6thrust23THRUST_200600_302600_NS5tupleIblNS6_9null_typeES8_S8_S8_S8_S8_S8_S8_EEEEZNS1_11reduce_implILb1ES3_NS6_12zip_iteratorINS7_INS6_11hip_rocprim26transform_input_iterator_tIbNSD_35transform_pair_of_input_iterators_tIbNS6_6detail15normal_iteratorINS6_10device_ptrIKdEEEESL_NS6_8equal_toIdEEEENSG_9not_fun_tINSD_8identityEEEEENSD_19counting_iterator_tIlEES8_S8_S8_S8_S8_S8_S8_S8_EEEEPS9_S9_NSD_9__find_if7functorIS9_EEEE10hipError_tPvRmT1_T2_T3_mT4_P12ihipStream_tbEUlT_E0_NS1_11comp_targetILNS1_3genE10ELNS1_11target_archE1200ELNS1_3gpuE4ELNS1_3repE0EEENS1_30default_config_static_selectorELNS0_4arch9wavefront6targetE1EEEvS14_,"axG",@progbits,_ZN7rocprim17ROCPRIM_400000_NS6detail17trampoline_kernelINS0_14default_configENS1_22reduce_config_selectorIN6thrust23THRUST_200600_302600_NS5tupleIblNS6_9null_typeES8_S8_S8_S8_S8_S8_S8_EEEEZNS1_11reduce_implILb1ES3_NS6_12zip_iteratorINS7_INS6_11hip_rocprim26transform_input_iterator_tIbNSD_35transform_pair_of_input_iterators_tIbNS6_6detail15normal_iteratorINS6_10device_ptrIKdEEEESL_NS6_8equal_toIdEEEENSG_9not_fun_tINSD_8identityEEEEENSD_19counting_iterator_tIlEES8_S8_S8_S8_S8_S8_S8_S8_EEEEPS9_S9_NSD_9__find_if7functorIS9_EEEE10hipError_tPvRmT1_T2_T3_mT4_P12ihipStream_tbEUlT_E0_NS1_11comp_targetILNS1_3genE10ELNS1_11target_archE1200ELNS1_3gpuE4ELNS1_3repE0EEENS1_30default_config_static_selectorELNS0_4arch9wavefront6targetE1EEEvS14_,comdat
	.protected	_ZN7rocprim17ROCPRIM_400000_NS6detail17trampoline_kernelINS0_14default_configENS1_22reduce_config_selectorIN6thrust23THRUST_200600_302600_NS5tupleIblNS6_9null_typeES8_S8_S8_S8_S8_S8_S8_EEEEZNS1_11reduce_implILb1ES3_NS6_12zip_iteratorINS7_INS6_11hip_rocprim26transform_input_iterator_tIbNSD_35transform_pair_of_input_iterators_tIbNS6_6detail15normal_iteratorINS6_10device_ptrIKdEEEESL_NS6_8equal_toIdEEEENSG_9not_fun_tINSD_8identityEEEEENSD_19counting_iterator_tIlEES8_S8_S8_S8_S8_S8_S8_S8_EEEEPS9_S9_NSD_9__find_if7functorIS9_EEEE10hipError_tPvRmT1_T2_T3_mT4_P12ihipStream_tbEUlT_E0_NS1_11comp_targetILNS1_3genE10ELNS1_11target_archE1200ELNS1_3gpuE4ELNS1_3repE0EEENS1_30default_config_static_selectorELNS0_4arch9wavefront6targetE1EEEvS14_ ; -- Begin function _ZN7rocprim17ROCPRIM_400000_NS6detail17trampoline_kernelINS0_14default_configENS1_22reduce_config_selectorIN6thrust23THRUST_200600_302600_NS5tupleIblNS6_9null_typeES8_S8_S8_S8_S8_S8_S8_EEEEZNS1_11reduce_implILb1ES3_NS6_12zip_iteratorINS7_INS6_11hip_rocprim26transform_input_iterator_tIbNSD_35transform_pair_of_input_iterators_tIbNS6_6detail15normal_iteratorINS6_10device_ptrIKdEEEESL_NS6_8equal_toIdEEEENSG_9not_fun_tINSD_8identityEEEEENSD_19counting_iterator_tIlEES8_S8_S8_S8_S8_S8_S8_S8_EEEEPS9_S9_NSD_9__find_if7functorIS9_EEEE10hipError_tPvRmT1_T2_T3_mT4_P12ihipStream_tbEUlT_E0_NS1_11comp_targetILNS1_3genE10ELNS1_11target_archE1200ELNS1_3gpuE4ELNS1_3repE0EEENS1_30default_config_static_selectorELNS0_4arch9wavefront6targetE1EEEvS14_
	.globl	_ZN7rocprim17ROCPRIM_400000_NS6detail17trampoline_kernelINS0_14default_configENS1_22reduce_config_selectorIN6thrust23THRUST_200600_302600_NS5tupleIblNS6_9null_typeES8_S8_S8_S8_S8_S8_S8_EEEEZNS1_11reduce_implILb1ES3_NS6_12zip_iteratorINS7_INS6_11hip_rocprim26transform_input_iterator_tIbNSD_35transform_pair_of_input_iterators_tIbNS6_6detail15normal_iteratorINS6_10device_ptrIKdEEEESL_NS6_8equal_toIdEEEENSG_9not_fun_tINSD_8identityEEEEENSD_19counting_iterator_tIlEES8_S8_S8_S8_S8_S8_S8_S8_EEEEPS9_S9_NSD_9__find_if7functorIS9_EEEE10hipError_tPvRmT1_T2_T3_mT4_P12ihipStream_tbEUlT_E0_NS1_11comp_targetILNS1_3genE10ELNS1_11target_archE1200ELNS1_3gpuE4ELNS1_3repE0EEENS1_30default_config_static_selectorELNS0_4arch9wavefront6targetE1EEEvS14_
	.p2align	8
	.type	_ZN7rocprim17ROCPRIM_400000_NS6detail17trampoline_kernelINS0_14default_configENS1_22reduce_config_selectorIN6thrust23THRUST_200600_302600_NS5tupleIblNS6_9null_typeES8_S8_S8_S8_S8_S8_S8_EEEEZNS1_11reduce_implILb1ES3_NS6_12zip_iteratorINS7_INS6_11hip_rocprim26transform_input_iterator_tIbNSD_35transform_pair_of_input_iterators_tIbNS6_6detail15normal_iteratorINS6_10device_ptrIKdEEEESL_NS6_8equal_toIdEEEENSG_9not_fun_tINSD_8identityEEEEENSD_19counting_iterator_tIlEES8_S8_S8_S8_S8_S8_S8_S8_EEEEPS9_S9_NSD_9__find_if7functorIS9_EEEE10hipError_tPvRmT1_T2_T3_mT4_P12ihipStream_tbEUlT_E0_NS1_11comp_targetILNS1_3genE10ELNS1_11target_archE1200ELNS1_3gpuE4ELNS1_3repE0EEENS1_30default_config_static_selectorELNS0_4arch9wavefront6targetE1EEEvS14_,@function
_ZN7rocprim17ROCPRIM_400000_NS6detail17trampoline_kernelINS0_14default_configENS1_22reduce_config_selectorIN6thrust23THRUST_200600_302600_NS5tupleIblNS6_9null_typeES8_S8_S8_S8_S8_S8_S8_EEEEZNS1_11reduce_implILb1ES3_NS6_12zip_iteratorINS7_INS6_11hip_rocprim26transform_input_iterator_tIbNSD_35transform_pair_of_input_iterators_tIbNS6_6detail15normal_iteratorINS6_10device_ptrIKdEEEESL_NS6_8equal_toIdEEEENSG_9not_fun_tINSD_8identityEEEEENSD_19counting_iterator_tIlEES8_S8_S8_S8_S8_S8_S8_S8_EEEEPS9_S9_NSD_9__find_if7functorIS9_EEEE10hipError_tPvRmT1_T2_T3_mT4_P12ihipStream_tbEUlT_E0_NS1_11comp_targetILNS1_3genE10ELNS1_11target_archE1200ELNS1_3gpuE4ELNS1_3repE0EEENS1_30default_config_static_selectorELNS0_4arch9wavefront6targetE1EEEvS14_: ; @_ZN7rocprim17ROCPRIM_400000_NS6detail17trampoline_kernelINS0_14default_configENS1_22reduce_config_selectorIN6thrust23THRUST_200600_302600_NS5tupleIblNS6_9null_typeES8_S8_S8_S8_S8_S8_S8_EEEEZNS1_11reduce_implILb1ES3_NS6_12zip_iteratorINS7_INS6_11hip_rocprim26transform_input_iterator_tIbNSD_35transform_pair_of_input_iterators_tIbNS6_6detail15normal_iteratorINS6_10device_ptrIKdEEEESL_NS6_8equal_toIdEEEENSG_9not_fun_tINSD_8identityEEEEENSD_19counting_iterator_tIlEES8_S8_S8_S8_S8_S8_S8_S8_EEEEPS9_S9_NSD_9__find_if7functorIS9_EEEE10hipError_tPvRmT1_T2_T3_mT4_P12ihipStream_tbEUlT_E0_NS1_11comp_targetILNS1_3genE10ELNS1_11target_archE1200ELNS1_3gpuE4ELNS1_3repE0EEENS1_30default_config_static_selectorELNS0_4arch9wavefront6targetE1EEEvS14_
; %bb.0:
	.section	.rodata,"a",@progbits
	.p2align	6, 0x0
	.amdhsa_kernel _ZN7rocprim17ROCPRIM_400000_NS6detail17trampoline_kernelINS0_14default_configENS1_22reduce_config_selectorIN6thrust23THRUST_200600_302600_NS5tupleIblNS6_9null_typeES8_S8_S8_S8_S8_S8_S8_EEEEZNS1_11reduce_implILb1ES3_NS6_12zip_iteratorINS7_INS6_11hip_rocprim26transform_input_iterator_tIbNSD_35transform_pair_of_input_iterators_tIbNS6_6detail15normal_iteratorINS6_10device_ptrIKdEEEESL_NS6_8equal_toIdEEEENSG_9not_fun_tINSD_8identityEEEEENSD_19counting_iterator_tIlEES8_S8_S8_S8_S8_S8_S8_S8_EEEEPS9_S9_NSD_9__find_if7functorIS9_EEEE10hipError_tPvRmT1_T2_T3_mT4_P12ihipStream_tbEUlT_E0_NS1_11comp_targetILNS1_3genE10ELNS1_11target_archE1200ELNS1_3gpuE4ELNS1_3repE0EEENS1_30default_config_static_selectorELNS0_4arch9wavefront6targetE1EEEvS14_
		.amdhsa_group_segment_fixed_size 0
		.amdhsa_private_segment_fixed_size 0
		.amdhsa_kernarg_size 104
		.amdhsa_user_sgpr_count 6
		.amdhsa_user_sgpr_private_segment_buffer 1
		.amdhsa_user_sgpr_dispatch_ptr 0
		.amdhsa_user_sgpr_queue_ptr 0
		.amdhsa_user_sgpr_kernarg_segment_ptr 1
		.amdhsa_user_sgpr_dispatch_id 0
		.amdhsa_user_sgpr_flat_scratch_init 0
		.amdhsa_user_sgpr_private_segment_size 0
		.amdhsa_uses_dynamic_stack 0
		.amdhsa_system_sgpr_private_segment_wavefront_offset 0
		.amdhsa_system_sgpr_workgroup_id_x 1
		.amdhsa_system_sgpr_workgroup_id_y 0
		.amdhsa_system_sgpr_workgroup_id_z 0
		.amdhsa_system_sgpr_workgroup_info 0
		.amdhsa_system_vgpr_workitem_id 0
		.amdhsa_next_free_vgpr 1
		.amdhsa_next_free_sgpr 0
		.amdhsa_reserve_vcc 0
		.amdhsa_reserve_flat_scratch 0
		.amdhsa_float_round_mode_32 0
		.amdhsa_float_round_mode_16_64 0
		.amdhsa_float_denorm_mode_32 3
		.amdhsa_float_denorm_mode_16_64 3
		.amdhsa_dx10_clamp 1
		.amdhsa_ieee_mode 1
		.amdhsa_fp16_overflow 0
		.amdhsa_exception_fp_ieee_invalid_op 0
		.amdhsa_exception_fp_denorm_src 0
		.amdhsa_exception_fp_ieee_div_zero 0
		.amdhsa_exception_fp_ieee_overflow 0
		.amdhsa_exception_fp_ieee_underflow 0
		.amdhsa_exception_fp_ieee_inexact 0
		.amdhsa_exception_int_div_zero 0
	.end_amdhsa_kernel
	.section	.text._ZN7rocprim17ROCPRIM_400000_NS6detail17trampoline_kernelINS0_14default_configENS1_22reduce_config_selectorIN6thrust23THRUST_200600_302600_NS5tupleIblNS6_9null_typeES8_S8_S8_S8_S8_S8_S8_EEEEZNS1_11reduce_implILb1ES3_NS6_12zip_iteratorINS7_INS6_11hip_rocprim26transform_input_iterator_tIbNSD_35transform_pair_of_input_iterators_tIbNS6_6detail15normal_iteratorINS6_10device_ptrIKdEEEESL_NS6_8equal_toIdEEEENSG_9not_fun_tINSD_8identityEEEEENSD_19counting_iterator_tIlEES8_S8_S8_S8_S8_S8_S8_S8_EEEEPS9_S9_NSD_9__find_if7functorIS9_EEEE10hipError_tPvRmT1_T2_T3_mT4_P12ihipStream_tbEUlT_E0_NS1_11comp_targetILNS1_3genE10ELNS1_11target_archE1200ELNS1_3gpuE4ELNS1_3repE0EEENS1_30default_config_static_selectorELNS0_4arch9wavefront6targetE1EEEvS14_,"axG",@progbits,_ZN7rocprim17ROCPRIM_400000_NS6detail17trampoline_kernelINS0_14default_configENS1_22reduce_config_selectorIN6thrust23THRUST_200600_302600_NS5tupleIblNS6_9null_typeES8_S8_S8_S8_S8_S8_S8_EEEEZNS1_11reduce_implILb1ES3_NS6_12zip_iteratorINS7_INS6_11hip_rocprim26transform_input_iterator_tIbNSD_35transform_pair_of_input_iterators_tIbNS6_6detail15normal_iteratorINS6_10device_ptrIKdEEEESL_NS6_8equal_toIdEEEENSG_9not_fun_tINSD_8identityEEEEENSD_19counting_iterator_tIlEES8_S8_S8_S8_S8_S8_S8_S8_EEEEPS9_S9_NSD_9__find_if7functorIS9_EEEE10hipError_tPvRmT1_T2_T3_mT4_P12ihipStream_tbEUlT_E0_NS1_11comp_targetILNS1_3genE10ELNS1_11target_archE1200ELNS1_3gpuE4ELNS1_3repE0EEENS1_30default_config_static_selectorELNS0_4arch9wavefront6targetE1EEEvS14_,comdat
.Lfunc_end432:
	.size	_ZN7rocprim17ROCPRIM_400000_NS6detail17trampoline_kernelINS0_14default_configENS1_22reduce_config_selectorIN6thrust23THRUST_200600_302600_NS5tupleIblNS6_9null_typeES8_S8_S8_S8_S8_S8_S8_EEEEZNS1_11reduce_implILb1ES3_NS6_12zip_iteratorINS7_INS6_11hip_rocprim26transform_input_iterator_tIbNSD_35transform_pair_of_input_iterators_tIbNS6_6detail15normal_iteratorINS6_10device_ptrIKdEEEESL_NS6_8equal_toIdEEEENSG_9not_fun_tINSD_8identityEEEEENSD_19counting_iterator_tIlEES8_S8_S8_S8_S8_S8_S8_S8_EEEEPS9_S9_NSD_9__find_if7functorIS9_EEEE10hipError_tPvRmT1_T2_T3_mT4_P12ihipStream_tbEUlT_E0_NS1_11comp_targetILNS1_3genE10ELNS1_11target_archE1200ELNS1_3gpuE4ELNS1_3repE0EEENS1_30default_config_static_selectorELNS0_4arch9wavefront6targetE1EEEvS14_, .Lfunc_end432-_ZN7rocprim17ROCPRIM_400000_NS6detail17trampoline_kernelINS0_14default_configENS1_22reduce_config_selectorIN6thrust23THRUST_200600_302600_NS5tupleIblNS6_9null_typeES8_S8_S8_S8_S8_S8_S8_EEEEZNS1_11reduce_implILb1ES3_NS6_12zip_iteratorINS7_INS6_11hip_rocprim26transform_input_iterator_tIbNSD_35transform_pair_of_input_iterators_tIbNS6_6detail15normal_iteratorINS6_10device_ptrIKdEEEESL_NS6_8equal_toIdEEEENSG_9not_fun_tINSD_8identityEEEEENSD_19counting_iterator_tIlEES8_S8_S8_S8_S8_S8_S8_S8_EEEEPS9_S9_NSD_9__find_if7functorIS9_EEEE10hipError_tPvRmT1_T2_T3_mT4_P12ihipStream_tbEUlT_E0_NS1_11comp_targetILNS1_3genE10ELNS1_11target_archE1200ELNS1_3gpuE4ELNS1_3repE0EEENS1_30default_config_static_selectorELNS0_4arch9wavefront6targetE1EEEvS14_
                                        ; -- End function
	.set _ZN7rocprim17ROCPRIM_400000_NS6detail17trampoline_kernelINS0_14default_configENS1_22reduce_config_selectorIN6thrust23THRUST_200600_302600_NS5tupleIblNS6_9null_typeES8_S8_S8_S8_S8_S8_S8_EEEEZNS1_11reduce_implILb1ES3_NS6_12zip_iteratorINS7_INS6_11hip_rocprim26transform_input_iterator_tIbNSD_35transform_pair_of_input_iterators_tIbNS6_6detail15normal_iteratorINS6_10device_ptrIKdEEEESL_NS6_8equal_toIdEEEENSG_9not_fun_tINSD_8identityEEEEENSD_19counting_iterator_tIlEES8_S8_S8_S8_S8_S8_S8_S8_EEEEPS9_S9_NSD_9__find_if7functorIS9_EEEE10hipError_tPvRmT1_T2_T3_mT4_P12ihipStream_tbEUlT_E0_NS1_11comp_targetILNS1_3genE10ELNS1_11target_archE1200ELNS1_3gpuE4ELNS1_3repE0EEENS1_30default_config_static_selectorELNS0_4arch9wavefront6targetE1EEEvS14_.num_vgpr, 0
	.set _ZN7rocprim17ROCPRIM_400000_NS6detail17trampoline_kernelINS0_14default_configENS1_22reduce_config_selectorIN6thrust23THRUST_200600_302600_NS5tupleIblNS6_9null_typeES8_S8_S8_S8_S8_S8_S8_EEEEZNS1_11reduce_implILb1ES3_NS6_12zip_iteratorINS7_INS6_11hip_rocprim26transform_input_iterator_tIbNSD_35transform_pair_of_input_iterators_tIbNS6_6detail15normal_iteratorINS6_10device_ptrIKdEEEESL_NS6_8equal_toIdEEEENSG_9not_fun_tINSD_8identityEEEEENSD_19counting_iterator_tIlEES8_S8_S8_S8_S8_S8_S8_S8_EEEEPS9_S9_NSD_9__find_if7functorIS9_EEEE10hipError_tPvRmT1_T2_T3_mT4_P12ihipStream_tbEUlT_E0_NS1_11comp_targetILNS1_3genE10ELNS1_11target_archE1200ELNS1_3gpuE4ELNS1_3repE0EEENS1_30default_config_static_selectorELNS0_4arch9wavefront6targetE1EEEvS14_.num_agpr, 0
	.set _ZN7rocprim17ROCPRIM_400000_NS6detail17trampoline_kernelINS0_14default_configENS1_22reduce_config_selectorIN6thrust23THRUST_200600_302600_NS5tupleIblNS6_9null_typeES8_S8_S8_S8_S8_S8_S8_EEEEZNS1_11reduce_implILb1ES3_NS6_12zip_iteratorINS7_INS6_11hip_rocprim26transform_input_iterator_tIbNSD_35transform_pair_of_input_iterators_tIbNS6_6detail15normal_iteratorINS6_10device_ptrIKdEEEESL_NS6_8equal_toIdEEEENSG_9not_fun_tINSD_8identityEEEEENSD_19counting_iterator_tIlEES8_S8_S8_S8_S8_S8_S8_S8_EEEEPS9_S9_NSD_9__find_if7functorIS9_EEEE10hipError_tPvRmT1_T2_T3_mT4_P12ihipStream_tbEUlT_E0_NS1_11comp_targetILNS1_3genE10ELNS1_11target_archE1200ELNS1_3gpuE4ELNS1_3repE0EEENS1_30default_config_static_selectorELNS0_4arch9wavefront6targetE1EEEvS14_.numbered_sgpr, 0
	.set _ZN7rocprim17ROCPRIM_400000_NS6detail17trampoline_kernelINS0_14default_configENS1_22reduce_config_selectorIN6thrust23THRUST_200600_302600_NS5tupleIblNS6_9null_typeES8_S8_S8_S8_S8_S8_S8_EEEEZNS1_11reduce_implILb1ES3_NS6_12zip_iteratorINS7_INS6_11hip_rocprim26transform_input_iterator_tIbNSD_35transform_pair_of_input_iterators_tIbNS6_6detail15normal_iteratorINS6_10device_ptrIKdEEEESL_NS6_8equal_toIdEEEENSG_9not_fun_tINSD_8identityEEEEENSD_19counting_iterator_tIlEES8_S8_S8_S8_S8_S8_S8_S8_EEEEPS9_S9_NSD_9__find_if7functorIS9_EEEE10hipError_tPvRmT1_T2_T3_mT4_P12ihipStream_tbEUlT_E0_NS1_11comp_targetILNS1_3genE10ELNS1_11target_archE1200ELNS1_3gpuE4ELNS1_3repE0EEENS1_30default_config_static_selectorELNS0_4arch9wavefront6targetE1EEEvS14_.num_named_barrier, 0
	.set _ZN7rocprim17ROCPRIM_400000_NS6detail17trampoline_kernelINS0_14default_configENS1_22reduce_config_selectorIN6thrust23THRUST_200600_302600_NS5tupleIblNS6_9null_typeES8_S8_S8_S8_S8_S8_S8_EEEEZNS1_11reduce_implILb1ES3_NS6_12zip_iteratorINS7_INS6_11hip_rocprim26transform_input_iterator_tIbNSD_35transform_pair_of_input_iterators_tIbNS6_6detail15normal_iteratorINS6_10device_ptrIKdEEEESL_NS6_8equal_toIdEEEENSG_9not_fun_tINSD_8identityEEEEENSD_19counting_iterator_tIlEES8_S8_S8_S8_S8_S8_S8_S8_EEEEPS9_S9_NSD_9__find_if7functorIS9_EEEE10hipError_tPvRmT1_T2_T3_mT4_P12ihipStream_tbEUlT_E0_NS1_11comp_targetILNS1_3genE10ELNS1_11target_archE1200ELNS1_3gpuE4ELNS1_3repE0EEENS1_30default_config_static_selectorELNS0_4arch9wavefront6targetE1EEEvS14_.private_seg_size, 0
	.set _ZN7rocprim17ROCPRIM_400000_NS6detail17trampoline_kernelINS0_14default_configENS1_22reduce_config_selectorIN6thrust23THRUST_200600_302600_NS5tupleIblNS6_9null_typeES8_S8_S8_S8_S8_S8_S8_EEEEZNS1_11reduce_implILb1ES3_NS6_12zip_iteratorINS7_INS6_11hip_rocprim26transform_input_iterator_tIbNSD_35transform_pair_of_input_iterators_tIbNS6_6detail15normal_iteratorINS6_10device_ptrIKdEEEESL_NS6_8equal_toIdEEEENSG_9not_fun_tINSD_8identityEEEEENSD_19counting_iterator_tIlEES8_S8_S8_S8_S8_S8_S8_S8_EEEEPS9_S9_NSD_9__find_if7functorIS9_EEEE10hipError_tPvRmT1_T2_T3_mT4_P12ihipStream_tbEUlT_E0_NS1_11comp_targetILNS1_3genE10ELNS1_11target_archE1200ELNS1_3gpuE4ELNS1_3repE0EEENS1_30default_config_static_selectorELNS0_4arch9wavefront6targetE1EEEvS14_.uses_vcc, 0
	.set _ZN7rocprim17ROCPRIM_400000_NS6detail17trampoline_kernelINS0_14default_configENS1_22reduce_config_selectorIN6thrust23THRUST_200600_302600_NS5tupleIblNS6_9null_typeES8_S8_S8_S8_S8_S8_S8_EEEEZNS1_11reduce_implILb1ES3_NS6_12zip_iteratorINS7_INS6_11hip_rocprim26transform_input_iterator_tIbNSD_35transform_pair_of_input_iterators_tIbNS6_6detail15normal_iteratorINS6_10device_ptrIKdEEEESL_NS6_8equal_toIdEEEENSG_9not_fun_tINSD_8identityEEEEENSD_19counting_iterator_tIlEES8_S8_S8_S8_S8_S8_S8_S8_EEEEPS9_S9_NSD_9__find_if7functorIS9_EEEE10hipError_tPvRmT1_T2_T3_mT4_P12ihipStream_tbEUlT_E0_NS1_11comp_targetILNS1_3genE10ELNS1_11target_archE1200ELNS1_3gpuE4ELNS1_3repE0EEENS1_30default_config_static_selectorELNS0_4arch9wavefront6targetE1EEEvS14_.uses_flat_scratch, 0
	.set _ZN7rocprim17ROCPRIM_400000_NS6detail17trampoline_kernelINS0_14default_configENS1_22reduce_config_selectorIN6thrust23THRUST_200600_302600_NS5tupleIblNS6_9null_typeES8_S8_S8_S8_S8_S8_S8_EEEEZNS1_11reduce_implILb1ES3_NS6_12zip_iteratorINS7_INS6_11hip_rocprim26transform_input_iterator_tIbNSD_35transform_pair_of_input_iterators_tIbNS6_6detail15normal_iteratorINS6_10device_ptrIKdEEEESL_NS6_8equal_toIdEEEENSG_9not_fun_tINSD_8identityEEEEENSD_19counting_iterator_tIlEES8_S8_S8_S8_S8_S8_S8_S8_EEEEPS9_S9_NSD_9__find_if7functorIS9_EEEE10hipError_tPvRmT1_T2_T3_mT4_P12ihipStream_tbEUlT_E0_NS1_11comp_targetILNS1_3genE10ELNS1_11target_archE1200ELNS1_3gpuE4ELNS1_3repE0EEENS1_30default_config_static_selectorELNS0_4arch9wavefront6targetE1EEEvS14_.has_dyn_sized_stack, 0
	.set _ZN7rocprim17ROCPRIM_400000_NS6detail17trampoline_kernelINS0_14default_configENS1_22reduce_config_selectorIN6thrust23THRUST_200600_302600_NS5tupleIblNS6_9null_typeES8_S8_S8_S8_S8_S8_S8_EEEEZNS1_11reduce_implILb1ES3_NS6_12zip_iteratorINS7_INS6_11hip_rocprim26transform_input_iterator_tIbNSD_35transform_pair_of_input_iterators_tIbNS6_6detail15normal_iteratorINS6_10device_ptrIKdEEEESL_NS6_8equal_toIdEEEENSG_9not_fun_tINSD_8identityEEEEENSD_19counting_iterator_tIlEES8_S8_S8_S8_S8_S8_S8_S8_EEEEPS9_S9_NSD_9__find_if7functorIS9_EEEE10hipError_tPvRmT1_T2_T3_mT4_P12ihipStream_tbEUlT_E0_NS1_11comp_targetILNS1_3genE10ELNS1_11target_archE1200ELNS1_3gpuE4ELNS1_3repE0EEENS1_30default_config_static_selectorELNS0_4arch9wavefront6targetE1EEEvS14_.has_recursion, 0
	.set _ZN7rocprim17ROCPRIM_400000_NS6detail17trampoline_kernelINS0_14default_configENS1_22reduce_config_selectorIN6thrust23THRUST_200600_302600_NS5tupleIblNS6_9null_typeES8_S8_S8_S8_S8_S8_S8_EEEEZNS1_11reduce_implILb1ES3_NS6_12zip_iteratorINS7_INS6_11hip_rocprim26transform_input_iterator_tIbNSD_35transform_pair_of_input_iterators_tIbNS6_6detail15normal_iteratorINS6_10device_ptrIKdEEEESL_NS6_8equal_toIdEEEENSG_9not_fun_tINSD_8identityEEEEENSD_19counting_iterator_tIlEES8_S8_S8_S8_S8_S8_S8_S8_EEEEPS9_S9_NSD_9__find_if7functorIS9_EEEE10hipError_tPvRmT1_T2_T3_mT4_P12ihipStream_tbEUlT_E0_NS1_11comp_targetILNS1_3genE10ELNS1_11target_archE1200ELNS1_3gpuE4ELNS1_3repE0EEENS1_30default_config_static_selectorELNS0_4arch9wavefront6targetE1EEEvS14_.has_indirect_call, 0
	.section	.AMDGPU.csdata,"",@progbits
; Kernel info:
; codeLenInByte = 0
; TotalNumSgprs: 4
; NumVgprs: 0
; ScratchSize: 0
; MemoryBound: 0
; FloatMode: 240
; IeeeMode: 1
; LDSByteSize: 0 bytes/workgroup (compile time only)
; SGPRBlocks: 0
; VGPRBlocks: 0
; NumSGPRsForWavesPerEU: 4
; NumVGPRsForWavesPerEU: 1
; Occupancy: 10
; WaveLimiterHint : 0
; COMPUTE_PGM_RSRC2:SCRATCH_EN: 0
; COMPUTE_PGM_RSRC2:USER_SGPR: 6
; COMPUTE_PGM_RSRC2:TRAP_HANDLER: 0
; COMPUTE_PGM_RSRC2:TGID_X_EN: 1
; COMPUTE_PGM_RSRC2:TGID_Y_EN: 0
; COMPUTE_PGM_RSRC2:TGID_Z_EN: 0
; COMPUTE_PGM_RSRC2:TIDIG_COMP_CNT: 0
	.section	.text._ZN7rocprim17ROCPRIM_400000_NS6detail17trampoline_kernelINS0_14default_configENS1_22reduce_config_selectorIN6thrust23THRUST_200600_302600_NS5tupleIblNS6_9null_typeES8_S8_S8_S8_S8_S8_S8_EEEEZNS1_11reduce_implILb1ES3_NS6_12zip_iteratorINS7_INS6_11hip_rocprim26transform_input_iterator_tIbNSD_35transform_pair_of_input_iterators_tIbNS6_6detail15normal_iteratorINS6_10device_ptrIKdEEEESL_NS6_8equal_toIdEEEENSG_9not_fun_tINSD_8identityEEEEENSD_19counting_iterator_tIlEES8_S8_S8_S8_S8_S8_S8_S8_EEEEPS9_S9_NSD_9__find_if7functorIS9_EEEE10hipError_tPvRmT1_T2_T3_mT4_P12ihipStream_tbEUlT_E0_NS1_11comp_targetILNS1_3genE9ELNS1_11target_archE1100ELNS1_3gpuE3ELNS1_3repE0EEENS1_30default_config_static_selectorELNS0_4arch9wavefront6targetE1EEEvS14_,"axG",@progbits,_ZN7rocprim17ROCPRIM_400000_NS6detail17trampoline_kernelINS0_14default_configENS1_22reduce_config_selectorIN6thrust23THRUST_200600_302600_NS5tupleIblNS6_9null_typeES8_S8_S8_S8_S8_S8_S8_EEEEZNS1_11reduce_implILb1ES3_NS6_12zip_iteratorINS7_INS6_11hip_rocprim26transform_input_iterator_tIbNSD_35transform_pair_of_input_iterators_tIbNS6_6detail15normal_iteratorINS6_10device_ptrIKdEEEESL_NS6_8equal_toIdEEEENSG_9not_fun_tINSD_8identityEEEEENSD_19counting_iterator_tIlEES8_S8_S8_S8_S8_S8_S8_S8_EEEEPS9_S9_NSD_9__find_if7functorIS9_EEEE10hipError_tPvRmT1_T2_T3_mT4_P12ihipStream_tbEUlT_E0_NS1_11comp_targetILNS1_3genE9ELNS1_11target_archE1100ELNS1_3gpuE3ELNS1_3repE0EEENS1_30default_config_static_selectorELNS0_4arch9wavefront6targetE1EEEvS14_,comdat
	.protected	_ZN7rocprim17ROCPRIM_400000_NS6detail17trampoline_kernelINS0_14default_configENS1_22reduce_config_selectorIN6thrust23THRUST_200600_302600_NS5tupleIblNS6_9null_typeES8_S8_S8_S8_S8_S8_S8_EEEEZNS1_11reduce_implILb1ES3_NS6_12zip_iteratorINS7_INS6_11hip_rocprim26transform_input_iterator_tIbNSD_35transform_pair_of_input_iterators_tIbNS6_6detail15normal_iteratorINS6_10device_ptrIKdEEEESL_NS6_8equal_toIdEEEENSG_9not_fun_tINSD_8identityEEEEENSD_19counting_iterator_tIlEES8_S8_S8_S8_S8_S8_S8_S8_EEEEPS9_S9_NSD_9__find_if7functorIS9_EEEE10hipError_tPvRmT1_T2_T3_mT4_P12ihipStream_tbEUlT_E0_NS1_11comp_targetILNS1_3genE9ELNS1_11target_archE1100ELNS1_3gpuE3ELNS1_3repE0EEENS1_30default_config_static_selectorELNS0_4arch9wavefront6targetE1EEEvS14_ ; -- Begin function _ZN7rocprim17ROCPRIM_400000_NS6detail17trampoline_kernelINS0_14default_configENS1_22reduce_config_selectorIN6thrust23THRUST_200600_302600_NS5tupleIblNS6_9null_typeES8_S8_S8_S8_S8_S8_S8_EEEEZNS1_11reduce_implILb1ES3_NS6_12zip_iteratorINS7_INS6_11hip_rocprim26transform_input_iterator_tIbNSD_35transform_pair_of_input_iterators_tIbNS6_6detail15normal_iteratorINS6_10device_ptrIKdEEEESL_NS6_8equal_toIdEEEENSG_9not_fun_tINSD_8identityEEEEENSD_19counting_iterator_tIlEES8_S8_S8_S8_S8_S8_S8_S8_EEEEPS9_S9_NSD_9__find_if7functorIS9_EEEE10hipError_tPvRmT1_T2_T3_mT4_P12ihipStream_tbEUlT_E0_NS1_11comp_targetILNS1_3genE9ELNS1_11target_archE1100ELNS1_3gpuE3ELNS1_3repE0EEENS1_30default_config_static_selectorELNS0_4arch9wavefront6targetE1EEEvS14_
	.globl	_ZN7rocprim17ROCPRIM_400000_NS6detail17trampoline_kernelINS0_14default_configENS1_22reduce_config_selectorIN6thrust23THRUST_200600_302600_NS5tupleIblNS6_9null_typeES8_S8_S8_S8_S8_S8_S8_EEEEZNS1_11reduce_implILb1ES3_NS6_12zip_iteratorINS7_INS6_11hip_rocprim26transform_input_iterator_tIbNSD_35transform_pair_of_input_iterators_tIbNS6_6detail15normal_iteratorINS6_10device_ptrIKdEEEESL_NS6_8equal_toIdEEEENSG_9not_fun_tINSD_8identityEEEEENSD_19counting_iterator_tIlEES8_S8_S8_S8_S8_S8_S8_S8_EEEEPS9_S9_NSD_9__find_if7functorIS9_EEEE10hipError_tPvRmT1_T2_T3_mT4_P12ihipStream_tbEUlT_E0_NS1_11comp_targetILNS1_3genE9ELNS1_11target_archE1100ELNS1_3gpuE3ELNS1_3repE0EEENS1_30default_config_static_selectorELNS0_4arch9wavefront6targetE1EEEvS14_
	.p2align	8
	.type	_ZN7rocprim17ROCPRIM_400000_NS6detail17trampoline_kernelINS0_14default_configENS1_22reduce_config_selectorIN6thrust23THRUST_200600_302600_NS5tupleIblNS6_9null_typeES8_S8_S8_S8_S8_S8_S8_EEEEZNS1_11reduce_implILb1ES3_NS6_12zip_iteratorINS7_INS6_11hip_rocprim26transform_input_iterator_tIbNSD_35transform_pair_of_input_iterators_tIbNS6_6detail15normal_iteratorINS6_10device_ptrIKdEEEESL_NS6_8equal_toIdEEEENSG_9not_fun_tINSD_8identityEEEEENSD_19counting_iterator_tIlEES8_S8_S8_S8_S8_S8_S8_S8_EEEEPS9_S9_NSD_9__find_if7functorIS9_EEEE10hipError_tPvRmT1_T2_T3_mT4_P12ihipStream_tbEUlT_E0_NS1_11comp_targetILNS1_3genE9ELNS1_11target_archE1100ELNS1_3gpuE3ELNS1_3repE0EEENS1_30default_config_static_selectorELNS0_4arch9wavefront6targetE1EEEvS14_,@function
_ZN7rocprim17ROCPRIM_400000_NS6detail17trampoline_kernelINS0_14default_configENS1_22reduce_config_selectorIN6thrust23THRUST_200600_302600_NS5tupleIblNS6_9null_typeES8_S8_S8_S8_S8_S8_S8_EEEEZNS1_11reduce_implILb1ES3_NS6_12zip_iteratorINS7_INS6_11hip_rocprim26transform_input_iterator_tIbNSD_35transform_pair_of_input_iterators_tIbNS6_6detail15normal_iteratorINS6_10device_ptrIKdEEEESL_NS6_8equal_toIdEEEENSG_9not_fun_tINSD_8identityEEEEENSD_19counting_iterator_tIlEES8_S8_S8_S8_S8_S8_S8_S8_EEEEPS9_S9_NSD_9__find_if7functorIS9_EEEE10hipError_tPvRmT1_T2_T3_mT4_P12ihipStream_tbEUlT_E0_NS1_11comp_targetILNS1_3genE9ELNS1_11target_archE1100ELNS1_3gpuE3ELNS1_3repE0EEENS1_30default_config_static_selectorELNS0_4arch9wavefront6targetE1EEEvS14_: ; @_ZN7rocprim17ROCPRIM_400000_NS6detail17trampoline_kernelINS0_14default_configENS1_22reduce_config_selectorIN6thrust23THRUST_200600_302600_NS5tupleIblNS6_9null_typeES8_S8_S8_S8_S8_S8_S8_EEEEZNS1_11reduce_implILb1ES3_NS6_12zip_iteratorINS7_INS6_11hip_rocprim26transform_input_iterator_tIbNSD_35transform_pair_of_input_iterators_tIbNS6_6detail15normal_iteratorINS6_10device_ptrIKdEEEESL_NS6_8equal_toIdEEEENSG_9not_fun_tINSD_8identityEEEEENSD_19counting_iterator_tIlEES8_S8_S8_S8_S8_S8_S8_S8_EEEEPS9_S9_NSD_9__find_if7functorIS9_EEEE10hipError_tPvRmT1_T2_T3_mT4_P12ihipStream_tbEUlT_E0_NS1_11comp_targetILNS1_3genE9ELNS1_11target_archE1100ELNS1_3gpuE3ELNS1_3repE0EEENS1_30default_config_static_selectorELNS0_4arch9wavefront6targetE1EEEvS14_
; %bb.0:
	.section	.rodata,"a",@progbits
	.p2align	6, 0x0
	.amdhsa_kernel _ZN7rocprim17ROCPRIM_400000_NS6detail17trampoline_kernelINS0_14default_configENS1_22reduce_config_selectorIN6thrust23THRUST_200600_302600_NS5tupleIblNS6_9null_typeES8_S8_S8_S8_S8_S8_S8_EEEEZNS1_11reduce_implILb1ES3_NS6_12zip_iteratorINS7_INS6_11hip_rocprim26transform_input_iterator_tIbNSD_35transform_pair_of_input_iterators_tIbNS6_6detail15normal_iteratorINS6_10device_ptrIKdEEEESL_NS6_8equal_toIdEEEENSG_9not_fun_tINSD_8identityEEEEENSD_19counting_iterator_tIlEES8_S8_S8_S8_S8_S8_S8_S8_EEEEPS9_S9_NSD_9__find_if7functorIS9_EEEE10hipError_tPvRmT1_T2_T3_mT4_P12ihipStream_tbEUlT_E0_NS1_11comp_targetILNS1_3genE9ELNS1_11target_archE1100ELNS1_3gpuE3ELNS1_3repE0EEENS1_30default_config_static_selectorELNS0_4arch9wavefront6targetE1EEEvS14_
		.amdhsa_group_segment_fixed_size 0
		.amdhsa_private_segment_fixed_size 0
		.amdhsa_kernarg_size 104
		.amdhsa_user_sgpr_count 6
		.amdhsa_user_sgpr_private_segment_buffer 1
		.amdhsa_user_sgpr_dispatch_ptr 0
		.amdhsa_user_sgpr_queue_ptr 0
		.amdhsa_user_sgpr_kernarg_segment_ptr 1
		.amdhsa_user_sgpr_dispatch_id 0
		.amdhsa_user_sgpr_flat_scratch_init 0
		.amdhsa_user_sgpr_private_segment_size 0
		.amdhsa_uses_dynamic_stack 0
		.amdhsa_system_sgpr_private_segment_wavefront_offset 0
		.amdhsa_system_sgpr_workgroup_id_x 1
		.amdhsa_system_sgpr_workgroup_id_y 0
		.amdhsa_system_sgpr_workgroup_id_z 0
		.amdhsa_system_sgpr_workgroup_info 0
		.amdhsa_system_vgpr_workitem_id 0
		.amdhsa_next_free_vgpr 1
		.amdhsa_next_free_sgpr 0
		.amdhsa_reserve_vcc 0
		.amdhsa_reserve_flat_scratch 0
		.amdhsa_float_round_mode_32 0
		.amdhsa_float_round_mode_16_64 0
		.amdhsa_float_denorm_mode_32 3
		.amdhsa_float_denorm_mode_16_64 3
		.amdhsa_dx10_clamp 1
		.amdhsa_ieee_mode 1
		.amdhsa_fp16_overflow 0
		.amdhsa_exception_fp_ieee_invalid_op 0
		.amdhsa_exception_fp_denorm_src 0
		.amdhsa_exception_fp_ieee_div_zero 0
		.amdhsa_exception_fp_ieee_overflow 0
		.amdhsa_exception_fp_ieee_underflow 0
		.amdhsa_exception_fp_ieee_inexact 0
		.amdhsa_exception_int_div_zero 0
	.end_amdhsa_kernel
	.section	.text._ZN7rocprim17ROCPRIM_400000_NS6detail17trampoline_kernelINS0_14default_configENS1_22reduce_config_selectorIN6thrust23THRUST_200600_302600_NS5tupleIblNS6_9null_typeES8_S8_S8_S8_S8_S8_S8_EEEEZNS1_11reduce_implILb1ES3_NS6_12zip_iteratorINS7_INS6_11hip_rocprim26transform_input_iterator_tIbNSD_35transform_pair_of_input_iterators_tIbNS6_6detail15normal_iteratorINS6_10device_ptrIKdEEEESL_NS6_8equal_toIdEEEENSG_9not_fun_tINSD_8identityEEEEENSD_19counting_iterator_tIlEES8_S8_S8_S8_S8_S8_S8_S8_EEEEPS9_S9_NSD_9__find_if7functorIS9_EEEE10hipError_tPvRmT1_T2_T3_mT4_P12ihipStream_tbEUlT_E0_NS1_11comp_targetILNS1_3genE9ELNS1_11target_archE1100ELNS1_3gpuE3ELNS1_3repE0EEENS1_30default_config_static_selectorELNS0_4arch9wavefront6targetE1EEEvS14_,"axG",@progbits,_ZN7rocprim17ROCPRIM_400000_NS6detail17trampoline_kernelINS0_14default_configENS1_22reduce_config_selectorIN6thrust23THRUST_200600_302600_NS5tupleIblNS6_9null_typeES8_S8_S8_S8_S8_S8_S8_EEEEZNS1_11reduce_implILb1ES3_NS6_12zip_iteratorINS7_INS6_11hip_rocprim26transform_input_iterator_tIbNSD_35transform_pair_of_input_iterators_tIbNS6_6detail15normal_iteratorINS6_10device_ptrIKdEEEESL_NS6_8equal_toIdEEEENSG_9not_fun_tINSD_8identityEEEEENSD_19counting_iterator_tIlEES8_S8_S8_S8_S8_S8_S8_S8_EEEEPS9_S9_NSD_9__find_if7functorIS9_EEEE10hipError_tPvRmT1_T2_T3_mT4_P12ihipStream_tbEUlT_E0_NS1_11comp_targetILNS1_3genE9ELNS1_11target_archE1100ELNS1_3gpuE3ELNS1_3repE0EEENS1_30default_config_static_selectorELNS0_4arch9wavefront6targetE1EEEvS14_,comdat
.Lfunc_end433:
	.size	_ZN7rocprim17ROCPRIM_400000_NS6detail17trampoline_kernelINS0_14default_configENS1_22reduce_config_selectorIN6thrust23THRUST_200600_302600_NS5tupleIblNS6_9null_typeES8_S8_S8_S8_S8_S8_S8_EEEEZNS1_11reduce_implILb1ES3_NS6_12zip_iteratorINS7_INS6_11hip_rocprim26transform_input_iterator_tIbNSD_35transform_pair_of_input_iterators_tIbNS6_6detail15normal_iteratorINS6_10device_ptrIKdEEEESL_NS6_8equal_toIdEEEENSG_9not_fun_tINSD_8identityEEEEENSD_19counting_iterator_tIlEES8_S8_S8_S8_S8_S8_S8_S8_EEEEPS9_S9_NSD_9__find_if7functorIS9_EEEE10hipError_tPvRmT1_T2_T3_mT4_P12ihipStream_tbEUlT_E0_NS1_11comp_targetILNS1_3genE9ELNS1_11target_archE1100ELNS1_3gpuE3ELNS1_3repE0EEENS1_30default_config_static_selectorELNS0_4arch9wavefront6targetE1EEEvS14_, .Lfunc_end433-_ZN7rocprim17ROCPRIM_400000_NS6detail17trampoline_kernelINS0_14default_configENS1_22reduce_config_selectorIN6thrust23THRUST_200600_302600_NS5tupleIblNS6_9null_typeES8_S8_S8_S8_S8_S8_S8_EEEEZNS1_11reduce_implILb1ES3_NS6_12zip_iteratorINS7_INS6_11hip_rocprim26transform_input_iterator_tIbNSD_35transform_pair_of_input_iterators_tIbNS6_6detail15normal_iteratorINS6_10device_ptrIKdEEEESL_NS6_8equal_toIdEEEENSG_9not_fun_tINSD_8identityEEEEENSD_19counting_iterator_tIlEES8_S8_S8_S8_S8_S8_S8_S8_EEEEPS9_S9_NSD_9__find_if7functorIS9_EEEE10hipError_tPvRmT1_T2_T3_mT4_P12ihipStream_tbEUlT_E0_NS1_11comp_targetILNS1_3genE9ELNS1_11target_archE1100ELNS1_3gpuE3ELNS1_3repE0EEENS1_30default_config_static_selectorELNS0_4arch9wavefront6targetE1EEEvS14_
                                        ; -- End function
	.set _ZN7rocprim17ROCPRIM_400000_NS6detail17trampoline_kernelINS0_14default_configENS1_22reduce_config_selectorIN6thrust23THRUST_200600_302600_NS5tupleIblNS6_9null_typeES8_S8_S8_S8_S8_S8_S8_EEEEZNS1_11reduce_implILb1ES3_NS6_12zip_iteratorINS7_INS6_11hip_rocprim26transform_input_iterator_tIbNSD_35transform_pair_of_input_iterators_tIbNS6_6detail15normal_iteratorINS6_10device_ptrIKdEEEESL_NS6_8equal_toIdEEEENSG_9not_fun_tINSD_8identityEEEEENSD_19counting_iterator_tIlEES8_S8_S8_S8_S8_S8_S8_S8_EEEEPS9_S9_NSD_9__find_if7functorIS9_EEEE10hipError_tPvRmT1_T2_T3_mT4_P12ihipStream_tbEUlT_E0_NS1_11comp_targetILNS1_3genE9ELNS1_11target_archE1100ELNS1_3gpuE3ELNS1_3repE0EEENS1_30default_config_static_selectorELNS0_4arch9wavefront6targetE1EEEvS14_.num_vgpr, 0
	.set _ZN7rocprim17ROCPRIM_400000_NS6detail17trampoline_kernelINS0_14default_configENS1_22reduce_config_selectorIN6thrust23THRUST_200600_302600_NS5tupleIblNS6_9null_typeES8_S8_S8_S8_S8_S8_S8_EEEEZNS1_11reduce_implILb1ES3_NS6_12zip_iteratorINS7_INS6_11hip_rocprim26transform_input_iterator_tIbNSD_35transform_pair_of_input_iterators_tIbNS6_6detail15normal_iteratorINS6_10device_ptrIKdEEEESL_NS6_8equal_toIdEEEENSG_9not_fun_tINSD_8identityEEEEENSD_19counting_iterator_tIlEES8_S8_S8_S8_S8_S8_S8_S8_EEEEPS9_S9_NSD_9__find_if7functorIS9_EEEE10hipError_tPvRmT1_T2_T3_mT4_P12ihipStream_tbEUlT_E0_NS1_11comp_targetILNS1_3genE9ELNS1_11target_archE1100ELNS1_3gpuE3ELNS1_3repE0EEENS1_30default_config_static_selectorELNS0_4arch9wavefront6targetE1EEEvS14_.num_agpr, 0
	.set _ZN7rocprim17ROCPRIM_400000_NS6detail17trampoline_kernelINS0_14default_configENS1_22reduce_config_selectorIN6thrust23THRUST_200600_302600_NS5tupleIblNS6_9null_typeES8_S8_S8_S8_S8_S8_S8_EEEEZNS1_11reduce_implILb1ES3_NS6_12zip_iteratorINS7_INS6_11hip_rocprim26transform_input_iterator_tIbNSD_35transform_pair_of_input_iterators_tIbNS6_6detail15normal_iteratorINS6_10device_ptrIKdEEEESL_NS6_8equal_toIdEEEENSG_9not_fun_tINSD_8identityEEEEENSD_19counting_iterator_tIlEES8_S8_S8_S8_S8_S8_S8_S8_EEEEPS9_S9_NSD_9__find_if7functorIS9_EEEE10hipError_tPvRmT1_T2_T3_mT4_P12ihipStream_tbEUlT_E0_NS1_11comp_targetILNS1_3genE9ELNS1_11target_archE1100ELNS1_3gpuE3ELNS1_3repE0EEENS1_30default_config_static_selectorELNS0_4arch9wavefront6targetE1EEEvS14_.numbered_sgpr, 0
	.set _ZN7rocprim17ROCPRIM_400000_NS6detail17trampoline_kernelINS0_14default_configENS1_22reduce_config_selectorIN6thrust23THRUST_200600_302600_NS5tupleIblNS6_9null_typeES8_S8_S8_S8_S8_S8_S8_EEEEZNS1_11reduce_implILb1ES3_NS6_12zip_iteratorINS7_INS6_11hip_rocprim26transform_input_iterator_tIbNSD_35transform_pair_of_input_iterators_tIbNS6_6detail15normal_iteratorINS6_10device_ptrIKdEEEESL_NS6_8equal_toIdEEEENSG_9not_fun_tINSD_8identityEEEEENSD_19counting_iterator_tIlEES8_S8_S8_S8_S8_S8_S8_S8_EEEEPS9_S9_NSD_9__find_if7functorIS9_EEEE10hipError_tPvRmT1_T2_T3_mT4_P12ihipStream_tbEUlT_E0_NS1_11comp_targetILNS1_3genE9ELNS1_11target_archE1100ELNS1_3gpuE3ELNS1_3repE0EEENS1_30default_config_static_selectorELNS0_4arch9wavefront6targetE1EEEvS14_.num_named_barrier, 0
	.set _ZN7rocprim17ROCPRIM_400000_NS6detail17trampoline_kernelINS0_14default_configENS1_22reduce_config_selectorIN6thrust23THRUST_200600_302600_NS5tupleIblNS6_9null_typeES8_S8_S8_S8_S8_S8_S8_EEEEZNS1_11reduce_implILb1ES3_NS6_12zip_iteratorINS7_INS6_11hip_rocprim26transform_input_iterator_tIbNSD_35transform_pair_of_input_iterators_tIbNS6_6detail15normal_iteratorINS6_10device_ptrIKdEEEESL_NS6_8equal_toIdEEEENSG_9not_fun_tINSD_8identityEEEEENSD_19counting_iterator_tIlEES8_S8_S8_S8_S8_S8_S8_S8_EEEEPS9_S9_NSD_9__find_if7functorIS9_EEEE10hipError_tPvRmT1_T2_T3_mT4_P12ihipStream_tbEUlT_E0_NS1_11comp_targetILNS1_3genE9ELNS1_11target_archE1100ELNS1_3gpuE3ELNS1_3repE0EEENS1_30default_config_static_selectorELNS0_4arch9wavefront6targetE1EEEvS14_.private_seg_size, 0
	.set _ZN7rocprim17ROCPRIM_400000_NS6detail17trampoline_kernelINS0_14default_configENS1_22reduce_config_selectorIN6thrust23THRUST_200600_302600_NS5tupleIblNS6_9null_typeES8_S8_S8_S8_S8_S8_S8_EEEEZNS1_11reduce_implILb1ES3_NS6_12zip_iteratorINS7_INS6_11hip_rocprim26transform_input_iterator_tIbNSD_35transform_pair_of_input_iterators_tIbNS6_6detail15normal_iteratorINS6_10device_ptrIKdEEEESL_NS6_8equal_toIdEEEENSG_9not_fun_tINSD_8identityEEEEENSD_19counting_iterator_tIlEES8_S8_S8_S8_S8_S8_S8_S8_EEEEPS9_S9_NSD_9__find_if7functorIS9_EEEE10hipError_tPvRmT1_T2_T3_mT4_P12ihipStream_tbEUlT_E0_NS1_11comp_targetILNS1_3genE9ELNS1_11target_archE1100ELNS1_3gpuE3ELNS1_3repE0EEENS1_30default_config_static_selectorELNS0_4arch9wavefront6targetE1EEEvS14_.uses_vcc, 0
	.set _ZN7rocprim17ROCPRIM_400000_NS6detail17trampoline_kernelINS0_14default_configENS1_22reduce_config_selectorIN6thrust23THRUST_200600_302600_NS5tupleIblNS6_9null_typeES8_S8_S8_S8_S8_S8_S8_EEEEZNS1_11reduce_implILb1ES3_NS6_12zip_iteratorINS7_INS6_11hip_rocprim26transform_input_iterator_tIbNSD_35transform_pair_of_input_iterators_tIbNS6_6detail15normal_iteratorINS6_10device_ptrIKdEEEESL_NS6_8equal_toIdEEEENSG_9not_fun_tINSD_8identityEEEEENSD_19counting_iterator_tIlEES8_S8_S8_S8_S8_S8_S8_S8_EEEEPS9_S9_NSD_9__find_if7functorIS9_EEEE10hipError_tPvRmT1_T2_T3_mT4_P12ihipStream_tbEUlT_E0_NS1_11comp_targetILNS1_3genE9ELNS1_11target_archE1100ELNS1_3gpuE3ELNS1_3repE0EEENS1_30default_config_static_selectorELNS0_4arch9wavefront6targetE1EEEvS14_.uses_flat_scratch, 0
	.set _ZN7rocprim17ROCPRIM_400000_NS6detail17trampoline_kernelINS0_14default_configENS1_22reduce_config_selectorIN6thrust23THRUST_200600_302600_NS5tupleIblNS6_9null_typeES8_S8_S8_S8_S8_S8_S8_EEEEZNS1_11reduce_implILb1ES3_NS6_12zip_iteratorINS7_INS6_11hip_rocprim26transform_input_iterator_tIbNSD_35transform_pair_of_input_iterators_tIbNS6_6detail15normal_iteratorINS6_10device_ptrIKdEEEESL_NS6_8equal_toIdEEEENSG_9not_fun_tINSD_8identityEEEEENSD_19counting_iterator_tIlEES8_S8_S8_S8_S8_S8_S8_S8_EEEEPS9_S9_NSD_9__find_if7functorIS9_EEEE10hipError_tPvRmT1_T2_T3_mT4_P12ihipStream_tbEUlT_E0_NS1_11comp_targetILNS1_3genE9ELNS1_11target_archE1100ELNS1_3gpuE3ELNS1_3repE0EEENS1_30default_config_static_selectorELNS0_4arch9wavefront6targetE1EEEvS14_.has_dyn_sized_stack, 0
	.set _ZN7rocprim17ROCPRIM_400000_NS6detail17trampoline_kernelINS0_14default_configENS1_22reduce_config_selectorIN6thrust23THRUST_200600_302600_NS5tupleIblNS6_9null_typeES8_S8_S8_S8_S8_S8_S8_EEEEZNS1_11reduce_implILb1ES3_NS6_12zip_iteratorINS7_INS6_11hip_rocprim26transform_input_iterator_tIbNSD_35transform_pair_of_input_iterators_tIbNS6_6detail15normal_iteratorINS6_10device_ptrIKdEEEESL_NS6_8equal_toIdEEEENSG_9not_fun_tINSD_8identityEEEEENSD_19counting_iterator_tIlEES8_S8_S8_S8_S8_S8_S8_S8_EEEEPS9_S9_NSD_9__find_if7functorIS9_EEEE10hipError_tPvRmT1_T2_T3_mT4_P12ihipStream_tbEUlT_E0_NS1_11comp_targetILNS1_3genE9ELNS1_11target_archE1100ELNS1_3gpuE3ELNS1_3repE0EEENS1_30default_config_static_selectorELNS0_4arch9wavefront6targetE1EEEvS14_.has_recursion, 0
	.set _ZN7rocprim17ROCPRIM_400000_NS6detail17trampoline_kernelINS0_14default_configENS1_22reduce_config_selectorIN6thrust23THRUST_200600_302600_NS5tupleIblNS6_9null_typeES8_S8_S8_S8_S8_S8_S8_EEEEZNS1_11reduce_implILb1ES3_NS6_12zip_iteratorINS7_INS6_11hip_rocprim26transform_input_iterator_tIbNSD_35transform_pair_of_input_iterators_tIbNS6_6detail15normal_iteratorINS6_10device_ptrIKdEEEESL_NS6_8equal_toIdEEEENSG_9not_fun_tINSD_8identityEEEEENSD_19counting_iterator_tIlEES8_S8_S8_S8_S8_S8_S8_S8_EEEEPS9_S9_NSD_9__find_if7functorIS9_EEEE10hipError_tPvRmT1_T2_T3_mT4_P12ihipStream_tbEUlT_E0_NS1_11comp_targetILNS1_3genE9ELNS1_11target_archE1100ELNS1_3gpuE3ELNS1_3repE0EEENS1_30default_config_static_selectorELNS0_4arch9wavefront6targetE1EEEvS14_.has_indirect_call, 0
	.section	.AMDGPU.csdata,"",@progbits
; Kernel info:
; codeLenInByte = 0
; TotalNumSgprs: 4
; NumVgprs: 0
; ScratchSize: 0
; MemoryBound: 0
; FloatMode: 240
; IeeeMode: 1
; LDSByteSize: 0 bytes/workgroup (compile time only)
; SGPRBlocks: 0
; VGPRBlocks: 0
; NumSGPRsForWavesPerEU: 4
; NumVGPRsForWavesPerEU: 1
; Occupancy: 10
; WaveLimiterHint : 0
; COMPUTE_PGM_RSRC2:SCRATCH_EN: 0
; COMPUTE_PGM_RSRC2:USER_SGPR: 6
; COMPUTE_PGM_RSRC2:TRAP_HANDLER: 0
; COMPUTE_PGM_RSRC2:TGID_X_EN: 1
; COMPUTE_PGM_RSRC2:TGID_Y_EN: 0
; COMPUTE_PGM_RSRC2:TGID_Z_EN: 0
; COMPUTE_PGM_RSRC2:TIDIG_COMP_CNT: 0
	.section	.text._ZN7rocprim17ROCPRIM_400000_NS6detail17trampoline_kernelINS0_14default_configENS1_22reduce_config_selectorIN6thrust23THRUST_200600_302600_NS5tupleIblNS6_9null_typeES8_S8_S8_S8_S8_S8_S8_EEEEZNS1_11reduce_implILb1ES3_NS6_12zip_iteratorINS7_INS6_11hip_rocprim26transform_input_iterator_tIbNSD_35transform_pair_of_input_iterators_tIbNS6_6detail15normal_iteratorINS6_10device_ptrIKdEEEESL_NS6_8equal_toIdEEEENSG_9not_fun_tINSD_8identityEEEEENSD_19counting_iterator_tIlEES8_S8_S8_S8_S8_S8_S8_S8_EEEEPS9_S9_NSD_9__find_if7functorIS9_EEEE10hipError_tPvRmT1_T2_T3_mT4_P12ihipStream_tbEUlT_E0_NS1_11comp_targetILNS1_3genE8ELNS1_11target_archE1030ELNS1_3gpuE2ELNS1_3repE0EEENS1_30default_config_static_selectorELNS0_4arch9wavefront6targetE1EEEvS14_,"axG",@progbits,_ZN7rocprim17ROCPRIM_400000_NS6detail17trampoline_kernelINS0_14default_configENS1_22reduce_config_selectorIN6thrust23THRUST_200600_302600_NS5tupleIblNS6_9null_typeES8_S8_S8_S8_S8_S8_S8_EEEEZNS1_11reduce_implILb1ES3_NS6_12zip_iteratorINS7_INS6_11hip_rocprim26transform_input_iterator_tIbNSD_35transform_pair_of_input_iterators_tIbNS6_6detail15normal_iteratorINS6_10device_ptrIKdEEEESL_NS6_8equal_toIdEEEENSG_9not_fun_tINSD_8identityEEEEENSD_19counting_iterator_tIlEES8_S8_S8_S8_S8_S8_S8_S8_EEEEPS9_S9_NSD_9__find_if7functorIS9_EEEE10hipError_tPvRmT1_T2_T3_mT4_P12ihipStream_tbEUlT_E0_NS1_11comp_targetILNS1_3genE8ELNS1_11target_archE1030ELNS1_3gpuE2ELNS1_3repE0EEENS1_30default_config_static_selectorELNS0_4arch9wavefront6targetE1EEEvS14_,comdat
	.protected	_ZN7rocprim17ROCPRIM_400000_NS6detail17trampoline_kernelINS0_14default_configENS1_22reduce_config_selectorIN6thrust23THRUST_200600_302600_NS5tupleIblNS6_9null_typeES8_S8_S8_S8_S8_S8_S8_EEEEZNS1_11reduce_implILb1ES3_NS6_12zip_iteratorINS7_INS6_11hip_rocprim26transform_input_iterator_tIbNSD_35transform_pair_of_input_iterators_tIbNS6_6detail15normal_iteratorINS6_10device_ptrIKdEEEESL_NS6_8equal_toIdEEEENSG_9not_fun_tINSD_8identityEEEEENSD_19counting_iterator_tIlEES8_S8_S8_S8_S8_S8_S8_S8_EEEEPS9_S9_NSD_9__find_if7functorIS9_EEEE10hipError_tPvRmT1_T2_T3_mT4_P12ihipStream_tbEUlT_E0_NS1_11comp_targetILNS1_3genE8ELNS1_11target_archE1030ELNS1_3gpuE2ELNS1_3repE0EEENS1_30default_config_static_selectorELNS0_4arch9wavefront6targetE1EEEvS14_ ; -- Begin function _ZN7rocprim17ROCPRIM_400000_NS6detail17trampoline_kernelINS0_14default_configENS1_22reduce_config_selectorIN6thrust23THRUST_200600_302600_NS5tupleIblNS6_9null_typeES8_S8_S8_S8_S8_S8_S8_EEEEZNS1_11reduce_implILb1ES3_NS6_12zip_iteratorINS7_INS6_11hip_rocprim26transform_input_iterator_tIbNSD_35transform_pair_of_input_iterators_tIbNS6_6detail15normal_iteratorINS6_10device_ptrIKdEEEESL_NS6_8equal_toIdEEEENSG_9not_fun_tINSD_8identityEEEEENSD_19counting_iterator_tIlEES8_S8_S8_S8_S8_S8_S8_S8_EEEEPS9_S9_NSD_9__find_if7functorIS9_EEEE10hipError_tPvRmT1_T2_T3_mT4_P12ihipStream_tbEUlT_E0_NS1_11comp_targetILNS1_3genE8ELNS1_11target_archE1030ELNS1_3gpuE2ELNS1_3repE0EEENS1_30default_config_static_selectorELNS0_4arch9wavefront6targetE1EEEvS14_
	.globl	_ZN7rocprim17ROCPRIM_400000_NS6detail17trampoline_kernelINS0_14default_configENS1_22reduce_config_selectorIN6thrust23THRUST_200600_302600_NS5tupleIblNS6_9null_typeES8_S8_S8_S8_S8_S8_S8_EEEEZNS1_11reduce_implILb1ES3_NS6_12zip_iteratorINS7_INS6_11hip_rocprim26transform_input_iterator_tIbNSD_35transform_pair_of_input_iterators_tIbNS6_6detail15normal_iteratorINS6_10device_ptrIKdEEEESL_NS6_8equal_toIdEEEENSG_9not_fun_tINSD_8identityEEEEENSD_19counting_iterator_tIlEES8_S8_S8_S8_S8_S8_S8_S8_EEEEPS9_S9_NSD_9__find_if7functorIS9_EEEE10hipError_tPvRmT1_T2_T3_mT4_P12ihipStream_tbEUlT_E0_NS1_11comp_targetILNS1_3genE8ELNS1_11target_archE1030ELNS1_3gpuE2ELNS1_3repE0EEENS1_30default_config_static_selectorELNS0_4arch9wavefront6targetE1EEEvS14_
	.p2align	8
	.type	_ZN7rocprim17ROCPRIM_400000_NS6detail17trampoline_kernelINS0_14default_configENS1_22reduce_config_selectorIN6thrust23THRUST_200600_302600_NS5tupleIblNS6_9null_typeES8_S8_S8_S8_S8_S8_S8_EEEEZNS1_11reduce_implILb1ES3_NS6_12zip_iteratorINS7_INS6_11hip_rocprim26transform_input_iterator_tIbNSD_35transform_pair_of_input_iterators_tIbNS6_6detail15normal_iteratorINS6_10device_ptrIKdEEEESL_NS6_8equal_toIdEEEENSG_9not_fun_tINSD_8identityEEEEENSD_19counting_iterator_tIlEES8_S8_S8_S8_S8_S8_S8_S8_EEEEPS9_S9_NSD_9__find_if7functorIS9_EEEE10hipError_tPvRmT1_T2_T3_mT4_P12ihipStream_tbEUlT_E0_NS1_11comp_targetILNS1_3genE8ELNS1_11target_archE1030ELNS1_3gpuE2ELNS1_3repE0EEENS1_30default_config_static_selectorELNS0_4arch9wavefront6targetE1EEEvS14_,@function
_ZN7rocprim17ROCPRIM_400000_NS6detail17trampoline_kernelINS0_14default_configENS1_22reduce_config_selectorIN6thrust23THRUST_200600_302600_NS5tupleIblNS6_9null_typeES8_S8_S8_S8_S8_S8_S8_EEEEZNS1_11reduce_implILb1ES3_NS6_12zip_iteratorINS7_INS6_11hip_rocprim26transform_input_iterator_tIbNSD_35transform_pair_of_input_iterators_tIbNS6_6detail15normal_iteratorINS6_10device_ptrIKdEEEESL_NS6_8equal_toIdEEEENSG_9not_fun_tINSD_8identityEEEEENSD_19counting_iterator_tIlEES8_S8_S8_S8_S8_S8_S8_S8_EEEEPS9_S9_NSD_9__find_if7functorIS9_EEEE10hipError_tPvRmT1_T2_T3_mT4_P12ihipStream_tbEUlT_E0_NS1_11comp_targetILNS1_3genE8ELNS1_11target_archE1030ELNS1_3gpuE2ELNS1_3repE0EEENS1_30default_config_static_selectorELNS0_4arch9wavefront6targetE1EEEvS14_: ; @_ZN7rocprim17ROCPRIM_400000_NS6detail17trampoline_kernelINS0_14default_configENS1_22reduce_config_selectorIN6thrust23THRUST_200600_302600_NS5tupleIblNS6_9null_typeES8_S8_S8_S8_S8_S8_S8_EEEEZNS1_11reduce_implILb1ES3_NS6_12zip_iteratorINS7_INS6_11hip_rocprim26transform_input_iterator_tIbNSD_35transform_pair_of_input_iterators_tIbNS6_6detail15normal_iteratorINS6_10device_ptrIKdEEEESL_NS6_8equal_toIdEEEENSG_9not_fun_tINSD_8identityEEEEENSD_19counting_iterator_tIlEES8_S8_S8_S8_S8_S8_S8_S8_EEEEPS9_S9_NSD_9__find_if7functorIS9_EEEE10hipError_tPvRmT1_T2_T3_mT4_P12ihipStream_tbEUlT_E0_NS1_11comp_targetILNS1_3genE8ELNS1_11target_archE1030ELNS1_3gpuE2ELNS1_3repE0EEENS1_30default_config_static_selectorELNS0_4arch9wavefront6targetE1EEEvS14_
; %bb.0:
	.section	.rodata,"a",@progbits
	.p2align	6, 0x0
	.amdhsa_kernel _ZN7rocprim17ROCPRIM_400000_NS6detail17trampoline_kernelINS0_14default_configENS1_22reduce_config_selectorIN6thrust23THRUST_200600_302600_NS5tupleIblNS6_9null_typeES8_S8_S8_S8_S8_S8_S8_EEEEZNS1_11reduce_implILb1ES3_NS6_12zip_iteratorINS7_INS6_11hip_rocprim26transform_input_iterator_tIbNSD_35transform_pair_of_input_iterators_tIbNS6_6detail15normal_iteratorINS6_10device_ptrIKdEEEESL_NS6_8equal_toIdEEEENSG_9not_fun_tINSD_8identityEEEEENSD_19counting_iterator_tIlEES8_S8_S8_S8_S8_S8_S8_S8_EEEEPS9_S9_NSD_9__find_if7functorIS9_EEEE10hipError_tPvRmT1_T2_T3_mT4_P12ihipStream_tbEUlT_E0_NS1_11comp_targetILNS1_3genE8ELNS1_11target_archE1030ELNS1_3gpuE2ELNS1_3repE0EEENS1_30default_config_static_selectorELNS0_4arch9wavefront6targetE1EEEvS14_
		.amdhsa_group_segment_fixed_size 0
		.amdhsa_private_segment_fixed_size 0
		.amdhsa_kernarg_size 104
		.amdhsa_user_sgpr_count 6
		.amdhsa_user_sgpr_private_segment_buffer 1
		.amdhsa_user_sgpr_dispatch_ptr 0
		.amdhsa_user_sgpr_queue_ptr 0
		.amdhsa_user_sgpr_kernarg_segment_ptr 1
		.amdhsa_user_sgpr_dispatch_id 0
		.amdhsa_user_sgpr_flat_scratch_init 0
		.amdhsa_user_sgpr_private_segment_size 0
		.amdhsa_uses_dynamic_stack 0
		.amdhsa_system_sgpr_private_segment_wavefront_offset 0
		.amdhsa_system_sgpr_workgroup_id_x 1
		.amdhsa_system_sgpr_workgroup_id_y 0
		.amdhsa_system_sgpr_workgroup_id_z 0
		.amdhsa_system_sgpr_workgroup_info 0
		.amdhsa_system_vgpr_workitem_id 0
		.amdhsa_next_free_vgpr 1
		.amdhsa_next_free_sgpr 0
		.amdhsa_reserve_vcc 0
		.amdhsa_reserve_flat_scratch 0
		.amdhsa_float_round_mode_32 0
		.amdhsa_float_round_mode_16_64 0
		.amdhsa_float_denorm_mode_32 3
		.amdhsa_float_denorm_mode_16_64 3
		.amdhsa_dx10_clamp 1
		.amdhsa_ieee_mode 1
		.amdhsa_fp16_overflow 0
		.amdhsa_exception_fp_ieee_invalid_op 0
		.amdhsa_exception_fp_denorm_src 0
		.amdhsa_exception_fp_ieee_div_zero 0
		.amdhsa_exception_fp_ieee_overflow 0
		.amdhsa_exception_fp_ieee_underflow 0
		.amdhsa_exception_fp_ieee_inexact 0
		.amdhsa_exception_int_div_zero 0
	.end_amdhsa_kernel
	.section	.text._ZN7rocprim17ROCPRIM_400000_NS6detail17trampoline_kernelINS0_14default_configENS1_22reduce_config_selectorIN6thrust23THRUST_200600_302600_NS5tupleIblNS6_9null_typeES8_S8_S8_S8_S8_S8_S8_EEEEZNS1_11reduce_implILb1ES3_NS6_12zip_iteratorINS7_INS6_11hip_rocprim26transform_input_iterator_tIbNSD_35transform_pair_of_input_iterators_tIbNS6_6detail15normal_iteratorINS6_10device_ptrIKdEEEESL_NS6_8equal_toIdEEEENSG_9not_fun_tINSD_8identityEEEEENSD_19counting_iterator_tIlEES8_S8_S8_S8_S8_S8_S8_S8_EEEEPS9_S9_NSD_9__find_if7functorIS9_EEEE10hipError_tPvRmT1_T2_T3_mT4_P12ihipStream_tbEUlT_E0_NS1_11comp_targetILNS1_3genE8ELNS1_11target_archE1030ELNS1_3gpuE2ELNS1_3repE0EEENS1_30default_config_static_selectorELNS0_4arch9wavefront6targetE1EEEvS14_,"axG",@progbits,_ZN7rocprim17ROCPRIM_400000_NS6detail17trampoline_kernelINS0_14default_configENS1_22reduce_config_selectorIN6thrust23THRUST_200600_302600_NS5tupleIblNS6_9null_typeES8_S8_S8_S8_S8_S8_S8_EEEEZNS1_11reduce_implILb1ES3_NS6_12zip_iteratorINS7_INS6_11hip_rocprim26transform_input_iterator_tIbNSD_35transform_pair_of_input_iterators_tIbNS6_6detail15normal_iteratorINS6_10device_ptrIKdEEEESL_NS6_8equal_toIdEEEENSG_9not_fun_tINSD_8identityEEEEENSD_19counting_iterator_tIlEES8_S8_S8_S8_S8_S8_S8_S8_EEEEPS9_S9_NSD_9__find_if7functorIS9_EEEE10hipError_tPvRmT1_T2_T3_mT4_P12ihipStream_tbEUlT_E0_NS1_11comp_targetILNS1_3genE8ELNS1_11target_archE1030ELNS1_3gpuE2ELNS1_3repE0EEENS1_30default_config_static_selectorELNS0_4arch9wavefront6targetE1EEEvS14_,comdat
.Lfunc_end434:
	.size	_ZN7rocprim17ROCPRIM_400000_NS6detail17trampoline_kernelINS0_14default_configENS1_22reduce_config_selectorIN6thrust23THRUST_200600_302600_NS5tupleIblNS6_9null_typeES8_S8_S8_S8_S8_S8_S8_EEEEZNS1_11reduce_implILb1ES3_NS6_12zip_iteratorINS7_INS6_11hip_rocprim26transform_input_iterator_tIbNSD_35transform_pair_of_input_iterators_tIbNS6_6detail15normal_iteratorINS6_10device_ptrIKdEEEESL_NS6_8equal_toIdEEEENSG_9not_fun_tINSD_8identityEEEEENSD_19counting_iterator_tIlEES8_S8_S8_S8_S8_S8_S8_S8_EEEEPS9_S9_NSD_9__find_if7functorIS9_EEEE10hipError_tPvRmT1_T2_T3_mT4_P12ihipStream_tbEUlT_E0_NS1_11comp_targetILNS1_3genE8ELNS1_11target_archE1030ELNS1_3gpuE2ELNS1_3repE0EEENS1_30default_config_static_selectorELNS0_4arch9wavefront6targetE1EEEvS14_, .Lfunc_end434-_ZN7rocprim17ROCPRIM_400000_NS6detail17trampoline_kernelINS0_14default_configENS1_22reduce_config_selectorIN6thrust23THRUST_200600_302600_NS5tupleIblNS6_9null_typeES8_S8_S8_S8_S8_S8_S8_EEEEZNS1_11reduce_implILb1ES3_NS6_12zip_iteratorINS7_INS6_11hip_rocprim26transform_input_iterator_tIbNSD_35transform_pair_of_input_iterators_tIbNS6_6detail15normal_iteratorINS6_10device_ptrIKdEEEESL_NS6_8equal_toIdEEEENSG_9not_fun_tINSD_8identityEEEEENSD_19counting_iterator_tIlEES8_S8_S8_S8_S8_S8_S8_S8_EEEEPS9_S9_NSD_9__find_if7functorIS9_EEEE10hipError_tPvRmT1_T2_T3_mT4_P12ihipStream_tbEUlT_E0_NS1_11comp_targetILNS1_3genE8ELNS1_11target_archE1030ELNS1_3gpuE2ELNS1_3repE0EEENS1_30default_config_static_selectorELNS0_4arch9wavefront6targetE1EEEvS14_
                                        ; -- End function
	.set _ZN7rocprim17ROCPRIM_400000_NS6detail17trampoline_kernelINS0_14default_configENS1_22reduce_config_selectorIN6thrust23THRUST_200600_302600_NS5tupleIblNS6_9null_typeES8_S8_S8_S8_S8_S8_S8_EEEEZNS1_11reduce_implILb1ES3_NS6_12zip_iteratorINS7_INS6_11hip_rocprim26transform_input_iterator_tIbNSD_35transform_pair_of_input_iterators_tIbNS6_6detail15normal_iteratorINS6_10device_ptrIKdEEEESL_NS6_8equal_toIdEEEENSG_9not_fun_tINSD_8identityEEEEENSD_19counting_iterator_tIlEES8_S8_S8_S8_S8_S8_S8_S8_EEEEPS9_S9_NSD_9__find_if7functorIS9_EEEE10hipError_tPvRmT1_T2_T3_mT4_P12ihipStream_tbEUlT_E0_NS1_11comp_targetILNS1_3genE8ELNS1_11target_archE1030ELNS1_3gpuE2ELNS1_3repE0EEENS1_30default_config_static_selectorELNS0_4arch9wavefront6targetE1EEEvS14_.num_vgpr, 0
	.set _ZN7rocprim17ROCPRIM_400000_NS6detail17trampoline_kernelINS0_14default_configENS1_22reduce_config_selectorIN6thrust23THRUST_200600_302600_NS5tupleIblNS6_9null_typeES8_S8_S8_S8_S8_S8_S8_EEEEZNS1_11reduce_implILb1ES3_NS6_12zip_iteratorINS7_INS6_11hip_rocprim26transform_input_iterator_tIbNSD_35transform_pair_of_input_iterators_tIbNS6_6detail15normal_iteratorINS6_10device_ptrIKdEEEESL_NS6_8equal_toIdEEEENSG_9not_fun_tINSD_8identityEEEEENSD_19counting_iterator_tIlEES8_S8_S8_S8_S8_S8_S8_S8_EEEEPS9_S9_NSD_9__find_if7functorIS9_EEEE10hipError_tPvRmT1_T2_T3_mT4_P12ihipStream_tbEUlT_E0_NS1_11comp_targetILNS1_3genE8ELNS1_11target_archE1030ELNS1_3gpuE2ELNS1_3repE0EEENS1_30default_config_static_selectorELNS0_4arch9wavefront6targetE1EEEvS14_.num_agpr, 0
	.set _ZN7rocprim17ROCPRIM_400000_NS6detail17trampoline_kernelINS0_14default_configENS1_22reduce_config_selectorIN6thrust23THRUST_200600_302600_NS5tupleIblNS6_9null_typeES8_S8_S8_S8_S8_S8_S8_EEEEZNS1_11reduce_implILb1ES3_NS6_12zip_iteratorINS7_INS6_11hip_rocprim26transform_input_iterator_tIbNSD_35transform_pair_of_input_iterators_tIbNS6_6detail15normal_iteratorINS6_10device_ptrIKdEEEESL_NS6_8equal_toIdEEEENSG_9not_fun_tINSD_8identityEEEEENSD_19counting_iterator_tIlEES8_S8_S8_S8_S8_S8_S8_S8_EEEEPS9_S9_NSD_9__find_if7functorIS9_EEEE10hipError_tPvRmT1_T2_T3_mT4_P12ihipStream_tbEUlT_E0_NS1_11comp_targetILNS1_3genE8ELNS1_11target_archE1030ELNS1_3gpuE2ELNS1_3repE0EEENS1_30default_config_static_selectorELNS0_4arch9wavefront6targetE1EEEvS14_.numbered_sgpr, 0
	.set _ZN7rocprim17ROCPRIM_400000_NS6detail17trampoline_kernelINS0_14default_configENS1_22reduce_config_selectorIN6thrust23THRUST_200600_302600_NS5tupleIblNS6_9null_typeES8_S8_S8_S8_S8_S8_S8_EEEEZNS1_11reduce_implILb1ES3_NS6_12zip_iteratorINS7_INS6_11hip_rocprim26transform_input_iterator_tIbNSD_35transform_pair_of_input_iterators_tIbNS6_6detail15normal_iteratorINS6_10device_ptrIKdEEEESL_NS6_8equal_toIdEEEENSG_9not_fun_tINSD_8identityEEEEENSD_19counting_iterator_tIlEES8_S8_S8_S8_S8_S8_S8_S8_EEEEPS9_S9_NSD_9__find_if7functorIS9_EEEE10hipError_tPvRmT1_T2_T3_mT4_P12ihipStream_tbEUlT_E0_NS1_11comp_targetILNS1_3genE8ELNS1_11target_archE1030ELNS1_3gpuE2ELNS1_3repE0EEENS1_30default_config_static_selectorELNS0_4arch9wavefront6targetE1EEEvS14_.num_named_barrier, 0
	.set _ZN7rocprim17ROCPRIM_400000_NS6detail17trampoline_kernelINS0_14default_configENS1_22reduce_config_selectorIN6thrust23THRUST_200600_302600_NS5tupleIblNS6_9null_typeES8_S8_S8_S8_S8_S8_S8_EEEEZNS1_11reduce_implILb1ES3_NS6_12zip_iteratorINS7_INS6_11hip_rocprim26transform_input_iterator_tIbNSD_35transform_pair_of_input_iterators_tIbNS6_6detail15normal_iteratorINS6_10device_ptrIKdEEEESL_NS6_8equal_toIdEEEENSG_9not_fun_tINSD_8identityEEEEENSD_19counting_iterator_tIlEES8_S8_S8_S8_S8_S8_S8_S8_EEEEPS9_S9_NSD_9__find_if7functorIS9_EEEE10hipError_tPvRmT1_T2_T3_mT4_P12ihipStream_tbEUlT_E0_NS1_11comp_targetILNS1_3genE8ELNS1_11target_archE1030ELNS1_3gpuE2ELNS1_3repE0EEENS1_30default_config_static_selectorELNS0_4arch9wavefront6targetE1EEEvS14_.private_seg_size, 0
	.set _ZN7rocprim17ROCPRIM_400000_NS6detail17trampoline_kernelINS0_14default_configENS1_22reduce_config_selectorIN6thrust23THRUST_200600_302600_NS5tupleIblNS6_9null_typeES8_S8_S8_S8_S8_S8_S8_EEEEZNS1_11reduce_implILb1ES3_NS6_12zip_iteratorINS7_INS6_11hip_rocprim26transform_input_iterator_tIbNSD_35transform_pair_of_input_iterators_tIbNS6_6detail15normal_iteratorINS6_10device_ptrIKdEEEESL_NS6_8equal_toIdEEEENSG_9not_fun_tINSD_8identityEEEEENSD_19counting_iterator_tIlEES8_S8_S8_S8_S8_S8_S8_S8_EEEEPS9_S9_NSD_9__find_if7functorIS9_EEEE10hipError_tPvRmT1_T2_T3_mT4_P12ihipStream_tbEUlT_E0_NS1_11comp_targetILNS1_3genE8ELNS1_11target_archE1030ELNS1_3gpuE2ELNS1_3repE0EEENS1_30default_config_static_selectorELNS0_4arch9wavefront6targetE1EEEvS14_.uses_vcc, 0
	.set _ZN7rocprim17ROCPRIM_400000_NS6detail17trampoline_kernelINS0_14default_configENS1_22reduce_config_selectorIN6thrust23THRUST_200600_302600_NS5tupleIblNS6_9null_typeES8_S8_S8_S8_S8_S8_S8_EEEEZNS1_11reduce_implILb1ES3_NS6_12zip_iteratorINS7_INS6_11hip_rocprim26transform_input_iterator_tIbNSD_35transform_pair_of_input_iterators_tIbNS6_6detail15normal_iteratorINS6_10device_ptrIKdEEEESL_NS6_8equal_toIdEEEENSG_9not_fun_tINSD_8identityEEEEENSD_19counting_iterator_tIlEES8_S8_S8_S8_S8_S8_S8_S8_EEEEPS9_S9_NSD_9__find_if7functorIS9_EEEE10hipError_tPvRmT1_T2_T3_mT4_P12ihipStream_tbEUlT_E0_NS1_11comp_targetILNS1_3genE8ELNS1_11target_archE1030ELNS1_3gpuE2ELNS1_3repE0EEENS1_30default_config_static_selectorELNS0_4arch9wavefront6targetE1EEEvS14_.uses_flat_scratch, 0
	.set _ZN7rocprim17ROCPRIM_400000_NS6detail17trampoline_kernelINS0_14default_configENS1_22reduce_config_selectorIN6thrust23THRUST_200600_302600_NS5tupleIblNS6_9null_typeES8_S8_S8_S8_S8_S8_S8_EEEEZNS1_11reduce_implILb1ES3_NS6_12zip_iteratorINS7_INS6_11hip_rocprim26transform_input_iterator_tIbNSD_35transform_pair_of_input_iterators_tIbNS6_6detail15normal_iteratorINS6_10device_ptrIKdEEEESL_NS6_8equal_toIdEEEENSG_9not_fun_tINSD_8identityEEEEENSD_19counting_iterator_tIlEES8_S8_S8_S8_S8_S8_S8_S8_EEEEPS9_S9_NSD_9__find_if7functorIS9_EEEE10hipError_tPvRmT1_T2_T3_mT4_P12ihipStream_tbEUlT_E0_NS1_11comp_targetILNS1_3genE8ELNS1_11target_archE1030ELNS1_3gpuE2ELNS1_3repE0EEENS1_30default_config_static_selectorELNS0_4arch9wavefront6targetE1EEEvS14_.has_dyn_sized_stack, 0
	.set _ZN7rocprim17ROCPRIM_400000_NS6detail17trampoline_kernelINS0_14default_configENS1_22reduce_config_selectorIN6thrust23THRUST_200600_302600_NS5tupleIblNS6_9null_typeES8_S8_S8_S8_S8_S8_S8_EEEEZNS1_11reduce_implILb1ES3_NS6_12zip_iteratorINS7_INS6_11hip_rocprim26transform_input_iterator_tIbNSD_35transform_pair_of_input_iterators_tIbNS6_6detail15normal_iteratorINS6_10device_ptrIKdEEEESL_NS6_8equal_toIdEEEENSG_9not_fun_tINSD_8identityEEEEENSD_19counting_iterator_tIlEES8_S8_S8_S8_S8_S8_S8_S8_EEEEPS9_S9_NSD_9__find_if7functorIS9_EEEE10hipError_tPvRmT1_T2_T3_mT4_P12ihipStream_tbEUlT_E0_NS1_11comp_targetILNS1_3genE8ELNS1_11target_archE1030ELNS1_3gpuE2ELNS1_3repE0EEENS1_30default_config_static_selectorELNS0_4arch9wavefront6targetE1EEEvS14_.has_recursion, 0
	.set _ZN7rocprim17ROCPRIM_400000_NS6detail17trampoline_kernelINS0_14default_configENS1_22reduce_config_selectorIN6thrust23THRUST_200600_302600_NS5tupleIblNS6_9null_typeES8_S8_S8_S8_S8_S8_S8_EEEEZNS1_11reduce_implILb1ES3_NS6_12zip_iteratorINS7_INS6_11hip_rocprim26transform_input_iterator_tIbNSD_35transform_pair_of_input_iterators_tIbNS6_6detail15normal_iteratorINS6_10device_ptrIKdEEEESL_NS6_8equal_toIdEEEENSG_9not_fun_tINSD_8identityEEEEENSD_19counting_iterator_tIlEES8_S8_S8_S8_S8_S8_S8_S8_EEEEPS9_S9_NSD_9__find_if7functorIS9_EEEE10hipError_tPvRmT1_T2_T3_mT4_P12ihipStream_tbEUlT_E0_NS1_11comp_targetILNS1_3genE8ELNS1_11target_archE1030ELNS1_3gpuE2ELNS1_3repE0EEENS1_30default_config_static_selectorELNS0_4arch9wavefront6targetE1EEEvS14_.has_indirect_call, 0
	.section	.AMDGPU.csdata,"",@progbits
; Kernel info:
; codeLenInByte = 0
; TotalNumSgprs: 4
; NumVgprs: 0
; ScratchSize: 0
; MemoryBound: 0
; FloatMode: 240
; IeeeMode: 1
; LDSByteSize: 0 bytes/workgroup (compile time only)
; SGPRBlocks: 0
; VGPRBlocks: 0
; NumSGPRsForWavesPerEU: 4
; NumVGPRsForWavesPerEU: 1
; Occupancy: 10
; WaveLimiterHint : 0
; COMPUTE_PGM_RSRC2:SCRATCH_EN: 0
; COMPUTE_PGM_RSRC2:USER_SGPR: 6
; COMPUTE_PGM_RSRC2:TRAP_HANDLER: 0
; COMPUTE_PGM_RSRC2:TGID_X_EN: 1
; COMPUTE_PGM_RSRC2:TGID_Y_EN: 0
; COMPUTE_PGM_RSRC2:TGID_Z_EN: 0
; COMPUTE_PGM_RSRC2:TIDIG_COMP_CNT: 0
	.section	.text._ZN7rocprim17ROCPRIM_400000_NS6detail17trampoline_kernelINS0_14default_configENS1_22reduce_config_selectorIN6thrust23THRUST_200600_302600_NS5tupleIblNS6_9null_typeES8_S8_S8_S8_S8_S8_S8_EEEEZNS1_11reduce_implILb1ES3_NS6_12zip_iteratorINS7_INS6_11hip_rocprim26transform_input_iterator_tIbNSD_35transform_pair_of_input_iterators_tIbNS6_6detail15normal_iteratorINS6_10device_ptrIKdEEEESL_NS6_8equal_toIdEEEENSG_9not_fun_tINSD_8identityEEEEENSD_19counting_iterator_tIlEES8_S8_S8_S8_S8_S8_S8_S8_EEEEPS9_S9_NSD_9__find_if7functorIS9_EEEE10hipError_tPvRmT1_T2_T3_mT4_P12ihipStream_tbEUlT_E1_NS1_11comp_targetILNS1_3genE0ELNS1_11target_archE4294967295ELNS1_3gpuE0ELNS1_3repE0EEENS1_30default_config_static_selectorELNS0_4arch9wavefront6targetE1EEEvS14_,"axG",@progbits,_ZN7rocprim17ROCPRIM_400000_NS6detail17trampoline_kernelINS0_14default_configENS1_22reduce_config_selectorIN6thrust23THRUST_200600_302600_NS5tupleIblNS6_9null_typeES8_S8_S8_S8_S8_S8_S8_EEEEZNS1_11reduce_implILb1ES3_NS6_12zip_iteratorINS7_INS6_11hip_rocprim26transform_input_iterator_tIbNSD_35transform_pair_of_input_iterators_tIbNS6_6detail15normal_iteratorINS6_10device_ptrIKdEEEESL_NS6_8equal_toIdEEEENSG_9not_fun_tINSD_8identityEEEEENSD_19counting_iterator_tIlEES8_S8_S8_S8_S8_S8_S8_S8_EEEEPS9_S9_NSD_9__find_if7functorIS9_EEEE10hipError_tPvRmT1_T2_T3_mT4_P12ihipStream_tbEUlT_E1_NS1_11comp_targetILNS1_3genE0ELNS1_11target_archE4294967295ELNS1_3gpuE0ELNS1_3repE0EEENS1_30default_config_static_selectorELNS0_4arch9wavefront6targetE1EEEvS14_,comdat
	.protected	_ZN7rocprim17ROCPRIM_400000_NS6detail17trampoline_kernelINS0_14default_configENS1_22reduce_config_selectorIN6thrust23THRUST_200600_302600_NS5tupleIblNS6_9null_typeES8_S8_S8_S8_S8_S8_S8_EEEEZNS1_11reduce_implILb1ES3_NS6_12zip_iteratorINS7_INS6_11hip_rocprim26transform_input_iterator_tIbNSD_35transform_pair_of_input_iterators_tIbNS6_6detail15normal_iteratorINS6_10device_ptrIKdEEEESL_NS6_8equal_toIdEEEENSG_9not_fun_tINSD_8identityEEEEENSD_19counting_iterator_tIlEES8_S8_S8_S8_S8_S8_S8_S8_EEEEPS9_S9_NSD_9__find_if7functorIS9_EEEE10hipError_tPvRmT1_T2_T3_mT4_P12ihipStream_tbEUlT_E1_NS1_11comp_targetILNS1_3genE0ELNS1_11target_archE4294967295ELNS1_3gpuE0ELNS1_3repE0EEENS1_30default_config_static_selectorELNS0_4arch9wavefront6targetE1EEEvS14_ ; -- Begin function _ZN7rocprim17ROCPRIM_400000_NS6detail17trampoline_kernelINS0_14default_configENS1_22reduce_config_selectorIN6thrust23THRUST_200600_302600_NS5tupleIblNS6_9null_typeES8_S8_S8_S8_S8_S8_S8_EEEEZNS1_11reduce_implILb1ES3_NS6_12zip_iteratorINS7_INS6_11hip_rocprim26transform_input_iterator_tIbNSD_35transform_pair_of_input_iterators_tIbNS6_6detail15normal_iteratorINS6_10device_ptrIKdEEEESL_NS6_8equal_toIdEEEENSG_9not_fun_tINSD_8identityEEEEENSD_19counting_iterator_tIlEES8_S8_S8_S8_S8_S8_S8_S8_EEEEPS9_S9_NSD_9__find_if7functorIS9_EEEE10hipError_tPvRmT1_T2_T3_mT4_P12ihipStream_tbEUlT_E1_NS1_11comp_targetILNS1_3genE0ELNS1_11target_archE4294967295ELNS1_3gpuE0ELNS1_3repE0EEENS1_30default_config_static_selectorELNS0_4arch9wavefront6targetE1EEEvS14_
	.globl	_ZN7rocprim17ROCPRIM_400000_NS6detail17trampoline_kernelINS0_14default_configENS1_22reduce_config_selectorIN6thrust23THRUST_200600_302600_NS5tupleIblNS6_9null_typeES8_S8_S8_S8_S8_S8_S8_EEEEZNS1_11reduce_implILb1ES3_NS6_12zip_iteratorINS7_INS6_11hip_rocprim26transform_input_iterator_tIbNSD_35transform_pair_of_input_iterators_tIbNS6_6detail15normal_iteratorINS6_10device_ptrIKdEEEESL_NS6_8equal_toIdEEEENSG_9not_fun_tINSD_8identityEEEEENSD_19counting_iterator_tIlEES8_S8_S8_S8_S8_S8_S8_S8_EEEEPS9_S9_NSD_9__find_if7functorIS9_EEEE10hipError_tPvRmT1_T2_T3_mT4_P12ihipStream_tbEUlT_E1_NS1_11comp_targetILNS1_3genE0ELNS1_11target_archE4294967295ELNS1_3gpuE0ELNS1_3repE0EEENS1_30default_config_static_selectorELNS0_4arch9wavefront6targetE1EEEvS14_
	.p2align	8
	.type	_ZN7rocprim17ROCPRIM_400000_NS6detail17trampoline_kernelINS0_14default_configENS1_22reduce_config_selectorIN6thrust23THRUST_200600_302600_NS5tupleIblNS6_9null_typeES8_S8_S8_S8_S8_S8_S8_EEEEZNS1_11reduce_implILb1ES3_NS6_12zip_iteratorINS7_INS6_11hip_rocprim26transform_input_iterator_tIbNSD_35transform_pair_of_input_iterators_tIbNS6_6detail15normal_iteratorINS6_10device_ptrIKdEEEESL_NS6_8equal_toIdEEEENSG_9not_fun_tINSD_8identityEEEEENSD_19counting_iterator_tIlEES8_S8_S8_S8_S8_S8_S8_S8_EEEEPS9_S9_NSD_9__find_if7functorIS9_EEEE10hipError_tPvRmT1_T2_T3_mT4_P12ihipStream_tbEUlT_E1_NS1_11comp_targetILNS1_3genE0ELNS1_11target_archE4294967295ELNS1_3gpuE0ELNS1_3repE0EEENS1_30default_config_static_selectorELNS0_4arch9wavefront6targetE1EEEvS14_,@function
_ZN7rocprim17ROCPRIM_400000_NS6detail17trampoline_kernelINS0_14default_configENS1_22reduce_config_selectorIN6thrust23THRUST_200600_302600_NS5tupleIblNS6_9null_typeES8_S8_S8_S8_S8_S8_S8_EEEEZNS1_11reduce_implILb1ES3_NS6_12zip_iteratorINS7_INS6_11hip_rocprim26transform_input_iterator_tIbNSD_35transform_pair_of_input_iterators_tIbNS6_6detail15normal_iteratorINS6_10device_ptrIKdEEEESL_NS6_8equal_toIdEEEENSG_9not_fun_tINSD_8identityEEEEENSD_19counting_iterator_tIlEES8_S8_S8_S8_S8_S8_S8_S8_EEEEPS9_S9_NSD_9__find_if7functorIS9_EEEE10hipError_tPvRmT1_T2_T3_mT4_P12ihipStream_tbEUlT_E1_NS1_11comp_targetILNS1_3genE0ELNS1_11target_archE4294967295ELNS1_3gpuE0ELNS1_3repE0EEENS1_30default_config_static_selectorELNS0_4arch9wavefront6targetE1EEEvS14_: ; @_ZN7rocprim17ROCPRIM_400000_NS6detail17trampoline_kernelINS0_14default_configENS1_22reduce_config_selectorIN6thrust23THRUST_200600_302600_NS5tupleIblNS6_9null_typeES8_S8_S8_S8_S8_S8_S8_EEEEZNS1_11reduce_implILb1ES3_NS6_12zip_iteratorINS7_INS6_11hip_rocprim26transform_input_iterator_tIbNSD_35transform_pair_of_input_iterators_tIbNS6_6detail15normal_iteratorINS6_10device_ptrIKdEEEESL_NS6_8equal_toIdEEEENSG_9not_fun_tINSD_8identityEEEEENSD_19counting_iterator_tIlEES8_S8_S8_S8_S8_S8_S8_S8_EEEEPS9_S9_NSD_9__find_if7functorIS9_EEEE10hipError_tPvRmT1_T2_T3_mT4_P12ihipStream_tbEUlT_E1_NS1_11comp_targetILNS1_3genE0ELNS1_11target_archE4294967295ELNS1_3gpuE0ELNS1_3repE0EEENS1_30default_config_static_selectorELNS0_4arch9wavefront6targetE1EEEvS14_
; %bb.0:
	.section	.rodata,"a",@progbits
	.p2align	6, 0x0
	.amdhsa_kernel _ZN7rocprim17ROCPRIM_400000_NS6detail17trampoline_kernelINS0_14default_configENS1_22reduce_config_selectorIN6thrust23THRUST_200600_302600_NS5tupleIblNS6_9null_typeES8_S8_S8_S8_S8_S8_S8_EEEEZNS1_11reduce_implILb1ES3_NS6_12zip_iteratorINS7_INS6_11hip_rocprim26transform_input_iterator_tIbNSD_35transform_pair_of_input_iterators_tIbNS6_6detail15normal_iteratorINS6_10device_ptrIKdEEEESL_NS6_8equal_toIdEEEENSG_9not_fun_tINSD_8identityEEEEENSD_19counting_iterator_tIlEES8_S8_S8_S8_S8_S8_S8_S8_EEEEPS9_S9_NSD_9__find_if7functorIS9_EEEE10hipError_tPvRmT1_T2_T3_mT4_P12ihipStream_tbEUlT_E1_NS1_11comp_targetILNS1_3genE0ELNS1_11target_archE4294967295ELNS1_3gpuE0ELNS1_3repE0EEENS1_30default_config_static_selectorELNS0_4arch9wavefront6targetE1EEEvS14_
		.amdhsa_group_segment_fixed_size 0
		.amdhsa_private_segment_fixed_size 0
		.amdhsa_kernarg_size 88
		.amdhsa_user_sgpr_count 6
		.amdhsa_user_sgpr_private_segment_buffer 1
		.amdhsa_user_sgpr_dispatch_ptr 0
		.amdhsa_user_sgpr_queue_ptr 0
		.amdhsa_user_sgpr_kernarg_segment_ptr 1
		.amdhsa_user_sgpr_dispatch_id 0
		.amdhsa_user_sgpr_flat_scratch_init 0
		.amdhsa_user_sgpr_private_segment_size 0
		.amdhsa_uses_dynamic_stack 0
		.amdhsa_system_sgpr_private_segment_wavefront_offset 0
		.amdhsa_system_sgpr_workgroup_id_x 1
		.amdhsa_system_sgpr_workgroup_id_y 0
		.amdhsa_system_sgpr_workgroup_id_z 0
		.amdhsa_system_sgpr_workgroup_info 0
		.amdhsa_system_vgpr_workitem_id 0
		.amdhsa_next_free_vgpr 1
		.amdhsa_next_free_sgpr 0
		.amdhsa_reserve_vcc 0
		.amdhsa_reserve_flat_scratch 0
		.amdhsa_float_round_mode_32 0
		.amdhsa_float_round_mode_16_64 0
		.amdhsa_float_denorm_mode_32 3
		.amdhsa_float_denorm_mode_16_64 3
		.amdhsa_dx10_clamp 1
		.amdhsa_ieee_mode 1
		.amdhsa_fp16_overflow 0
		.amdhsa_exception_fp_ieee_invalid_op 0
		.amdhsa_exception_fp_denorm_src 0
		.amdhsa_exception_fp_ieee_div_zero 0
		.amdhsa_exception_fp_ieee_overflow 0
		.amdhsa_exception_fp_ieee_underflow 0
		.amdhsa_exception_fp_ieee_inexact 0
		.amdhsa_exception_int_div_zero 0
	.end_amdhsa_kernel
	.section	.text._ZN7rocprim17ROCPRIM_400000_NS6detail17trampoline_kernelINS0_14default_configENS1_22reduce_config_selectorIN6thrust23THRUST_200600_302600_NS5tupleIblNS6_9null_typeES8_S8_S8_S8_S8_S8_S8_EEEEZNS1_11reduce_implILb1ES3_NS6_12zip_iteratorINS7_INS6_11hip_rocprim26transform_input_iterator_tIbNSD_35transform_pair_of_input_iterators_tIbNS6_6detail15normal_iteratorINS6_10device_ptrIKdEEEESL_NS6_8equal_toIdEEEENSG_9not_fun_tINSD_8identityEEEEENSD_19counting_iterator_tIlEES8_S8_S8_S8_S8_S8_S8_S8_EEEEPS9_S9_NSD_9__find_if7functorIS9_EEEE10hipError_tPvRmT1_T2_T3_mT4_P12ihipStream_tbEUlT_E1_NS1_11comp_targetILNS1_3genE0ELNS1_11target_archE4294967295ELNS1_3gpuE0ELNS1_3repE0EEENS1_30default_config_static_selectorELNS0_4arch9wavefront6targetE1EEEvS14_,"axG",@progbits,_ZN7rocprim17ROCPRIM_400000_NS6detail17trampoline_kernelINS0_14default_configENS1_22reduce_config_selectorIN6thrust23THRUST_200600_302600_NS5tupleIblNS6_9null_typeES8_S8_S8_S8_S8_S8_S8_EEEEZNS1_11reduce_implILb1ES3_NS6_12zip_iteratorINS7_INS6_11hip_rocprim26transform_input_iterator_tIbNSD_35transform_pair_of_input_iterators_tIbNS6_6detail15normal_iteratorINS6_10device_ptrIKdEEEESL_NS6_8equal_toIdEEEENSG_9not_fun_tINSD_8identityEEEEENSD_19counting_iterator_tIlEES8_S8_S8_S8_S8_S8_S8_S8_EEEEPS9_S9_NSD_9__find_if7functorIS9_EEEE10hipError_tPvRmT1_T2_T3_mT4_P12ihipStream_tbEUlT_E1_NS1_11comp_targetILNS1_3genE0ELNS1_11target_archE4294967295ELNS1_3gpuE0ELNS1_3repE0EEENS1_30default_config_static_selectorELNS0_4arch9wavefront6targetE1EEEvS14_,comdat
.Lfunc_end435:
	.size	_ZN7rocprim17ROCPRIM_400000_NS6detail17trampoline_kernelINS0_14default_configENS1_22reduce_config_selectorIN6thrust23THRUST_200600_302600_NS5tupleIblNS6_9null_typeES8_S8_S8_S8_S8_S8_S8_EEEEZNS1_11reduce_implILb1ES3_NS6_12zip_iteratorINS7_INS6_11hip_rocprim26transform_input_iterator_tIbNSD_35transform_pair_of_input_iterators_tIbNS6_6detail15normal_iteratorINS6_10device_ptrIKdEEEESL_NS6_8equal_toIdEEEENSG_9not_fun_tINSD_8identityEEEEENSD_19counting_iterator_tIlEES8_S8_S8_S8_S8_S8_S8_S8_EEEEPS9_S9_NSD_9__find_if7functorIS9_EEEE10hipError_tPvRmT1_T2_T3_mT4_P12ihipStream_tbEUlT_E1_NS1_11comp_targetILNS1_3genE0ELNS1_11target_archE4294967295ELNS1_3gpuE0ELNS1_3repE0EEENS1_30default_config_static_selectorELNS0_4arch9wavefront6targetE1EEEvS14_, .Lfunc_end435-_ZN7rocprim17ROCPRIM_400000_NS6detail17trampoline_kernelINS0_14default_configENS1_22reduce_config_selectorIN6thrust23THRUST_200600_302600_NS5tupleIblNS6_9null_typeES8_S8_S8_S8_S8_S8_S8_EEEEZNS1_11reduce_implILb1ES3_NS6_12zip_iteratorINS7_INS6_11hip_rocprim26transform_input_iterator_tIbNSD_35transform_pair_of_input_iterators_tIbNS6_6detail15normal_iteratorINS6_10device_ptrIKdEEEESL_NS6_8equal_toIdEEEENSG_9not_fun_tINSD_8identityEEEEENSD_19counting_iterator_tIlEES8_S8_S8_S8_S8_S8_S8_S8_EEEEPS9_S9_NSD_9__find_if7functorIS9_EEEE10hipError_tPvRmT1_T2_T3_mT4_P12ihipStream_tbEUlT_E1_NS1_11comp_targetILNS1_3genE0ELNS1_11target_archE4294967295ELNS1_3gpuE0ELNS1_3repE0EEENS1_30default_config_static_selectorELNS0_4arch9wavefront6targetE1EEEvS14_
                                        ; -- End function
	.set _ZN7rocprim17ROCPRIM_400000_NS6detail17trampoline_kernelINS0_14default_configENS1_22reduce_config_selectorIN6thrust23THRUST_200600_302600_NS5tupleIblNS6_9null_typeES8_S8_S8_S8_S8_S8_S8_EEEEZNS1_11reduce_implILb1ES3_NS6_12zip_iteratorINS7_INS6_11hip_rocprim26transform_input_iterator_tIbNSD_35transform_pair_of_input_iterators_tIbNS6_6detail15normal_iteratorINS6_10device_ptrIKdEEEESL_NS6_8equal_toIdEEEENSG_9not_fun_tINSD_8identityEEEEENSD_19counting_iterator_tIlEES8_S8_S8_S8_S8_S8_S8_S8_EEEEPS9_S9_NSD_9__find_if7functorIS9_EEEE10hipError_tPvRmT1_T2_T3_mT4_P12ihipStream_tbEUlT_E1_NS1_11comp_targetILNS1_3genE0ELNS1_11target_archE4294967295ELNS1_3gpuE0ELNS1_3repE0EEENS1_30default_config_static_selectorELNS0_4arch9wavefront6targetE1EEEvS14_.num_vgpr, 0
	.set _ZN7rocprim17ROCPRIM_400000_NS6detail17trampoline_kernelINS0_14default_configENS1_22reduce_config_selectorIN6thrust23THRUST_200600_302600_NS5tupleIblNS6_9null_typeES8_S8_S8_S8_S8_S8_S8_EEEEZNS1_11reduce_implILb1ES3_NS6_12zip_iteratorINS7_INS6_11hip_rocprim26transform_input_iterator_tIbNSD_35transform_pair_of_input_iterators_tIbNS6_6detail15normal_iteratorINS6_10device_ptrIKdEEEESL_NS6_8equal_toIdEEEENSG_9not_fun_tINSD_8identityEEEEENSD_19counting_iterator_tIlEES8_S8_S8_S8_S8_S8_S8_S8_EEEEPS9_S9_NSD_9__find_if7functorIS9_EEEE10hipError_tPvRmT1_T2_T3_mT4_P12ihipStream_tbEUlT_E1_NS1_11comp_targetILNS1_3genE0ELNS1_11target_archE4294967295ELNS1_3gpuE0ELNS1_3repE0EEENS1_30default_config_static_selectorELNS0_4arch9wavefront6targetE1EEEvS14_.num_agpr, 0
	.set _ZN7rocprim17ROCPRIM_400000_NS6detail17trampoline_kernelINS0_14default_configENS1_22reduce_config_selectorIN6thrust23THRUST_200600_302600_NS5tupleIblNS6_9null_typeES8_S8_S8_S8_S8_S8_S8_EEEEZNS1_11reduce_implILb1ES3_NS6_12zip_iteratorINS7_INS6_11hip_rocprim26transform_input_iterator_tIbNSD_35transform_pair_of_input_iterators_tIbNS6_6detail15normal_iteratorINS6_10device_ptrIKdEEEESL_NS6_8equal_toIdEEEENSG_9not_fun_tINSD_8identityEEEEENSD_19counting_iterator_tIlEES8_S8_S8_S8_S8_S8_S8_S8_EEEEPS9_S9_NSD_9__find_if7functorIS9_EEEE10hipError_tPvRmT1_T2_T3_mT4_P12ihipStream_tbEUlT_E1_NS1_11comp_targetILNS1_3genE0ELNS1_11target_archE4294967295ELNS1_3gpuE0ELNS1_3repE0EEENS1_30default_config_static_selectorELNS0_4arch9wavefront6targetE1EEEvS14_.numbered_sgpr, 0
	.set _ZN7rocprim17ROCPRIM_400000_NS6detail17trampoline_kernelINS0_14default_configENS1_22reduce_config_selectorIN6thrust23THRUST_200600_302600_NS5tupleIblNS6_9null_typeES8_S8_S8_S8_S8_S8_S8_EEEEZNS1_11reduce_implILb1ES3_NS6_12zip_iteratorINS7_INS6_11hip_rocprim26transform_input_iterator_tIbNSD_35transform_pair_of_input_iterators_tIbNS6_6detail15normal_iteratorINS6_10device_ptrIKdEEEESL_NS6_8equal_toIdEEEENSG_9not_fun_tINSD_8identityEEEEENSD_19counting_iterator_tIlEES8_S8_S8_S8_S8_S8_S8_S8_EEEEPS9_S9_NSD_9__find_if7functorIS9_EEEE10hipError_tPvRmT1_T2_T3_mT4_P12ihipStream_tbEUlT_E1_NS1_11comp_targetILNS1_3genE0ELNS1_11target_archE4294967295ELNS1_3gpuE0ELNS1_3repE0EEENS1_30default_config_static_selectorELNS0_4arch9wavefront6targetE1EEEvS14_.num_named_barrier, 0
	.set _ZN7rocprim17ROCPRIM_400000_NS6detail17trampoline_kernelINS0_14default_configENS1_22reduce_config_selectorIN6thrust23THRUST_200600_302600_NS5tupleIblNS6_9null_typeES8_S8_S8_S8_S8_S8_S8_EEEEZNS1_11reduce_implILb1ES3_NS6_12zip_iteratorINS7_INS6_11hip_rocprim26transform_input_iterator_tIbNSD_35transform_pair_of_input_iterators_tIbNS6_6detail15normal_iteratorINS6_10device_ptrIKdEEEESL_NS6_8equal_toIdEEEENSG_9not_fun_tINSD_8identityEEEEENSD_19counting_iterator_tIlEES8_S8_S8_S8_S8_S8_S8_S8_EEEEPS9_S9_NSD_9__find_if7functorIS9_EEEE10hipError_tPvRmT1_T2_T3_mT4_P12ihipStream_tbEUlT_E1_NS1_11comp_targetILNS1_3genE0ELNS1_11target_archE4294967295ELNS1_3gpuE0ELNS1_3repE0EEENS1_30default_config_static_selectorELNS0_4arch9wavefront6targetE1EEEvS14_.private_seg_size, 0
	.set _ZN7rocprim17ROCPRIM_400000_NS6detail17trampoline_kernelINS0_14default_configENS1_22reduce_config_selectorIN6thrust23THRUST_200600_302600_NS5tupleIblNS6_9null_typeES8_S8_S8_S8_S8_S8_S8_EEEEZNS1_11reduce_implILb1ES3_NS6_12zip_iteratorINS7_INS6_11hip_rocprim26transform_input_iterator_tIbNSD_35transform_pair_of_input_iterators_tIbNS6_6detail15normal_iteratorINS6_10device_ptrIKdEEEESL_NS6_8equal_toIdEEEENSG_9not_fun_tINSD_8identityEEEEENSD_19counting_iterator_tIlEES8_S8_S8_S8_S8_S8_S8_S8_EEEEPS9_S9_NSD_9__find_if7functorIS9_EEEE10hipError_tPvRmT1_T2_T3_mT4_P12ihipStream_tbEUlT_E1_NS1_11comp_targetILNS1_3genE0ELNS1_11target_archE4294967295ELNS1_3gpuE0ELNS1_3repE0EEENS1_30default_config_static_selectorELNS0_4arch9wavefront6targetE1EEEvS14_.uses_vcc, 0
	.set _ZN7rocprim17ROCPRIM_400000_NS6detail17trampoline_kernelINS0_14default_configENS1_22reduce_config_selectorIN6thrust23THRUST_200600_302600_NS5tupleIblNS6_9null_typeES8_S8_S8_S8_S8_S8_S8_EEEEZNS1_11reduce_implILb1ES3_NS6_12zip_iteratorINS7_INS6_11hip_rocprim26transform_input_iterator_tIbNSD_35transform_pair_of_input_iterators_tIbNS6_6detail15normal_iteratorINS6_10device_ptrIKdEEEESL_NS6_8equal_toIdEEEENSG_9not_fun_tINSD_8identityEEEEENSD_19counting_iterator_tIlEES8_S8_S8_S8_S8_S8_S8_S8_EEEEPS9_S9_NSD_9__find_if7functorIS9_EEEE10hipError_tPvRmT1_T2_T3_mT4_P12ihipStream_tbEUlT_E1_NS1_11comp_targetILNS1_3genE0ELNS1_11target_archE4294967295ELNS1_3gpuE0ELNS1_3repE0EEENS1_30default_config_static_selectorELNS0_4arch9wavefront6targetE1EEEvS14_.uses_flat_scratch, 0
	.set _ZN7rocprim17ROCPRIM_400000_NS6detail17trampoline_kernelINS0_14default_configENS1_22reduce_config_selectorIN6thrust23THRUST_200600_302600_NS5tupleIblNS6_9null_typeES8_S8_S8_S8_S8_S8_S8_EEEEZNS1_11reduce_implILb1ES3_NS6_12zip_iteratorINS7_INS6_11hip_rocprim26transform_input_iterator_tIbNSD_35transform_pair_of_input_iterators_tIbNS6_6detail15normal_iteratorINS6_10device_ptrIKdEEEESL_NS6_8equal_toIdEEEENSG_9not_fun_tINSD_8identityEEEEENSD_19counting_iterator_tIlEES8_S8_S8_S8_S8_S8_S8_S8_EEEEPS9_S9_NSD_9__find_if7functorIS9_EEEE10hipError_tPvRmT1_T2_T3_mT4_P12ihipStream_tbEUlT_E1_NS1_11comp_targetILNS1_3genE0ELNS1_11target_archE4294967295ELNS1_3gpuE0ELNS1_3repE0EEENS1_30default_config_static_selectorELNS0_4arch9wavefront6targetE1EEEvS14_.has_dyn_sized_stack, 0
	.set _ZN7rocprim17ROCPRIM_400000_NS6detail17trampoline_kernelINS0_14default_configENS1_22reduce_config_selectorIN6thrust23THRUST_200600_302600_NS5tupleIblNS6_9null_typeES8_S8_S8_S8_S8_S8_S8_EEEEZNS1_11reduce_implILb1ES3_NS6_12zip_iteratorINS7_INS6_11hip_rocprim26transform_input_iterator_tIbNSD_35transform_pair_of_input_iterators_tIbNS6_6detail15normal_iteratorINS6_10device_ptrIKdEEEESL_NS6_8equal_toIdEEEENSG_9not_fun_tINSD_8identityEEEEENSD_19counting_iterator_tIlEES8_S8_S8_S8_S8_S8_S8_S8_EEEEPS9_S9_NSD_9__find_if7functorIS9_EEEE10hipError_tPvRmT1_T2_T3_mT4_P12ihipStream_tbEUlT_E1_NS1_11comp_targetILNS1_3genE0ELNS1_11target_archE4294967295ELNS1_3gpuE0ELNS1_3repE0EEENS1_30default_config_static_selectorELNS0_4arch9wavefront6targetE1EEEvS14_.has_recursion, 0
	.set _ZN7rocprim17ROCPRIM_400000_NS6detail17trampoline_kernelINS0_14default_configENS1_22reduce_config_selectorIN6thrust23THRUST_200600_302600_NS5tupleIblNS6_9null_typeES8_S8_S8_S8_S8_S8_S8_EEEEZNS1_11reduce_implILb1ES3_NS6_12zip_iteratorINS7_INS6_11hip_rocprim26transform_input_iterator_tIbNSD_35transform_pair_of_input_iterators_tIbNS6_6detail15normal_iteratorINS6_10device_ptrIKdEEEESL_NS6_8equal_toIdEEEENSG_9not_fun_tINSD_8identityEEEEENSD_19counting_iterator_tIlEES8_S8_S8_S8_S8_S8_S8_S8_EEEEPS9_S9_NSD_9__find_if7functorIS9_EEEE10hipError_tPvRmT1_T2_T3_mT4_P12ihipStream_tbEUlT_E1_NS1_11comp_targetILNS1_3genE0ELNS1_11target_archE4294967295ELNS1_3gpuE0ELNS1_3repE0EEENS1_30default_config_static_selectorELNS0_4arch9wavefront6targetE1EEEvS14_.has_indirect_call, 0
	.section	.AMDGPU.csdata,"",@progbits
; Kernel info:
; codeLenInByte = 0
; TotalNumSgprs: 4
; NumVgprs: 0
; ScratchSize: 0
; MemoryBound: 0
; FloatMode: 240
; IeeeMode: 1
; LDSByteSize: 0 bytes/workgroup (compile time only)
; SGPRBlocks: 0
; VGPRBlocks: 0
; NumSGPRsForWavesPerEU: 4
; NumVGPRsForWavesPerEU: 1
; Occupancy: 10
; WaveLimiterHint : 0
; COMPUTE_PGM_RSRC2:SCRATCH_EN: 0
; COMPUTE_PGM_RSRC2:USER_SGPR: 6
; COMPUTE_PGM_RSRC2:TRAP_HANDLER: 0
; COMPUTE_PGM_RSRC2:TGID_X_EN: 1
; COMPUTE_PGM_RSRC2:TGID_Y_EN: 0
; COMPUTE_PGM_RSRC2:TGID_Z_EN: 0
; COMPUTE_PGM_RSRC2:TIDIG_COMP_CNT: 0
	.section	.text._ZN7rocprim17ROCPRIM_400000_NS6detail17trampoline_kernelINS0_14default_configENS1_22reduce_config_selectorIN6thrust23THRUST_200600_302600_NS5tupleIblNS6_9null_typeES8_S8_S8_S8_S8_S8_S8_EEEEZNS1_11reduce_implILb1ES3_NS6_12zip_iteratorINS7_INS6_11hip_rocprim26transform_input_iterator_tIbNSD_35transform_pair_of_input_iterators_tIbNS6_6detail15normal_iteratorINS6_10device_ptrIKdEEEESL_NS6_8equal_toIdEEEENSG_9not_fun_tINSD_8identityEEEEENSD_19counting_iterator_tIlEES8_S8_S8_S8_S8_S8_S8_S8_EEEEPS9_S9_NSD_9__find_if7functorIS9_EEEE10hipError_tPvRmT1_T2_T3_mT4_P12ihipStream_tbEUlT_E1_NS1_11comp_targetILNS1_3genE5ELNS1_11target_archE942ELNS1_3gpuE9ELNS1_3repE0EEENS1_30default_config_static_selectorELNS0_4arch9wavefront6targetE1EEEvS14_,"axG",@progbits,_ZN7rocprim17ROCPRIM_400000_NS6detail17trampoline_kernelINS0_14default_configENS1_22reduce_config_selectorIN6thrust23THRUST_200600_302600_NS5tupleIblNS6_9null_typeES8_S8_S8_S8_S8_S8_S8_EEEEZNS1_11reduce_implILb1ES3_NS6_12zip_iteratorINS7_INS6_11hip_rocprim26transform_input_iterator_tIbNSD_35transform_pair_of_input_iterators_tIbNS6_6detail15normal_iteratorINS6_10device_ptrIKdEEEESL_NS6_8equal_toIdEEEENSG_9not_fun_tINSD_8identityEEEEENSD_19counting_iterator_tIlEES8_S8_S8_S8_S8_S8_S8_S8_EEEEPS9_S9_NSD_9__find_if7functorIS9_EEEE10hipError_tPvRmT1_T2_T3_mT4_P12ihipStream_tbEUlT_E1_NS1_11comp_targetILNS1_3genE5ELNS1_11target_archE942ELNS1_3gpuE9ELNS1_3repE0EEENS1_30default_config_static_selectorELNS0_4arch9wavefront6targetE1EEEvS14_,comdat
	.protected	_ZN7rocprim17ROCPRIM_400000_NS6detail17trampoline_kernelINS0_14default_configENS1_22reduce_config_selectorIN6thrust23THRUST_200600_302600_NS5tupleIblNS6_9null_typeES8_S8_S8_S8_S8_S8_S8_EEEEZNS1_11reduce_implILb1ES3_NS6_12zip_iteratorINS7_INS6_11hip_rocprim26transform_input_iterator_tIbNSD_35transform_pair_of_input_iterators_tIbNS6_6detail15normal_iteratorINS6_10device_ptrIKdEEEESL_NS6_8equal_toIdEEEENSG_9not_fun_tINSD_8identityEEEEENSD_19counting_iterator_tIlEES8_S8_S8_S8_S8_S8_S8_S8_EEEEPS9_S9_NSD_9__find_if7functorIS9_EEEE10hipError_tPvRmT1_T2_T3_mT4_P12ihipStream_tbEUlT_E1_NS1_11comp_targetILNS1_3genE5ELNS1_11target_archE942ELNS1_3gpuE9ELNS1_3repE0EEENS1_30default_config_static_selectorELNS0_4arch9wavefront6targetE1EEEvS14_ ; -- Begin function _ZN7rocprim17ROCPRIM_400000_NS6detail17trampoline_kernelINS0_14default_configENS1_22reduce_config_selectorIN6thrust23THRUST_200600_302600_NS5tupleIblNS6_9null_typeES8_S8_S8_S8_S8_S8_S8_EEEEZNS1_11reduce_implILb1ES3_NS6_12zip_iteratorINS7_INS6_11hip_rocprim26transform_input_iterator_tIbNSD_35transform_pair_of_input_iterators_tIbNS6_6detail15normal_iteratorINS6_10device_ptrIKdEEEESL_NS6_8equal_toIdEEEENSG_9not_fun_tINSD_8identityEEEEENSD_19counting_iterator_tIlEES8_S8_S8_S8_S8_S8_S8_S8_EEEEPS9_S9_NSD_9__find_if7functorIS9_EEEE10hipError_tPvRmT1_T2_T3_mT4_P12ihipStream_tbEUlT_E1_NS1_11comp_targetILNS1_3genE5ELNS1_11target_archE942ELNS1_3gpuE9ELNS1_3repE0EEENS1_30default_config_static_selectorELNS0_4arch9wavefront6targetE1EEEvS14_
	.globl	_ZN7rocprim17ROCPRIM_400000_NS6detail17trampoline_kernelINS0_14default_configENS1_22reduce_config_selectorIN6thrust23THRUST_200600_302600_NS5tupleIblNS6_9null_typeES8_S8_S8_S8_S8_S8_S8_EEEEZNS1_11reduce_implILb1ES3_NS6_12zip_iteratorINS7_INS6_11hip_rocprim26transform_input_iterator_tIbNSD_35transform_pair_of_input_iterators_tIbNS6_6detail15normal_iteratorINS6_10device_ptrIKdEEEESL_NS6_8equal_toIdEEEENSG_9not_fun_tINSD_8identityEEEEENSD_19counting_iterator_tIlEES8_S8_S8_S8_S8_S8_S8_S8_EEEEPS9_S9_NSD_9__find_if7functorIS9_EEEE10hipError_tPvRmT1_T2_T3_mT4_P12ihipStream_tbEUlT_E1_NS1_11comp_targetILNS1_3genE5ELNS1_11target_archE942ELNS1_3gpuE9ELNS1_3repE0EEENS1_30default_config_static_selectorELNS0_4arch9wavefront6targetE1EEEvS14_
	.p2align	8
	.type	_ZN7rocprim17ROCPRIM_400000_NS6detail17trampoline_kernelINS0_14default_configENS1_22reduce_config_selectorIN6thrust23THRUST_200600_302600_NS5tupleIblNS6_9null_typeES8_S8_S8_S8_S8_S8_S8_EEEEZNS1_11reduce_implILb1ES3_NS6_12zip_iteratorINS7_INS6_11hip_rocprim26transform_input_iterator_tIbNSD_35transform_pair_of_input_iterators_tIbNS6_6detail15normal_iteratorINS6_10device_ptrIKdEEEESL_NS6_8equal_toIdEEEENSG_9not_fun_tINSD_8identityEEEEENSD_19counting_iterator_tIlEES8_S8_S8_S8_S8_S8_S8_S8_EEEEPS9_S9_NSD_9__find_if7functorIS9_EEEE10hipError_tPvRmT1_T2_T3_mT4_P12ihipStream_tbEUlT_E1_NS1_11comp_targetILNS1_3genE5ELNS1_11target_archE942ELNS1_3gpuE9ELNS1_3repE0EEENS1_30default_config_static_selectorELNS0_4arch9wavefront6targetE1EEEvS14_,@function
_ZN7rocprim17ROCPRIM_400000_NS6detail17trampoline_kernelINS0_14default_configENS1_22reduce_config_selectorIN6thrust23THRUST_200600_302600_NS5tupleIblNS6_9null_typeES8_S8_S8_S8_S8_S8_S8_EEEEZNS1_11reduce_implILb1ES3_NS6_12zip_iteratorINS7_INS6_11hip_rocprim26transform_input_iterator_tIbNSD_35transform_pair_of_input_iterators_tIbNS6_6detail15normal_iteratorINS6_10device_ptrIKdEEEESL_NS6_8equal_toIdEEEENSG_9not_fun_tINSD_8identityEEEEENSD_19counting_iterator_tIlEES8_S8_S8_S8_S8_S8_S8_S8_EEEEPS9_S9_NSD_9__find_if7functorIS9_EEEE10hipError_tPvRmT1_T2_T3_mT4_P12ihipStream_tbEUlT_E1_NS1_11comp_targetILNS1_3genE5ELNS1_11target_archE942ELNS1_3gpuE9ELNS1_3repE0EEENS1_30default_config_static_selectorELNS0_4arch9wavefront6targetE1EEEvS14_: ; @_ZN7rocprim17ROCPRIM_400000_NS6detail17trampoline_kernelINS0_14default_configENS1_22reduce_config_selectorIN6thrust23THRUST_200600_302600_NS5tupleIblNS6_9null_typeES8_S8_S8_S8_S8_S8_S8_EEEEZNS1_11reduce_implILb1ES3_NS6_12zip_iteratorINS7_INS6_11hip_rocprim26transform_input_iterator_tIbNSD_35transform_pair_of_input_iterators_tIbNS6_6detail15normal_iteratorINS6_10device_ptrIKdEEEESL_NS6_8equal_toIdEEEENSG_9not_fun_tINSD_8identityEEEEENSD_19counting_iterator_tIlEES8_S8_S8_S8_S8_S8_S8_S8_EEEEPS9_S9_NSD_9__find_if7functorIS9_EEEE10hipError_tPvRmT1_T2_T3_mT4_P12ihipStream_tbEUlT_E1_NS1_11comp_targetILNS1_3genE5ELNS1_11target_archE942ELNS1_3gpuE9ELNS1_3repE0EEENS1_30default_config_static_selectorELNS0_4arch9wavefront6targetE1EEEvS14_
; %bb.0:
	.section	.rodata,"a",@progbits
	.p2align	6, 0x0
	.amdhsa_kernel _ZN7rocprim17ROCPRIM_400000_NS6detail17trampoline_kernelINS0_14default_configENS1_22reduce_config_selectorIN6thrust23THRUST_200600_302600_NS5tupleIblNS6_9null_typeES8_S8_S8_S8_S8_S8_S8_EEEEZNS1_11reduce_implILb1ES3_NS6_12zip_iteratorINS7_INS6_11hip_rocprim26transform_input_iterator_tIbNSD_35transform_pair_of_input_iterators_tIbNS6_6detail15normal_iteratorINS6_10device_ptrIKdEEEESL_NS6_8equal_toIdEEEENSG_9not_fun_tINSD_8identityEEEEENSD_19counting_iterator_tIlEES8_S8_S8_S8_S8_S8_S8_S8_EEEEPS9_S9_NSD_9__find_if7functorIS9_EEEE10hipError_tPvRmT1_T2_T3_mT4_P12ihipStream_tbEUlT_E1_NS1_11comp_targetILNS1_3genE5ELNS1_11target_archE942ELNS1_3gpuE9ELNS1_3repE0EEENS1_30default_config_static_selectorELNS0_4arch9wavefront6targetE1EEEvS14_
		.amdhsa_group_segment_fixed_size 0
		.amdhsa_private_segment_fixed_size 0
		.amdhsa_kernarg_size 88
		.amdhsa_user_sgpr_count 6
		.amdhsa_user_sgpr_private_segment_buffer 1
		.amdhsa_user_sgpr_dispatch_ptr 0
		.amdhsa_user_sgpr_queue_ptr 0
		.amdhsa_user_sgpr_kernarg_segment_ptr 1
		.amdhsa_user_sgpr_dispatch_id 0
		.amdhsa_user_sgpr_flat_scratch_init 0
		.amdhsa_user_sgpr_private_segment_size 0
		.amdhsa_uses_dynamic_stack 0
		.amdhsa_system_sgpr_private_segment_wavefront_offset 0
		.amdhsa_system_sgpr_workgroup_id_x 1
		.amdhsa_system_sgpr_workgroup_id_y 0
		.amdhsa_system_sgpr_workgroup_id_z 0
		.amdhsa_system_sgpr_workgroup_info 0
		.amdhsa_system_vgpr_workitem_id 0
		.amdhsa_next_free_vgpr 1
		.amdhsa_next_free_sgpr 0
		.amdhsa_reserve_vcc 0
		.amdhsa_reserve_flat_scratch 0
		.amdhsa_float_round_mode_32 0
		.amdhsa_float_round_mode_16_64 0
		.amdhsa_float_denorm_mode_32 3
		.amdhsa_float_denorm_mode_16_64 3
		.amdhsa_dx10_clamp 1
		.amdhsa_ieee_mode 1
		.amdhsa_fp16_overflow 0
		.amdhsa_exception_fp_ieee_invalid_op 0
		.amdhsa_exception_fp_denorm_src 0
		.amdhsa_exception_fp_ieee_div_zero 0
		.amdhsa_exception_fp_ieee_overflow 0
		.amdhsa_exception_fp_ieee_underflow 0
		.amdhsa_exception_fp_ieee_inexact 0
		.amdhsa_exception_int_div_zero 0
	.end_amdhsa_kernel
	.section	.text._ZN7rocprim17ROCPRIM_400000_NS6detail17trampoline_kernelINS0_14default_configENS1_22reduce_config_selectorIN6thrust23THRUST_200600_302600_NS5tupleIblNS6_9null_typeES8_S8_S8_S8_S8_S8_S8_EEEEZNS1_11reduce_implILb1ES3_NS6_12zip_iteratorINS7_INS6_11hip_rocprim26transform_input_iterator_tIbNSD_35transform_pair_of_input_iterators_tIbNS6_6detail15normal_iteratorINS6_10device_ptrIKdEEEESL_NS6_8equal_toIdEEEENSG_9not_fun_tINSD_8identityEEEEENSD_19counting_iterator_tIlEES8_S8_S8_S8_S8_S8_S8_S8_EEEEPS9_S9_NSD_9__find_if7functorIS9_EEEE10hipError_tPvRmT1_T2_T3_mT4_P12ihipStream_tbEUlT_E1_NS1_11comp_targetILNS1_3genE5ELNS1_11target_archE942ELNS1_3gpuE9ELNS1_3repE0EEENS1_30default_config_static_selectorELNS0_4arch9wavefront6targetE1EEEvS14_,"axG",@progbits,_ZN7rocprim17ROCPRIM_400000_NS6detail17trampoline_kernelINS0_14default_configENS1_22reduce_config_selectorIN6thrust23THRUST_200600_302600_NS5tupleIblNS6_9null_typeES8_S8_S8_S8_S8_S8_S8_EEEEZNS1_11reduce_implILb1ES3_NS6_12zip_iteratorINS7_INS6_11hip_rocprim26transform_input_iterator_tIbNSD_35transform_pair_of_input_iterators_tIbNS6_6detail15normal_iteratorINS6_10device_ptrIKdEEEESL_NS6_8equal_toIdEEEENSG_9not_fun_tINSD_8identityEEEEENSD_19counting_iterator_tIlEES8_S8_S8_S8_S8_S8_S8_S8_EEEEPS9_S9_NSD_9__find_if7functorIS9_EEEE10hipError_tPvRmT1_T2_T3_mT4_P12ihipStream_tbEUlT_E1_NS1_11comp_targetILNS1_3genE5ELNS1_11target_archE942ELNS1_3gpuE9ELNS1_3repE0EEENS1_30default_config_static_selectorELNS0_4arch9wavefront6targetE1EEEvS14_,comdat
.Lfunc_end436:
	.size	_ZN7rocprim17ROCPRIM_400000_NS6detail17trampoline_kernelINS0_14default_configENS1_22reduce_config_selectorIN6thrust23THRUST_200600_302600_NS5tupleIblNS6_9null_typeES8_S8_S8_S8_S8_S8_S8_EEEEZNS1_11reduce_implILb1ES3_NS6_12zip_iteratorINS7_INS6_11hip_rocprim26transform_input_iterator_tIbNSD_35transform_pair_of_input_iterators_tIbNS6_6detail15normal_iteratorINS6_10device_ptrIKdEEEESL_NS6_8equal_toIdEEEENSG_9not_fun_tINSD_8identityEEEEENSD_19counting_iterator_tIlEES8_S8_S8_S8_S8_S8_S8_S8_EEEEPS9_S9_NSD_9__find_if7functorIS9_EEEE10hipError_tPvRmT1_T2_T3_mT4_P12ihipStream_tbEUlT_E1_NS1_11comp_targetILNS1_3genE5ELNS1_11target_archE942ELNS1_3gpuE9ELNS1_3repE0EEENS1_30default_config_static_selectorELNS0_4arch9wavefront6targetE1EEEvS14_, .Lfunc_end436-_ZN7rocprim17ROCPRIM_400000_NS6detail17trampoline_kernelINS0_14default_configENS1_22reduce_config_selectorIN6thrust23THRUST_200600_302600_NS5tupleIblNS6_9null_typeES8_S8_S8_S8_S8_S8_S8_EEEEZNS1_11reduce_implILb1ES3_NS6_12zip_iteratorINS7_INS6_11hip_rocprim26transform_input_iterator_tIbNSD_35transform_pair_of_input_iterators_tIbNS6_6detail15normal_iteratorINS6_10device_ptrIKdEEEESL_NS6_8equal_toIdEEEENSG_9not_fun_tINSD_8identityEEEEENSD_19counting_iterator_tIlEES8_S8_S8_S8_S8_S8_S8_S8_EEEEPS9_S9_NSD_9__find_if7functorIS9_EEEE10hipError_tPvRmT1_T2_T3_mT4_P12ihipStream_tbEUlT_E1_NS1_11comp_targetILNS1_3genE5ELNS1_11target_archE942ELNS1_3gpuE9ELNS1_3repE0EEENS1_30default_config_static_selectorELNS0_4arch9wavefront6targetE1EEEvS14_
                                        ; -- End function
	.set _ZN7rocprim17ROCPRIM_400000_NS6detail17trampoline_kernelINS0_14default_configENS1_22reduce_config_selectorIN6thrust23THRUST_200600_302600_NS5tupleIblNS6_9null_typeES8_S8_S8_S8_S8_S8_S8_EEEEZNS1_11reduce_implILb1ES3_NS6_12zip_iteratorINS7_INS6_11hip_rocprim26transform_input_iterator_tIbNSD_35transform_pair_of_input_iterators_tIbNS6_6detail15normal_iteratorINS6_10device_ptrIKdEEEESL_NS6_8equal_toIdEEEENSG_9not_fun_tINSD_8identityEEEEENSD_19counting_iterator_tIlEES8_S8_S8_S8_S8_S8_S8_S8_EEEEPS9_S9_NSD_9__find_if7functorIS9_EEEE10hipError_tPvRmT1_T2_T3_mT4_P12ihipStream_tbEUlT_E1_NS1_11comp_targetILNS1_3genE5ELNS1_11target_archE942ELNS1_3gpuE9ELNS1_3repE0EEENS1_30default_config_static_selectorELNS0_4arch9wavefront6targetE1EEEvS14_.num_vgpr, 0
	.set _ZN7rocprim17ROCPRIM_400000_NS6detail17trampoline_kernelINS0_14default_configENS1_22reduce_config_selectorIN6thrust23THRUST_200600_302600_NS5tupleIblNS6_9null_typeES8_S8_S8_S8_S8_S8_S8_EEEEZNS1_11reduce_implILb1ES3_NS6_12zip_iteratorINS7_INS6_11hip_rocprim26transform_input_iterator_tIbNSD_35transform_pair_of_input_iterators_tIbNS6_6detail15normal_iteratorINS6_10device_ptrIKdEEEESL_NS6_8equal_toIdEEEENSG_9not_fun_tINSD_8identityEEEEENSD_19counting_iterator_tIlEES8_S8_S8_S8_S8_S8_S8_S8_EEEEPS9_S9_NSD_9__find_if7functorIS9_EEEE10hipError_tPvRmT1_T2_T3_mT4_P12ihipStream_tbEUlT_E1_NS1_11comp_targetILNS1_3genE5ELNS1_11target_archE942ELNS1_3gpuE9ELNS1_3repE0EEENS1_30default_config_static_selectorELNS0_4arch9wavefront6targetE1EEEvS14_.num_agpr, 0
	.set _ZN7rocprim17ROCPRIM_400000_NS6detail17trampoline_kernelINS0_14default_configENS1_22reduce_config_selectorIN6thrust23THRUST_200600_302600_NS5tupleIblNS6_9null_typeES8_S8_S8_S8_S8_S8_S8_EEEEZNS1_11reduce_implILb1ES3_NS6_12zip_iteratorINS7_INS6_11hip_rocprim26transform_input_iterator_tIbNSD_35transform_pair_of_input_iterators_tIbNS6_6detail15normal_iteratorINS6_10device_ptrIKdEEEESL_NS6_8equal_toIdEEEENSG_9not_fun_tINSD_8identityEEEEENSD_19counting_iterator_tIlEES8_S8_S8_S8_S8_S8_S8_S8_EEEEPS9_S9_NSD_9__find_if7functorIS9_EEEE10hipError_tPvRmT1_T2_T3_mT4_P12ihipStream_tbEUlT_E1_NS1_11comp_targetILNS1_3genE5ELNS1_11target_archE942ELNS1_3gpuE9ELNS1_3repE0EEENS1_30default_config_static_selectorELNS0_4arch9wavefront6targetE1EEEvS14_.numbered_sgpr, 0
	.set _ZN7rocprim17ROCPRIM_400000_NS6detail17trampoline_kernelINS0_14default_configENS1_22reduce_config_selectorIN6thrust23THRUST_200600_302600_NS5tupleIblNS6_9null_typeES8_S8_S8_S8_S8_S8_S8_EEEEZNS1_11reduce_implILb1ES3_NS6_12zip_iteratorINS7_INS6_11hip_rocprim26transform_input_iterator_tIbNSD_35transform_pair_of_input_iterators_tIbNS6_6detail15normal_iteratorINS6_10device_ptrIKdEEEESL_NS6_8equal_toIdEEEENSG_9not_fun_tINSD_8identityEEEEENSD_19counting_iterator_tIlEES8_S8_S8_S8_S8_S8_S8_S8_EEEEPS9_S9_NSD_9__find_if7functorIS9_EEEE10hipError_tPvRmT1_T2_T3_mT4_P12ihipStream_tbEUlT_E1_NS1_11comp_targetILNS1_3genE5ELNS1_11target_archE942ELNS1_3gpuE9ELNS1_3repE0EEENS1_30default_config_static_selectorELNS0_4arch9wavefront6targetE1EEEvS14_.num_named_barrier, 0
	.set _ZN7rocprim17ROCPRIM_400000_NS6detail17trampoline_kernelINS0_14default_configENS1_22reduce_config_selectorIN6thrust23THRUST_200600_302600_NS5tupleIblNS6_9null_typeES8_S8_S8_S8_S8_S8_S8_EEEEZNS1_11reduce_implILb1ES3_NS6_12zip_iteratorINS7_INS6_11hip_rocprim26transform_input_iterator_tIbNSD_35transform_pair_of_input_iterators_tIbNS6_6detail15normal_iteratorINS6_10device_ptrIKdEEEESL_NS6_8equal_toIdEEEENSG_9not_fun_tINSD_8identityEEEEENSD_19counting_iterator_tIlEES8_S8_S8_S8_S8_S8_S8_S8_EEEEPS9_S9_NSD_9__find_if7functorIS9_EEEE10hipError_tPvRmT1_T2_T3_mT4_P12ihipStream_tbEUlT_E1_NS1_11comp_targetILNS1_3genE5ELNS1_11target_archE942ELNS1_3gpuE9ELNS1_3repE0EEENS1_30default_config_static_selectorELNS0_4arch9wavefront6targetE1EEEvS14_.private_seg_size, 0
	.set _ZN7rocprim17ROCPRIM_400000_NS6detail17trampoline_kernelINS0_14default_configENS1_22reduce_config_selectorIN6thrust23THRUST_200600_302600_NS5tupleIblNS6_9null_typeES8_S8_S8_S8_S8_S8_S8_EEEEZNS1_11reduce_implILb1ES3_NS6_12zip_iteratorINS7_INS6_11hip_rocprim26transform_input_iterator_tIbNSD_35transform_pair_of_input_iterators_tIbNS6_6detail15normal_iteratorINS6_10device_ptrIKdEEEESL_NS6_8equal_toIdEEEENSG_9not_fun_tINSD_8identityEEEEENSD_19counting_iterator_tIlEES8_S8_S8_S8_S8_S8_S8_S8_EEEEPS9_S9_NSD_9__find_if7functorIS9_EEEE10hipError_tPvRmT1_T2_T3_mT4_P12ihipStream_tbEUlT_E1_NS1_11comp_targetILNS1_3genE5ELNS1_11target_archE942ELNS1_3gpuE9ELNS1_3repE0EEENS1_30default_config_static_selectorELNS0_4arch9wavefront6targetE1EEEvS14_.uses_vcc, 0
	.set _ZN7rocprim17ROCPRIM_400000_NS6detail17trampoline_kernelINS0_14default_configENS1_22reduce_config_selectorIN6thrust23THRUST_200600_302600_NS5tupleIblNS6_9null_typeES8_S8_S8_S8_S8_S8_S8_EEEEZNS1_11reduce_implILb1ES3_NS6_12zip_iteratorINS7_INS6_11hip_rocprim26transform_input_iterator_tIbNSD_35transform_pair_of_input_iterators_tIbNS6_6detail15normal_iteratorINS6_10device_ptrIKdEEEESL_NS6_8equal_toIdEEEENSG_9not_fun_tINSD_8identityEEEEENSD_19counting_iterator_tIlEES8_S8_S8_S8_S8_S8_S8_S8_EEEEPS9_S9_NSD_9__find_if7functorIS9_EEEE10hipError_tPvRmT1_T2_T3_mT4_P12ihipStream_tbEUlT_E1_NS1_11comp_targetILNS1_3genE5ELNS1_11target_archE942ELNS1_3gpuE9ELNS1_3repE0EEENS1_30default_config_static_selectorELNS0_4arch9wavefront6targetE1EEEvS14_.uses_flat_scratch, 0
	.set _ZN7rocprim17ROCPRIM_400000_NS6detail17trampoline_kernelINS0_14default_configENS1_22reduce_config_selectorIN6thrust23THRUST_200600_302600_NS5tupleIblNS6_9null_typeES8_S8_S8_S8_S8_S8_S8_EEEEZNS1_11reduce_implILb1ES3_NS6_12zip_iteratorINS7_INS6_11hip_rocprim26transform_input_iterator_tIbNSD_35transform_pair_of_input_iterators_tIbNS6_6detail15normal_iteratorINS6_10device_ptrIKdEEEESL_NS6_8equal_toIdEEEENSG_9not_fun_tINSD_8identityEEEEENSD_19counting_iterator_tIlEES8_S8_S8_S8_S8_S8_S8_S8_EEEEPS9_S9_NSD_9__find_if7functorIS9_EEEE10hipError_tPvRmT1_T2_T3_mT4_P12ihipStream_tbEUlT_E1_NS1_11comp_targetILNS1_3genE5ELNS1_11target_archE942ELNS1_3gpuE9ELNS1_3repE0EEENS1_30default_config_static_selectorELNS0_4arch9wavefront6targetE1EEEvS14_.has_dyn_sized_stack, 0
	.set _ZN7rocprim17ROCPRIM_400000_NS6detail17trampoline_kernelINS0_14default_configENS1_22reduce_config_selectorIN6thrust23THRUST_200600_302600_NS5tupleIblNS6_9null_typeES8_S8_S8_S8_S8_S8_S8_EEEEZNS1_11reduce_implILb1ES3_NS6_12zip_iteratorINS7_INS6_11hip_rocprim26transform_input_iterator_tIbNSD_35transform_pair_of_input_iterators_tIbNS6_6detail15normal_iteratorINS6_10device_ptrIKdEEEESL_NS6_8equal_toIdEEEENSG_9not_fun_tINSD_8identityEEEEENSD_19counting_iterator_tIlEES8_S8_S8_S8_S8_S8_S8_S8_EEEEPS9_S9_NSD_9__find_if7functorIS9_EEEE10hipError_tPvRmT1_T2_T3_mT4_P12ihipStream_tbEUlT_E1_NS1_11comp_targetILNS1_3genE5ELNS1_11target_archE942ELNS1_3gpuE9ELNS1_3repE0EEENS1_30default_config_static_selectorELNS0_4arch9wavefront6targetE1EEEvS14_.has_recursion, 0
	.set _ZN7rocprim17ROCPRIM_400000_NS6detail17trampoline_kernelINS0_14default_configENS1_22reduce_config_selectorIN6thrust23THRUST_200600_302600_NS5tupleIblNS6_9null_typeES8_S8_S8_S8_S8_S8_S8_EEEEZNS1_11reduce_implILb1ES3_NS6_12zip_iteratorINS7_INS6_11hip_rocprim26transform_input_iterator_tIbNSD_35transform_pair_of_input_iterators_tIbNS6_6detail15normal_iteratorINS6_10device_ptrIKdEEEESL_NS6_8equal_toIdEEEENSG_9not_fun_tINSD_8identityEEEEENSD_19counting_iterator_tIlEES8_S8_S8_S8_S8_S8_S8_S8_EEEEPS9_S9_NSD_9__find_if7functorIS9_EEEE10hipError_tPvRmT1_T2_T3_mT4_P12ihipStream_tbEUlT_E1_NS1_11comp_targetILNS1_3genE5ELNS1_11target_archE942ELNS1_3gpuE9ELNS1_3repE0EEENS1_30default_config_static_selectorELNS0_4arch9wavefront6targetE1EEEvS14_.has_indirect_call, 0
	.section	.AMDGPU.csdata,"",@progbits
; Kernel info:
; codeLenInByte = 0
; TotalNumSgprs: 4
; NumVgprs: 0
; ScratchSize: 0
; MemoryBound: 0
; FloatMode: 240
; IeeeMode: 1
; LDSByteSize: 0 bytes/workgroup (compile time only)
; SGPRBlocks: 0
; VGPRBlocks: 0
; NumSGPRsForWavesPerEU: 4
; NumVGPRsForWavesPerEU: 1
; Occupancy: 10
; WaveLimiterHint : 0
; COMPUTE_PGM_RSRC2:SCRATCH_EN: 0
; COMPUTE_PGM_RSRC2:USER_SGPR: 6
; COMPUTE_PGM_RSRC2:TRAP_HANDLER: 0
; COMPUTE_PGM_RSRC2:TGID_X_EN: 1
; COMPUTE_PGM_RSRC2:TGID_Y_EN: 0
; COMPUTE_PGM_RSRC2:TGID_Z_EN: 0
; COMPUTE_PGM_RSRC2:TIDIG_COMP_CNT: 0
	.section	.text._ZN7rocprim17ROCPRIM_400000_NS6detail17trampoline_kernelINS0_14default_configENS1_22reduce_config_selectorIN6thrust23THRUST_200600_302600_NS5tupleIblNS6_9null_typeES8_S8_S8_S8_S8_S8_S8_EEEEZNS1_11reduce_implILb1ES3_NS6_12zip_iteratorINS7_INS6_11hip_rocprim26transform_input_iterator_tIbNSD_35transform_pair_of_input_iterators_tIbNS6_6detail15normal_iteratorINS6_10device_ptrIKdEEEESL_NS6_8equal_toIdEEEENSG_9not_fun_tINSD_8identityEEEEENSD_19counting_iterator_tIlEES8_S8_S8_S8_S8_S8_S8_S8_EEEEPS9_S9_NSD_9__find_if7functorIS9_EEEE10hipError_tPvRmT1_T2_T3_mT4_P12ihipStream_tbEUlT_E1_NS1_11comp_targetILNS1_3genE4ELNS1_11target_archE910ELNS1_3gpuE8ELNS1_3repE0EEENS1_30default_config_static_selectorELNS0_4arch9wavefront6targetE1EEEvS14_,"axG",@progbits,_ZN7rocprim17ROCPRIM_400000_NS6detail17trampoline_kernelINS0_14default_configENS1_22reduce_config_selectorIN6thrust23THRUST_200600_302600_NS5tupleIblNS6_9null_typeES8_S8_S8_S8_S8_S8_S8_EEEEZNS1_11reduce_implILb1ES3_NS6_12zip_iteratorINS7_INS6_11hip_rocprim26transform_input_iterator_tIbNSD_35transform_pair_of_input_iterators_tIbNS6_6detail15normal_iteratorINS6_10device_ptrIKdEEEESL_NS6_8equal_toIdEEEENSG_9not_fun_tINSD_8identityEEEEENSD_19counting_iterator_tIlEES8_S8_S8_S8_S8_S8_S8_S8_EEEEPS9_S9_NSD_9__find_if7functorIS9_EEEE10hipError_tPvRmT1_T2_T3_mT4_P12ihipStream_tbEUlT_E1_NS1_11comp_targetILNS1_3genE4ELNS1_11target_archE910ELNS1_3gpuE8ELNS1_3repE0EEENS1_30default_config_static_selectorELNS0_4arch9wavefront6targetE1EEEvS14_,comdat
	.protected	_ZN7rocprim17ROCPRIM_400000_NS6detail17trampoline_kernelINS0_14default_configENS1_22reduce_config_selectorIN6thrust23THRUST_200600_302600_NS5tupleIblNS6_9null_typeES8_S8_S8_S8_S8_S8_S8_EEEEZNS1_11reduce_implILb1ES3_NS6_12zip_iteratorINS7_INS6_11hip_rocprim26transform_input_iterator_tIbNSD_35transform_pair_of_input_iterators_tIbNS6_6detail15normal_iteratorINS6_10device_ptrIKdEEEESL_NS6_8equal_toIdEEEENSG_9not_fun_tINSD_8identityEEEEENSD_19counting_iterator_tIlEES8_S8_S8_S8_S8_S8_S8_S8_EEEEPS9_S9_NSD_9__find_if7functorIS9_EEEE10hipError_tPvRmT1_T2_T3_mT4_P12ihipStream_tbEUlT_E1_NS1_11comp_targetILNS1_3genE4ELNS1_11target_archE910ELNS1_3gpuE8ELNS1_3repE0EEENS1_30default_config_static_selectorELNS0_4arch9wavefront6targetE1EEEvS14_ ; -- Begin function _ZN7rocprim17ROCPRIM_400000_NS6detail17trampoline_kernelINS0_14default_configENS1_22reduce_config_selectorIN6thrust23THRUST_200600_302600_NS5tupleIblNS6_9null_typeES8_S8_S8_S8_S8_S8_S8_EEEEZNS1_11reduce_implILb1ES3_NS6_12zip_iteratorINS7_INS6_11hip_rocprim26transform_input_iterator_tIbNSD_35transform_pair_of_input_iterators_tIbNS6_6detail15normal_iteratorINS6_10device_ptrIKdEEEESL_NS6_8equal_toIdEEEENSG_9not_fun_tINSD_8identityEEEEENSD_19counting_iterator_tIlEES8_S8_S8_S8_S8_S8_S8_S8_EEEEPS9_S9_NSD_9__find_if7functorIS9_EEEE10hipError_tPvRmT1_T2_T3_mT4_P12ihipStream_tbEUlT_E1_NS1_11comp_targetILNS1_3genE4ELNS1_11target_archE910ELNS1_3gpuE8ELNS1_3repE0EEENS1_30default_config_static_selectorELNS0_4arch9wavefront6targetE1EEEvS14_
	.globl	_ZN7rocprim17ROCPRIM_400000_NS6detail17trampoline_kernelINS0_14default_configENS1_22reduce_config_selectorIN6thrust23THRUST_200600_302600_NS5tupleIblNS6_9null_typeES8_S8_S8_S8_S8_S8_S8_EEEEZNS1_11reduce_implILb1ES3_NS6_12zip_iteratorINS7_INS6_11hip_rocprim26transform_input_iterator_tIbNSD_35transform_pair_of_input_iterators_tIbNS6_6detail15normal_iteratorINS6_10device_ptrIKdEEEESL_NS6_8equal_toIdEEEENSG_9not_fun_tINSD_8identityEEEEENSD_19counting_iterator_tIlEES8_S8_S8_S8_S8_S8_S8_S8_EEEEPS9_S9_NSD_9__find_if7functorIS9_EEEE10hipError_tPvRmT1_T2_T3_mT4_P12ihipStream_tbEUlT_E1_NS1_11comp_targetILNS1_3genE4ELNS1_11target_archE910ELNS1_3gpuE8ELNS1_3repE0EEENS1_30default_config_static_selectorELNS0_4arch9wavefront6targetE1EEEvS14_
	.p2align	8
	.type	_ZN7rocprim17ROCPRIM_400000_NS6detail17trampoline_kernelINS0_14default_configENS1_22reduce_config_selectorIN6thrust23THRUST_200600_302600_NS5tupleIblNS6_9null_typeES8_S8_S8_S8_S8_S8_S8_EEEEZNS1_11reduce_implILb1ES3_NS6_12zip_iteratorINS7_INS6_11hip_rocprim26transform_input_iterator_tIbNSD_35transform_pair_of_input_iterators_tIbNS6_6detail15normal_iteratorINS6_10device_ptrIKdEEEESL_NS6_8equal_toIdEEEENSG_9not_fun_tINSD_8identityEEEEENSD_19counting_iterator_tIlEES8_S8_S8_S8_S8_S8_S8_S8_EEEEPS9_S9_NSD_9__find_if7functorIS9_EEEE10hipError_tPvRmT1_T2_T3_mT4_P12ihipStream_tbEUlT_E1_NS1_11comp_targetILNS1_3genE4ELNS1_11target_archE910ELNS1_3gpuE8ELNS1_3repE0EEENS1_30default_config_static_selectorELNS0_4arch9wavefront6targetE1EEEvS14_,@function
_ZN7rocprim17ROCPRIM_400000_NS6detail17trampoline_kernelINS0_14default_configENS1_22reduce_config_selectorIN6thrust23THRUST_200600_302600_NS5tupleIblNS6_9null_typeES8_S8_S8_S8_S8_S8_S8_EEEEZNS1_11reduce_implILb1ES3_NS6_12zip_iteratorINS7_INS6_11hip_rocprim26transform_input_iterator_tIbNSD_35transform_pair_of_input_iterators_tIbNS6_6detail15normal_iteratorINS6_10device_ptrIKdEEEESL_NS6_8equal_toIdEEEENSG_9not_fun_tINSD_8identityEEEEENSD_19counting_iterator_tIlEES8_S8_S8_S8_S8_S8_S8_S8_EEEEPS9_S9_NSD_9__find_if7functorIS9_EEEE10hipError_tPvRmT1_T2_T3_mT4_P12ihipStream_tbEUlT_E1_NS1_11comp_targetILNS1_3genE4ELNS1_11target_archE910ELNS1_3gpuE8ELNS1_3repE0EEENS1_30default_config_static_selectorELNS0_4arch9wavefront6targetE1EEEvS14_: ; @_ZN7rocprim17ROCPRIM_400000_NS6detail17trampoline_kernelINS0_14default_configENS1_22reduce_config_selectorIN6thrust23THRUST_200600_302600_NS5tupleIblNS6_9null_typeES8_S8_S8_S8_S8_S8_S8_EEEEZNS1_11reduce_implILb1ES3_NS6_12zip_iteratorINS7_INS6_11hip_rocprim26transform_input_iterator_tIbNSD_35transform_pair_of_input_iterators_tIbNS6_6detail15normal_iteratorINS6_10device_ptrIKdEEEESL_NS6_8equal_toIdEEEENSG_9not_fun_tINSD_8identityEEEEENSD_19counting_iterator_tIlEES8_S8_S8_S8_S8_S8_S8_S8_EEEEPS9_S9_NSD_9__find_if7functorIS9_EEEE10hipError_tPvRmT1_T2_T3_mT4_P12ihipStream_tbEUlT_E1_NS1_11comp_targetILNS1_3genE4ELNS1_11target_archE910ELNS1_3gpuE8ELNS1_3repE0EEENS1_30default_config_static_selectorELNS0_4arch9wavefront6targetE1EEEvS14_
; %bb.0:
	.section	.rodata,"a",@progbits
	.p2align	6, 0x0
	.amdhsa_kernel _ZN7rocprim17ROCPRIM_400000_NS6detail17trampoline_kernelINS0_14default_configENS1_22reduce_config_selectorIN6thrust23THRUST_200600_302600_NS5tupleIblNS6_9null_typeES8_S8_S8_S8_S8_S8_S8_EEEEZNS1_11reduce_implILb1ES3_NS6_12zip_iteratorINS7_INS6_11hip_rocprim26transform_input_iterator_tIbNSD_35transform_pair_of_input_iterators_tIbNS6_6detail15normal_iteratorINS6_10device_ptrIKdEEEESL_NS6_8equal_toIdEEEENSG_9not_fun_tINSD_8identityEEEEENSD_19counting_iterator_tIlEES8_S8_S8_S8_S8_S8_S8_S8_EEEEPS9_S9_NSD_9__find_if7functorIS9_EEEE10hipError_tPvRmT1_T2_T3_mT4_P12ihipStream_tbEUlT_E1_NS1_11comp_targetILNS1_3genE4ELNS1_11target_archE910ELNS1_3gpuE8ELNS1_3repE0EEENS1_30default_config_static_selectorELNS0_4arch9wavefront6targetE1EEEvS14_
		.amdhsa_group_segment_fixed_size 0
		.amdhsa_private_segment_fixed_size 0
		.amdhsa_kernarg_size 88
		.amdhsa_user_sgpr_count 6
		.amdhsa_user_sgpr_private_segment_buffer 1
		.amdhsa_user_sgpr_dispatch_ptr 0
		.amdhsa_user_sgpr_queue_ptr 0
		.amdhsa_user_sgpr_kernarg_segment_ptr 1
		.amdhsa_user_sgpr_dispatch_id 0
		.amdhsa_user_sgpr_flat_scratch_init 0
		.amdhsa_user_sgpr_private_segment_size 0
		.amdhsa_uses_dynamic_stack 0
		.amdhsa_system_sgpr_private_segment_wavefront_offset 0
		.amdhsa_system_sgpr_workgroup_id_x 1
		.amdhsa_system_sgpr_workgroup_id_y 0
		.amdhsa_system_sgpr_workgroup_id_z 0
		.amdhsa_system_sgpr_workgroup_info 0
		.amdhsa_system_vgpr_workitem_id 0
		.amdhsa_next_free_vgpr 1
		.amdhsa_next_free_sgpr 0
		.amdhsa_reserve_vcc 0
		.amdhsa_reserve_flat_scratch 0
		.amdhsa_float_round_mode_32 0
		.amdhsa_float_round_mode_16_64 0
		.amdhsa_float_denorm_mode_32 3
		.amdhsa_float_denorm_mode_16_64 3
		.amdhsa_dx10_clamp 1
		.amdhsa_ieee_mode 1
		.amdhsa_fp16_overflow 0
		.amdhsa_exception_fp_ieee_invalid_op 0
		.amdhsa_exception_fp_denorm_src 0
		.amdhsa_exception_fp_ieee_div_zero 0
		.amdhsa_exception_fp_ieee_overflow 0
		.amdhsa_exception_fp_ieee_underflow 0
		.amdhsa_exception_fp_ieee_inexact 0
		.amdhsa_exception_int_div_zero 0
	.end_amdhsa_kernel
	.section	.text._ZN7rocprim17ROCPRIM_400000_NS6detail17trampoline_kernelINS0_14default_configENS1_22reduce_config_selectorIN6thrust23THRUST_200600_302600_NS5tupleIblNS6_9null_typeES8_S8_S8_S8_S8_S8_S8_EEEEZNS1_11reduce_implILb1ES3_NS6_12zip_iteratorINS7_INS6_11hip_rocprim26transform_input_iterator_tIbNSD_35transform_pair_of_input_iterators_tIbNS6_6detail15normal_iteratorINS6_10device_ptrIKdEEEESL_NS6_8equal_toIdEEEENSG_9not_fun_tINSD_8identityEEEEENSD_19counting_iterator_tIlEES8_S8_S8_S8_S8_S8_S8_S8_EEEEPS9_S9_NSD_9__find_if7functorIS9_EEEE10hipError_tPvRmT1_T2_T3_mT4_P12ihipStream_tbEUlT_E1_NS1_11comp_targetILNS1_3genE4ELNS1_11target_archE910ELNS1_3gpuE8ELNS1_3repE0EEENS1_30default_config_static_selectorELNS0_4arch9wavefront6targetE1EEEvS14_,"axG",@progbits,_ZN7rocprim17ROCPRIM_400000_NS6detail17trampoline_kernelINS0_14default_configENS1_22reduce_config_selectorIN6thrust23THRUST_200600_302600_NS5tupleIblNS6_9null_typeES8_S8_S8_S8_S8_S8_S8_EEEEZNS1_11reduce_implILb1ES3_NS6_12zip_iteratorINS7_INS6_11hip_rocprim26transform_input_iterator_tIbNSD_35transform_pair_of_input_iterators_tIbNS6_6detail15normal_iteratorINS6_10device_ptrIKdEEEESL_NS6_8equal_toIdEEEENSG_9not_fun_tINSD_8identityEEEEENSD_19counting_iterator_tIlEES8_S8_S8_S8_S8_S8_S8_S8_EEEEPS9_S9_NSD_9__find_if7functorIS9_EEEE10hipError_tPvRmT1_T2_T3_mT4_P12ihipStream_tbEUlT_E1_NS1_11comp_targetILNS1_3genE4ELNS1_11target_archE910ELNS1_3gpuE8ELNS1_3repE0EEENS1_30default_config_static_selectorELNS0_4arch9wavefront6targetE1EEEvS14_,comdat
.Lfunc_end437:
	.size	_ZN7rocprim17ROCPRIM_400000_NS6detail17trampoline_kernelINS0_14default_configENS1_22reduce_config_selectorIN6thrust23THRUST_200600_302600_NS5tupleIblNS6_9null_typeES8_S8_S8_S8_S8_S8_S8_EEEEZNS1_11reduce_implILb1ES3_NS6_12zip_iteratorINS7_INS6_11hip_rocprim26transform_input_iterator_tIbNSD_35transform_pair_of_input_iterators_tIbNS6_6detail15normal_iteratorINS6_10device_ptrIKdEEEESL_NS6_8equal_toIdEEEENSG_9not_fun_tINSD_8identityEEEEENSD_19counting_iterator_tIlEES8_S8_S8_S8_S8_S8_S8_S8_EEEEPS9_S9_NSD_9__find_if7functorIS9_EEEE10hipError_tPvRmT1_T2_T3_mT4_P12ihipStream_tbEUlT_E1_NS1_11comp_targetILNS1_3genE4ELNS1_11target_archE910ELNS1_3gpuE8ELNS1_3repE0EEENS1_30default_config_static_selectorELNS0_4arch9wavefront6targetE1EEEvS14_, .Lfunc_end437-_ZN7rocprim17ROCPRIM_400000_NS6detail17trampoline_kernelINS0_14default_configENS1_22reduce_config_selectorIN6thrust23THRUST_200600_302600_NS5tupleIblNS6_9null_typeES8_S8_S8_S8_S8_S8_S8_EEEEZNS1_11reduce_implILb1ES3_NS6_12zip_iteratorINS7_INS6_11hip_rocprim26transform_input_iterator_tIbNSD_35transform_pair_of_input_iterators_tIbNS6_6detail15normal_iteratorINS6_10device_ptrIKdEEEESL_NS6_8equal_toIdEEEENSG_9not_fun_tINSD_8identityEEEEENSD_19counting_iterator_tIlEES8_S8_S8_S8_S8_S8_S8_S8_EEEEPS9_S9_NSD_9__find_if7functorIS9_EEEE10hipError_tPvRmT1_T2_T3_mT4_P12ihipStream_tbEUlT_E1_NS1_11comp_targetILNS1_3genE4ELNS1_11target_archE910ELNS1_3gpuE8ELNS1_3repE0EEENS1_30default_config_static_selectorELNS0_4arch9wavefront6targetE1EEEvS14_
                                        ; -- End function
	.set _ZN7rocprim17ROCPRIM_400000_NS6detail17trampoline_kernelINS0_14default_configENS1_22reduce_config_selectorIN6thrust23THRUST_200600_302600_NS5tupleIblNS6_9null_typeES8_S8_S8_S8_S8_S8_S8_EEEEZNS1_11reduce_implILb1ES3_NS6_12zip_iteratorINS7_INS6_11hip_rocprim26transform_input_iterator_tIbNSD_35transform_pair_of_input_iterators_tIbNS6_6detail15normal_iteratorINS6_10device_ptrIKdEEEESL_NS6_8equal_toIdEEEENSG_9not_fun_tINSD_8identityEEEEENSD_19counting_iterator_tIlEES8_S8_S8_S8_S8_S8_S8_S8_EEEEPS9_S9_NSD_9__find_if7functorIS9_EEEE10hipError_tPvRmT1_T2_T3_mT4_P12ihipStream_tbEUlT_E1_NS1_11comp_targetILNS1_3genE4ELNS1_11target_archE910ELNS1_3gpuE8ELNS1_3repE0EEENS1_30default_config_static_selectorELNS0_4arch9wavefront6targetE1EEEvS14_.num_vgpr, 0
	.set _ZN7rocprim17ROCPRIM_400000_NS6detail17trampoline_kernelINS0_14default_configENS1_22reduce_config_selectorIN6thrust23THRUST_200600_302600_NS5tupleIblNS6_9null_typeES8_S8_S8_S8_S8_S8_S8_EEEEZNS1_11reduce_implILb1ES3_NS6_12zip_iteratorINS7_INS6_11hip_rocprim26transform_input_iterator_tIbNSD_35transform_pair_of_input_iterators_tIbNS6_6detail15normal_iteratorINS6_10device_ptrIKdEEEESL_NS6_8equal_toIdEEEENSG_9not_fun_tINSD_8identityEEEEENSD_19counting_iterator_tIlEES8_S8_S8_S8_S8_S8_S8_S8_EEEEPS9_S9_NSD_9__find_if7functorIS9_EEEE10hipError_tPvRmT1_T2_T3_mT4_P12ihipStream_tbEUlT_E1_NS1_11comp_targetILNS1_3genE4ELNS1_11target_archE910ELNS1_3gpuE8ELNS1_3repE0EEENS1_30default_config_static_selectorELNS0_4arch9wavefront6targetE1EEEvS14_.num_agpr, 0
	.set _ZN7rocprim17ROCPRIM_400000_NS6detail17trampoline_kernelINS0_14default_configENS1_22reduce_config_selectorIN6thrust23THRUST_200600_302600_NS5tupleIblNS6_9null_typeES8_S8_S8_S8_S8_S8_S8_EEEEZNS1_11reduce_implILb1ES3_NS6_12zip_iteratorINS7_INS6_11hip_rocprim26transform_input_iterator_tIbNSD_35transform_pair_of_input_iterators_tIbNS6_6detail15normal_iteratorINS6_10device_ptrIKdEEEESL_NS6_8equal_toIdEEEENSG_9not_fun_tINSD_8identityEEEEENSD_19counting_iterator_tIlEES8_S8_S8_S8_S8_S8_S8_S8_EEEEPS9_S9_NSD_9__find_if7functorIS9_EEEE10hipError_tPvRmT1_T2_T3_mT4_P12ihipStream_tbEUlT_E1_NS1_11comp_targetILNS1_3genE4ELNS1_11target_archE910ELNS1_3gpuE8ELNS1_3repE0EEENS1_30default_config_static_selectorELNS0_4arch9wavefront6targetE1EEEvS14_.numbered_sgpr, 0
	.set _ZN7rocprim17ROCPRIM_400000_NS6detail17trampoline_kernelINS0_14default_configENS1_22reduce_config_selectorIN6thrust23THRUST_200600_302600_NS5tupleIblNS6_9null_typeES8_S8_S8_S8_S8_S8_S8_EEEEZNS1_11reduce_implILb1ES3_NS6_12zip_iteratorINS7_INS6_11hip_rocprim26transform_input_iterator_tIbNSD_35transform_pair_of_input_iterators_tIbNS6_6detail15normal_iteratorINS6_10device_ptrIKdEEEESL_NS6_8equal_toIdEEEENSG_9not_fun_tINSD_8identityEEEEENSD_19counting_iterator_tIlEES8_S8_S8_S8_S8_S8_S8_S8_EEEEPS9_S9_NSD_9__find_if7functorIS9_EEEE10hipError_tPvRmT1_T2_T3_mT4_P12ihipStream_tbEUlT_E1_NS1_11comp_targetILNS1_3genE4ELNS1_11target_archE910ELNS1_3gpuE8ELNS1_3repE0EEENS1_30default_config_static_selectorELNS0_4arch9wavefront6targetE1EEEvS14_.num_named_barrier, 0
	.set _ZN7rocprim17ROCPRIM_400000_NS6detail17trampoline_kernelINS0_14default_configENS1_22reduce_config_selectorIN6thrust23THRUST_200600_302600_NS5tupleIblNS6_9null_typeES8_S8_S8_S8_S8_S8_S8_EEEEZNS1_11reduce_implILb1ES3_NS6_12zip_iteratorINS7_INS6_11hip_rocprim26transform_input_iterator_tIbNSD_35transform_pair_of_input_iterators_tIbNS6_6detail15normal_iteratorINS6_10device_ptrIKdEEEESL_NS6_8equal_toIdEEEENSG_9not_fun_tINSD_8identityEEEEENSD_19counting_iterator_tIlEES8_S8_S8_S8_S8_S8_S8_S8_EEEEPS9_S9_NSD_9__find_if7functorIS9_EEEE10hipError_tPvRmT1_T2_T3_mT4_P12ihipStream_tbEUlT_E1_NS1_11comp_targetILNS1_3genE4ELNS1_11target_archE910ELNS1_3gpuE8ELNS1_3repE0EEENS1_30default_config_static_selectorELNS0_4arch9wavefront6targetE1EEEvS14_.private_seg_size, 0
	.set _ZN7rocprim17ROCPRIM_400000_NS6detail17trampoline_kernelINS0_14default_configENS1_22reduce_config_selectorIN6thrust23THRUST_200600_302600_NS5tupleIblNS6_9null_typeES8_S8_S8_S8_S8_S8_S8_EEEEZNS1_11reduce_implILb1ES3_NS6_12zip_iteratorINS7_INS6_11hip_rocprim26transform_input_iterator_tIbNSD_35transform_pair_of_input_iterators_tIbNS6_6detail15normal_iteratorINS6_10device_ptrIKdEEEESL_NS6_8equal_toIdEEEENSG_9not_fun_tINSD_8identityEEEEENSD_19counting_iterator_tIlEES8_S8_S8_S8_S8_S8_S8_S8_EEEEPS9_S9_NSD_9__find_if7functorIS9_EEEE10hipError_tPvRmT1_T2_T3_mT4_P12ihipStream_tbEUlT_E1_NS1_11comp_targetILNS1_3genE4ELNS1_11target_archE910ELNS1_3gpuE8ELNS1_3repE0EEENS1_30default_config_static_selectorELNS0_4arch9wavefront6targetE1EEEvS14_.uses_vcc, 0
	.set _ZN7rocprim17ROCPRIM_400000_NS6detail17trampoline_kernelINS0_14default_configENS1_22reduce_config_selectorIN6thrust23THRUST_200600_302600_NS5tupleIblNS6_9null_typeES8_S8_S8_S8_S8_S8_S8_EEEEZNS1_11reduce_implILb1ES3_NS6_12zip_iteratorINS7_INS6_11hip_rocprim26transform_input_iterator_tIbNSD_35transform_pair_of_input_iterators_tIbNS6_6detail15normal_iteratorINS6_10device_ptrIKdEEEESL_NS6_8equal_toIdEEEENSG_9not_fun_tINSD_8identityEEEEENSD_19counting_iterator_tIlEES8_S8_S8_S8_S8_S8_S8_S8_EEEEPS9_S9_NSD_9__find_if7functorIS9_EEEE10hipError_tPvRmT1_T2_T3_mT4_P12ihipStream_tbEUlT_E1_NS1_11comp_targetILNS1_3genE4ELNS1_11target_archE910ELNS1_3gpuE8ELNS1_3repE0EEENS1_30default_config_static_selectorELNS0_4arch9wavefront6targetE1EEEvS14_.uses_flat_scratch, 0
	.set _ZN7rocprim17ROCPRIM_400000_NS6detail17trampoline_kernelINS0_14default_configENS1_22reduce_config_selectorIN6thrust23THRUST_200600_302600_NS5tupleIblNS6_9null_typeES8_S8_S8_S8_S8_S8_S8_EEEEZNS1_11reduce_implILb1ES3_NS6_12zip_iteratorINS7_INS6_11hip_rocprim26transform_input_iterator_tIbNSD_35transform_pair_of_input_iterators_tIbNS6_6detail15normal_iteratorINS6_10device_ptrIKdEEEESL_NS6_8equal_toIdEEEENSG_9not_fun_tINSD_8identityEEEEENSD_19counting_iterator_tIlEES8_S8_S8_S8_S8_S8_S8_S8_EEEEPS9_S9_NSD_9__find_if7functorIS9_EEEE10hipError_tPvRmT1_T2_T3_mT4_P12ihipStream_tbEUlT_E1_NS1_11comp_targetILNS1_3genE4ELNS1_11target_archE910ELNS1_3gpuE8ELNS1_3repE0EEENS1_30default_config_static_selectorELNS0_4arch9wavefront6targetE1EEEvS14_.has_dyn_sized_stack, 0
	.set _ZN7rocprim17ROCPRIM_400000_NS6detail17trampoline_kernelINS0_14default_configENS1_22reduce_config_selectorIN6thrust23THRUST_200600_302600_NS5tupleIblNS6_9null_typeES8_S8_S8_S8_S8_S8_S8_EEEEZNS1_11reduce_implILb1ES3_NS6_12zip_iteratorINS7_INS6_11hip_rocprim26transform_input_iterator_tIbNSD_35transform_pair_of_input_iterators_tIbNS6_6detail15normal_iteratorINS6_10device_ptrIKdEEEESL_NS6_8equal_toIdEEEENSG_9not_fun_tINSD_8identityEEEEENSD_19counting_iterator_tIlEES8_S8_S8_S8_S8_S8_S8_S8_EEEEPS9_S9_NSD_9__find_if7functorIS9_EEEE10hipError_tPvRmT1_T2_T3_mT4_P12ihipStream_tbEUlT_E1_NS1_11comp_targetILNS1_3genE4ELNS1_11target_archE910ELNS1_3gpuE8ELNS1_3repE0EEENS1_30default_config_static_selectorELNS0_4arch9wavefront6targetE1EEEvS14_.has_recursion, 0
	.set _ZN7rocprim17ROCPRIM_400000_NS6detail17trampoline_kernelINS0_14default_configENS1_22reduce_config_selectorIN6thrust23THRUST_200600_302600_NS5tupleIblNS6_9null_typeES8_S8_S8_S8_S8_S8_S8_EEEEZNS1_11reduce_implILb1ES3_NS6_12zip_iteratorINS7_INS6_11hip_rocprim26transform_input_iterator_tIbNSD_35transform_pair_of_input_iterators_tIbNS6_6detail15normal_iteratorINS6_10device_ptrIKdEEEESL_NS6_8equal_toIdEEEENSG_9not_fun_tINSD_8identityEEEEENSD_19counting_iterator_tIlEES8_S8_S8_S8_S8_S8_S8_S8_EEEEPS9_S9_NSD_9__find_if7functorIS9_EEEE10hipError_tPvRmT1_T2_T3_mT4_P12ihipStream_tbEUlT_E1_NS1_11comp_targetILNS1_3genE4ELNS1_11target_archE910ELNS1_3gpuE8ELNS1_3repE0EEENS1_30default_config_static_selectorELNS0_4arch9wavefront6targetE1EEEvS14_.has_indirect_call, 0
	.section	.AMDGPU.csdata,"",@progbits
; Kernel info:
; codeLenInByte = 0
; TotalNumSgprs: 4
; NumVgprs: 0
; ScratchSize: 0
; MemoryBound: 0
; FloatMode: 240
; IeeeMode: 1
; LDSByteSize: 0 bytes/workgroup (compile time only)
; SGPRBlocks: 0
; VGPRBlocks: 0
; NumSGPRsForWavesPerEU: 4
; NumVGPRsForWavesPerEU: 1
; Occupancy: 10
; WaveLimiterHint : 0
; COMPUTE_PGM_RSRC2:SCRATCH_EN: 0
; COMPUTE_PGM_RSRC2:USER_SGPR: 6
; COMPUTE_PGM_RSRC2:TRAP_HANDLER: 0
; COMPUTE_PGM_RSRC2:TGID_X_EN: 1
; COMPUTE_PGM_RSRC2:TGID_Y_EN: 0
; COMPUTE_PGM_RSRC2:TGID_Z_EN: 0
; COMPUTE_PGM_RSRC2:TIDIG_COMP_CNT: 0
	.section	.text._ZN7rocprim17ROCPRIM_400000_NS6detail17trampoline_kernelINS0_14default_configENS1_22reduce_config_selectorIN6thrust23THRUST_200600_302600_NS5tupleIblNS6_9null_typeES8_S8_S8_S8_S8_S8_S8_EEEEZNS1_11reduce_implILb1ES3_NS6_12zip_iteratorINS7_INS6_11hip_rocprim26transform_input_iterator_tIbNSD_35transform_pair_of_input_iterators_tIbNS6_6detail15normal_iteratorINS6_10device_ptrIKdEEEESL_NS6_8equal_toIdEEEENSG_9not_fun_tINSD_8identityEEEEENSD_19counting_iterator_tIlEES8_S8_S8_S8_S8_S8_S8_S8_EEEEPS9_S9_NSD_9__find_if7functorIS9_EEEE10hipError_tPvRmT1_T2_T3_mT4_P12ihipStream_tbEUlT_E1_NS1_11comp_targetILNS1_3genE3ELNS1_11target_archE908ELNS1_3gpuE7ELNS1_3repE0EEENS1_30default_config_static_selectorELNS0_4arch9wavefront6targetE1EEEvS14_,"axG",@progbits,_ZN7rocprim17ROCPRIM_400000_NS6detail17trampoline_kernelINS0_14default_configENS1_22reduce_config_selectorIN6thrust23THRUST_200600_302600_NS5tupleIblNS6_9null_typeES8_S8_S8_S8_S8_S8_S8_EEEEZNS1_11reduce_implILb1ES3_NS6_12zip_iteratorINS7_INS6_11hip_rocprim26transform_input_iterator_tIbNSD_35transform_pair_of_input_iterators_tIbNS6_6detail15normal_iteratorINS6_10device_ptrIKdEEEESL_NS6_8equal_toIdEEEENSG_9not_fun_tINSD_8identityEEEEENSD_19counting_iterator_tIlEES8_S8_S8_S8_S8_S8_S8_S8_EEEEPS9_S9_NSD_9__find_if7functorIS9_EEEE10hipError_tPvRmT1_T2_T3_mT4_P12ihipStream_tbEUlT_E1_NS1_11comp_targetILNS1_3genE3ELNS1_11target_archE908ELNS1_3gpuE7ELNS1_3repE0EEENS1_30default_config_static_selectorELNS0_4arch9wavefront6targetE1EEEvS14_,comdat
	.protected	_ZN7rocprim17ROCPRIM_400000_NS6detail17trampoline_kernelINS0_14default_configENS1_22reduce_config_selectorIN6thrust23THRUST_200600_302600_NS5tupleIblNS6_9null_typeES8_S8_S8_S8_S8_S8_S8_EEEEZNS1_11reduce_implILb1ES3_NS6_12zip_iteratorINS7_INS6_11hip_rocprim26transform_input_iterator_tIbNSD_35transform_pair_of_input_iterators_tIbNS6_6detail15normal_iteratorINS6_10device_ptrIKdEEEESL_NS6_8equal_toIdEEEENSG_9not_fun_tINSD_8identityEEEEENSD_19counting_iterator_tIlEES8_S8_S8_S8_S8_S8_S8_S8_EEEEPS9_S9_NSD_9__find_if7functorIS9_EEEE10hipError_tPvRmT1_T2_T3_mT4_P12ihipStream_tbEUlT_E1_NS1_11comp_targetILNS1_3genE3ELNS1_11target_archE908ELNS1_3gpuE7ELNS1_3repE0EEENS1_30default_config_static_selectorELNS0_4arch9wavefront6targetE1EEEvS14_ ; -- Begin function _ZN7rocprim17ROCPRIM_400000_NS6detail17trampoline_kernelINS0_14default_configENS1_22reduce_config_selectorIN6thrust23THRUST_200600_302600_NS5tupleIblNS6_9null_typeES8_S8_S8_S8_S8_S8_S8_EEEEZNS1_11reduce_implILb1ES3_NS6_12zip_iteratorINS7_INS6_11hip_rocprim26transform_input_iterator_tIbNSD_35transform_pair_of_input_iterators_tIbNS6_6detail15normal_iteratorINS6_10device_ptrIKdEEEESL_NS6_8equal_toIdEEEENSG_9not_fun_tINSD_8identityEEEEENSD_19counting_iterator_tIlEES8_S8_S8_S8_S8_S8_S8_S8_EEEEPS9_S9_NSD_9__find_if7functorIS9_EEEE10hipError_tPvRmT1_T2_T3_mT4_P12ihipStream_tbEUlT_E1_NS1_11comp_targetILNS1_3genE3ELNS1_11target_archE908ELNS1_3gpuE7ELNS1_3repE0EEENS1_30default_config_static_selectorELNS0_4arch9wavefront6targetE1EEEvS14_
	.globl	_ZN7rocprim17ROCPRIM_400000_NS6detail17trampoline_kernelINS0_14default_configENS1_22reduce_config_selectorIN6thrust23THRUST_200600_302600_NS5tupleIblNS6_9null_typeES8_S8_S8_S8_S8_S8_S8_EEEEZNS1_11reduce_implILb1ES3_NS6_12zip_iteratorINS7_INS6_11hip_rocprim26transform_input_iterator_tIbNSD_35transform_pair_of_input_iterators_tIbNS6_6detail15normal_iteratorINS6_10device_ptrIKdEEEESL_NS6_8equal_toIdEEEENSG_9not_fun_tINSD_8identityEEEEENSD_19counting_iterator_tIlEES8_S8_S8_S8_S8_S8_S8_S8_EEEEPS9_S9_NSD_9__find_if7functorIS9_EEEE10hipError_tPvRmT1_T2_T3_mT4_P12ihipStream_tbEUlT_E1_NS1_11comp_targetILNS1_3genE3ELNS1_11target_archE908ELNS1_3gpuE7ELNS1_3repE0EEENS1_30default_config_static_selectorELNS0_4arch9wavefront6targetE1EEEvS14_
	.p2align	8
	.type	_ZN7rocprim17ROCPRIM_400000_NS6detail17trampoline_kernelINS0_14default_configENS1_22reduce_config_selectorIN6thrust23THRUST_200600_302600_NS5tupleIblNS6_9null_typeES8_S8_S8_S8_S8_S8_S8_EEEEZNS1_11reduce_implILb1ES3_NS6_12zip_iteratorINS7_INS6_11hip_rocprim26transform_input_iterator_tIbNSD_35transform_pair_of_input_iterators_tIbNS6_6detail15normal_iteratorINS6_10device_ptrIKdEEEESL_NS6_8equal_toIdEEEENSG_9not_fun_tINSD_8identityEEEEENSD_19counting_iterator_tIlEES8_S8_S8_S8_S8_S8_S8_S8_EEEEPS9_S9_NSD_9__find_if7functorIS9_EEEE10hipError_tPvRmT1_T2_T3_mT4_P12ihipStream_tbEUlT_E1_NS1_11comp_targetILNS1_3genE3ELNS1_11target_archE908ELNS1_3gpuE7ELNS1_3repE0EEENS1_30default_config_static_selectorELNS0_4arch9wavefront6targetE1EEEvS14_,@function
_ZN7rocprim17ROCPRIM_400000_NS6detail17trampoline_kernelINS0_14default_configENS1_22reduce_config_selectorIN6thrust23THRUST_200600_302600_NS5tupleIblNS6_9null_typeES8_S8_S8_S8_S8_S8_S8_EEEEZNS1_11reduce_implILb1ES3_NS6_12zip_iteratorINS7_INS6_11hip_rocprim26transform_input_iterator_tIbNSD_35transform_pair_of_input_iterators_tIbNS6_6detail15normal_iteratorINS6_10device_ptrIKdEEEESL_NS6_8equal_toIdEEEENSG_9not_fun_tINSD_8identityEEEEENSD_19counting_iterator_tIlEES8_S8_S8_S8_S8_S8_S8_S8_EEEEPS9_S9_NSD_9__find_if7functorIS9_EEEE10hipError_tPvRmT1_T2_T3_mT4_P12ihipStream_tbEUlT_E1_NS1_11comp_targetILNS1_3genE3ELNS1_11target_archE908ELNS1_3gpuE7ELNS1_3repE0EEENS1_30default_config_static_selectorELNS0_4arch9wavefront6targetE1EEEvS14_: ; @_ZN7rocprim17ROCPRIM_400000_NS6detail17trampoline_kernelINS0_14default_configENS1_22reduce_config_selectorIN6thrust23THRUST_200600_302600_NS5tupleIblNS6_9null_typeES8_S8_S8_S8_S8_S8_S8_EEEEZNS1_11reduce_implILb1ES3_NS6_12zip_iteratorINS7_INS6_11hip_rocprim26transform_input_iterator_tIbNSD_35transform_pair_of_input_iterators_tIbNS6_6detail15normal_iteratorINS6_10device_ptrIKdEEEESL_NS6_8equal_toIdEEEENSG_9not_fun_tINSD_8identityEEEEENSD_19counting_iterator_tIlEES8_S8_S8_S8_S8_S8_S8_S8_EEEEPS9_S9_NSD_9__find_if7functorIS9_EEEE10hipError_tPvRmT1_T2_T3_mT4_P12ihipStream_tbEUlT_E1_NS1_11comp_targetILNS1_3genE3ELNS1_11target_archE908ELNS1_3gpuE7ELNS1_3repE0EEENS1_30default_config_static_selectorELNS0_4arch9wavefront6targetE1EEEvS14_
; %bb.0:
	.section	.rodata,"a",@progbits
	.p2align	6, 0x0
	.amdhsa_kernel _ZN7rocprim17ROCPRIM_400000_NS6detail17trampoline_kernelINS0_14default_configENS1_22reduce_config_selectorIN6thrust23THRUST_200600_302600_NS5tupleIblNS6_9null_typeES8_S8_S8_S8_S8_S8_S8_EEEEZNS1_11reduce_implILb1ES3_NS6_12zip_iteratorINS7_INS6_11hip_rocprim26transform_input_iterator_tIbNSD_35transform_pair_of_input_iterators_tIbNS6_6detail15normal_iteratorINS6_10device_ptrIKdEEEESL_NS6_8equal_toIdEEEENSG_9not_fun_tINSD_8identityEEEEENSD_19counting_iterator_tIlEES8_S8_S8_S8_S8_S8_S8_S8_EEEEPS9_S9_NSD_9__find_if7functorIS9_EEEE10hipError_tPvRmT1_T2_T3_mT4_P12ihipStream_tbEUlT_E1_NS1_11comp_targetILNS1_3genE3ELNS1_11target_archE908ELNS1_3gpuE7ELNS1_3repE0EEENS1_30default_config_static_selectorELNS0_4arch9wavefront6targetE1EEEvS14_
		.amdhsa_group_segment_fixed_size 0
		.amdhsa_private_segment_fixed_size 0
		.amdhsa_kernarg_size 88
		.amdhsa_user_sgpr_count 6
		.amdhsa_user_sgpr_private_segment_buffer 1
		.amdhsa_user_sgpr_dispatch_ptr 0
		.amdhsa_user_sgpr_queue_ptr 0
		.amdhsa_user_sgpr_kernarg_segment_ptr 1
		.amdhsa_user_sgpr_dispatch_id 0
		.amdhsa_user_sgpr_flat_scratch_init 0
		.amdhsa_user_sgpr_private_segment_size 0
		.amdhsa_uses_dynamic_stack 0
		.amdhsa_system_sgpr_private_segment_wavefront_offset 0
		.amdhsa_system_sgpr_workgroup_id_x 1
		.amdhsa_system_sgpr_workgroup_id_y 0
		.amdhsa_system_sgpr_workgroup_id_z 0
		.amdhsa_system_sgpr_workgroup_info 0
		.amdhsa_system_vgpr_workitem_id 0
		.amdhsa_next_free_vgpr 1
		.amdhsa_next_free_sgpr 0
		.amdhsa_reserve_vcc 0
		.amdhsa_reserve_flat_scratch 0
		.amdhsa_float_round_mode_32 0
		.amdhsa_float_round_mode_16_64 0
		.amdhsa_float_denorm_mode_32 3
		.amdhsa_float_denorm_mode_16_64 3
		.amdhsa_dx10_clamp 1
		.amdhsa_ieee_mode 1
		.amdhsa_fp16_overflow 0
		.amdhsa_exception_fp_ieee_invalid_op 0
		.amdhsa_exception_fp_denorm_src 0
		.amdhsa_exception_fp_ieee_div_zero 0
		.amdhsa_exception_fp_ieee_overflow 0
		.amdhsa_exception_fp_ieee_underflow 0
		.amdhsa_exception_fp_ieee_inexact 0
		.amdhsa_exception_int_div_zero 0
	.end_amdhsa_kernel
	.section	.text._ZN7rocprim17ROCPRIM_400000_NS6detail17trampoline_kernelINS0_14default_configENS1_22reduce_config_selectorIN6thrust23THRUST_200600_302600_NS5tupleIblNS6_9null_typeES8_S8_S8_S8_S8_S8_S8_EEEEZNS1_11reduce_implILb1ES3_NS6_12zip_iteratorINS7_INS6_11hip_rocprim26transform_input_iterator_tIbNSD_35transform_pair_of_input_iterators_tIbNS6_6detail15normal_iteratorINS6_10device_ptrIKdEEEESL_NS6_8equal_toIdEEEENSG_9not_fun_tINSD_8identityEEEEENSD_19counting_iterator_tIlEES8_S8_S8_S8_S8_S8_S8_S8_EEEEPS9_S9_NSD_9__find_if7functorIS9_EEEE10hipError_tPvRmT1_T2_T3_mT4_P12ihipStream_tbEUlT_E1_NS1_11comp_targetILNS1_3genE3ELNS1_11target_archE908ELNS1_3gpuE7ELNS1_3repE0EEENS1_30default_config_static_selectorELNS0_4arch9wavefront6targetE1EEEvS14_,"axG",@progbits,_ZN7rocprim17ROCPRIM_400000_NS6detail17trampoline_kernelINS0_14default_configENS1_22reduce_config_selectorIN6thrust23THRUST_200600_302600_NS5tupleIblNS6_9null_typeES8_S8_S8_S8_S8_S8_S8_EEEEZNS1_11reduce_implILb1ES3_NS6_12zip_iteratorINS7_INS6_11hip_rocprim26transform_input_iterator_tIbNSD_35transform_pair_of_input_iterators_tIbNS6_6detail15normal_iteratorINS6_10device_ptrIKdEEEESL_NS6_8equal_toIdEEEENSG_9not_fun_tINSD_8identityEEEEENSD_19counting_iterator_tIlEES8_S8_S8_S8_S8_S8_S8_S8_EEEEPS9_S9_NSD_9__find_if7functorIS9_EEEE10hipError_tPvRmT1_T2_T3_mT4_P12ihipStream_tbEUlT_E1_NS1_11comp_targetILNS1_3genE3ELNS1_11target_archE908ELNS1_3gpuE7ELNS1_3repE0EEENS1_30default_config_static_selectorELNS0_4arch9wavefront6targetE1EEEvS14_,comdat
.Lfunc_end438:
	.size	_ZN7rocprim17ROCPRIM_400000_NS6detail17trampoline_kernelINS0_14default_configENS1_22reduce_config_selectorIN6thrust23THRUST_200600_302600_NS5tupleIblNS6_9null_typeES8_S8_S8_S8_S8_S8_S8_EEEEZNS1_11reduce_implILb1ES3_NS6_12zip_iteratorINS7_INS6_11hip_rocprim26transform_input_iterator_tIbNSD_35transform_pair_of_input_iterators_tIbNS6_6detail15normal_iteratorINS6_10device_ptrIKdEEEESL_NS6_8equal_toIdEEEENSG_9not_fun_tINSD_8identityEEEEENSD_19counting_iterator_tIlEES8_S8_S8_S8_S8_S8_S8_S8_EEEEPS9_S9_NSD_9__find_if7functorIS9_EEEE10hipError_tPvRmT1_T2_T3_mT4_P12ihipStream_tbEUlT_E1_NS1_11comp_targetILNS1_3genE3ELNS1_11target_archE908ELNS1_3gpuE7ELNS1_3repE0EEENS1_30default_config_static_selectorELNS0_4arch9wavefront6targetE1EEEvS14_, .Lfunc_end438-_ZN7rocprim17ROCPRIM_400000_NS6detail17trampoline_kernelINS0_14default_configENS1_22reduce_config_selectorIN6thrust23THRUST_200600_302600_NS5tupleIblNS6_9null_typeES8_S8_S8_S8_S8_S8_S8_EEEEZNS1_11reduce_implILb1ES3_NS6_12zip_iteratorINS7_INS6_11hip_rocprim26transform_input_iterator_tIbNSD_35transform_pair_of_input_iterators_tIbNS6_6detail15normal_iteratorINS6_10device_ptrIKdEEEESL_NS6_8equal_toIdEEEENSG_9not_fun_tINSD_8identityEEEEENSD_19counting_iterator_tIlEES8_S8_S8_S8_S8_S8_S8_S8_EEEEPS9_S9_NSD_9__find_if7functorIS9_EEEE10hipError_tPvRmT1_T2_T3_mT4_P12ihipStream_tbEUlT_E1_NS1_11comp_targetILNS1_3genE3ELNS1_11target_archE908ELNS1_3gpuE7ELNS1_3repE0EEENS1_30default_config_static_selectorELNS0_4arch9wavefront6targetE1EEEvS14_
                                        ; -- End function
	.set _ZN7rocprim17ROCPRIM_400000_NS6detail17trampoline_kernelINS0_14default_configENS1_22reduce_config_selectorIN6thrust23THRUST_200600_302600_NS5tupleIblNS6_9null_typeES8_S8_S8_S8_S8_S8_S8_EEEEZNS1_11reduce_implILb1ES3_NS6_12zip_iteratorINS7_INS6_11hip_rocprim26transform_input_iterator_tIbNSD_35transform_pair_of_input_iterators_tIbNS6_6detail15normal_iteratorINS6_10device_ptrIKdEEEESL_NS6_8equal_toIdEEEENSG_9not_fun_tINSD_8identityEEEEENSD_19counting_iterator_tIlEES8_S8_S8_S8_S8_S8_S8_S8_EEEEPS9_S9_NSD_9__find_if7functorIS9_EEEE10hipError_tPvRmT1_T2_T3_mT4_P12ihipStream_tbEUlT_E1_NS1_11comp_targetILNS1_3genE3ELNS1_11target_archE908ELNS1_3gpuE7ELNS1_3repE0EEENS1_30default_config_static_selectorELNS0_4arch9wavefront6targetE1EEEvS14_.num_vgpr, 0
	.set _ZN7rocprim17ROCPRIM_400000_NS6detail17trampoline_kernelINS0_14default_configENS1_22reduce_config_selectorIN6thrust23THRUST_200600_302600_NS5tupleIblNS6_9null_typeES8_S8_S8_S8_S8_S8_S8_EEEEZNS1_11reduce_implILb1ES3_NS6_12zip_iteratorINS7_INS6_11hip_rocprim26transform_input_iterator_tIbNSD_35transform_pair_of_input_iterators_tIbNS6_6detail15normal_iteratorINS6_10device_ptrIKdEEEESL_NS6_8equal_toIdEEEENSG_9not_fun_tINSD_8identityEEEEENSD_19counting_iterator_tIlEES8_S8_S8_S8_S8_S8_S8_S8_EEEEPS9_S9_NSD_9__find_if7functorIS9_EEEE10hipError_tPvRmT1_T2_T3_mT4_P12ihipStream_tbEUlT_E1_NS1_11comp_targetILNS1_3genE3ELNS1_11target_archE908ELNS1_3gpuE7ELNS1_3repE0EEENS1_30default_config_static_selectorELNS0_4arch9wavefront6targetE1EEEvS14_.num_agpr, 0
	.set _ZN7rocprim17ROCPRIM_400000_NS6detail17trampoline_kernelINS0_14default_configENS1_22reduce_config_selectorIN6thrust23THRUST_200600_302600_NS5tupleIblNS6_9null_typeES8_S8_S8_S8_S8_S8_S8_EEEEZNS1_11reduce_implILb1ES3_NS6_12zip_iteratorINS7_INS6_11hip_rocprim26transform_input_iterator_tIbNSD_35transform_pair_of_input_iterators_tIbNS6_6detail15normal_iteratorINS6_10device_ptrIKdEEEESL_NS6_8equal_toIdEEEENSG_9not_fun_tINSD_8identityEEEEENSD_19counting_iterator_tIlEES8_S8_S8_S8_S8_S8_S8_S8_EEEEPS9_S9_NSD_9__find_if7functorIS9_EEEE10hipError_tPvRmT1_T2_T3_mT4_P12ihipStream_tbEUlT_E1_NS1_11comp_targetILNS1_3genE3ELNS1_11target_archE908ELNS1_3gpuE7ELNS1_3repE0EEENS1_30default_config_static_selectorELNS0_4arch9wavefront6targetE1EEEvS14_.numbered_sgpr, 0
	.set _ZN7rocprim17ROCPRIM_400000_NS6detail17trampoline_kernelINS0_14default_configENS1_22reduce_config_selectorIN6thrust23THRUST_200600_302600_NS5tupleIblNS6_9null_typeES8_S8_S8_S8_S8_S8_S8_EEEEZNS1_11reduce_implILb1ES3_NS6_12zip_iteratorINS7_INS6_11hip_rocprim26transform_input_iterator_tIbNSD_35transform_pair_of_input_iterators_tIbNS6_6detail15normal_iteratorINS6_10device_ptrIKdEEEESL_NS6_8equal_toIdEEEENSG_9not_fun_tINSD_8identityEEEEENSD_19counting_iterator_tIlEES8_S8_S8_S8_S8_S8_S8_S8_EEEEPS9_S9_NSD_9__find_if7functorIS9_EEEE10hipError_tPvRmT1_T2_T3_mT4_P12ihipStream_tbEUlT_E1_NS1_11comp_targetILNS1_3genE3ELNS1_11target_archE908ELNS1_3gpuE7ELNS1_3repE0EEENS1_30default_config_static_selectorELNS0_4arch9wavefront6targetE1EEEvS14_.num_named_barrier, 0
	.set _ZN7rocprim17ROCPRIM_400000_NS6detail17trampoline_kernelINS0_14default_configENS1_22reduce_config_selectorIN6thrust23THRUST_200600_302600_NS5tupleIblNS6_9null_typeES8_S8_S8_S8_S8_S8_S8_EEEEZNS1_11reduce_implILb1ES3_NS6_12zip_iteratorINS7_INS6_11hip_rocprim26transform_input_iterator_tIbNSD_35transform_pair_of_input_iterators_tIbNS6_6detail15normal_iteratorINS6_10device_ptrIKdEEEESL_NS6_8equal_toIdEEEENSG_9not_fun_tINSD_8identityEEEEENSD_19counting_iterator_tIlEES8_S8_S8_S8_S8_S8_S8_S8_EEEEPS9_S9_NSD_9__find_if7functorIS9_EEEE10hipError_tPvRmT1_T2_T3_mT4_P12ihipStream_tbEUlT_E1_NS1_11comp_targetILNS1_3genE3ELNS1_11target_archE908ELNS1_3gpuE7ELNS1_3repE0EEENS1_30default_config_static_selectorELNS0_4arch9wavefront6targetE1EEEvS14_.private_seg_size, 0
	.set _ZN7rocprim17ROCPRIM_400000_NS6detail17trampoline_kernelINS0_14default_configENS1_22reduce_config_selectorIN6thrust23THRUST_200600_302600_NS5tupleIblNS6_9null_typeES8_S8_S8_S8_S8_S8_S8_EEEEZNS1_11reduce_implILb1ES3_NS6_12zip_iteratorINS7_INS6_11hip_rocprim26transform_input_iterator_tIbNSD_35transform_pair_of_input_iterators_tIbNS6_6detail15normal_iteratorINS6_10device_ptrIKdEEEESL_NS6_8equal_toIdEEEENSG_9not_fun_tINSD_8identityEEEEENSD_19counting_iterator_tIlEES8_S8_S8_S8_S8_S8_S8_S8_EEEEPS9_S9_NSD_9__find_if7functorIS9_EEEE10hipError_tPvRmT1_T2_T3_mT4_P12ihipStream_tbEUlT_E1_NS1_11comp_targetILNS1_3genE3ELNS1_11target_archE908ELNS1_3gpuE7ELNS1_3repE0EEENS1_30default_config_static_selectorELNS0_4arch9wavefront6targetE1EEEvS14_.uses_vcc, 0
	.set _ZN7rocprim17ROCPRIM_400000_NS6detail17trampoline_kernelINS0_14default_configENS1_22reduce_config_selectorIN6thrust23THRUST_200600_302600_NS5tupleIblNS6_9null_typeES8_S8_S8_S8_S8_S8_S8_EEEEZNS1_11reduce_implILb1ES3_NS6_12zip_iteratorINS7_INS6_11hip_rocprim26transform_input_iterator_tIbNSD_35transform_pair_of_input_iterators_tIbNS6_6detail15normal_iteratorINS6_10device_ptrIKdEEEESL_NS6_8equal_toIdEEEENSG_9not_fun_tINSD_8identityEEEEENSD_19counting_iterator_tIlEES8_S8_S8_S8_S8_S8_S8_S8_EEEEPS9_S9_NSD_9__find_if7functorIS9_EEEE10hipError_tPvRmT1_T2_T3_mT4_P12ihipStream_tbEUlT_E1_NS1_11comp_targetILNS1_3genE3ELNS1_11target_archE908ELNS1_3gpuE7ELNS1_3repE0EEENS1_30default_config_static_selectorELNS0_4arch9wavefront6targetE1EEEvS14_.uses_flat_scratch, 0
	.set _ZN7rocprim17ROCPRIM_400000_NS6detail17trampoline_kernelINS0_14default_configENS1_22reduce_config_selectorIN6thrust23THRUST_200600_302600_NS5tupleIblNS6_9null_typeES8_S8_S8_S8_S8_S8_S8_EEEEZNS1_11reduce_implILb1ES3_NS6_12zip_iteratorINS7_INS6_11hip_rocprim26transform_input_iterator_tIbNSD_35transform_pair_of_input_iterators_tIbNS6_6detail15normal_iteratorINS6_10device_ptrIKdEEEESL_NS6_8equal_toIdEEEENSG_9not_fun_tINSD_8identityEEEEENSD_19counting_iterator_tIlEES8_S8_S8_S8_S8_S8_S8_S8_EEEEPS9_S9_NSD_9__find_if7functorIS9_EEEE10hipError_tPvRmT1_T2_T3_mT4_P12ihipStream_tbEUlT_E1_NS1_11comp_targetILNS1_3genE3ELNS1_11target_archE908ELNS1_3gpuE7ELNS1_3repE0EEENS1_30default_config_static_selectorELNS0_4arch9wavefront6targetE1EEEvS14_.has_dyn_sized_stack, 0
	.set _ZN7rocprim17ROCPRIM_400000_NS6detail17trampoline_kernelINS0_14default_configENS1_22reduce_config_selectorIN6thrust23THRUST_200600_302600_NS5tupleIblNS6_9null_typeES8_S8_S8_S8_S8_S8_S8_EEEEZNS1_11reduce_implILb1ES3_NS6_12zip_iteratorINS7_INS6_11hip_rocprim26transform_input_iterator_tIbNSD_35transform_pair_of_input_iterators_tIbNS6_6detail15normal_iteratorINS6_10device_ptrIKdEEEESL_NS6_8equal_toIdEEEENSG_9not_fun_tINSD_8identityEEEEENSD_19counting_iterator_tIlEES8_S8_S8_S8_S8_S8_S8_S8_EEEEPS9_S9_NSD_9__find_if7functorIS9_EEEE10hipError_tPvRmT1_T2_T3_mT4_P12ihipStream_tbEUlT_E1_NS1_11comp_targetILNS1_3genE3ELNS1_11target_archE908ELNS1_3gpuE7ELNS1_3repE0EEENS1_30default_config_static_selectorELNS0_4arch9wavefront6targetE1EEEvS14_.has_recursion, 0
	.set _ZN7rocprim17ROCPRIM_400000_NS6detail17trampoline_kernelINS0_14default_configENS1_22reduce_config_selectorIN6thrust23THRUST_200600_302600_NS5tupleIblNS6_9null_typeES8_S8_S8_S8_S8_S8_S8_EEEEZNS1_11reduce_implILb1ES3_NS6_12zip_iteratorINS7_INS6_11hip_rocprim26transform_input_iterator_tIbNSD_35transform_pair_of_input_iterators_tIbNS6_6detail15normal_iteratorINS6_10device_ptrIKdEEEESL_NS6_8equal_toIdEEEENSG_9not_fun_tINSD_8identityEEEEENSD_19counting_iterator_tIlEES8_S8_S8_S8_S8_S8_S8_S8_EEEEPS9_S9_NSD_9__find_if7functorIS9_EEEE10hipError_tPvRmT1_T2_T3_mT4_P12ihipStream_tbEUlT_E1_NS1_11comp_targetILNS1_3genE3ELNS1_11target_archE908ELNS1_3gpuE7ELNS1_3repE0EEENS1_30default_config_static_selectorELNS0_4arch9wavefront6targetE1EEEvS14_.has_indirect_call, 0
	.section	.AMDGPU.csdata,"",@progbits
; Kernel info:
; codeLenInByte = 0
; TotalNumSgprs: 4
; NumVgprs: 0
; ScratchSize: 0
; MemoryBound: 0
; FloatMode: 240
; IeeeMode: 1
; LDSByteSize: 0 bytes/workgroup (compile time only)
; SGPRBlocks: 0
; VGPRBlocks: 0
; NumSGPRsForWavesPerEU: 4
; NumVGPRsForWavesPerEU: 1
; Occupancy: 10
; WaveLimiterHint : 0
; COMPUTE_PGM_RSRC2:SCRATCH_EN: 0
; COMPUTE_PGM_RSRC2:USER_SGPR: 6
; COMPUTE_PGM_RSRC2:TRAP_HANDLER: 0
; COMPUTE_PGM_RSRC2:TGID_X_EN: 1
; COMPUTE_PGM_RSRC2:TGID_Y_EN: 0
; COMPUTE_PGM_RSRC2:TGID_Z_EN: 0
; COMPUTE_PGM_RSRC2:TIDIG_COMP_CNT: 0
	.section	.text._ZN7rocprim17ROCPRIM_400000_NS6detail17trampoline_kernelINS0_14default_configENS1_22reduce_config_selectorIN6thrust23THRUST_200600_302600_NS5tupleIblNS6_9null_typeES8_S8_S8_S8_S8_S8_S8_EEEEZNS1_11reduce_implILb1ES3_NS6_12zip_iteratorINS7_INS6_11hip_rocprim26transform_input_iterator_tIbNSD_35transform_pair_of_input_iterators_tIbNS6_6detail15normal_iteratorINS6_10device_ptrIKdEEEESL_NS6_8equal_toIdEEEENSG_9not_fun_tINSD_8identityEEEEENSD_19counting_iterator_tIlEES8_S8_S8_S8_S8_S8_S8_S8_EEEEPS9_S9_NSD_9__find_if7functorIS9_EEEE10hipError_tPvRmT1_T2_T3_mT4_P12ihipStream_tbEUlT_E1_NS1_11comp_targetILNS1_3genE2ELNS1_11target_archE906ELNS1_3gpuE6ELNS1_3repE0EEENS1_30default_config_static_selectorELNS0_4arch9wavefront6targetE1EEEvS14_,"axG",@progbits,_ZN7rocprim17ROCPRIM_400000_NS6detail17trampoline_kernelINS0_14default_configENS1_22reduce_config_selectorIN6thrust23THRUST_200600_302600_NS5tupleIblNS6_9null_typeES8_S8_S8_S8_S8_S8_S8_EEEEZNS1_11reduce_implILb1ES3_NS6_12zip_iteratorINS7_INS6_11hip_rocprim26transform_input_iterator_tIbNSD_35transform_pair_of_input_iterators_tIbNS6_6detail15normal_iteratorINS6_10device_ptrIKdEEEESL_NS6_8equal_toIdEEEENSG_9not_fun_tINSD_8identityEEEEENSD_19counting_iterator_tIlEES8_S8_S8_S8_S8_S8_S8_S8_EEEEPS9_S9_NSD_9__find_if7functorIS9_EEEE10hipError_tPvRmT1_T2_T3_mT4_P12ihipStream_tbEUlT_E1_NS1_11comp_targetILNS1_3genE2ELNS1_11target_archE906ELNS1_3gpuE6ELNS1_3repE0EEENS1_30default_config_static_selectorELNS0_4arch9wavefront6targetE1EEEvS14_,comdat
	.protected	_ZN7rocprim17ROCPRIM_400000_NS6detail17trampoline_kernelINS0_14default_configENS1_22reduce_config_selectorIN6thrust23THRUST_200600_302600_NS5tupleIblNS6_9null_typeES8_S8_S8_S8_S8_S8_S8_EEEEZNS1_11reduce_implILb1ES3_NS6_12zip_iteratorINS7_INS6_11hip_rocprim26transform_input_iterator_tIbNSD_35transform_pair_of_input_iterators_tIbNS6_6detail15normal_iteratorINS6_10device_ptrIKdEEEESL_NS6_8equal_toIdEEEENSG_9not_fun_tINSD_8identityEEEEENSD_19counting_iterator_tIlEES8_S8_S8_S8_S8_S8_S8_S8_EEEEPS9_S9_NSD_9__find_if7functorIS9_EEEE10hipError_tPvRmT1_T2_T3_mT4_P12ihipStream_tbEUlT_E1_NS1_11comp_targetILNS1_3genE2ELNS1_11target_archE906ELNS1_3gpuE6ELNS1_3repE0EEENS1_30default_config_static_selectorELNS0_4arch9wavefront6targetE1EEEvS14_ ; -- Begin function _ZN7rocprim17ROCPRIM_400000_NS6detail17trampoline_kernelINS0_14default_configENS1_22reduce_config_selectorIN6thrust23THRUST_200600_302600_NS5tupleIblNS6_9null_typeES8_S8_S8_S8_S8_S8_S8_EEEEZNS1_11reduce_implILb1ES3_NS6_12zip_iteratorINS7_INS6_11hip_rocprim26transform_input_iterator_tIbNSD_35transform_pair_of_input_iterators_tIbNS6_6detail15normal_iteratorINS6_10device_ptrIKdEEEESL_NS6_8equal_toIdEEEENSG_9not_fun_tINSD_8identityEEEEENSD_19counting_iterator_tIlEES8_S8_S8_S8_S8_S8_S8_S8_EEEEPS9_S9_NSD_9__find_if7functorIS9_EEEE10hipError_tPvRmT1_T2_T3_mT4_P12ihipStream_tbEUlT_E1_NS1_11comp_targetILNS1_3genE2ELNS1_11target_archE906ELNS1_3gpuE6ELNS1_3repE0EEENS1_30default_config_static_selectorELNS0_4arch9wavefront6targetE1EEEvS14_
	.globl	_ZN7rocprim17ROCPRIM_400000_NS6detail17trampoline_kernelINS0_14default_configENS1_22reduce_config_selectorIN6thrust23THRUST_200600_302600_NS5tupleIblNS6_9null_typeES8_S8_S8_S8_S8_S8_S8_EEEEZNS1_11reduce_implILb1ES3_NS6_12zip_iteratorINS7_INS6_11hip_rocprim26transform_input_iterator_tIbNSD_35transform_pair_of_input_iterators_tIbNS6_6detail15normal_iteratorINS6_10device_ptrIKdEEEESL_NS6_8equal_toIdEEEENSG_9not_fun_tINSD_8identityEEEEENSD_19counting_iterator_tIlEES8_S8_S8_S8_S8_S8_S8_S8_EEEEPS9_S9_NSD_9__find_if7functorIS9_EEEE10hipError_tPvRmT1_T2_T3_mT4_P12ihipStream_tbEUlT_E1_NS1_11comp_targetILNS1_3genE2ELNS1_11target_archE906ELNS1_3gpuE6ELNS1_3repE0EEENS1_30default_config_static_selectorELNS0_4arch9wavefront6targetE1EEEvS14_
	.p2align	8
	.type	_ZN7rocprim17ROCPRIM_400000_NS6detail17trampoline_kernelINS0_14default_configENS1_22reduce_config_selectorIN6thrust23THRUST_200600_302600_NS5tupleIblNS6_9null_typeES8_S8_S8_S8_S8_S8_S8_EEEEZNS1_11reduce_implILb1ES3_NS6_12zip_iteratorINS7_INS6_11hip_rocprim26transform_input_iterator_tIbNSD_35transform_pair_of_input_iterators_tIbNS6_6detail15normal_iteratorINS6_10device_ptrIKdEEEESL_NS6_8equal_toIdEEEENSG_9not_fun_tINSD_8identityEEEEENSD_19counting_iterator_tIlEES8_S8_S8_S8_S8_S8_S8_S8_EEEEPS9_S9_NSD_9__find_if7functorIS9_EEEE10hipError_tPvRmT1_T2_T3_mT4_P12ihipStream_tbEUlT_E1_NS1_11comp_targetILNS1_3genE2ELNS1_11target_archE906ELNS1_3gpuE6ELNS1_3repE0EEENS1_30default_config_static_selectorELNS0_4arch9wavefront6targetE1EEEvS14_,@function
_ZN7rocprim17ROCPRIM_400000_NS6detail17trampoline_kernelINS0_14default_configENS1_22reduce_config_selectorIN6thrust23THRUST_200600_302600_NS5tupleIblNS6_9null_typeES8_S8_S8_S8_S8_S8_S8_EEEEZNS1_11reduce_implILb1ES3_NS6_12zip_iteratorINS7_INS6_11hip_rocprim26transform_input_iterator_tIbNSD_35transform_pair_of_input_iterators_tIbNS6_6detail15normal_iteratorINS6_10device_ptrIKdEEEESL_NS6_8equal_toIdEEEENSG_9not_fun_tINSD_8identityEEEEENSD_19counting_iterator_tIlEES8_S8_S8_S8_S8_S8_S8_S8_EEEEPS9_S9_NSD_9__find_if7functorIS9_EEEE10hipError_tPvRmT1_T2_T3_mT4_P12ihipStream_tbEUlT_E1_NS1_11comp_targetILNS1_3genE2ELNS1_11target_archE906ELNS1_3gpuE6ELNS1_3repE0EEENS1_30default_config_static_selectorELNS0_4arch9wavefront6targetE1EEEvS14_: ; @_ZN7rocprim17ROCPRIM_400000_NS6detail17trampoline_kernelINS0_14default_configENS1_22reduce_config_selectorIN6thrust23THRUST_200600_302600_NS5tupleIblNS6_9null_typeES8_S8_S8_S8_S8_S8_S8_EEEEZNS1_11reduce_implILb1ES3_NS6_12zip_iteratorINS7_INS6_11hip_rocprim26transform_input_iterator_tIbNSD_35transform_pair_of_input_iterators_tIbNS6_6detail15normal_iteratorINS6_10device_ptrIKdEEEESL_NS6_8equal_toIdEEEENSG_9not_fun_tINSD_8identityEEEEENSD_19counting_iterator_tIlEES8_S8_S8_S8_S8_S8_S8_S8_EEEEPS9_S9_NSD_9__find_if7functorIS9_EEEE10hipError_tPvRmT1_T2_T3_mT4_P12ihipStream_tbEUlT_E1_NS1_11comp_targetILNS1_3genE2ELNS1_11target_archE906ELNS1_3gpuE6ELNS1_3repE0EEENS1_30default_config_static_selectorELNS0_4arch9wavefront6targetE1EEEvS14_
; %bb.0:
	s_load_dword s38, s[4:5], 0x4
	s_load_dwordx4 s[24:27], s[4:5], 0x8
	s_load_dwordx4 s[20:23], s[4:5], 0x28
	s_load_dword s33, s[4:5], 0x40
	s_load_dwordx2 s[28:29], s[4:5], 0x48
	s_waitcnt lgkmcnt(0)
	s_cmp_lt_i32 s38, 4
	s_cbranch_scc1 .LBB439_13
; %bb.1:
	s_cmp_gt_i32 s38, 7
	s_cbranch_scc0 .LBB439_14
; %bb.2:
	s_cmp_eq_u32 s38, 8
	s_mov_b64 s[30:31], 0
	s_cbranch_scc0 .LBB439_15
; %bb.3:
	s_mov_b32 s7, 0
	s_lshl_b32 s36, s6, 10
	s_mov_b32 s37, s7
	s_lshr_b64 s[0:1], s[22:23], 10
	s_lshl_b64 s[2:3], s[36:37], 3
	s_add_u32 s18, s24, s2
	s_addc_u32 s19, s25, s3
	s_add_u32 s34, s26, s2
	s_addc_u32 s35, s27, s3
	;; [unrolled: 2-line block ×3, first 2 shown]
	s_cmp_lg_u64 s[0:1], s[6:7]
	s_cbranch_scc0 .LBB439_28
; %bb.4:
	v_lshlrev_b32_e32 v17, 3, v0
	global_load_dwordx2 v[1:2], v17, s[34:35] offset:1024
	global_load_dwordx2 v[3:4], v17, s[18:19] offset:1024
	;; [unrolled: 1-line block ×4, first 2 shown]
	global_load_dwordx2 v[9:10], v17, s[18:19]
	global_load_dwordx2 v[11:12], v17, s[34:35] offset:2048
	global_load_dwordx2 v[13:14], v17, s[34:35] offset:3072
	global_load_dwordx2 v[15:16], v17, s[34:35]
	v_mov_b32_e32 v18, s19
	v_add_co_u32_e32 v20, vcc, s18, v17
	v_addc_co_u32_e32 v18, vcc, 0, v18, vcc
	v_mov_b32_e32 v19, s35
	v_add_co_u32_e32 v23, vcc, s34, v17
	s_movk_i32 s0, 0x1000
	v_addc_co_u32_e32 v24, vcc, 0, v19, vcc
	v_add_co_u32_e32 v17, vcc, s0, v20
	v_addc_co_u32_e32 v18, vcc, 0, v18, vcc
	v_add_co_u32_e32 v19, vcc, s0, v23
	v_addc_co_u32_e32 v20, vcc, 0, v24, vcc
	v_mov_b32_e32 v21, 0x100
	v_mov_b32_e32 v22, 0x80
	s_waitcnt vmcnt(6)
	v_cmp_neq_f64_e32 vcc, v[3:4], v[1:2]
	global_load_dwordx2 v[1:2], v[17:18], off
	global_load_dwordx2 v[3:4], v[19:20], off
	s_waitcnt vmcnt(4)
	v_cmp_neq_f64_e64 s[2:3], v[5:6], v[11:12]
	s_waitcnt vmcnt(3)
	v_cmp_neq_f64_e64 s[8:9], v[7:8], v[13:14]
	;; [unrolled: 2-line block ×3, first 2 shown]
	v_mov_b32_e32 v7, s41
	v_cndmask_b32_e32 v23, v21, v22, vcc
	global_load_dwordx2 v[9:10], v[17:18], off offset:1024
	global_load_dwordx2 v[15:16], v[17:18], off offset:2048
	global_load_dwordx2 v[21:22], v[17:18], off offset:3072
	global_load_dwordx2 v[5:6], v[19:20], off offset:2048
	global_load_dwordx2 v[11:12], v[19:20], off offset:3072
	s_nop 0
	global_load_dwordx2 v[17:18], v[19:20], off offset:1024
	v_mov_b32_e32 v19, 0x200
	v_mov_b32_e32 v20, 0x180
	;; [unrolled: 1-line block ×5, first 2 shown]
	s_waitcnt vmcnt(6)
	v_cmp_neq_f64_e64 s[10:11], v[1:2], v[3:4]
	v_add_co_u32_e64 v2, s[12:13], s40, v0
	v_addc_co_u32_e64 v4, s[12:13], 0, v7, s[12:13]
	v_cndmask_b32_e64 v7, v23, 0, s[0:1]
	s_or_b64 s[0:1], s[0:1], vcc
	s_waitcnt vmcnt(2)
	v_cmp_neq_f64_e64 s[12:13], v[15:16], v[5:6]
	v_mbcnt_lo_u32_b32 v1, -1, 0
	s_waitcnt vmcnt(0)
	v_cmp_neq_f64_e64 s[16:17], v[9:10], v[17:18]
	v_cmp_neq_f64_e64 s[14:15], v[21:22], v[11:12]
	s_or_b64 vcc, s[0:1], s[2:3]
	v_mbcnt_hi_u32_b32 v3, -1, v1
	v_cndmask_b32_e64 v1, v19, v20, s[8:9]
	s_or_b64 s[0:1], vcc, s[8:9]
	v_cndmask_b32_e32 v1, v1, v7, vcc
	s_or_b64 vcc, s[0:1], s[10:11]
	v_cndmask_b32_e64 v5, v8, v13, s[16:17]
	s_or_b64 s[0:1], vcc, s[16:17]
	v_cndmask_b32_e32 v1, v5, v1, vcc
	s_or_b64 vcc, s[0:1], s[12:13]
	v_cndmask_b32_e32 v1, v14, v1, vcc
	v_add_co_u32_e64 v1, s[0:1], v2, v1
	v_addc_co_u32_e64 v2, s[0:1], 0, v4, s[0:1]
	s_or_b64 s[0:1], vcc, s[14:15]
	v_mov_b32_dpp v4, v1 quad_perm:[1,0,3,2] row_mask:0xf bank_mask:0xf bound_ctrl:1
	v_mov_b32_dpp v5, v2 quad_perm:[1,0,3,2] row_mask:0xf bank_mask:0xf bound_ctrl:1
	v_cndmask_b32_e64 v6, 0, 1, s[0:1]
	v_cmp_lt_i64_e32 vcc, v[1:2], v[4:5]
	s_and_b64 vcc, s[0:1], vcc
	v_mov_b32_dpp v7, v6 quad_perm:[1,0,3,2] row_mask:0xf bank_mask:0xf bound_ctrl:1
	v_and_b32_e32 v7, 1, v7
	v_cndmask_b32_e32 v4, v4, v1, vcc
	v_cndmask_b32_e32 v5, v5, v2, vcc
	v_cmp_eq_u32_e32 vcc, 1, v7
	v_cndmask_b32_e32 v2, v2, v5, vcc
	v_cndmask_b32_e32 v1, v1, v4, vcc
	v_cndmask_b32_e64 v6, v6, 1, vcc
	v_mov_b32_dpp v5, v2 quad_perm:[2,3,0,1] row_mask:0xf bank_mask:0xf bound_ctrl:1
	v_mov_b32_dpp v4, v1 quad_perm:[2,3,0,1] row_mask:0xf bank_mask:0xf bound_ctrl:1
	v_and_b32_e32 v8, 1, v6
	v_cmp_lt_i64_e64 s[0:1], v[1:2], v[4:5]
	v_mov_b32_dpp v7, v6 quad_perm:[2,3,0,1] row_mask:0xf bank_mask:0xf bound_ctrl:1
	v_cmp_eq_u32_e32 vcc, 1, v8
	v_and_b32_e32 v7, 1, v7
	s_and_b64 vcc, vcc, s[0:1]
	v_cmp_eq_u32_e64 s[2:3], 1, v7
	v_cndmask_b32_e32 v4, v4, v1, vcc
	v_cndmask_b32_e32 v5, v5, v2, vcc
	v_cndmask_b32_e64 v1, v1, v4, s[2:3]
	v_cndmask_b32_e64 v2, v2, v5, s[2:3]
	;; [unrolled: 1-line block ×3, first 2 shown]
	v_mov_b32_dpp v4, v1 row_ror:4 row_mask:0xf bank_mask:0xf bound_ctrl:1
	v_mov_b32_dpp v5, v2 row_ror:4 row_mask:0xf bank_mask:0xf bound_ctrl:1
	v_and_b32_e32 v8, 1, v6
	v_cmp_lt_i64_e64 s[0:1], v[1:2], v[4:5]
	v_mov_b32_dpp v7, v6 row_ror:4 row_mask:0xf bank_mask:0xf bound_ctrl:1
	v_cmp_eq_u32_e32 vcc, 1, v8
	v_and_b32_e32 v7, 1, v7
	s_and_b64 vcc, vcc, s[0:1]
	v_cmp_eq_u32_e64 s[2:3], 1, v7
	v_cndmask_b32_e32 v4, v4, v1, vcc
	v_cndmask_b32_e32 v5, v5, v2, vcc
	v_cndmask_b32_e64 v2, v2, v5, s[2:3]
	v_cndmask_b32_e64 v1, v1, v4, s[2:3]
	;; [unrolled: 1-line block ×3, first 2 shown]
	v_mov_b32_dpp v5, v2 row_ror:8 row_mask:0xf bank_mask:0xf bound_ctrl:1
	v_mov_b32_dpp v4, v1 row_ror:8 row_mask:0xf bank_mask:0xf bound_ctrl:1
	v_and_b32_e32 v8, 1, v6
	v_cmp_lt_i64_e64 s[0:1], v[1:2], v[4:5]
	v_mov_b32_dpp v7, v6 row_ror:8 row_mask:0xf bank_mask:0xf bound_ctrl:1
	v_cmp_eq_u32_e32 vcc, 1, v8
	v_and_b32_e32 v7, 1, v7
	s_and_b64 vcc, vcc, s[0:1]
	v_cmp_eq_u32_e64 s[2:3], 1, v7
	v_cndmask_b32_e32 v4, v4, v1, vcc
	v_cndmask_b32_e32 v5, v5, v2, vcc
	v_cndmask_b32_e64 v2, v2, v5, s[2:3]
	v_cndmask_b32_e64 v1, v1, v4, s[2:3]
	v_cndmask_b32_e64 v6, v6, 1, s[2:3]
	v_mov_b32_dpp v5, v2 row_bcast:15 row_mask:0xf bank_mask:0xf bound_ctrl:1
	v_mov_b32_dpp v4, v1 row_bcast:15 row_mask:0xf bank_mask:0xf bound_ctrl:1
	v_and_b32_e32 v8, 1, v6
	v_cmp_lt_i64_e64 s[0:1], v[1:2], v[4:5]
	v_mov_b32_dpp v7, v6 row_bcast:15 row_mask:0xf bank_mask:0xf bound_ctrl:1
	v_cmp_eq_u32_e32 vcc, 1, v8
	v_and_b32_e32 v7, 1, v7
	s_and_b64 vcc, vcc, s[0:1]
	v_cmp_eq_u32_e64 s[2:3], 1, v7
	v_cndmask_b32_e32 v4, v4, v1, vcc
	v_cndmask_b32_e32 v5, v5, v2, vcc
	v_cndmask_b32_e64 v2, v2, v5, s[2:3]
	v_cndmask_b32_e64 v1, v1, v4, s[2:3]
	;; [unrolled: 1-line block ×3, first 2 shown]
	v_mov_b32_dpp v5, v2 row_bcast:31 row_mask:0xf bank_mask:0xf bound_ctrl:1
	v_mov_b32_dpp v4, v1 row_bcast:31 row_mask:0xf bank_mask:0xf bound_ctrl:1
	v_and_b32_e32 v8, 1, v6
	v_cmp_lt_i64_e64 s[0:1], v[1:2], v[4:5]
	v_mov_b32_dpp v7, v6 row_bcast:31 row_mask:0xf bank_mask:0xf bound_ctrl:1
	v_cmp_eq_u32_e32 vcc, 1, v8
	v_and_b32_e32 v7, 1, v7
	s_and_b64 vcc, vcc, s[0:1]
	v_cmp_eq_u32_e64 s[2:3], 1, v7
	v_cndmask_b32_e32 v5, v5, v2, vcc
	v_cndmask_b32_e32 v4, v4, v1, vcc
	v_cndmask_b32_e64 v2, v2, v5, s[2:3]
	v_lshlrev_b32_e32 v5, 2, v3
	v_cndmask_b32_e64 v6, v6, 1, s[2:3]
	v_cndmask_b32_e64 v1, v1, v4, s[2:3]
	v_or_b32_e32 v4, 0xfc, v5
	ds_bpermute_b32 v17, v4, v6
	ds_bpermute_b32 v1, v4, v1
	ds_bpermute_b32 v2, v4, v2
	v_cmp_eq_u32_e32 vcc, 0, v3
	s_and_saveexec_b64 s[0:1], vcc
	s_cbranch_execz .LBB439_6
; %bb.5:
	v_lshrrev_b32_e32 v4, 2, v0
	v_and_b32_e32 v4, 16, v4
	s_waitcnt lgkmcnt(2)
	ds_write_b8 v4, v17 offset:96
	s_waitcnt lgkmcnt(1)
	ds_write_b64 v4, v[1:2] offset:104
.LBB439_6:
	s_or_b64 exec, exec, s[0:1]
	v_cmp_gt_u32_e32 vcc, 64, v0
	s_waitcnt lgkmcnt(0)
	s_barrier
	s_and_saveexec_b64 s[0:1], vcc
	s_cbranch_execz .LBB439_12
; %bb.7:
	v_and_b32_e32 v1, 1, v3
	v_lshlrev_b32_e32 v1, 4, v1
	ds_read_u8 v7, v1 offset:96
	ds_read_b64 v[3:4], v1 offset:104
	v_or_b32_e32 v2, 4, v5
	s_waitcnt lgkmcnt(1)
	v_and_b32_e32 v1, 0xff, v7
	ds_bpermute_b32 v8, v2, v1
	s_waitcnt lgkmcnt(1)
	ds_bpermute_b32 v5, v2, v3
	ds_bpermute_b32 v6, v2, v4
	s_waitcnt lgkmcnt(2)
	v_and_b32_e32 v1, v7, v8
	v_and_b32_e32 v1, 1, v1
	v_cmp_eq_u32_e32 vcc, 1, v1
                                        ; implicit-def: $vgpr1_vgpr2
	s_and_saveexec_b64 s[2:3], vcc
	s_xor_b64 s[2:3], exec, s[2:3]
	s_cbranch_execz .LBB439_9
; %bb.8:
	s_waitcnt lgkmcnt(0)
	v_cmp_lt_i64_e32 vcc, v[5:6], v[3:4]
                                        ; implicit-def: $vgpr7
                                        ; implicit-def: $vgpr8
	v_cndmask_b32_e32 v2, v4, v6, vcc
	v_cndmask_b32_e32 v1, v3, v5, vcc
                                        ; implicit-def: $vgpr5_vgpr6
                                        ; implicit-def: $vgpr3_vgpr4
.LBB439_9:
	s_or_saveexec_b64 s[2:3], s[2:3]
	v_mov_b32_e32 v17, 1
	s_xor_b64 exec, exec, s[2:3]
	s_cbranch_execz .LBB439_11
; %bb.10:
	v_and_b32_e32 v1, 1, v7
	v_cmp_eq_u32_e32 vcc, 1, v1
	s_waitcnt lgkmcnt(0)
	v_cndmask_b32_e32 v2, v6, v4, vcc
	v_cndmask_b32_e32 v1, v5, v3, vcc
	v_cndmask_b32_e64 v17, v8, 1, vcc
.LBB439_11:
	s_or_b64 exec, exec, s[2:3]
.LBB439_12:
	s_or_b64 exec, exec, s[0:1]
	s_branch .LBB439_145
.LBB439_13:
	s_mov_b64 s[14:15], 0
                                        ; implicit-def: $vgpr3_vgpr4
                                        ; implicit-def: $vgpr5
                                        ; implicit-def: $vgpr1_vgpr2
	s_cbranch_execnz .LBB439_219
	s_branch .LBB439_306
.LBB439_14:
	s_mov_b64 s[30:31], -1
.LBB439_15:
	s_mov_b64 s[14:15], 0
                                        ; implicit-def: $vgpr3_vgpr4
                                        ; implicit-def: $vgpr5
                                        ; implicit-def: $vgpr1_vgpr2
	s_and_b64 vcc, exec, s[30:31]
	s_cbranch_vccz .LBB439_150
.LBB439_16:
	s_cmp_eq_u32 s38, 4
	s_cbranch_scc0 .LBB439_27
; %bb.17:
	s_mov_b32 s7, 0
	s_lshl_b32 s30, s6, 9
	s_mov_b32 s31, s7
	s_lshr_b64 s[0:1], s[22:23], 9
	s_lshl_b64 s[2:3], s[30:31], 3
	s_add_u32 s16, s24, s2
	s_addc_u32 s17, s25, s3
	s_add_u32 s18, s26, s2
	s_addc_u32 s19, s27, s3
	;; [unrolled: 2-line block ×3, first 2 shown]
	s_cmp_lg_u64 s[0:1], s[6:7]
	s_cbranch_scc0 .LBB439_51
; %bb.18:
	s_waitcnt lgkmcnt(1)
	v_lshlrev_b32_e32 v5, 3, v0
	global_load_dwordx2 v[1:2], v5, s[18:19] offset:1024
	s_waitcnt lgkmcnt(0)
	global_load_dwordx2 v[3:4], v5, s[18:19] offset:2048
	global_load_dwordx2 v[6:7], v5, s[18:19] offset:3072
	global_load_dwordx2 v[8:9], v5, s[18:19]
	global_load_dwordx2 v[10:11], v5, s[16:17] offset:1024
	global_load_dwordx2 v[12:13], v5, s[16:17] offset:2048
	;; [unrolled: 1-line block ×3, first 2 shown]
	global_load_dwordx2 v[16:17], v5, s[16:17]
	v_mov_b32_e32 v5, s34
	v_mov_b32_e32 v18, 0x100
	;; [unrolled: 1-line block ×4, first 2 shown]
	v_mbcnt_lo_u32_b32 v21, -1, 0
	s_waitcnt vmcnt(3)
	v_cmp_neq_f64_e32 vcc, v[10:11], v[1:2]
	s_waitcnt vmcnt(2)
	v_cmp_neq_f64_e64 s[2:3], v[12:13], v[3:4]
	v_add_co_u32_e64 v2, s[8:9], s31, v0
	s_waitcnt vmcnt(0)
	v_cmp_neq_f64_e64 s[0:1], v[16:17], v[8:9]
	v_addc_co_u32_e64 v4, s[8:9], 0, v5, s[8:9]
	v_cmp_neq_f64_e64 s[8:9], v[14:15], v[6:7]
	v_cndmask_b32_e32 v1, v18, v19, vcc
	v_mbcnt_hi_u32_b32 v3, -1, v21
	v_lshlrev_b32_e32 v5, 2, v3
	v_or_b32_e32 v8, 0xfc, v5
	v_cndmask_b32_e64 v1, v1, 0, s[0:1]
	s_or_b64 s[0:1], s[0:1], vcc
	s_or_b64 vcc, s[0:1], s[2:3]
	v_cndmask_b32_e32 v1, v20, v1, vcc
	v_add_co_u32_e64 v1, s[0:1], v2, v1
	v_addc_co_u32_e64 v2, s[0:1], 0, v4, s[0:1]
	s_or_b64 s[0:1], vcc, s[8:9]
	v_mov_b32_dpp v6, v1 quad_perm:[1,0,3,2] row_mask:0xf bank_mask:0xf bound_ctrl:1
	v_mov_b32_dpp v7, v2 quad_perm:[1,0,3,2] row_mask:0xf bank_mask:0xf bound_ctrl:1
	v_cndmask_b32_e64 v4, 0, 1, s[0:1]
	v_cmp_lt_i64_e32 vcc, v[1:2], v[6:7]
	s_and_b64 vcc, s[0:1], vcc
	v_mov_b32_dpp v9, v4 quad_perm:[1,0,3,2] row_mask:0xf bank_mask:0xf bound_ctrl:1
	v_and_b32_e32 v9, 1, v9
	v_cndmask_b32_e32 v6, v6, v1, vcc
	v_cndmask_b32_e32 v7, v7, v2, vcc
	v_cmp_eq_u32_e32 vcc, 1, v9
	v_cndmask_b32_e32 v2, v2, v7, vcc
	v_cndmask_b32_e32 v1, v1, v6, vcc
	v_cndmask_b32_e64 v4, v4, 1, vcc
	v_mov_b32_dpp v7, v2 quad_perm:[2,3,0,1] row_mask:0xf bank_mask:0xf bound_ctrl:1
	v_mov_b32_dpp v6, v1 quad_perm:[2,3,0,1] row_mask:0xf bank_mask:0xf bound_ctrl:1
	v_and_b32_e32 v10, 1, v4
	v_cmp_lt_i64_e64 s[0:1], v[1:2], v[6:7]
	v_mov_b32_dpp v9, v4 quad_perm:[2,3,0,1] row_mask:0xf bank_mask:0xf bound_ctrl:1
	v_cmp_eq_u32_e32 vcc, 1, v10
	v_and_b32_e32 v9, 1, v9
	s_and_b64 vcc, vcc, s[0:1]
	v_cmp_eq_u32_e64 s[2:3], 1, v9
	v_cndmask_b32_e32 v6, v6, v1, vcc
	v_cndmask_b32_e32 v7, v7, v2, vcc
	v_cndmask_b32_e64 v1, v1, v6, s[2:3]
	v_cndmask_b32_e64 v2, v2, v7, s[2:3]
	v_cndmask_b32_e64 v4, v4, 1, s[2:3]
	v_mov_b32_dpp v6, v1 row_ror:4 row_mask:0xf bank_mask:0xf bound_ctrl:1
	v_mov_b32_dpp v7, v2 row_ror:4 row_mask:0xf bank_mask:0xf bound_ctrl:1
	v_and_b32_e32 v10, 1, v4
	v_cmp_lt_i64_e64 s[2:3], v[1:2], v[6:7]
	v_mov_b32_dpp v9, v4 row_ror:4 row_mask:0xf bank_mask:0xf bound_ctrl:1
	v_cmp_eq_u32_e32 vcc, 1, v10
	v_and_b32_e32 v9, 1, v9
	s_and_b64 vcc, vcc, s[2:3]
	v_cmp_eq_u32_e64 s[0:1], 1, v9
	v_cndmask_b32_e32 v6, v6, v1, vcc
	v_cndmask_b32_e32 v7, v7, v2, vcc
	v_cndmask_b32_e64 v1, v1, v6, s[0:1]
	v_cndmask_b32_e64 v2, v2, v7, s[0:1]
	;; [unrolled: 1-line block ×3, first 2 shown]
	v_mov_b32_dpp v6, v1 row_ror:8 row_mask:0xf bank_mask:0xf bound_ctrl:1
	v_mov_b32_dpp v7, v2 row_ror:8 row_mask:0xf bank_mask:0xf bound_ctrl:1
	v_and_b32_e32 v10, 1, v4
	v_cmp_lt_i64_e64 s[2:3], v[1:2], v[6:7]
	v_mov_b32_dpp v9, v4 row_ror:8 row_mask:0xf bank_mask:0xf bound_ctrl:1
	v_cmp_eq_u32_e64 s[8:9], 1, v10
	v_and_b32_e32 v9, 1, v9
	s_and_b64 s[2:3], s[8:9], s[2:3]
	v_cmp_eq_u32_e64 s[10:11], 1, v9
	v_cndmask_b32_e64 v6, v6, v1, s[2:3]
	v_cndmask_b32_e64 v7, v7, v2, s[2:3]
	v_cndmask_b32_e64 v1, v1, v6, s[10:11]
	v_cndmask_b32_e64 v2, v2, v7, s[10:11]
	v_cndmask_b32_e64 v4, v4, 1, s[10:11]
	v_mov_b32_dpp v6, v1 row_bcast:15 row_mask:0xf bank_mask:0xf bound_ctrl:1
	v_mov_b32_dpp v7, v2 row_bcast:15 row_mask:0xf bank_mask:0xf bound_ctrl:1
	v_and_b32_e32 v10, 1, v4
	v_cmp_lt_i64_e64 s[2:3], v[1:2], v[6:7]
	v_mov_b32_dpp v9, v4 row_bcast:15 row_mask:0xf bank_mask:0xf bound_ctrl:1
	v_cmp_eq_u32_e32 vcc, 1, v10
	v_and_b32_e32 v9, 1, v9
	s_and_b64 vcc, vcc, s[2:3]
	v_cmp_eq_u32_e64 s[0:1], 1, v9
	v_cndmask_b32_e32 v6, v6, v1, vcc
	v_cndmask_b32_e32 v7, v7, v2, vcc
	v_cndmask_b32_e64 v4, v4, 1, s[0:1]
	v_cndmask_b32_e64 v1, v1, v6, s[0:1]
	;; [unrolled: 1-line block ×3, first 2 shown]
	v_mov_b32_dpp v9, v4 row_bcast:31 row_mask:0xf bank_mask:0xf bound_ctrl:1
	v_mov_b32_dpp v6, v1 row_bcast:31 row_mask:0xf bank_mask:0xf bound_ctrl:1
	;; [unrolled: 1-line block ×3, first 2 shown]
	v_and_b32_e32 v10, 1, v4
	v_and_b32_e32 v9, 1, v9
	v_cmp_lt_i64_e32 vcc, v[1:2], v[6:7]
	v_cmp_eq_u32_e64 s[12:13], 1, v10
	v_cmp_eq_u32_e64 s[8:9], 1, v9
	v_cndmask_b32_e64 v4, v4, 1, s[8:9]
	s_and_b64 vcc, s[12:13], vcc
	ds_bpermute_b32 v9, v8, v4
	v_cndmask_b32_e32 v4, v6, v1, vcc
	v_cndmask_b32_e32 v6, v7, v2, vcc
	v_cndmask_b32_e64 v1, v1, v4, s[8:9]
	v_cndmask_b32_e64 v2, v2, v6, s[8:9]
	ds_bpermute_b32 v1, v8, v1
	ds_bpermute_b32 v2, v8, v2
	v_cmp_eq_u32_e32 vcc, 0, v3
	s_and_saveexec_b64 s[0:1], vcc
	s_cbranch_execz .LBB439_20
; %bb.19:
	v_lshrrev_b32_e32 v4, 2, v0
	v_and_b32_e32 v4, 16, v4
	s_waitcnt lgkmcnt(2)
	ds_write_b8 v4, v9 offset:64
	s_waitcnt lgkmcnt(1)
	ds_write_b64 v4, v[1:2] offset:72
.LBB439_20:
	s_or_b64 exec, exec, s[0:1]
	v_cmp_gt_u32_e32 vcc, 64, v0
	s_waitcnt lgkmcnt(0)
	s_barrier
	s_and_saveexec_b64 s[0:1], vcc
	s_cbranch_execz .LBB439_26
; %bb.21:
	v_and_b32_e32 v1, 1, v3
	v_lshlrev_b32_e32 v1, 4, v1
	ds_read_u8 v7, v1 offset:64
	ds_read_b64 v[3:4], v1 offset:72
	v_or_b32_e32 v2, 4, v5
	s_waitcnt lgkmcnt(1)
	v_and_b32_e32 v1, 0xff, v7
	ds_bpermute_b32 v8, v2, v1
	s_waitcnt lgkmcnt(1)
	ds_bpermute_b32 v5, v2, v3
	ds_bpermute_b32 v6, v2, v4
	s_waitcnt lgkmcnt(2)
	v_and_b32_e32 v1, v7, v8
	v_and_b32_e32 v1, 1, v1
	v_cmp_eq_u32_e32 vcc, 1, v1
                                        ; implicit-def: $vgpr1_vgpr2
	s_and_saveexec_b64 s[2:3], vcc
	s_xor_b64 s[2:3], exec, s[2:3]
	s_cbranch_execz .LBB439_23
; %bb.22:
	s_waitcnt lgkmcnt(0)
	v_cmp_lt_i64_e32 vcc, v[5:6], v[3:4]
                                        ; implicit-def: $vgpr7
                                        ; implicit-def: $vgpr8
	v_cndmask_b32_e32 v2, v4, v6, vcc
	v_cndmask_b32_e32 v1, v3, v5, vcc
                                        ; implicit-def: $vgpr5_vgpr6
                                        ; implicit-def: $vgpr3_vgpr4
.LBB439_23:
	s_or_saveexec_b64 s[2:3], s[2:3]
	v_mov_b32_e32 v9, 1
	s_xor_b64 exec, exec, s[2:3]
	s_cbranch_execz .LBB439_25
; %bb.24:
	v_and_b32_e32 v1, 1, v7
	v_cmp_eq_u32_e32 vcc, 1, v1
	s_waitcnt lgkmcnt(0)
	v_cndmask_b32_e32 v2, v6, v4, vcc
	v_cndmask_b32_e32 v1, v5, v3, vcc
	v_cndmask_b32_e64 v9, v8, 1, vcc
.LBB439_25:
	s_or_b64 exec, exec, s[2:3]
.LBB439_26:
	s_or_b64 exec, exec, s[0:1]
	s_branch .LBB439_214
.LBB439_27:
                                        ; implicit-def: $vgpr3_vgpr4
                                        ; implicit-def: $vgpr5
                                        ; implicit-def: $vgpr1_vgpr2
	s_branch .LBB439_306
.LBB439_28:
                                        ; implicit-def: $vgpr1_vgpr2
                                        ; implicit-def: $vgpr17
	s_cbranch_execz .LBB439_145
; %bb.29:
	s_sub_i32 s39, s22, s36
	v_mov_b32_e32 v15, 0
	v_mov_b32_e32 v1, 0
	v_cmp_gt_u32_e32 vcc, s39, v0
	v_mov_b32_e32 v24, 0
	v_mov_b32_e32 v16, 0
	;; [unrolled: 1-line block ×4, first 2 shown]
	s_and_saveexec_b64 s[0:1], vcc
	s_cbranch_execz .LBB439_31
; %bb.30:
	v_lshlrev_b32_e32 v1, 3, v0
	global_load_dwordx2 v[3:4], v1, s[18:19]
	s_waitcnt lgkmcnt(0)
	global_load_dwordx2 v[5:6], v1, s[34:35]
	v_mov_b32_e32 v2, s41
	v_add_co_u32_e32 v1, vcc, s40, v0
	v_addc_co_u32_e32 v2, vcc, 0, v2, vcc
	s_waitcnt vmcnt(0)
	v_cmp_neq_f64_e32 vcc, v[3:4], v[5:6]
	v_cndmask_b32_e64 v17, 0, 1, vcc
.LBB439_31:
	s_or_b64 exec, exec, s[0:1]
	v_or_b32_e32 v3, 0x80, v0
	v_cmp_gt_u32_e64 s[14:15], s39, v3
	s_and_saveexec_b64 s[0:1], s[14:15]
	s_cbranch_execz .LBB439_33
; %bb.32:
	v_lshlrev_b32_e32 v8, 3, v0
	s_waitcnt lgkmcnt(1)
	global_load_dwordx2 v[4:5], v8, s[18:19] offset:1024
	s_waitcnt lgkmcnt(0)
	global_load_dwordx2 v[6:7], v8, s[34:35] offset:1024
	v_mov_b32_e32 v8, s41
	v_add_co_u32_e32 v15, vcc, s40, v3
	v_addc_co_u32_e32 v16, vcc, 0, v8, vcc
	s_waitcnt vmcnt(0)
	v_cmp_neq_f64_e32 vcc, v[4:5], v[6:7]
	v_cndmask_b32_e64 v24, 0, 1, vcc
.LBB439_33:
	s_or_b64 exec, exec, s[0:1]
	v_or_b32_e32 v3, 0x100, v0
	v_mov_b32_e32 v11, 0
	v_mov_b32_e32 v13, 0
	v_cmp_gt_u32_e64 s[12:13], s39, v3
	v_mov_b32_e32 v22, 0
	v_mov_b32_e32 v12, 0
	;; [unrolled: 1-line block ×4, first 2 shown]
	s_and_saveexec_b64 s[0:1], s[12:13]
	s_cbranch_execz .LBB439_35
; %bb.34:
	v_lshlrev_b32_e32 v8, 3, v0
	s_waitcnt lgkmcnt(1)
	global_load_dwordx2 v[4:5], v8, s[18:19] offset:2048
	s_waitcnt lgkmcnt(0)
	global_load_dwordx2 v[6:7], v8, s[34:35] offset:2048
	v_mov_b32_e32 v8, s41
	v_add_co_u32_e32 v13, vcc, s40, v3
	v_addc_co_u32_e32 v14, vcc, 0, v8, vcc
	s_waitcnt vmcnt(0)
	v_cmp_neq_f64_e32 vcc, v[4:5], v[6:7]
	v_cndmask_b32_e64 v23, 0, 1, vcc
.LBB439_35:
	s_or_b64 exec, exec, s[0:1]
	v_or_b32_e32 v3, 0x180, v0
	v_cmp_gt_u32_e64 s[10:11], s39, v3
	s_and_saveexec_b64 s[0:1], s[10:11]
	s_cbranch_execz .LBB439_37
; %bb.36:
	v_lshlrev_b32_e32 v8, 3, v0
	s_waitcnt lgkmcnt(1)
	global_load_dwordx2 v[4:5], v8, s[18:19] offset:3072
	s_waitcnt lgkmcnt(0)
	global_load_dwordx2 v[6:7], v8, s[34:35] offset:3072
	v_mov_b32_e32 v8, s41
	v_add_co_u32_e32 v11, vcc, s40, v3
	v_addc_co_u32_e32 v12, vcc, 0, v8, vcc
	s_waitcnt vmcnt(0)
	v_cmp_neq_f64_e32 vcc, v[4:5], v[6:7]
	v_cndmask_b32_e64 v22, 0, 1, vcc
.LBB439_37:
	s_or_b64 exec, exec, s[0:1]
	v_or_b32_e32 v3, 0x200, v0
	s_waitcnt lgkmcnt(0)
	v_mov_b32_e32 v5, 0
	v_mov_b32_e32 v9, 0
	v_cmp_gt_u32_e64 s[8:9], s39, v3
	v_mov_b32_e32 v19, 0
	v_mov_b32_e32 v6, 0
	;; [unrolled: 1-line block ×4, first 2 shown]
	s_and_saveexec_b64 s[0:1], s[8:9]
	s_cbranch_execz .LBB439_39
; %bb.38:
	v_lshlrev_b32_e32 v4, 3, v3
	global_load_dwordx2 v[7:8], v4, s[18:19]
	global_load_dwordx2 v[20:21], v4, s[34:35]
	v_mov_b32_e32 v4, s41
	v_add_co_u32_e32 v9, vcc, s40, v3
	v_addc_co_u32_e32 v10, vcc, 0, v4, vcc
	s_waitcnt vmcnt(0)
	v_cmp_neq_f64_e32 vcc, v[7:8], v[20:21]
	v_cndmask_b32_e64 v21, 0, 1, vcc
.LBB439_39:
	s_or_b64 exec, exec, s[0:1]
	v_or_b32_e32 v3, 0x280, v0
	v_cmp_gt_u32_e64 s[2:3], s39, v3
	s_and_saveexec_b64 s[0:1], s[2:3]
	s_cbranch_execz .LBB439_41
; %bb.40:
	v_lshlrev_b32_e32 v4, 3, v3
	global_load_dwordx2 v[7:8], v4, s[18:19]
	global_load_dwordx2 v[18:19], v4, s[34:35]
	v_mov_b32_e32 v4, s41
	v_add_co_u32_e32 v5, vcc, s40, v3
	v_addc_co_u32_e32 v6, vcc, 0, v4, vcc
	s_waitcnt vmcnt(0)
	v_cmp_neq_f64_e32 vcc, v[7:8], v[18:19]
	v_cndmask_b32_e64 v19, 0, 1, vcc
.LBB439_41:
	s_or_b64 exec, exec, s[0:1]
	v_or_b32_e32 v25, 0x300, v0
	v_mov_b32_e32 v3, 0
	v_mov_b32_e32 v7, 0
	v_cmp_gt_u32_e64 s[0:1], s39, v25
	v_mov_b32_e32 v4, 0
	v_mov_b32_e32 v18, 0
	;; [unrolled: 1-line block ×4, first 2 shown]
	s_and_saveexec_b64 s[36:37], s[0:1]
	s_cbranch_execz .LBB439_43
; %bb.42:
	v_lshlrev_b32_e32 v20, 3, v25
	global_load_dwordx2 v[7:8], v20, s[18:19]
	global_load_dwordx2 v[26:27], v20, s[34:35]
	s_waitcnt vmcnt(0)
	v_cmp_neq_f64_e32 vcc, v[7:8], v[26:27]
	v_mov_b32_e32 v8, s41
	v_add_co_u32_e64 v7, s[16:17], s40, v25
	v_addc_co_u32_e64 v8, s[16:17], 0, v8, s[16:17]
	v_cndmask_b32_e64 v20, 0, 1, vcc
.LBB439_43:
	s_or_b64 exec, exec, s[36:37]
	v_or_b32_e32 v25, 0x380, v0
	v_cmp_gt_u32_e32 vcc, s39, v25
	s_and_saveexec_b64 s[36:37], vcc
	s_cbranch_execnz .LBB439_62
; %bb.44:
	s_or_b64 exec, exec, s[36:37]
	s_and_saveexec_b64 s[18:19], s[14:15]
	s_cbranch_execnz .LBB439_63
.LBB439_45:
	s_or_b64 exec, exec, s[18:19]
	s_and_saveexec_b64 s[16:17], s[12:13]
	s_cbranch_execnz .LBB439_68
.LBB439_46:
	s_or_b64 exec, exec, s[16:17]
	s_and_saveexec_b64 s[14:15], s[10:11]
	s_cbranch_execnz .LBB439_73
.LBB439_47:
	s_or_b64 exec, exec, s[14:15]
	s_and_saveexec_b64 s[12:13], s[8:9]
	s_cbranch_execnz .LBB439_78
.LBB439_48:
	s_or_b64 exec, exec, s[12:13]
	s_and_saveexec_b64 s[10:11], s[2:3]
	s_cbranch_execnz .LBB439_83
.LBB439_49:
	s_or_b64 exec, exec, s[10:11]
	s_and_saveexec_b64 s[8:9], s[0:1]
	s_cbranch_execnz .LBB439_88
.LBB439_50:
	s_or_b64 exec, exec, s[8:9]
	s_and_saveexec_b64 s[2:3], vcc
	s_cbranch_execnz .LBB439_93
	s_branch .LBB439_98
.LBB439_51:
                                        ; implicit-def: $vgpr1_vgpr2
                                        ; implicit-def: $vgpr9
	s_cbranch_execz .LBB439_214
; %bb.52:
	s_sub_i32 s12, s22, s30
	s_waitcnt lgkmcnt(1)
	v_mov_b32_e32 v7, 0
	v_mov_b32_e32 v1, 0
	v_cmp_gt_u32_e32 vcc, s12, v0
	v_mov_b32_e32 v12, 0
	v_mov_b32_e32 v8, 0
	;; [unrolled: 1-line block ×4, first 2 shown]
	s_and_saveexec_b64 s[0:1], vcc
	s_cbranch_execz .LBB439_54
; %bb.53:
	v_lshlrev_b32_e32 v1, 3, v0
	s_waitcnt lgkmcnt(0)
	global_load_dwordx2 v[3:4], v1, s[16:17]
	global_load_dwordx2 v[5:6], v1, s[18:19]
	v_mov_b32_e32 v2, s34
	v_add_co_u32_e32 v1, vcc, s31, v0
	v_addc_co_u32_e32 v2, vcc, 0, v2, vcc
	s_waitcnt vmcnt(0)
	v_cmp_neq_f64_e32 vcc, v[3:4], v[5:6]
	v_cndmask_b32_e64 v9, 0, 1, vcc
.LBB439_54:
	s_or_b64 exec, exec, s[0:1]
	v_or_b32_e32 v3, 0x80, v0
	v_cmp_gt_u32_e64 s[2:3], s12, v3
	s_and_saveexec_b64 s[0:1], s[2:3]
	s_cbranch_execz .LBB439_56
; %bb.55:
	s_waitcnt lgkmcnt(0)
	v_lshlrev_b32_e32 v6, 3, v0
	global_load_dwordx2 v[4:5], v6, s[16:17] offset:1024
	global_load_dwordx2 v[10:11], v6, s[18:19] offset:1024
	v_mov_b32_e32 v6, s34
	v_add_co_u32_e32 v7, vcc, s31, v3
	v_addc_co_u32_e32 v8, vcc, 0, v6, vcc
	s_waitcnt vmcnt(0)
	v_cmp_neq_f64_e32 vcc, v[4:5], v[10:11]
	v_cndmask_b32_e64 v12, 0, 1, vcc
.LBB439_56:
	s_or_b64 exec, exec, s[0:1]
	v_or_b32_e32 v13, 0x100, v0
	s_waitcnt lgkmcnt(0)
	v_mov_b32_e32 v3, 0
	v_mov_b32_e32 v5, 0
	v_cmp_gt_u32_e64 s[0:1], s12, v13
	v_mov_b32_e32 v10, 0
	v_mov_b32_e32 v4, 0
	;; [unrolled: 1-line block ×4, first 2 shown]
	s_and_saveexec_b64 s[8:9], s[0:1]
	s_cbranch_execz .LBB439_58
; %bb.57:
	v_lshlrev_b32_e32 v5, 3, v0
	global_load_dwordx2 v[14:15], v5, s[16:17] offset:2048
	global_load_dwordx2 v[16:17], v5, s[18:19] offset:2048
	v_mov_b32_e32 v6, s34
	v_add_co_u32_e32 v5, vcc, s31, v13
	v_addc_co_u32_e32 v6, vcc, 0, v6, vcc
	s_waitcnt vmcnt(0)
	v_cmp_neq_f64_e32 vcc, v[14:15], v[16:17]
	v_cndmask_b32_e64 v11, 0, 1, vcc
.LBB439_58:
	s_or_b64 exec, exec, s[8:9]
	v_or_b32_e32 v13, 0x180, v0
	v_cmp_gt_u32_e32 vcc, s12, v13
	s_and_saveexec_b64 s[10:11], vcc
	s_cbranch_execnz .LBB439_151
; %bb.59:
	s_or_b64 exec, exec, s[10:11]
	s_and_saveexec_b64 s[10:11], s[2:3]
	s_cbranch_execnz .LBB439_152
.LBB439_60:
	s_or_b64 exec, exec, s[10:11]
	s_and_saveexec_b64 s[8:9], s[0:1]
	s_cbranch_execnz .LBB439_157
.LBB439_61:
	s_or_b64 exec, exec, s[8:9]
	s_and_saveexec_b64 s[2:3], vcc
	s_cbranch_execnz .LBB439_162
	s_branch .LBB439_167
.LBB439_62:
	v_lshlrev_b32_e32 v18, 3, v25
	global_load_dwordx2 v[3:4], v18, s[18:19]
	global_load_dwordx2 v[26:27], v18, s[34:35]
	s_waitcnt vmcnt(0)
	v_cmp_neq_f64_e64 s[16:17], v[3:4], v[26:27]
	v_mov_b32_e32 v4, s41
	v_add_co_u32_e64 v3, s[18:19], s40, v25
	v_addc_co_u32_e64 v4, s[18:19], 0, v4, s[18:19]
	v_cndmask_b32_e64 v18, 0, 1, s[16:17]
	s_or_b64 exec, exec, s[36:37]
	s_and_saveexec_b64 s[18:19], s[14:15]
	s_cbranch_execz .LBB439_45
.LBB439_63:
	v_and_b32_e32 v17, 1, v17
	v_cmp_eq_u32_e64 s[14:15], 1, v17
	v_and_b32_e32 v17, 1, v24
	v_cmp_eq_u32_e64 s[16:17], 1, v17
	s_and_b64 s[16:17], s[14:15], s[16:17]
	s_xor_b64 s[16:17], s[16:17], -1
                                        ; implicit-def: $vgpr17
	s_and_saveexec_b64 s[34:35], s[16:17]
	s_xor_b64 s[16:17], exec, s[34:35]
; %bb.64:
	v_and_b32_e32 v17, 0xffff, v24
	v_cndmask_b32_e64 v17, v17, 1, s[14:15]
	v_cndmask_b32_e64 v2, v16, v2, s[14:15]
	;; [unrolled: 1-line block ×3, first 2 shown]
                                        ; implicit-def: $vgpr15_vgpr16
; %bb.65:
	s_andn2_saveexec_b64 s[16:17], s[16:17]
; %bb.66:
	v_cmp_lt_i64_e64 s[14:15], v[15:16], v[1:2]
	v_mov_b32_e32 v17, 1
	v_cndmask_b32_e64 v2, v2, v16, s[14:15]
	v_cndmask_b32_e64 v1, v1, v15, s[14:15]
; %bb.67:
	s_or_b64 exec, exec, s[16:17]
	s_or_b64 exec, exec, s[18:19]
	s_and_saveexec_b64 s[16:17], s[12:13]
	s_cbranch_execz .LBB439_46
.LBB439_68:
	v_and_b32_e32 v15, 1, v17
	v_cmp_eq_u32_e64 s[12:13], 1, v15
	v_and_b32_e32 v15, 1, v23
	v_cmp_eq_u32_e64 s[14:15], 1, v15
	s_and_b64 s[14:15], s[12:13], s[14:15]
	s_xor_b64 s[14:15], s[14:15], -1
                                        ; implicit-def: $vgpr17
	s_and_saveexec_b64 s[18:19], s[14:15]
	s_xor_b64 s[14:15], exec, s[18:19]
; %bb.69:
	v_and_b32_e32 v15, 0xffff, v23
	v_cndmask_b32_e64 v17, v15, 1, s[12:13]
	v_cndmask_b32_e64 v2, v14, v2, s[12:13]
	;; [unrolled: 1-line block ×3, first 2 shown]
                                        ; implicit-def: $vgpr13_vgpr14
; %bb.70:
	s_andn2_saveexec_b64 s[14:15], s[14:15]
; %bb.71:
	v_cmp_lt_i64_e64 s[12:13], v[13:14], v[1:2]
	v_mov_b32_e32 v17, 1
	v_cndmask_b32_e64 v2, v2, v14, s[12:13]
	v_cndmask_b32_e64 v1, v1, v13, s[12:13]
; %bb.72:
	s_or_b64 exec, exec, s[14:15]
	s_or_b64 exec, exec, s[16:17]
	s_and_saveexec_b64 s[14:15], s[10:11]
	s_cbranch_execz .LBB439_47
.LBB439_73:
	v_and_b32_e32 v13, 1, v17
	v_cmp_eq_u32_e64 s[10:11], 1, v13
	v_and_b32_e32 v13, 1, v22
	v_cmp_eq_u32_e64 s[12:13], 1, v13
	s_and_b64 s[12:13], s[10:11], s[12:13]
	s_xor_b64 s[12:13], s[12:13], -1
                                        ; implicit-def: $vgpr17
	s_and_saveexec_b64 s[16:17], s[12:13]
	s_xor_b64 s[12:13], exec, s[16:17]
; %bb.74:
	v_and_b32_e32 v13, 0xffff, v22
	v_cndmask_b32_e64 v17, v13, 1, s[10:11]
	v_cndmask_b32_e64 v2, v12, v2, s[10:11]
	;; [unrolled: 1-line block ×3, first 2 shown]
                                        ; implicit-def: $vgpr11_vgpr12
; %bb.75:
	s_andn2_saveexec_b64 s[12:13], s[12:13]
; %bb.76:
	v_cmp_lt_i64_e64 s[10:11], v[11:12], v[1:2]
	v_mov_b32_e32 v17, 1
	v_cndmask_b32_e64 v2, v2, v12, s[10:11]
	v_cndmask_b32_e64 v1, v1, v11, s[10:11]
; %bb.77:
	s_or_b64 exec, exec, s[12:13]
	s_or_b64 exec, exec, s[14:15]
	s_and_saveexec_b64 s[12:13], s[8:9]
	s_cbranch_execz .LBB439_48
.LBB439_78:
	v_and_b32_e32 v11, 1, v17
	v_cmp_eq_u32_e64 s[8:9], 1, v11
	v_and_b32_e32 v11, 1, v21
	v_cmp_eq_u32_e64 s[10:11], 1, v11
	s_and_b64 s[10:11], s[8:9], s[10:11]
	s_xor_b64 s[10:11], s[10:11], -1
                                        ; implicit-def: $vgpr17
	s_and_saveexec_b64 s[14:15], s[10:11]
	s_xor_b64 s[10:11], exec, s[14:15]
; %bb.79:
	v_and_b32_e32 v11, 0xffff, v21
	v_cndmask_b32_e64 v17, v11, 1, s[8:9]
	v_cndmask_b32_e64 v2, v10, v2, s[8:9]
	;; [unrolled: 1-line block ×3, first 2 shown]
                                        ; implicit-def: $vgpr9_vgpr10
; %bb.80:
	s_andn2_saveexec_b64 s[10:11], s[10:11]
; %bb.81:
	v_cmp_lt_i64_e64 s[8:9], v[9:10], v[1:2]
	v_mov_b32_e32 v17, 1
	v_cndmask_b32_e64 v2, v2, v10, s[8:9]
	v_cndmask_b32_e64 v1, v1, v9, s[8:9]
; %bb.82:
	s_or_b64 exec, exec, s[10:11]
	s_or_b64 exec, exec, s[12:13]
	s_and_saveexec_b64 s[10:11], s[2:3]
	s_cbranch_execz .LBB439_49
.LBB439_83:
	v_and_b32_e32 v9, 1, v17
	v_cmp_eq_u32_e64 s[2:3], 1, v9
	v_and_b32_e32 v9, 1, v19
	v_cmp_eq_u32_e64 s[8:9], 1, v9
	s_and_b64 s[8:9], s[2:3], s[8:9]
	s_xor_b64 s[8:9], s[8:9], -1
                                        ; implicit-def: $vgpr17
	s_and_saveexec_b64 s[12:13], s[8:9]
	s_xor_b64 s[8:9], exec, s[12:13]
; %bb.84:
	v_and_b32_e32 v9, 0xffff, v19
	v_cndmask_b32_e64 v17, v9, 1, s[2:3]
	v_cndmask_b32_e64 v2, v6, v2, s[2:3]
	v_cndmask_b32_e64 v1, v5, v1, s[2:3]
                                        ; implicit-def: $vgpr5_vgpr6
; %bb.85:
	s_andn2_saveexec_b64 s[8:9], s[8:9]
; %bb.86:
	v_cmp_lt_i64_e64 s[2:3], v[5:6], v[1:2]
	v_mov_b32_e32 v17, 1
	v_cndmask_b32_e64 v2, v2, v6, s[2:3]
	v_cndmask_b32_e64 v1, v1, v5, s[2:3]
; %bb.87:
	s_or_b64 exec, exec, s[8:9]
	s_or_b64 exec, exec, s[10:11]
	s_and_saveexec_b64 s[8:9], s[0:1]
	s_cbranch_execz .LBB439_50
.LBB439_88:
	v_and_b32_e32 v5, 1, v17
	v_cmp_eq_u32_e64 s[0:1], 1, v5
	v_and_b32_e32 v5, 1, v20
	v_cmp_eq_u32_e64 s[2:3], 1, v5
	s_and_b64 s[2:3], s[0:1], s[2:3]
	s_xor_b64 s[2:3], s[2:3], -1
                                        ; implicit-def: $vgpr17
	s_and_saveexec_b64 s[10:11], s[2:3]
	s_xor_b64 s[2:3], exec, s[10:11]
; %bb.89:
	v_and_b32_e32 v5, 0xffff, v20
	v_cndmask_b32_e64 v17, v5, 1, s[0:1]
	v_cndmask_b32_e64 v2, v8, v2, s[0:1]
	v_cndmask_b32_e64 v1, v7, v1, s[0:1]
                                        ; implicit-def: $vgpr7_vgpr8
; %bb.90:
	s_andn2_saveexec_b64 s[2:3], s[2:3]
; %bb.91:
	v_cmp_lt_i64_e64 s[0:1], v[7:8], v[1:2]
	v_mov_b32_e32 v17, 1
	v_cndmask_b32_e64 v2, v2, v8, s[0:1]
	v_cndmask_b32_e64 v1, v1, v7, s[0:1]
; %bb.92:
	s_or_b64 exec, exec, s[2:3]
	s_or_b64 exec, exec, s[8:9]
	s_and_saveexec_b64 s[2:3], vcc
	s_cbranch_execz .LBB439_98
.LBB439_93:
	v_and_b32_e32 v5, 1, v17
	v_cmp_eq_u32_e32 vcc, 1, v5
	v_and_b32_e32 v5, 1, v18
	v_cmp_eq_u32_e64 s[0:1], 1, v5
	s_and_b64 s[0:1], vcc, s[0:1]
	s_xor_b64 s[0:1], s[0:1], -1
                                        ; implicit-def: $vgpr17
	s_and_saveexec_b64 s[8:9], s[0:1]
	s_xor_b64 s[0:1], exec, s[8:9]
; %bb.94:
	v_and_b32_e32 v5, 0xffff, v18
	v_cndmask_b32_e64 v17, v5, 1, vcc
	v_cndmask_b32_e32 v2, v4, v2, vcc
	v_cndmask_b32_e32 v1, v3, v1, vcc
                                        ; implicit-def: $vgpr3_vgpr4
; %bb.95:
	s_andn2_saveexec_b64 s[0:1], s[0:1]
; %bb.96:
	v_cmp_lt_i64_e32 vcc, v[3:4], v[1:2]
	v_mov_b32_e32 v17, 1
	v_cndmask_b32_e32 v2, v2, v4, vcc
	v_cndmask_b32_e32 v1, v1, v3, vcc
; %bb.97:
	s_or_b64 exec, exec, s[0:1]
.LBB439_98:
	s_or_b64 exec, exec, s[2:3]
	v_mbcnt_lo_u32_b32 v3, -1, 0
	v_mbcnt_hi_u32_b32 v5, -1, v3
	v_and_b32_e32 v6, 63, v5
	v_cmp_ne_u32_e32 vcc, 63, v6
	v_addc_co_u32_e32 v3, vcc, 0, v5, vcc
	v_lshlrev_b32_e32 v4, 2, v3
	ds_bpermute_b32 v8, v4, v17
	ds_bpermute_b32 v3, v4, v1
	;; [unrolled: 1-line block ×3, first 2 shown]
	s_min_u32 s8, s39, 0x80
	v_and_b32_e32 v7, 64, v0
	v_sub_u32_e64 v7, s8, v7 clamp
	v_add_u32_e32 v9, 1, v6
	v_cmp_lt_u32_e32 vcc, v9, v7
	s_and_saveexec_b64 s[0:1], vcc
	s_xor_b64 s[0:1], exec, s[0:1]
	s_cbranch_execz .LBB439_104
; %bb.99:
	s_waitcnt lgkmcnt(2)
	v_and_b32_e32 v9, v8, v17
	v_cmp_ne_u32_e32 vcc, 0, v9
	s_and_saveexec_b64 s[2:3], vcc
	s_xor_b64 s[2:3], exec, s[2:3]
	s_cbranch_execz .LBB439_101
; %bb.100:
	s_waitcnt lgkmcnt(0)
	v_cmp_lt_i64_e32 vcc, v[3:4], v[1:2]
                                        ; implicit-def: $vgpr17
                                        ; implicit-def: $vgpr8
	v_cndmask_b32_e32 v2, v2, v4, vcc
	v_cndmask_b32_e32 v1, v1, v3, vcc
                                        ; implicit-def: $vgpr3_vgpr4
.LBB439_101:
	s_or_saveexec_b64 s[2:3], s[2:3]
	v_mov_b32_e32 v9, 1
	s_xor_b64 exec, exec, s[2:3]
	s_cbranch_execz .LBB439_103
; %bb.102:
	v_and_b32_e32 v9, 1, v17
	v_cmp_eq_u32_e32 vcc, 1, v9
	s_waitcnt lgkmcnt(1)
	v_cndmask_b32_e32 v1, v3, v1, vcc
	v_and_b32_e32 v3, 0xff, v8
	s_waitcnt lgkmcnt(0)
	v_cndmask_b32_e32 v2, v4, v2, vcc
	v_cndmask_b32_e64 v9, v3, 1, vcc
.LBB439_103:
	s_or_b64 exec, exec, s[2:3]
	v_mov_b32_e32 v17, v9
.LBB439_104:
	s_or_b64 exec, exec, s[0:1]
	v_cmp_gt_u32_e32 vcc, 62, v6
	s_waitcnt lgkmcnt(1)
	v_cndmask_b32_e64 v3, 0, 2, vcc
	s_waitcnt lgkmcnt(0)
	v_add_lshl_u32 v4, v3, v5, 2
	ds_bpermute_b32 v8, v4, v17
	ds_bpermute_b32 v3, v4, v1
	ds_bpermute_b32 v4, v4, v2
	v_add_u32_e32 v9, 2, v6
	v_cmp_lt_u32_e32 vcc, v9, v7
	s_and_saveexec_b64 s[0:1], vcc
	s_cbranch_execz .LBB439_110
; %bb.105:
	s_waitcnt lgkmcnt(2)
	v_and_b32_e32 v9, v17, v8
	v_and_b32_e32 v9, 1, v9
	v_cmp_eq_u32_e32 vcc, 1, v9
	s_and_saveexec_b64 s[2:3], vcc
	s_xor_b64 s[2:3], exec, s[2:3]
	s_cbranch_execz .LBB439_107
; %bb.106:
	s_waitcnt lgkmcnt(0)
	v_cmp_lt_i64_e32 vcc, v[3:4], v[1:2]
                                        ; implicit-def: $vgpr17
                                        ; implicit-def: $vgpr8
	v_cndmask_b32_e32 v2, v2, v4, vcc
	v_cndmask_b32_e32 v1, v1, v3, vcc
                                        ; implicit-def: $vgpr3_vgpr4
.LBB439_107:
	s_or_saveexec_b64 s[2:3], s[2:3]
	v_mov_b32_e32 v9, 1
	s_xor_b64 exec, exec, s[2:3]
	s_cbranch_execz .LBB439_109
; %bb.108:
	v_and_b32_e32 v9, 1, v17
	v_cmp_eq_u32_e32 vcc, 1, v9
	s_waitcnt lgkmcnt(1)
	v_cndmask_b32_e32 v1, v3, v1, vcc
	v_and_b32_e32 v3, 0xff, v8
	s_waitcnt lgkmcnt(0)
	v_cndmask_b32_e32 v2, v4, v2, vcc
	v_cndmask_b32_e64 v9, v3, 1, vcc
.LBB439_109:
	s_or_b64 exec, exec, s[2:3]
	v_mov_b32_e32 v17, v9
.LBB439_110:
	s_or_b64 exec, exec, s[0:1]
	v_cmp_gt_u32_e32 vcc, 60, v6
	s_waitcnt lgkmcnt(1)
	v_cndmask_b32_e64 v3, 0, 4, vcc
	s_waitcnt lgkmcnt(0)
	v_add_lshl_u32 v4, v3, v5, 2
	ds_bpermute_b32 v8, v4, v17
	ds_bpermute_b32 v3, v4, v1
	ds_bpermute_b32 v4, v4, v2
	v_add_u32_e32 v9, 4, v6
	v_cmp_lt_u32_e32 vcc, v9, v7
	s_and_saveexec_b64 s[0:1], vcc
	s_cbranch_execz .LBB439_116
; %bb.111:
	s_waitcnt lgkmcnt(2)
	v_and_b32_e32 v9, v17, v8
	v_and_b32_e32 v9, 1, v9
	v_cmp_eq_u32_e32 vcc, 1, v9
	s_and_saveexec_b64 s[2:3], vcc
	s_xor_b64 s[2:3], exec, s[2:3]
	s_cbranch_execz .LBB439_113
; %bb.112:
	s_waitcnt lgkmcnt(0)
	v_cmp_lt_i64_e32 vcc, v[3:4], v[1:2]
                                        ; implicit-def: $vgpr17
                                        ; implicit-def: $vgpr8
	v_cndmask_b32_e32 v2, v2, v4, vcc
	v_cndmask_b32_e32 v1, v1, v3, vcc
                                        ; implicit-def: $vgpr3_vgpr4
.LBB439_113:
	s_or_saveexec_b64 s[2:3], s[2:3]
	v_mov_b32_e32 v9, 1
	s_xor_b64 exec, exec, s[2:3]
	s_cbranch_execz .LBB439_115
; %bb.114:
	v_and_b32_e32 v9, 1, v17
	v_cmp_eq_u32_e32 vcc, 1, v9
	s_waitcnt lgkmcnt(1)
	v_cndmask_b32_e32 v1, v3, v1, vcc
	v_and_b32_e32 v3, 0xff, v8
	s_waitcnt lgkmcnt(0)
	v_cndmask_b32_e32 v2, v4, v2, vcc
	v_cndmask_b32_e64 v9, v3, 1, vcc
.LBB439_115:
	s_or_b64 exec, exec, s[2:3]
	v_mov_b32_e32 v17, v9
.LBB439_116:
	;; [unrolled: 47-line block ×4, first 2 shown]
	s_or_b64 exec, exec, s[0:1]
	s_waitcnt lgkmcnt(2)
	v_lshlrev_b32_e32 v8, 2, v5
	s_waitcnt lgkmcnt(0)
	v_or_b32_e32 v4, 0x80, v8
	ds_bpermute_b32 v9, v4, v17
	ds_bpermute_b32 v3, v4, v1
	;; [unrolled: 1-line block ×3, first 2 shown]
	v_add_u32_e32 v6, 32, v6
	v_cmp_lt_u32_e32 vcc, v6, v7
	v_mov_b32_e32 v6, v17
	s_and_saveexec_b64 s[0:1], vcc
	s_cbranch_execz .LBB439_134
; %bb.129:
	s_waitcnt lgkmcnt(2)
	v_and_b32_e32 v6, v17, v9
	v_and_b32_e32 v6, 1, v6
	v_cmp_eq_u32_e32 vcc, 1, v6
	s_and_saveexec_b64 s[2:3], vcc
	s_xor_b64 s[2:3], exec, s[2:3]
	s_cbranch_execz .LBB439_131
; %bb.130:
	s_waitcnt lgkmcnt(0)
	v_cmp_lt_i64_e32 vcc, v[3:4], v[1:2]
                                        ; implicit-def: $vgpr17
                                        ; implicit-def: $vgpr9
	v_cndmask_b32_e32 v2, v2, v4, vcc
	v_cndmask_b32_e32 v1, v1, v3, vcc
                                        ; implicit-def: $vgpr3_vgpr4
.LBB439_131:
	s_or_saveexec_b64 s[2:3], s[2:3]
	v_mov_b32_e32 v6, 1
	s_xor_b64 exec, exec, s[2:3]
	s_cbranch_execz .LBB439_133
; %bb.132:
	v_and_b32_e32 v6, 1, v17
	v_cmp_eq_u32_e32 vcc, 1, v6
	v_cndmask_b32_e64 v6, v9, 1, vcc
	s_waitcnt lgkmcnt(0)
	v_cndmask_b32_e32 v2, v4, v2, vcc
	v_cndmask_b32_e32 v1, v3, v1, vcc
.LBB439_133:
	s_or_b64 exec, exec, s[2:3]
	v_and_b32_e32 v17, 0xff, v6
.LBB439_134:
	s_or_b64 exec, exec, s[0:1]
	v_cmp_eq_u32_e32 vcc, 0, v5
	s_and_saveexec_b64 s[0:1], vcc
	s_cbranch_execz .LBB439_136
; %bb.135:
	s_waitcnt lgkmcnt(1)
	v_lshrrev_b32_e32 v3, 2, v0
	v_and_b32_e32 v3, 16, v3
	ds_write_b8 v3, v6 offset:128
	ds_write_b64 v3, v[1:2] offset:136
.LBB439_136:
	s_or_b64 exec, exec, s[0:1]
	v_cmp_gt_u32_e32 vcc, 2, v0
	s_waitcnt lgkmcnt(0)
	s_barrier
	s_and_saveexec_b64 s[0:1], vcc
	s_cbranch_execz .LBB439_144
; %bb.137:
	v_lshlrev_b32_e32 v1, 4, v5
	ds_read_u8 v6, v1 offset:128
	ds_read_b64 v[1:2], v1 offset:136
	v_or_b32_e32 v4, 4, v8
	s_add_i32 s8, s8, 63
	v_and_b32_e32 v5, 1, v5
	s_waitcnt lgkmcnt(1)
	v_and_b32_e32 v17, 0xff, v6
	s_waitcnt lgkmcnt(0)
	ds_bpermute_b32 v3, v4, v1
	ds_bpermute_b32 v7, v4, v17
	;; [unrolled: 1-line block ×3, first 2 shown]
	s_lshr_b32 s2, s8, 6
	v_add_u32_e32 v5, 1, v5
	v_cmp_gt_u32_e32 vcc, s2, v5
	s_and_saveexec_b64 s[2:3], vcc
	s_cbranch_execz .LBB439_143
; %bb.138:
	s_waitcnt lgkmcnt(1)
	v_and_b32_e32 v5, v17, v7
	v_and_b32_e32 v5, 1, v5
	v_cmp_eq_u32_e32 vcc, 1, v5
	s_and_saveexec_b64 s[8:9], vcc
	s_xor_b64 s[8:9], exec, s[8:9]
	s_cbranch_execz .LBB439_140
; %bb.139:
	s_waitcnt lgkmcnt(0)
	v_cmp_lt_i64_e32 vcc, v[3:4], v[1:2]
                                        ; implicit-def: $vgpr6
                                        ; implicit-def: $vgpr7
	v_cndmask_b32_e32 v2, v2, v4, vcc
	v_cndmask_b32_e32 v1, v1, v3, vcc
                                        ; implicit-def: $vgpr3_vgpr4
.LBB439_140:
	s_or_saveexec_b64 s[8:9], s[8:9]
	v_mov_b32_e32 v17, 1
	s_xor_b64 exec, exec, s[8:9]
	s_cbranch_execz .LBB439_142
; %bb.141:
	v_and_b32_e32 v5, 1, v6
	v_cmp_eq_u32_e32 vcc, 1, v5
	s_waitcnt lgkmcnt(0)
	v_cndmask_b32_e32 v2, v4, v2, vcc
	v_cndmask_b32_e32 v1, v3, v1, vcc
	v_cndmask_b32_e64 v17, v7, 1, vcc
.LBB439_142:
	s_or_b64 exec, exec, s[8:9]
.LBB439_143:
	s_or_b64 exec, exec, s[2:3]
.LBB439_144:
	s_or_b64 exec, exec, s[0:1]
.LBB439_145:
	v_cmp_eq_u32_e32 vcc, 0, v0
	s_mov_b64 s[14:15], 0
                                        ; implicit-def: $vgpr3_vgpr4
                                        ; implicit-def: $vgpr5
	s_and_saveexec_b64 s[0:1], vcc
	s_xor_b64 s[8:9], exec, s[0:1]
	s_cbranch_execz .LBB439_149
; %bb.146:
	s_waitcnt lgkmcnt(0)
	v_mov_b32_e32 v3, s28
	s_cmp_eq_u64 s[22:23], 0
	v_mov_b32_e32 v4, s29
	v_mov_b32_e32 v5, s33
	s_cbranch_scc1 .LBB439_148
; %bb.147:
	v_and_b32_e32 v3, 1, v17
	v_cmp_gt_i64_e64 s[0:1], s[28:29], v[1:2]
	s_bitcmp1_b32 s33, 0
	v_cmp_eq_u32_e32 vcc, 1, v3
	s_cselect_b64 s[2:3], -1, 0
	v_mov_b32_e32 v3, s28
	s_and_b64 vcc, vcc, s[0:1]
	v_mov_b32_e32 v4, s29
	v_cndmask_b32_e32 v3, v3, v1, vcc
	v_cndmask_b32_e32 v4, v4, v2, vcc
	v_cndmask_b32_e64 v5, v17, 1, s[2:3]
	v_cndmask_b32_e64 v4, v2, v4, s[2:3]
	v_cndmask_b32_e64 v3, v1, v3, s[2:3]
.LBB439_148:
	s_mov_b64 s[14:15], exec
.LBB439_149:
	s_or_b64 exec, exec, s[8:9]
	v_mov_b32_e32 v1, s6
	v_mov_b32_e32 v2, s7
	s_and_b64 vcc, exec, s[30:31]
	s_cbranch_vccnz .LBB439_16
.LBB439_150:
	s_branch .LBB439_306
.LBB439_151:
	v_lshlrev_b32_e32 v3, 3, v0
	global_load_dwordx2 v[14:15], v3, s[16:17] offset:3072
	global_load_dwordx2 v[16:17], v3, s[18:19] offset:3072
	v_mov_b32_e32 v4, s34
	v_add_co_u32_e64 v3, s[8:9], s31, v13
	v_addc_co_u32_e64 v4, s[8:9], 0, v4, s[8:9]
	s_waitcnt vmcnt(0)
	v_cmp_neq_f64_e64 s[8:9], v[14:15], v[16:17]
	v_cndmask_b32_e64 v10, 0, 1, s[8:9]
	s_or_b64 exec, exec, s[10:11]
	s_and_saveexec_b64 s[10:11], s[2:3]
	s_cbranch_execz .LBB439_60
.LBB439_152:
	v_and_b32_e32 v9, 1, v9
	v_cmp_eq_u32_e64 s[2:3], 1, v9
	v_and_b32_e32 v9, 1, v12
	v_cmp_eq_u32_e64 s[8:9], 1, v9
	s_and_b64 s[8:9], s[2:3], s[8:9]
	s_xor_b64 s[8:9], s[8:9], -1
                                        ; implicit-def: $vgpr9
	s_and_saveexec_b64 s[16:17], s[8:9]
	s_xor_b64 s[8:9], exec, s[16:17]
; %bb.153:
	v_and_b32_e32 v9, 0xffff, v12
	v_cndmask_b32_e64 v9, v9, 1, s[2:3]
	v_cndmask_b32_e64 v2, v8, v2, s[2:3]
	;; [unrolled: 1-line block ×3, first 2 shown]
                                        ; implicit-def: $vgpr7_vgpr8
; %bb.154:
	s_andn2_saveexec_b64 s[8:9], s[8:9]
; %bb.155:
	v_cmp_lt_i64_e64 s[2:3], v[7:8], v[1:2]
	v_mov_b32_e32 v9, 1
	v_cndmask_b32_e64 v2, v2, v8, s[2:3]
	v_cndmask_b32_e64 v1, v1, v7, s[2:3]
; %bb.156:
	s_or_b64 exec, exec, s[8:9]
	s_or_b64 exec, exec, s[10:11]
	s_and_saveexec_b64 s[8:9], s[0:1]
	s_cbranch_execz .LBB439_61
.LBB439_157:
	v_and_b32_e32 v7, 1, v9
	v_cmp_eq_u32_e64 s[0:1], 1, v7
	v_and_b32_e32 v7, 1, v11
	v_cmp_eq_u32_e64 s[2:3], 1, v7
	s_and_b64 s[2:3], s[0:1], s[2:3]
	s_xor_b64 s[2:3], s[2:3], -1
                                        ; implicit-def: $vgpr9
	s_and_saveexec_b64 s[10:11], s[2:3]
	s_xor_b64 s[2:3], exec, s[10:11]
; %bb.158:
	v_and_b32_e32 v7, 0xffff, v11
	v_cndmask_b32_e64 v9, v7, 1, s[0:1]
	v_cndmask_b32_e64 v2, v6, v2, s[0:1]
	;; [unrolled: 1-line block ×3, first 2 shown]
                                        ; implicit-def: $vgpr5_vgpr6
; %bb.159:
	s_andn2_saveexec_b64 s[2:3], s[2:3]
; %bb.160:
	v_cmp_lt_i64_e64 s[0:1], v[5:6], v[1:2]
	v_mov_b32_e32 v9, 1
	v_cndmask_b32_e64 v2, v2, v6, s[0:1]
	v_cndmask_b32_e64 v1, v1, v5, s[0:1]
; %bb.161:
	s_or_b64 exec, exec, s[2:3]
	s_or_b64 exec, exec, s[8:9]
	s_and_saveexec_b64 s[2:3], vcc
	s_cbranch_execz .LBB439_167
.LBB439_162:
	v_and_b32_e32 v5, 1, v9
	v_cmp_eq_u32_e32 vcc, 1, v5
	v_and_b32_e32 v5, 1, v10
	v_cmp_eq_u32_e64 s[0:1], 1, v5
	s_and_b64 s[0:1], vcc, s[0:1]
	s_xor_b64 s[0:1], s[0:1], -1
                                        ; implicit-def: $vgpr9
	s_and_saveexec_b64 s[8:9], s[0:1]
	s_xor_b64 s[0:1], exec, s[8:9]
; %bb.163:
	v_and_b32_e32 v5, 0xffff, v10
	v_cndmask_b32_e64 v9, v5, 1, vcc
	v_cndmask_b32_e32 v2, v4, v2, vcc
	v_cndmask_b32_e32 v1, v3, v1, vcc
                                        ; implicit-def: $vgpr3_vgpr4
; %bb.164:
	s_andn2_saveexec_b64 s[0:1], s[0:1]
; %bb.165:
	v_cmp_lt_i64_e32 vcc, v[3:4], v[1:2]
	v_mov_b32_e32 v9, 1
	v_cndmask_b32_e32 v2, v2, v4, vcc
	v_cndmask_b32_e32 v1, v1, v3, vcc
; %bb.166:
	s_or_b64 exec, exec, s[0:1]
.LBB439_167:
	s_or_b64 exec, exec, s[2:3]
	v_mbcnt_lo_u32_b32 v3, -1, 0
	v_mbcnt_hi_u32_b32 v5, -1, v3
	v_and_b32_e32 v6, 63, v5
	v_cmp_ne_u32_e32 vcc, 63, v6
	v_addc_co_u32_e32 v3, vcc, 0, v5, vcc
	v_lshlrev_b32_e32 v4, 2, v3
	ds_bpermute_b32 v8, v4, v9
	ds_bpermute_b32 v3, v4, v1
	;; [unrolled: 1-line block ×3, first 2 shown]
	s_min_u32 s8, s12, 0x80
	v_and_b32_e32 v7, 64, v0
	v_sub_u32_e64 v7, s8, v7 clamp
	v_add_u32_e32 v10, 1, v6
	v_cmp_lt_u32_e32 vcc, v10, v7
	s_and_saveexec_b64 s[0:1], vcc
	s_xor_b64 s[0:1], exec, s[0:1]
	s_cbranch_execz .LBB439_173
; %bb.168:
	s_waitcnt lgkmcnt(2)
	v_and_b32_e32 v10, v8, v9
	v_cmp_ne_u32_e32 vcc, 0, v10
	s_and_saveexec_b64 s[2:3], vcc
	s_xor_b64 s[2:3], exec, s[2:3]
	s_cbranch_execz .LBB439_170
; %bb.169:
	s_waitcnt lgkmcnt(0)
	v_cmp_lt_i64_e32 vcc, v[3:4], v[1:2]
                                        ; implicit-def: $vgpr9
                                        ; implicit-def: $vgpr8
	v_cndmask_b32_e32 v2, v2, v4, vcc
	v_cndmask_b32_e32 v1, v1, v3, vcc
                                        ; implicit-def: $vgpr3_vgpr4
.LBB439_170:
	s_or_saveexec_b64 s[2:3], s[2:3]
	v_mov_b32_e32 v10, 1
	s_xor_b64 exec, exec, s[2:3]
	s_cbranch_execz .LBB439_172
; %bb.171:
	v_and_b32_e32 v9, 1, v9
	v_cmp_eq_u32_e32 vcc, 1, v9
	s_waitcnt lgkmcnt(1)
	v_cndmask_b32_e32 v1, v3, v1, vcc
	v_and_b32_e32 v3, 0xff, v8
	s_waitcnt lgkmcnt(0)
	v_cndmask_b32_e32 v2, v4, v2, vcc
	v_cndmask_b32_e64 v10, v3, 1, vcc
.LBB439_172:
	s_or_b64 exec, exec, s[2:3]
	v_mov_b32_e32 v9, v10
.LBB439_173:
	s_or_b64 exec, exec, s[0:1]
	v_cmp_gt_u32_e32 vcc, 62, v6
	s_waitcnt lgkmcnt(1)
	v_cndmask_b32_e64 v3, 0, 2, vcc
	s_waitcnt lgkmcnt(0)
	v_add_lshl_u32 v4, v3, v5, 2
	ds_bpermute_b32 v8, v4, v9
	ds_bpermute_b32 v3, v4, v1
	ds_bpermute_b32 v4, v4, v2
	v_add_u32_e32 v10, 2, v6
	v_cmp_lt_u32_e32 vcc, v10, v7
	s_and_saveexec_b64 s[0:1], vcc
	s_cbranch_execz .LBB439_179
; %bb.174:
	s_waitcnt lgkmcnt(2)
	v_and_b32_e32 v10, v9, v8
	v_and_b32_e32 v10, 1, v10
	v_cmp_eq_u32_e32 vcc, 1, v10
	s_and_saveexec_b64 s[2:3], vcc
	s_xor_b64 s[2:3], exec, s[2:3]
	s_cbranch_execz .LBB439_176
; %bb.175:
	s_waitcnt lgkmcnt(0)
	v_cmp_lt_i64_e32 vcc, v[3:4], v[1:2]
                                        ; implicit-def: $vgpr9
                                        ; implicit-def: $vgpr8
	v_cndmask_b32_e32 v2, v2, v4, vcc
	v_cndmask_b32_e32 v1, v1, v3, vcc
                                        ; implicit-def: $vgpr3_vgpr4
.LBB439_176:
	s_or_saveexec_b64 s[2:3], s[2:3]
	v_mov_b32_e32 v10, 1
	s_xor_b64 exec, exec, s[2:3]
	s_cbranch_execz .LBB439_178
; %bb.177:
	v_and_b32_e32 v9, 1, v9
	v_cmp_eq_u32_e32 vcc, 1, v9
	s_waitcnt lgkmcnt(1)
	v_cndmask_b32_e32 v1, v3, v1, vcc
	v_and_b32_e32 v3, 0xff, v8
	s_waitcnt lgkmcnt(0)
	v_cndmask_b32_e32 v2, v4, v2, vcc
	v_cndmask_b32_e64 v10, v3, 1, vcc
.LBB439_178:
	s_or_b64 exec, exec, s[2:3]
	v_mov_b32_e32 v9, v10
.LBB439_179:
	s_or_b64 exec, exec, s[0:1]
	v_cmp_gt_u32_e32 vcc, 60, v6
	s_waitcnt lgkmcnt(1)
	v_cndmask_b32_e64 v3, 0, 4, vcc
	s_waitcnt lgkmcnt(0)
	v_add_lshl_u32 v4, v3, v5, 2
	ds_bpermute_b32 v8, v4, v9
	ds_bpermute_b32 v3, v4, v1
	ds_bpermute_b32 v4, v4, v2
	v_add_u32_e32 v10, 4, v6
	v_cmp_lt_u32_e32 vcc, v10, v7
	s_and_saveexec_b64 s[0:1], vcc
	s_cbranch_execz .LBB439_185
; %bb.180:
	s_waitcnt lgkmcnt(2)
	v_and_b32_e32 v10, v9, v8
	v_and_b32_e32 v10, 1, v10
	v_cmp_eq_u32_e32 vcc, 1, v10
	s_and_saveexec_b64 s[2:3], vcc
	s_xor_b64 s[2:3], exec, s[2:3]
	s_cbranch_execz .LBB439_182
; %bb.181:
	s_waitcnt lgkmcnt(0)
	v_cmp_lt_i64_e32 vcc, v[3:4], v[1:2]
                                        ; implicit-def: $vgpr9
                                        ; implicit-def: $vgpr8
	v_cndmask_b32_e32 v2, v2, v4, vcc
	v_cndmask_b32_e32 v1, v1, v3, vcc
                                        ; implicit-def: $vgpr3_vgpr4
.LBB439_182:
	s_or_saveexec_b64 s[2:3], s[2:3]
	v_mov_b32_e32 v10, 1
	s_xor_b64 exec, exec, s[2:3]
	s_cbranch_execz .LBB439_184
; %bb.183:
	v_and_b32_e32 v9, 1, v9
	v_cmp_eq_u32_e32 vcc, 1, v9
	s_waitcnt lgkmcnt(1)
	v_cndmask_b32_e32 v1, v3, v1, vcc
	v_and_b32_e32 v3, 0xff, v8
	s_waitcnt lgkmcnt(0)
	v_cndmask_b32_e32 v2, v4, v2, vcc
	v_cndmask_b32_e64 v10, v3, 1, vcc
.LBB439_184:
	s_or_b64 exec, exec, s[2:3]
	v_mov_b32_e32 v9, v10
.LBB439_185:
	;; [unrolled: 47-line block ×4, first 2 shown]
	s_or_b64 exec, exec, s[0:1]
	s_waitcnt lgkmcnt(2)
	v_lshlrev_b32_e32 v8, 2, v5
	s_waitcnt lgkmcnt(0)
	v_or_b32_e32 v4, 0x80, v8
	ds_bpermute_b32 v10, v4, v9
	ds_bpermute_b32 v3, v4, v1
	;; [unrolled: 1-line block ×3, first 2 shown]
	v_add_u32_e32 v6, 32, v6
	v_cmp_lt_u32_e32 vcc, v6, v7
	v_mov_b32_e32 v6, v9
	s_and_saveexec_b64 s[0:1], vcc
	s_cbranch_execz .LBB439_203
; %bb.198:
	s_waitcnt lgkmcnt(2)
	v_and_b32_e32 v6, v9, v10
	v_and_b32_e32 v6, 1, v6
	v_cmp_eq_u32_e32 vcc, 1, v6
	s_and_saveexec_b64 s[2:3], vcc
	s_xor_b64 s[2:3], exec, s[2:3]
	s_cbranch_execz .LBB439_200
; %bb.199:
	s_waitcnt lgkmcnt(0)
	v_cmp_lt_i64_e32 vcc, v[3:4], v[1:2]
                                        ; implicit-def: $vgpr9
                                        ; implicit-def: $vgpr10
	v_cndmask_b32_e32 v2, v2, v4, vcc
	v_cndmask_b32_e32 v1, v1, v3, vcc
                                        ; implicit-def: $vgpr3_vgpr4
.LBB439_200:
	s_or_saveexec_b64 s[2:3], s[2:3]
	v_mov_b32_e32 v6, 1
	s_xor_b64 exec, exec, s[2:3]
	s_cbranch_execz .LBB439_202
; %bb.201:
	v_and_b32_e32 v6, 1, v9
	v_cmp_eq_u32_e32 vcc, 1, v6
	v_cndmask_b32_e64 v6, v10, 1, vcc
	s_waitcnt lgkmcnt(0)
	v_cndmask_b32_e32 v2, v4, v2, vcc
	v_cndmask_b32_e32 v1, v3, v1, vcc
.LBB439_202:
	s_or_b64 exec, exec, s[2:3]
	v_and_b32_e32 v9, 0xff, v6
.LBB439_203:
	s_or_b64 exec, exec, s[0:1]
	v_cmp_eq_u32_e32 vcc, 0, v5
	s_and_saveexec_b64 s[0:1], vcc
	s_cbranch_execz .LBB439_205
; %bb.204:
	s_waitcnt lgkmcnt(1)
	v_lshrrev_b32_e32 v3, 2, v0
	v_and_b32_e32 v3, 16, v3
	ds_write_b8 v3, v6 offset:128
	ds_write_b64 v3, v[1:2] offset:136
.LBB439_205:
	s_or_b64 exec, exec, s[0:1]
	v_cmp_gt_u32_e32 vcc, 2, v0
	s_waitcnt lgkmcnt(0)
	s_barrier
	s_and_saveexec_b64 s[0:1], vcc
	s_cbranch_execz .LBB439_213
; %bb.206:
	v_lshlrev_b32_e32 v1, 4, v5
	ds_read_u8 v6, v1 offset:128
	ds_read_b64 v[1:2], v1 offset:136
	v_or_b32_e32 v4, 4, v8
	s_add_i32 s8, s8, 63
	v_and_b32_e32 v5, 1, v5
	s_waitcnt lgkmcnt(1)
	v_and_b32_e32 v9, 0xff, v6
	s_waitcnt lgkmcnt(0)
	ds_bpermute_b32 v3, v4, v1
	ds_bpermute_b32 v7, v4, v9
	;; [unrolled: 1-line block ×3, first 2 shown]
	s_lshr_b32 s2, s8, 6
	v_add_u32_e32 v5, 1, v5
	v_cmp_gt_u32_e32 vcc, s2, v5
	s_and_saveexec_b64 s[2:3], vcc
	s_cbranch_execz .LBB439_212
; %bb.207:
	s_waitcnt lgkmcnt(1)
	v_and_b32_e32 v5, v9, v7
	v_and_b32_e32 v5, 1, v5
	v_cmp_eq_u32_e32 vcc, 1, v5
	s_and_saveexec_b64 s[8:9], vcc
	s_xor_b64 s[8:9], exec, s[8:9]
	s_cbranch_execz .LBB439_209
; %bb.208:
	s_waitcnt lgkmcnt(0)
	v_cmp_lt_i64_e32 vcc, v[3:4], v[1:2]
                                        ; implicit-def: $vgpr6
                                        ; implicit-def: $vgpr7
	v_cndmask_b32_e32 v2, v2, v4, vcc
	v_cndmask_b32_e32 v1, v1, v3, vcc
                                        ; implicit-def: $vgpr3_vgpr4
.LBB439_209:
	s_or_saveexec_b64 s[8:9], s[8:9]
	v_mov_b32_e32 v9, 1
	s_xor_b64 exec, exec, s[8:9]
	s_cbranch_execz .LBB439_211
; %bb.210:
	v_and_b32_e32 v5, 1, v6
	v_cmp_eq_u32_e32 vcc, 1, v5
	s_waitcnt lgkmcnt(0)
	v_cndmask_b32_e32 v2, v4, v2, vcc
	v_cndmask_b32_e32 v1, v3, v1, vcc
	v_cndmask_b32_e64 v9, v7, 1, vcc
.LBB439_211:
	s_or_b64 exec, exec, s[8:9]
.LBB439_212:
	s_or_b64 exec, exec, s[2:3]
.LBB439_213:
	s_or_b64 exec, exec, s[0:1]
.LBB439_214:
	v_cmp_eq_u32_e32 vcc, 0, v0
                                        ; implicit-def: $vgpr3_vgpr4
                                        ; implicit-def: $vgpr5
	s_and_saveexec_b64 s[0:1], vcc
	s_xor_b64 s[8:9], exec, s[0:1]
	s_cbranch_execz .LBB439_218
; %bb.215:
	s_waitcnt lgkmcnt(0)
	v_mov_b32_e32 v3, s28
	s_cmp_eq_u64 s[22:23], 0
	v_mov_b32_e32 v4, s29
	v_mov_b32_e32 v5, s33
	s_cbranch_scc1 .LBB439_217
; %bb.216:
	v_and_b32_e32 v3, 1, v9
	v_cmp_gt_i64_e64 s[0:1], s[28:29], v[1:2]
	s_bitcmp1_b32 s33, 0
	v_cmp_eq_u32_e32 vcc, 1, v3
	s_cselect_b64 s[2:3], -1, 0
	v_mov_b32_e32 v3, s28
	s_and_b64 vcc, vcc, s[0:1]
	v_mov_b32_e32 v4, s29
	v_cndmask_b32_e32 v3, v3, v1, vcc
	v_cndmask_b32_e32 v4, v4, v2, vcc
	v_cndmask_b32_e64 v5, v9, 1, s[2:3]
	v_cndmask_b32_e64 v4, v2, v4, s[2:3]
	;; [unrolled: 1-line block ×3, first 2 shown]
.LBB439_217:
	s_or_b64 s[14:15], s[14:15], exec
.LBB439_218:
	s_or_b64 exec, exec, s[8:9]
	v_mov_b32_e32 v1, s6
	v_mov_b32_e32 v2, s7
	s_branch .LBB439_306
.LBB439_219:
	s_cmp_gt_i32 s38, 1
	s_cbranch_scc0 .LBB439_231
; %bb.220:
	s_cmp_eq_u32 s38, 2
	s_cbranch_scc0 .LBB439_232
; %bb.221:
	s_mov_b32 s7, 0
	s_lshl_b32 s30, s6, 8
	s_mov_b32 s31, s7
	s_lshr_b64 s[0:1], s[22:23], 8
	s_lshl_b64 s[2:3], s[30:31], 3
	s_add_u32 s16, s24, s2
	s_addc_u32 s17, s25, s3
	s_add_u32 s18, s26, s2
	s_addc_u32 s19, s27, s3
	;; [unrolled: 2-line block ×3, first 2 shown]
	s_cmp_lg_u64 s[0:1], s[6:7]
	s_cbranch_scc0 .LBB439_233
; %bb.222:
	v_lshlrev_b32_e32 v9, 3, v0
	global_load_dwordx2 v[1:2], v9, s[16:17]
	s_waitcnt lgkmcnt(0)
	global_load_dwordx2 v[3:4], v9, s[18:19]
	global_load_dwordx2 v[5:6], v9, s[18:19] offset:1024
	global_load_dwordx2 v[7:8], v9, s[16:17] offset:1024
	v_mov_b32_e32 v9, s34
	v_add_co_u32_e32 v10, vcc, s31, v0
	v_addc_co_u32_e32 v9, vcc, 0, v9, vcc
	v_add_co_u32_e32 v11, vcc, 0x80, v10
	v_addc_co_u32_e32 v12, vcc, 0, v9, vcc
	s_waitcnt vmcnt(2)
	v_cmp_neq_f64_e32 vcc, v[1:2], v[3:4]
	v_mbcnt_lo_u32_b32 v1, -1, 0
	s_waitcnt vmcnt(0)
	v_cmp_neq_f64_e64 s[0:1], v[7:8], v[5:6]
	v_mbcnt_hi_u32_b32 v3, -1, v1
	v_lshlrev_b32_e32 v5, 2, v3
	v_or_b32_e32 v4, 0xfc, v5
	v_cndmask_b32_e32 v2, v12, v9, vcc
	v_cndmask_b32_e32 v1, v11, v10, vcc
	s_nop 0
	v_mov_b32_dpp v7, v2 quad_perm:[1,0,3,2] row_mask:0xf bank_mask:0xf bound_ctrl:1
	s_or_b64 s[0:1], vcc, s[0:1]
	v_mov_b32_dpp v6, v1 quad_perm:[1,0,3,2] row_mask:0xf bank_mask:0xf bound_ctrl:1
	v_cndmask_b32_e64 v8, 0, 1, s[0:1]
	v_cmp_lt_i64_e32 vcc, v[1:2], v[6:7]
	s_and_b64 vcc, s[0:1], vcc
	v_mov_b32_dpp v9, v8 quad_perm:[1,0,3,2] row_mask:0xf bank_mask:0xf bound_ctrl:1
	v_and_b32_e32 v9, 1, v9
	v_cndmask_b32_e32 v6, v6, v1, vcc
	v_cndmask_b32_e32 v7, v7, v2, vcc
	v_cmp_eq_u32_e32 vcc, 1, v9
	v_cndmask_b32_e32 v2, v2, v7, vcc
	v_cndmask_b32_e32 v1, v1, v6, vcc
	v_cndmask_b32_e64 v8, v8, 1, vcc
	v_mov_b32_dpp v7, v2 quad_perm:[2,3,0,1] row_mask:0xf bank_mask:0xf bound_ctrl:1
	v_mov_b32_dpp v6, v1 quad_perm:[2,3,0,1] row_mask:0xf bank_mask:0xf bound_ctrl:1
	v_and_b32_e32 v10, 1, v8
	v_cmp_lt_i64_e64 s[0:1], v[1:2], v[6:7]
	v_mov_b32_dpp v9, v8 quad_perm:[2,3,0,1] row_mask:0xf bank_mask:0xf bound_ctrl:1
	v_cmp_eq_u32_e32 vcc, 1, v10
	v_and_b32_e32 v9, 1, v9
	s_and_b64 vcc, vcc, s[0:1]
	v_cmp_eq_u32_e64 s[2:3], 1, v9
	v_cndmask_b32_e32 v6, v6, v1, vcc
	v_cndmask_b32_e32 v7, v7, v2, vcc
	v_cndmask_b32_e64 v1, v1, v6, s[2:3]
	v_cndmask_b32_e64 v2, v2, v7, s[2:3]
	;; [unrolled: 1-line block ×3, first 2 shown]
	v_mov_b32_dpp v6, v1 row_ror:4 row_mask:0xf bank_mask:0xf bound_ctrl:1
	v_mov_b32_dpp v7, v2 row_ror:4 row_mask:0xf bank_mask:0xf bound_ctrl:1
	v_and_b32_e32 v10, 1, v8
	v_cmp_lt_i64_e64 s[2:3], v[1:2], v[6:7]
	v_mov_b32_dpp v9, v8 row_ror:4 row_mask:0xf bank_mask:0xf bound_ctrl:1
	v_cmp_eq_u32_e32 vcc, 1, v10
	v_and_b32_e32 v9, 1, v9
	s_and_b64 vcc, vcc, s[2:3]
	v_cmp_eq_u32_e64 s[0:1], 1, v9
	v_cndmask_b32_e32 v6, v6, v1, vcc
	v_cndmask_b32_e32 v7, v7, v2, vcc
	v_cndmask_b32_e64 v1, v1, v6, s[0:1]
	v_cndmask_b32_e64 v2, v2, v7, s[0:1]
	v_cndmask_b32_e64 v8, v8, 1, s[0:1]
	v_mov_b32_dpp v6, v1 row_ror:8 row_mask:0xf bank_mask:0xf bound_ctrl:1
	v_mov_b32_dpp v7, v2 row_ror:8 row_mask:0xf bank_mask:0xf bound_ctrl:1
	;; [unrolled: 1-line block ×3, first 2 shown]
	v_and_b32_e32 v10, 1, v8
	v_cmp_lt_i64_e64 s[2:3], v[1:2], v[6:7]
	v_and_b32_e32 v9, 1, v9
	v_cmp_eq_u32_e64 s[8:9], 1, v10
	v_cmp_eq_u32_e64 s[10:11], 1, v9
	s_and_b64 s[2:3], s[8:9], s[2:3]
	v_cndmask_b32_e64 v8, v8, 1, s[10:11]
	v_cndmask_b32_e64 v6, v6, v1, s[2:3]
	;; [unrolled: 1-line block ×3, first 2 shown]
	v_mov_b32_dpp v9, v8 row_bcast:15 row_mask:0xf bank_mask:0xf bound_ctrl:1
	v_cndmask_b32_e64 v1, v1, v6, s[10:11]
	v_cndmask_b32_e64 v2, v2, v7, s[10:11]
	v_and_b32_e32 v9, 1, v9
	v_mov_b32_dpp v6, v1 row_bcast:15 row_mask:0xf bank_mask:0xf bound_ctrl:1
	v_mov_b32_dpp v7, v2 row_bcast:15 row_mask:0xf bank_mask:0xf bound_ctrl:1
	v_and_b32_e32 v10, 1, v8
	v_cmp_eq_u32_e64 s[0:1], 1, v9
	v_cmp_lt_i64_e64 s[2:3], v[1:2], v[6:7]
	v_cmp_eq_u32_e32 vcc, 1, v10
	v_cndmask_b32_e64 v8, v8, 1, s[0:1]
	s_and_b64 vcc, vcc, s[2:3]
	v_cndmask_b32_e32 v6, v6, v1, vcc
	v_mov_b32_dpp v9, v8 row_bcast:31 row_mask:0xf bank_mask:0xf bound_ctrl:1
	v_and_b32_e32 v9, 1, v9
	v_cndmask_b32_e32 v7, v7, v2, vcc
	v_and_b32_e32 v10, 1, v8
	v_cmp_eq_u32_e64 s[8:9], 1, v9
	v_cndmask_b32_e64 v1, v1, v6, s[0:1]
	v_cndmask_b32_e64 v2, v2, v7, s[0:1]
	v_cmp_eq_u32_e64 s[12:13], 1, v10
	v_cndmask_b32_e64 v10, v8, 1, s[8:9]
	v_mov_b32_dpp v8, v1 row_bcast:31 row_mask:0xf bank_mask:0xf bound_ctrl:1
	v_mov_b32_dpp v9, v2 row_bcast:31 row_mask:0xf bank_mask:0xf bound_ctrl:1
	v_cmp_lt_i64_e32 vcc, v[1:2], v[8:9]
	ds_bpermute_b32 v7, v4, v10
	s_and_b64 vcc, s[12:13], vcc
	v_cndmask_b32_e32 v6, v8, v1, vcc
	v_cndmask_b32_e32 v8, v9, v2, vcc
	v_cndmask_b32_e64 v1, v1, v6, s[8:9]
	v_cndmask_b32_e64 v2, v2, v8, s[8:9]
	ds_bpermute_b32 v1, v4, v1
	ds_bpermute_b32 v2, v4, v2
	v_cmp_eq_u32_e32 vcc, 0, v3
	s_and_saveexec_b64 s[0:1], vcc
	s_cbranch_execz .LBB439_224
; %bb.223:
	v_lshrrev_b32_e32 v4, 2, v0
	v_and_b32_e32 v4, 16, v4
	s_waitcnt lgkmcnt(2)
	ds_write_b8 v4, v7 offset:32
	s_waitcnt lgkmcnt(1)
	ds_write_b64 v4, v[1:2] offset:40
.LBB439_224:
	s_or_b64 exec, exec, s[0:1]
	v_cmp_gt_u32_e32 vcc, 64, v0
	s_waitcnt lgkmcnt(0)
	s_barrier
	s_and_saveexec_b64 s[0:1], vcc
	s_cbranch_execz .LBB439_230
; %bb.225:
	v_and_b32_e32 v1, 1, v3
	v_lshlrev_b32_e32 v1, 4, v1
	ds_read_u8 v8, v1 offset:32
	ds_read_b64 v[3:4], v1 offset:40
	v_or_b32_e32 v2, 4, v5
	s_waitcnt lgkmcnt(1)
	v_and_b32_e32 v1, 0xff, v8
	ds_bpermute_b32 v9, v2, v1
	s_waitcnt lgkmcnt(1)
	ds_bpermute_b32 v5, v2, v3
	ds_bpermute_b32 v6, v2, v4
	s_waitcnt lgkmcnt(2)
	v_and_b32_e32 v1, v8, v9
	v_and_b32_e32 v1, 1, v1
	v_cmp_eq_u32_e32 vcc, 1, v1
                                        ; implicit-def: $vgpr1_vgpr2
	s_and_saveexec_b64 s[2:3], vcc
	s_xor_b64 s[2:3], exec, s[2:3]
	s_cbranch_execz .LBB439_227
; %bb.226:
	s_waitcnt lgkmcnt(0)
	v_cmp_lt_i64_e32 vcc, v[5:6], v[3:4]
                                        ; implicit-def: $vgpr8
                                        ; implicit-def: $vgpr9
	v_cndmask_b32_e32 v2, v4, v6, vcc
	v_cndmask_b32_e32 v1, v3, v5, vcc
                                        ; implicit-def: $vgpr5_vgpr6
                                        ; implicit-def: $vgpr3_vgpr4
.LBB439_227:
	s_or_saveexec_b64 s[2:3], s[2:3]
	v_mov_b32_e32 v7, 1
	s_xor_b64 exec, exec, s[2:3]
	s_cbranch_execz .LBB439_229
; %bb.228:
	v_and_b32_e32 v1, 1, v8
	v_cmp_eq_u32_e32 vcc, 1, v1
	s_waitcnt lgkmcnt(0)
	v_cndmask_b32_e32 v2, v6, v4, vcc
	v_cndmask_b32_e32 v1, v5, v3, vcc
	v_cndmask_b32_e64 v7, v9, 1, vcc
.LBB439_229:
	s_or_b64 exec, exec, s[2:3]
.LBB439_230:
	s_or_b64 exec, exec, s[0:1]
	s_branch .LBB439_285
.LBB439_231:
                                        ; implicit-def: $vgpr3_vgpr4
                                        ; implicit-def: $vgpr5
                                        ; implicit-def: $vgpr1_vgpr2
	s_cbranch_execnz .LBB439_290
	s_branch .LBB439_306
.LBB439_232:
                                        ; implicit-def: $vgpr3_vgpr4
                                        ; implicit-def: $vgpr5
                                        ; implicit-def: $vgpr1_vgpr2
	s_branch .LBB439_306
.LBB439_233:
                                        ; implicit-def: $vgpr1_vgpr2
                                        ; implicit-def: $vgpr7
	s_cbranch_execz .LBB439_285
; %bb.234:
	s_sub_i32 s10, s22, s30
	s_waitcnt lgkmcnt(0)
	v_mov_b32_e32 v3, 0
	v_mov_b32_e32 v1, 0
	v_cmp_gt_u32_e32 vcc, s10, v0
	v_mov_b32_e32 v6, 0
	v_mov_b32_e32 v4, 0
	;; [unrolled: 1-line block ×4, first 2 shown]
	s_and_saveexec_b64 s[0:1], vcc
	s_cbranch_execz .LBB439_236
; %bb.235:
	v_lshlrev_b32_e32 v1, 3, v0
	global_load_dwordx2 v[7:8], v1, s[16:17]
	global_load_dwordx2 v[9:10], v1, s[18:19]
	v_mov_b32_e32 v2, s34
	v_add_co_u32_e32 v1, vcc, s31, v0
	v_addc_co_u32_e32 v2, vcc, 0, v2, vcc
	s_waitcnt vmcnt(0)
	v_cmp_neq_f64_e32 vcc, v[7:8], v[9:10]
	v_cndmask_b32_e64 v5, 0, 1, vcc
.LBB439_236:
	s_or_b64 exec, exec, s[0:1]
	v_or_b32_e32 v7, 0x80, v0
	v_cmp_gt_u32_e32 vcc, s10, v7
	s_and_saveexec_b64 s[2:3], vcc
	s_cbranch_execz .LBB439_238
; %bb.237:
	v_lshlrev_b32_e32 v3, 3, v0
	global_load_dwordx2 v[8:9], v3, s[16:17] offset:1024
	global_load_dwordx2 v[10:11], v3, s[18:19] offset:1024
	v_mov_b32_e32 v4, s34
	v_add_co_u32_e64 v3, s[0:1], s31, v7
	v_addc_co_u32_e64 v4, s[0:1], 0, v4, s[0:1]
	s_waitcnt vmcnt(0)
	v_cmp_neq_f64_e64 s[0:1], v[8:9], v[10:11]
	v_cndmask_b32_e64 v6, 0, 1, s[0:1]
.LBB439_238:
	s_or_b64 exec, exec, s[2:3]
	v_and_b32_e32 v8, 0xffff, v6
	v_and_b32_e32 v6, 1, v6
	v_cmp_lt_i64_e64 s[2:3], v[3:4], v[1:2]
	v_and_b32_e32 v7, 0xffff, v5
	v_cmp_eq_u32_e64 s[0:1], 1, v6
	v_and_b32_e32 v5, 1, v5
	v_cmp_eq_u32_e64 s[8:9], 1, v5
	s_and_b64 s[0:1], s[0:1], s[2:3]
	v_cndmask_b32_e64 v5, v8, 1, s[8:9]
	v_cndmask_b32_e64 v8, v1, v3, s[0:1]
	;; [unrolled: 1-line block ×3, first 2 shown]
	v_cndmask_b32_e32 v1, v1, v3, vcc
	v_mbcnt_lo_u32_b32 v3, -1, 0
	v_cndmask_b32_e64 v6, v2, v4, s[0:1]
	v_cndmask_b32_e32 v7, v7, v5, vcc
	v_mbcnt_hi_u32_b32 v5, -1, v3
	v_cndmask_b32_e64 v4, v4, v6, s[8:9]
	v_and_b32_e32 v6, 63, v5
	v_cndmask_b32_e32 v2, v2, v4, vcc
	v_cmp_ne_u32_e32 vcc, 63, v6
	v_addc_co_u32_e32 v3, vcc, 0, v5, vcc
	v_lshlrev_b32_e32 v4, 2, v3
	ds_bpermute_b32 v9, v4, v7
	ds_bpermute_b32 v3, v4, v1
	;; [unrolled: 1-line block ×3, first 2 shown]
	s_min_u32 s8, s10, 0x80
	v_and_b32_e32 v8, 64, v0
	v_sub_u32_e64 v8, s8, v8 clamp
	v_add_u32_e32 v10, 1, v6
	v_cmp_lt_u32_e32 vcc, v10, v8
	s_and_saveexec_b64 s[0:1], vcc
	s_cbranch_execz .LBB439_244
; %bb.239:
	s_waitcnt lgkmcnt(2)
	v_and_b32_e32 v10, v9, v7
	v_cmp_ne_u32_e32 vcc, 0, v10
	s_and_saveexec_b64 s[2:3], vcc
	s_xor_b64 s[2:3], exec, s[2:3]
	s_cbranch_execz .LBB439_241
; %bb.240:
	s_waitcnt lgkmcnt(0)
	v_cmp_lt_i64_e32 vcc, v[3:4], v[1:2]
                                        ; implicit-def: $vgpr7
                                        ; implicit-def: $vgpr9
	v_cndmask_b32_e32 v2, v2, v4, vcc
	v_cndmask_b32_e32 v1, v1, v3, vcc
                                        ; implicit-def: $vgpr3_vgpr4
.LBB439_241:
	s_or_saveexec_b64 s[2:3], s[2:3]
	v_mov_b32_e32 v10, 1
	s_xor_b64 exec, exec, s[2:3]
	s_cbranch_execz .LBB439_243
; %bb.242:
	v_and_b32_e32 v7, 1, v7
	v_cmp_eq_u32_e32 vcc, 1, v7
	s_waitcnt lgkmcnt(1)
	v_cndmask_b32_e32 v1, v3, v1, vcc
	v_and_b32_e32 v3, 0xff, v9
	s_waitcnt lgkmcnt(0)
	v_cndmask_b32_e32 v2, v4, v2, vcc
	v_cndmask_b32_e64 v10, v3, 1, vcc
.LBB439_243:
	s_or_b64 exec, exec, s[2:3]
	v_mov_b32_e32 v7, v10
.LBB439_244:
	s_or_b64 exec, exec, s[0:1]
	v_cmp_gt_u32_e32 vcc, 62, v6
	s_waitcnt lgkmcnt(1)
	v_cndmask_b32_e64 v3, 0, 2, vcc
	s_waitcnt lgkmcnt(0)
	v_add_lshl_u32 v4, v3, v5, 2
	ds_bpermute_b32 v9, v4, v7
	ds_bpermute_b32 v3, v4, v1
	ds_bpermute_b32 v4, v4, v2
	v_add_u32_e32 v10, 2, v6
	v_cmp_lt_u32_e32 vcc, v10, v8
	s_and_saveexec_b64 s[0:1], vcc
	s_cbranch_execz .LBB439_250
; %bb.245:
	s_waitcnt lgkmcnt(2)
	v_and_b32_e32 v10, v7, v9
	v_and_b32_e32 v10, 1, v10
	v_cmp_eq_u32_e32 vcc, 1, v10
	s_and_saveexec_b64 s[2:3], vcc
	s_xor_b64 s[2:3], exec, s[2:3]
	s_cbranch_execz .LBB439_247
; %bb.246:
	s_waitcnt lgkmcnt(0)
	v_cmp_lt_i64_e32 vcc, v[3:4], v[1:2]
                                        ; implicit-def: $vgpr7
                                        ; implicit-def: $vgpr9
	v_cndmask_b32_e32 v2, v2, v4, vcc
	v_cndmask_b32_e32 v1, v1, v3, vcc
                                        ; implicit-def: $vgpr3_vgpr4
.LBB439_247:
	s_or_saveexec_b64 s[2:3], s[2:3]
	v_mov_b32_e32 v10, 1
	s_xor_b64 exec, exec, s[2:3]
	s_cbranch_execz .LBB439_249
; %bb.248:
	v_and_b32_e32 v7, 1, v7
	v_cmp_eq_u32_e32 vcc, 1, v7
	s_waitcnt lgkmcnt(1)
	v_cndmask_b32_e32 v1, v3, v1, vcc
	v_and_b32_e32 v3, 0xff, v9
	s_waitcnt lgkmcnt(0)
	v_cndmask_b32_e32 v2, v4, v2, vcc
	v_cndmask_b32_e64 v10, v3, 1, vcc
.LBB439_249:
	s_or_b64 exec, exec, s[2:3]
	v_mov_b32_e32 v7, v10
.LBB439_250:
	s_or_b64 exec, exec, s[0:1]
	v_cmp_gt_u32_e32 vcc, 60, v6
	s_waitcnt lgkmcnt(1)
	v_cndmask_b32_e64 v3, 0, 4, vcc
	s_waitcnt lgkmcnt(0)
	v_add_lshl_u32 v4, v3, v5, 2
	ds_bpermute_b32 v9, v4, v7
	ds_bpermute_b32 v3, v4, v1
	ds_bpermute_b32 v4, v4, v2
	v_add_u32_e32 v10, 4, v6
	v_cmp_lt_u32_e32 vcc, v10, v8
	s_and_saveexec_b64 s[0:1], vcc
	s_cbranch_execz .LBB439_256
; %bb.251:
	s_waitcnt lgkmcnt(2)
	v_and_b32_e32 v10, v7, v9
	v_and_b32_e32 v10, 1, v10
	v_cmp_eq_u32_e32 vcc, 1, v10
	s_and_saveexec_b64 s[2:3], vcc
	s_xor_b64 s[2:3], exec, s[2:3]
	s_cbranch_execz .LBB439_253
; %bb.252:
	s_waitcnt lgkmcnt(0)
	v_cmp_lt_i64_e32 vcc, v[3:4], v[1:2]
                                        ; implicit-def: $vgpr7
                                        ; implicit-def: $vgpr9
	v_cndmask_b32_e32 v2, v2, v4, vcc
	v_cndmask_b32_e32 v1, v1, v3, vcc
                                        ; implicit-def: $vgpr3_vgpr4
.LBB439_253:
	s_or_saveexec_b64 s[2:3], s[2:3]
	v_mov_b32_e32 v10, 1
	s_xor_b64 exec, exec, s[2:3]
	s_cbranch_execz .LBB439_255
; %bb.254:
	v_and_b32_e32 v7, 1, v7
	v_cmp_eq_u32_e32 vcc, 1, v7
	s_waitcnt lgkmcnt(1)
	v_cndmask_b32_e32 v1, v3, v1, vcc
	v_and_b32_e32 v3, 0xff, v9
	s_waitcnt lgkmcnt(0)
	v_cndmask_b32_e32 v2, v4, v2, vcc
	v_cndmask_b32_e64 v10, v3, 1, vcc
.LBB439_255:
	s_or_b64 exec, exec, s[2:3]
	v_mov_b32_e32 v7, v10
.LBB439_256:
	s_or_b64 exec, exec, s[0:1]
	v_cmp_gt_u32_e32 vcc, 56, v6
	s_waitcnt lgkmcnt(1)
	v_cndmask_b32_e64 v3, 0, 8, vcc
	s_waitcnt lgkmcnt(0)
	v_add_lshl_u32 v4, v3, v5, 2
	ds_bpermute_b32 v9, v4, v7
	ds_bpermute_b32 v3, v4, v1
	ds_bpermute_b32 v4, v4, v2
	v_add_u32_e32 v10, 8, v6
	v_cmp_lt_u32_e32 vcc, v10, v8
	s_and_saveexec_b64 s[0:1], vcc
	s_cbranch_execz .LBB439_262
; %bb.257:
	s_waitcnt lgkmcnt(2)
	v_and_b32_e32 v10, v7, v9
	v_and_b32_e32 v10, 1, v10
	v_cmp_eq_u32_e32 vcc, 1, v10
	s_and_saveexec_b64 s[2:3], vcc
	s_xor_b64 s[2:3], exec, s[2:3]
	s_cbranch_execz .LBB439_259
; %bb.258:
	s_waitcnt lgkmcnt(0)
	v_cmp_lt_i64_e32 vcc, v[3:4], v[1:2]
                                        ; implicit-def: $vgpr7
                                        ; implicit-def: $vgpr9
	v_cndmask_b32_e32 v2, v2, v4, vcc
	v_cndmask_b32_e32 v1, v1, v3, vcc
                                        ; implicit-def: $vgpr3_vgpr4
.LBB439_259:
	s_or_saveexec_b64 s[2:3], s[2:3]
	v_mov_b32_e32 v10, 1
	s_xor_b64 exec, exec, s[2:3]
	s_cbranch_execz .LBB439_261
; %bb.260:
	v_and_b32_e32 v7, 1, v7
	v_cmp_eq_u32_e32 vcc, 1, v7
	s_waitcnt lgkmcnt(1)
	v_cndmask_b32_e32 v1, v3, v1, vcc
	v_and_b32_e32 v3, 0xff, v9
	s_waitcnt lgkmcnt(0)
	v_cndmask_b32_e32 v2, v4, v2, vcc
	v_cndmask_b32_e64 v10, v3, 1, vcc
.LBB439_261:
	s_or_b64 exec, exec, s[2:3]
	v_mov_b32_e32 v7, v10
.LBB439_262:
	s_or_b64 exec, exec, s[0:1]
	v_cmp_gt_u32_e32 vcc, 48, v6
	s_waitcnt lgkmcnt(1)
	v_cndmask_b32_e64 v3, 0, 16, vcc
	s_waitcnt lgkmcnt(0)
	v_add_lshl_u32 v4, v3, v5, 2
	ds_bpermute_b32 v9, v4, v7
	ds_bpermute_b32 v3, v4, v1
	ds_bpermute_b32 v4, v4, v2
	v_add_u32_e32 v10, 16, v6
	v_cmp_lt_u32_e32 vcc, v10, v8
	s_and_saveexec_b64 s[0:1], vcc
	s_cbranch_execz .LBB439_268
; %bb.263:
	s_waitcnt lgkmcnt(2)
	v_and_b32_e32 v10, v7, v9
	v_and_b32_e32 v10, 1, v10
	v_cmp_eq_u32_e32 vcc, 1, v10
	s_and_saveexec_b64 s[2:3], vcc
	s_xor_b64 s[2:3], exec, s[2:3]
	s_cbranch_execz .LBB439_265
; %bb.264:
	s_waitcnt lgkmcnt(0)
	v_cmp_lt_i64_e32 vcc, v[3:4], v[1:2]
                                        ; implicit-def: $vgpr7
                                        ; implicit-def: $vgpr9
	v_cndmask_b32_e32 v2, v2, v4, vcc
	v_cndmask_b32_e32 v1, v1, v3, vcc
                                        ; implicit-def: $vgpr3_vgpr4
.LBB439_265:
	s_or_saveexec_b64 s[2:3], s[2:3]
	v_mov_b32_e32 v10, 1
	s_xor_b64 exec, exec, s[2:3]
	s_cbranch_execz .LBB439_267
; %bb.266:
	v_and_b32_e32 v7, 1, v7
	v_cmp_eq_u32_e32 vcc, 1, v7
	s_waitcnt lgkmcnt(1)
	v_cndmask_b32_e32 v1, v3, v1, vcc
	v_and_b32_e32 v3, 0xff, v9
	s_waitcnt lgkmcnt(0)
	v_cndmask_b32_e32 v2, v4, v2, vcc
	v_cndmask_b32_e64 v10, v3, 1, vcc
.LBB439_267:
	s_or_b64 exec, exec, s[2:3]
	v_mov_b32_e32 v7, v10
.LBB439_268:
	s_or_b64 exec, exec, s[0:1]
	s_waitcnt lgkmcnt(2)
	v_lshlrev_b32_e32 v9, 2, v5
	s_waitcnt lgkmcnt(0)
	v_or_b32_e32 v4, 0x80, v9
	ds_bpermute_b32 v10, v4, v7
	ds_bpermute_b32 v3, v4, v1
	;; [unrolled: 1-line block ×3, first 2 shown]
	v_add_u32_e32 v6, 32, v6
	v_cmp_lt_u32_e32 vcc, v6, v8
	v_mov_b32_e32 v6, v7
	s_and_saveexec_b64 s[0:1], vcc
	s_cbranch_execz .LBB439_274
; %bb.269:
	s_waitcnt lgkmcnt(2)
	v_and_b32_e32 v6, v7, v10
	v_and_b32_e32 v6, 1, v6
	v_cmp_eq_u32_e32 vcc, 1, v6
	s_and_saveexec_b64 s[2:3], vcc
	s_xor_b64 s[2:3], exec, s[2:3]
	s_cbranch_execz .LBB439_271
; %bb.270:
	s_waitcnt lgkmcnt(0)
	v_cmp_lt_i64_e32 vcc, v[3:4], v[1:2]
                                        ; implicit-def: $vgpr7
                                        ; implicit-def: $vgpr10
	v_cndmask_b32_e32 v2, v2, v4, vcc
	v_cndmask_b32_e32 v1, v1, v3, vcc
                                        ; implicit-def: $vgpr3_vgpr4
.LBB439_271:
	s_or_saveexec_b64 s[2:3], s[2:3]
	v_mov_b32_e32 v6, 1
	s_xor_b64 exec, exec, s[2:3]
	s_cbranch_execz .LBB439_273
; %bb.272:
	v_and_b32_e32 v6, 1, v7
	v_cmp_eq_u32_e32 vcc, 1, v6
	v_cndmask_b32_e64 v6, v10, 1, vcc
	s_waitcnt lgkmcnt(0)
	v_cndmask_b32_e32 v2, v4, v2, vcc
	v_cndmask_b32_e32 v1, v3, v1, vcc
.LBB439_273:
	s_or_b64 exec, exec, s[2:3]
	v_and_b32_e32 v7, 0xff, v6
.LBB439_274:
	s_or_b64 exec, exec, s[0:1]
	v_cmp_eq_u32_e32 vcc, 0, v5
	s_and_saveexec_b64 s[0:1], vcc
	s_cbranch_execz .LBB439_276
; %bb.275:
	s_waitcnt lgkmcnt(1)
	v_lshrrev_b32_e32 v3, 2, v0
	v_and_b32_e32 v3, 16, v3
	ds_write_b8 v3, v6 offset:128
	ds_write_b64 v3, v[1:2] offset:136
.LBB439_276:
	s_or_b64 exec, exec, s[0:1]
	v_cmp_gt_u32_e32 vcc, 2, v0
	s_waitcnt lgkmcnt(0)
	s_barrier
	s_and_saveexec_b64 s[0:1], vcc
	s_cbranch_execz .LBB439_284
; %bb.277:
	v_lshlrev_b32_e32 v1, 4, v5
	ds_read_u8 v6, v1 offset:128
	ds_read_b64 v[1:2], v1 offset:136
	v_or_b32_e32 v4, 4, v9
	s_add_i32 s8, s8, 63
	v_and_b32_e32 v5, 1, v5
	s_waitcnt lgkmcnt(1)
	v_and_b32_e32 v7, 0xff, v6
	s_waitcnt lgkmcnt(0)
	ds_bpermute_b32 v3, v4, v1
	ds_bpermute_b32 v8, v4, v7
	;; [unrolled: 1-line block ×3, first 2 shown]
	s_lshr_b32 s2, s8, 6
	v_add_u32_e32 v5, 1, v5
	v_cmp_gt_u32_e32 vcc, s2, v5
	s_and_saveexec_b64 s[2:3], vcc
	s_cbranch_execz .LBB439_283
; %bb.278:
	s_waitcnt lgkmcnt(1)
	v_and_b32_e32 v5, v7, v8
	v_and_b32_e32 v5, 1, v5
	v_cmp_eq_u32_e32 vcc, 1, v5
	s_and_saveexec_b64 s[8:9], vcc
	s_xor_b64 s[8:9], exec, s[8:9]
	s_cbranch_execz .LBB439_280
; %bb.279:
	s_waitcnt lgkmcnt(0)
	v_cmp_lt_i64_e32 vcc, v[3:4], v[1:2]
                                        ; implicit-def: $vgpr6
                                        ; implicit-def: $vgpr8
	v_cndmask_b32_e32 v2, v2, v4, vcc
	v_cndmask_b32_e32 v1, v1, v3, vcc
                                        ; implicit-def: $vgpr3_vgpr4
.LBB439_280:
	s_or_saveexec_b64 s[8:9], s[8:9]
	v_mov_b32_e32 v7, 1
	s_xor_b64 exec, exec, s[8:9]
	s_cbranch_execz .LBB439_282
; %bb.281:
	v_and_b32_e32 v5, 1, v6
	v_cmp_eq_u32_e32 vcc, 1, v5
	s_waitcnt lgkmcnt(0)
	v_cndmask_b32_e32 v2, v4, v2, vcc
	v_cndmask_b32_e32 v1, v3, v1, vcc
	v_cndmask_b32_e64 v7, v8, 1, vcc
.LBB439_282:
	s_or_b64 exec, exec, s[8:9]
.LBB439_283:
	s_or_b64 exec, exec, s[2:3]
.LBB439_284:
	s_or_b64 exec, exec, s[0:1]
.LBB439_285:
	v_cmp_eq_u32_e32 vcc, 0, v0
                                        ; implicit-def: $vgpr3_vgpr4
                                        ; implicit-def: $vgpr5
	s_and_saveexec_b64 s[0:1], vcc
	s_xor_b64 s[8:9], exec, s[0:1]
	s_cbranch_execz .LBB439_289
; %bb.286:
	s_waitcnt lgkmcnt(0)
	v_mov_b32_e32 v3, s28
	s_cmp_eq_u64 s[22:23], 0
	v_mov_b32_e32 v4, s29
	v_mov_b32_e32 v5, s33
	s_cbranch_scc1 .LBB439_288
; %bb.287:
	v_and_b32_e32 v3, 1, v7
	v_cmp_gt_i64_e64 s[0:1], s[28:29], v[1:2]
	s_bitcmp1_b32 s33, 0
	v_cmp_eq_u32_e32 vcc, 1, v3
	s_cselect_b64 s[2:3], -1, 0
	v_mov_b32_e32 v3, s28
	s_and_b64 vcc, vcc, s[0:1]
	v_mov_b32_e32 v4, s29
	v_cndmask_b32_e32 v3, v3, v1, vcc
	v_cndmask_b32_e32 v4, v4, v2, vcc
	v_cndmask_b32_e64 v5, v7, 1, s[2:3]
	v_cndmask_b32_e64 v4, v2, v4, s[2:3]
	;; [unrolled: 1-line block ×3, first 2 shown]
.LBB439_288:
	s_or_b64 s[14:15], s[14:15], exec
.LBB439_289:
	s_or_b64 exec, exec, s[8:9]
	v_mov_b32_e32 v1, s6
	v_mov_b32_e32 v2, s7
	s_branch .LBB439_306
.LBB439_290:
	s_cmp_eq_u32 s38, 1
	s_cbranch_scc0 .LBB439_305
; %bb.291:
	s_mov_b32 s9, 0
	s_lshl_b32 s8, s6, 7
	s_mov_b32 s7, s9
	s_lshr_b64 s[0:1], s[22:23], 7
	s_cmp_lg_u64 s[0:1], s[6:7]
	s_cbranch_scc0 .LBB439_309
; %bb.292:
	s_lshl_b64 s[0:1], s[8:9], 3
	s_add_u32 s2, s24, s0
	s_addc_u32 s3, s25, s1
	s_add_u32 s0, s26, s0
	s_waitcnt lgkmcnt(1)
	v_lshlrev_b32_e32 v5, 3, v0
	s_addc_u32 s1, s27, s1
	global_load_dwordx2 v[1:2], v5, s[2:3]
	s_waitcnt lgkmcnt(0)
	global_load_dwordx2 v[3:4], v5, s[0:1]
	s_add_u32 s0, s20, s8
	s_addc_u32 s1, s21, 0
	v_mov_b32_e32 v5, s1
                                        ; implicit-def: $vgpr7
	s_waitcnt vmcnt(0)
	v_cmp_neq_f64_e32 vcc, v[1:2], v[3:4]
	v_add_co_u32_e64 v1, s[0:1], s0, v0
	v_addc_co_u32_e64 v2, s[0:1], 0, v5, s[0:1]
	s_nop 0
	v_mov_b32_dpp v3, v1 quad_perm:[1,0,3,2] row_mask:0xf bank_mask:0xf bound_ctrl:1
	v_mov_b32_dpp v4, v2 quad_perm:[1,0,3,2] row_mask:0xf bank_mask:0xf bound_ctrl:1
	v_cmp_lt_i64_e64 s[0:1], v[1:2], v[3:4]
	v_cndmask_b32_e64 v5, 0, 1, vcc
	s_and_b64 s[0:1], vcc, s[0:1]
	v_cndmask_b32_e64 v3, v3, v1, s[0:1]
	v_mov_b32_dpp v5, v5 quad_perm:[1,0,3,2] row_mask:0xf bank_mask:0xf bound_ctrl:1
	v_and_b32_e32 v5, 1, v5
	v_cndmask_b32_e64 v4, v4, v2, s[0:1]
	v_cmp_eq_u32_e64 s[0:1], 1, v5
	v_cndmask_b32_e64 v4, v2, v4, s[0:1]
	v_cndmask_b32_e64 v3, v1, v3, s[0:1]
	s_or_b64 s[0:1], s[0:1], vcc
	v_cndmask_b32_e64 v1, 0, 1, s[0:1]
	v_mov_b32_dpp v5, v3 quad_perm:[2,3,0,1] row_mask:0xf bank_mask:0xf bound_ctrl:1
	v_mov_b32_dpp v6, v4 quad_perm:[2,3,0,1] row_mask:0xf bank_mask:0xf bound_ctrl:1
	v_mov_b32_dpp v1, v1 quad_perm:[2,3,0,1] row_mask:0xf bank_mask:0xf bound_ctrl:1
	v_and_b32_e32 v1, 1, v1
	v_cmp_eq_u32_e32 vcc, 1, v1
	s_and_b64 s[2:3], vcc, s[0:1]
	s_xor_b64 s[2:3], s[2:3], -1
                                        ; implicit-def: $vgpr1_vgpr2
	s_and_saveexec_b64 s[10:11], s[2:3]
	s_xor_b64 s[2:3], exec, s[10:11]
; %bb.293:
	s_or_b64 s[0:1], vcc, s[0:1]
	v_cndmask_b32_e32 v2, v4, v6, vcc
	v_cndmask_b32_e32 v1, v3, v5, vcc
	v_cndmask_b32_e64 v7, 0, 1, s[0:1]
                                        ; implicit-def: $vgpr3_vgpr4
                                        ; implicit-def: $vgpr5_vgpr6
; %bb.294:
	s_andn2_saveexec_b64 s[0:1], s[2:3]
; %bb.295:
	v_cmp_lt_i64_e32 vcc, v[3:4], v[5:6]
	v_mov_b32_e32 v7, 1
	v_cndmask_b32_e32 v2, v6, v4, vcc
	v_cndmask_b32_e32 v1, v5, v3, vcc
; %bb.296:
	s_or_b64 exec, exec, s[0:1]
	s_nop 0
	v_mov_b32_dpp v4, v1 row_ror:4 row_mask:0xf bank_mask:0xf bound_ctrl:1
	v_mov_b32_dpp v5, v2 row_ror:4 row_mask:0xf bank_mask:0xf bound_ctrl:1
	v_and_b32_e32 v8, 1, v7
	v_cmp_lt_i64_e64 s[0:1], v[1:2], v[4:5]
	v_mov_b32_dpp v6, v7 row_ror:4 row_mask:0xf bank_mask:0xf bound_ctrl:1
	v_cmp_eq_u32_e32 vcc, 1, v8
	v_and_b32_e32 v6, 1, v6
	s_and_b64 vcc, vcc, s[0:1]
	v_cmp_eq_u32_e64 s[2:3], 1, v6
	v_cndmask_b32_e32 v4, v4, v1, vcc
	v_cndmask_b32_e32 v5, v5, v2, vcc
	v_cndmask_b32_e64 v2, v2, v5, s[2:3]
	v_cndmask_b32_e64 v1, v1, v4, s[2:3]
	;; [unrolled: 1-line block ×3, first 2 shown]
	v_mov_b32_dpp v5, v2 row_ror:8 row_mask:0xf bank_mask:0xf bound_ctrl:1
	v_mov_b32_dpp v4, v1 row_ror:8 row_mask:0xf bank_mask:0xf bound_ctrl:1
	v_and_b32_e32 v8, 1, v6
	v_cmp_lt_i64_e64 s[0:1], v[1:2], v[4:5]
	v_mov_b32_dpp v7, v6 row_ror:8 row_mask:0xf bank_mask:0xf bound_ctrl:1
	v_cmp_eq_u32_e32 vcc, 1, v8
	v_and_b32_e32 v7, 1, v7
	s_and_b64 vcc, vcc, s[0:1]
	v_cmp_eq_u32_e64 s[2:3], 1, v7
	v_cndmask_b32_e32 v4, v4, v1, vcc
	v_cndmask_b32_e32 v5, v5, v2, vcc
	v_cndmask_b32_e64 v2, v2, v5, s[2:3]
	v_cndmask_b32_e64 v1, v1, v4, s[2:3]
	;; [unrolled: 1-line block ×3, first 2 shown]
	v_mov_b32_dpp v5, v2 row_bcast:15 row_mask:0xf bank_mask:0xf bound_ctrl:1
	v_mov_b32_dpp v4, v1 row_bcast:15 row_mask:0xf bank_mask:0xf bound_ctrl:1
	v_and_b32_e32 v8, 1, v6
	v_cmp_lt_i64_e64 s[0:1], v[1:2], v[4:5]
	v_mov_b32_dpp v7, v6 row_bcast:15 row_mask:0xf bank_mask:0xf bound_ctrl:1
	v_cmp_eq_u32_e32 vcc, 1, v8
	v_and_b32_e32 v7, 1, v7
	s_and_b64 vcc, vcc, s[0:1]
	v_cmp_eq_u32_e64 s[2:3], 1, v7
	v_cndmask_b32_e32 v4, v4, v1, vcc
	v_cndmask_b32_e32 v5, v5, v2, vcc
	v_cndmask_b32_e64 v2, v2, v5, s[2:3]
	v_cndmask_b32_e64 v1, v1, v4, s[2:3]
	;; [unrolled: 1-line block ×3, first 2 shown]
	v_mov_b32_dpp v5, v2 row_bcast:31 row_mask:0xf bank_mask:0xf bound_ctrl:1
	v_mov_b32_dpp v4, v1 row_bcast:31 row_mask:0xf bank_mask:0xf bound_ctrl:1
	v_and_b32_e32 v8, 1, v6
	v_cmp_lt_i64_e64 s[0:1], v[1:2], v[4:5]
	v_mov_b32_dpp v7, v6 row_bcast:31 row_mask:0xf bank_mask:0xf bound_ctrl:1
	v_cmp_eq_u32_e32 vcc, 1, v8
	v_mbcnt_lo_u32_b32 v3, -1, 0
	v_and_b32_e32 v7, 1, v7
	s_and_b64 vcc, vcc, s[0:1]
	v_mbcnt_hi_u32_b32 v3, -1, v3
	v_cmp_eq_u32_e64 s[2:3], 1, v7
	v_cndmask_b32_e32 v5, v5, v2, vcc
	v_cndmask_b32_e32 v4, v4, v1, vcc
	v_cndmask_b32_e64 v2, v2, v5, s[2:3]
	v_lshlrev_b32_e32 v5, 2, v3
	v_cndmask_b32_e64 v6, v6, 1, s[2:3]
	v_cndmask_b32_e64 v1, v1, v4, s[2:3]
	v_or_b32_e32 v4, 0xfc, v5
	ds_bpermute_b32 v7, v4, v6
	ds_bpermute_b32 v1, v4, v1
	;; [unrolled: 1-line block ×3, first 2 shown]
	v_cmp_eq_u32_e32 vcc, 0, v3
	s_and_saveexec_b64 s[0:1], vcc
	s_cbranch_execz .LBB439_298
; %bb.297:
	v_lshrrev_b32_e32 v4, 2, v0
	v_and_b32_e32 v4, 16, v4
	s_waitcnt lgkmcnt(2)
	ds_write_b8 v4, v7
	s_waitcnt lgkmcnt(1)
	ds_write_b64 v4, v[1:2] offset:8
.LBB439_298:
	s_or_b64 exec, exec, s[0:1]
	v_cmp_gt_u32_e32 vcc, 64, v0
	s_waitcnt lgkmcnt(0)
	s_barrier
	s_and_saveexec_b64 s[0:1], vcc
	s_cbranch_execz .LBB439_304
; %bb.299:
	v_and_b32_e32 v1, 1, v3
	v_lshlrev_b32_e32 v1, 4, v1
	ds_read_u8 v8, v1
	ds_read_b64 v[3:4], v1 offset:8
	v_or_b32_e32 v2, 4, v5
	s_waitcnt lgkmcnt(1)
	v_and_b32_e32 v1, 0xff, v8
	ds_bpermute_b32 v9, v2, v1
	s_waitcnt lgkmcnt(1)
	ds_bpermute_b32 v5, v2, v3
	ds_bpermute_b32 v6, v2, v4
	s_waitcnt lgkmcnt(2)
	v_and_b32_e32 v1, v8, v9
	v_and_b32_e32 v1, 1, v1
	v_cmp_eq_u32_e32 vcc, 1, v1
                                        ; implicit-def: $vgpr1_vgpr2
	s_and_saveexec_b64 s[2:3], vcc
	s_xor_b64 s[2:3], exec, s[2:3]
	s_cbranch_execz .LBB439_301
; %bb.300:
	s_waitcnt lgkmcnt(0)
	v_cmp_lt_i64_e32 vcc, v[5:6], v[3:4]
                                        ; implicit-def: $vgpr8
                                        ; implicit-def: $vgpr9
	v_cndmask_b32_e32 v2, v4, v6, vcc
	v_cndmask_b32_e32 v1, v3, v5, vcc
                                        ; implicit-def: $vgpr5_vgpr6
                                        ; implicit-def: $vgpr3_vgpr4
.LBB439_301:
	s_or_saveexec_b64 s[2:3], s[2:3]
	v_mov_b32_e32 v7, 1
	s_xor_b64 exec, exec, s[2:3]
	s_cbranch_execz .LBB439_303
; %bb.302:
	v_and_b32_e32 v1, 1, v8
	v_cmp_eq_u32_e32 vcc, 1, v1
	s_waitcnt lgkmcnt(0)
	v_cndmask_b32_e32 v2, v6, v4, vcc
	v_cndmask_b32_e32 v1, v5, v3, vcc
	v_cndmask_b32_e64 v7, v9, 1, vcc
.LBB439_303:
	s_or_b64 exec, exec, s[2:3]
.LBB439_304:
	s_or_b64 exec, exec, s[0:1]
	s_branch .LBB439_359
.LBB439_305:
                                        ; implicit-def: $vgpr3_vgpr4
                                        ; implicit-def: $vgpr5
                                        ; implicit-def: $vgpr1_vgpr2
.LBB439_306:
	s_and_saveexec_b64 s[0:1], s[14:15]
	s_cbranch_execz .LBB439_308
.LBB439_307:
	s_load_dwordx2 s[0:1], s[4:5], 0x38
	v_lshlrev_b64 v[0:1], 4, v[1:2]
	s_waitcnt lgkmcnt(0)
	v_mov_b32_e32 v2, s1
	v_add_co_u32_e32 v0, vcc, s0, v0
	v_addc_co_u32_e32 v1, vcc, v2, v1, vcc
	global_store_byte v[0:1], v5, off
	global_store_dwordx2 v[0:1], v[3:4], off offset:8
.LBB439_308:
	s_endpgm
.LBB439_309:
                                        ; implicit-def: $vgpr1_vgpr2
                                        ; implicit-def: $vgpr7
	s_cbranch_execz .LBB439_359
; %bb.310:
	s_sub_i32 s2, s22, s8
	v_mov_b32_e32 v1, 0
	v_cmp_gt_u32_e32 vcc, s2, v0
	v_mov_b32_e32 v2, 0
	v_mov_b32_e32 v9, 0
	s_and_saveexec_b64 s[0:1], vcc
	s_cbranch_execz .LBB439_312
; %bb.311:
	s_lshl_b64 s[10:11], s[8:9], 3
	s_add_u32 s12, s26, s10
	s_addc_u32 s13, s27, s11
	s_add_u32 s10, s24, s10
	s_addc_u32 s11, s25, s11
	v_lshlrev_b32_e32 v1, 3, v0
	s_waitcnt lgkmcnt(0)
	global_load_dwordx2 v[3:4], v1, s[10:11]
	global_load_dwordx2 v[5:6], v1, s[12:13]
	s_add_u32 s3, s20, s8
	s_addc_u32 s8, s21, 0
	v_mov_b32_e32 v2, s8
	v_add_co_u32_e32 v1, vcc, s3, v0
	v_addc_co_u32_e32 v2, vcc, 0, v2, vcc
	s_waitcnt vmcnt(0)
	v_cmp_neq_f64_e32 vcc, v[3:4], v[5:6]
	v_cndmask_b32_e64 v9, 0, 1, vcc
.LBB439_312:
	s_or_b64 exec, exec, s[0:1]
	s_waitcnt lgkmcnt(2)
	v_mbcnt_lo_u32_b32 v3, -1, 0
	s_waitcnt lgkmcnt(1)
	v_mbcnt_hi_u32_b32 v5, -1, v3
	s_waitcnt lgkmcnt(0)
	v_and_b32_e32 v6, 63, v5
	v_cmp_ne_u32_e32 vcc, 63, v6
	v_addc_co_u32_e32 v3, vcc, 0, v5, vcc
	v_and_b32_e32 v7, 0xffff, v9
	v_lshlrev_b32_e32 v4, 2, v3
	ds_bpermute_b32 v10, v4, v7
	ds_bpermute_b32 v3, v4, v1
	;; [unrolled: 1-line block ×3, first 2 shown]
	s_min_u32 s8, s2, 0x80
	v_and_b32_e32 v8, 64, v0
	v_sub_u32_e64 v8, s8, v8 clamp
	v_add_u32_e32 v11, 1, v6
	v_cmp_lt_u32_e32 vcc, v11, v8
	s_and_saveexec_b64 s[0:1], vcc
	s_cbranch_execz .LBB439_318
; %bb.313:
	s_waitcnt lgkmcnt(2)
	v_and_b32_e32 v7, v10, v7
	v_and_b32_e32 v7, 1, v7
	v_cmp_eq_u32_e32 vcc, 1, v7
	s_and_saveexec_b64 s[2:3], vcc
	s_xor_b64 s[2:3], exec, s[2:3]
	s_cbranch_execz .LBB439_315
; %bb.314:
	s_waitcnt lgkmcnt(0)
	v_cmp_lt_i64_e32 vcc, v[3:4], v[1:2]
                                        ; implicit-def: $vgpr9
                                        ; implicit-def: $vgpr10
	v_cndmask_b32_e32 v2, v2, v4, vcc
	v_cndmask_b32_e32 v1, v1, v3, vcc
                                        ; implicit-def: $vgpr3_vgpr4
.LBB439_315:
	s_or_saveexec_b64 s[2:3], s[2:3]
	v_mov_b32_e32 v7, 1
	s_xor_b64 exec, exec, s[2:3]
	s_cbranch_execz .LBB439_317
; %bb.316:
	v_and_b32_e32 v7, 1, v9
	v_cmp_eq_u32_e32 vcc, 1, v7
	s_waitcnt lgkmcnt(1)
	v_cndmask_b32_e32 v1, v3, v1, vcc
	v_and_b32_e32 v3, 0xff, v10
	s_waitcnt lgkmcnt(0)
	v_cndmask_b32_e32 v2, v4, v2, vcc
	v_cndmask_b32_e64 v7, v3, 1, vcc
.LBB439_317:
	s_or_b64 exec, exec, s[2:3]
.LBB439_318:
	s_or_b64 exec, exec, s[0:1]
	v_cmp_gt_u32_e32 vcc, 62, v6
	s_waitcnt lgkmcnt(1)
	v_cndmask_b32_e64 v3, 0, 2, vcc
	s_waitcnt lgkmcnt(0)
	v_add_lshl_u32 v4, v3, v5, 2
	ds_bpermute_b32 v9, v4, v7
	ds_bpermute_b32 v3, v4, v1
	ds_bpermute_b32 v4, v4, v2
	v_add_u32_e32 v10, 2, v6
	v_cmp_lt_u32_e32 vcc, v10, v8
	s_and_saveexec_b64 s[0:1], vcc
	s_cbranch_execz .LBB439_324
; %bb.319:
	s_waitcnt lgkmcnt(2)
	v_and_b32_e32 v10, v7, v9
	v_and_b32_e32 v10, 1, v10
	v_cmp_eq_u32_e32 vcc, 1, v10
	s_and_saveexec_b64 s[2:3], vcc
	s_xor_b64 s[2:3], exec, s[2:3]
	s_cbranch_execz .LBB439_321
; %bb.320:
	s_waitcnt lgkmcnt(0)
	v_cmp_lt_i64_e32 vcc, v[3:4], v[1:2]
                                        ; implicit-def: $vgpr7
                                        ; implicit-def: $vgpr9
	v_cndmask_b32_e32 v2, v2, v4, vcc
	v_cndmask_b32_e32 v1, v1, v3, vcc
                                        ; implicit-def: $vgpr3_vgpr4
.LBB439_321:
	s_or_saveexec_b64 s[2:3], s[2:3]
	v_mov_b32_e32 v10, 1
	s_xor_b64 exec, exec, s[2:3]
	s_cbranch_execz .LBB439_323
; %bb.322:
	v_and_b32_e32 v7, 1, v7
	v_cmp_eq_u32_e32 vcc, 1, v7
	s_waitcnt lgkmcnt(1)
	v_cndmask_b32_e32 v1, v3, v1, vcc
	v_and_b32_e32 v3, 0xff, v9
	s_waitcnt lgkmcnt(0)
	v_cndmask_b32_e32 v2, v4, v2, vcc
	v_cndmask_b32_e64 v10, v3, 1, vcc
.LBB439_323:
	s_or_b64 exec, exec, s[2:3]
	v_mov_b32_e32 v7, v10
.LBB439_324:
	s_or_b64 exec, exec, s[0:1]
	v_cmp_gt_u32_e32 vcc, 60, v6
	s_waitcnt lgkmcnt(1)
	v_cndmask_b32_e64 v3, 0, 4, vcc
	s_waitcnt lgkmcnt(0)
	v_add_lshl_u32 v4, v3, v5, 2
	ds_bpermute_b32 v9, v4, v7
	ds_bpermute_b32 v3, v4, v1
	ds_bpermute_b32 v4, v4, v2
	v_add_u32_e32 v10, 4, v6
	v_cmp_lt_u32_e32 vcc, v10, v8
	s_and_saveexec_b64 s[0:1], vcc
	s_cbranch_execz .LBB439_330
; %bb.325:
	s_waitcnt lgkmcnt(2)
	v_and_b32_e32 v10, v7, v9
	v_and_b32_e32 v10, 1, v10
	v_cmp_eq_u32_e32 vcc, 1, v10
	s_and_saveexec_b64 s[2:3], vcc
	s_xor_b64 s[2:3], exec, s[2:3]
	s_cbranch_execz .LBB439_327
; %bb.326:
	s_waitcnt lgkmcnt(0)
	v_cmp_lt_i64_e32 vcc, v[3:4], v[1:2]
                                        ; implicit-def: $vgpr7
                                        ; implicit-def: $vgpr9
	v_cndmask_b32_e32 v2, v2, v4, vcc
	v_cndmask_b32_e32 v1, v1, v3, vcc
                                        ; implicit-def: $vgpr3_vgpr4
.LBB439_327:
	s_or_saveexec_b64 s[2:3], s[2:3]
	v_mov_b32_e32 v10, 1
	s_xor_b64 exec, exec, s[2:3]
	s_cbranch_execz .LBB439_329
; %bb.328:
	v_and_b32_e32 v7, 1, v7
	v_cmp_eq_u32_e32 vcc, 1, v7
	s_waitcnt lgkmcnt(1)
	v_cndmask_b32_e32 v1, v3, v1, vcc
	v_and_b32_e32 v3, 0xff, v9
	s_waitcnt lgkmcnt(0)
	v_cndmask_b32_e32 v2, v4, v2, vcc
	v_cndmask_b32_e64 v10, v3, 1, vcc
.LBB439_329:
	s_or_b64 exec, exec, s[2:3]
	v_mov_b32_e32 v7, v10
.LBB439_330:
	;; [unrolled: 47-line block ×4, first 2 shown]
	s_or_b64 exec, exec, s[0:1]
	s_waitcnt lgkmcnt(2)
	v_lshlrev_b32_e32 v9, 2, v5
	s_waitcnt lgkmcnt(0)
	v_or_b32_e32 v4, 0x80, v9
	ds_bpermute_b32 v10, v4, v7
	ds_bpermute_b32 v3, v4, v1
	;; [unrolled: 1-line block ×3, first 2 shown]
	v_add_u32_e32 v6, 32, v6
	v_cmp_lt_u32_e32 vcc, v6, v8
	v_mov_b32_e32 v6, v7
	s_and_saveexec_b64 s[0:1], vcc
	s_cbranch_execz .LBB439_348
; %bb.343:
	s_waitcnt lgkmcnt(2)
	v_and_b32_e32 v6, v7, v10
	v_and_b32_e32 v6, 1, v6
	v_cmp_eq_u32_e32 vcc, 1, v6
	s_and_saveexec_b64 s[2:3], vcc
	s_xor_b64 s[2:3], exec, s[2:3]
	s_cbranch_execz .LBB439_345
; %bb.344:
	s_waitcnt lgkmcnt(0)
	v_cmp_lt_i64_e32 vcc, v[3:4], v[1:2]
                                        ; implicit-def: $vgpr7
                                        ; implicit-def: $vgpr10
	v_cndmask_b32_e32 v2, v2, v4, vcc
	v_cndmask_b32_e32 v1, v1, v3, vcc
                                        ; implicit-def: $vgpr3_vgpr4
.LBB439_345:
	s_or_saveexec_b64 s[2:3], s[2:3]
	v_mov_b32_e32 v6, 1
	s_xor_b64 exec, exec, s[2:3]
	s_cbranch_execz .LBB439_347
; %bb.346:
	v_and_b32_e32 v6, 1, v7
	v_cmp_eq_u32_e32 vcc, 1, v6
	v_cndmask_b32_e64 v6, v10, 1, vcc
	s_waitcnt lgkmcnt(0)
	v_cndmask_b32_e32 v2, v4, v2, vcc
	v_cndmask_b32_e32 v1, v3, v1, vcc
.LBB439_347:
	s_or_b64 exec, exec, s[2:3]
	v_and_b32_e32 v7, 0xff, v6
.LBB439_348:
	s_or_b64 exec, exec, s[0:1]
	v_cmp_eq_u32_e32 vcc, 0, v5
	s_and_saveexec_b64 s[0:1], vcc
	s_cbranch_execz .LBB439_350
; %bb.349:
	s_waitcnt lgkmcnt(1)
	v_lshrrev_b32_e32 v3, 2, v0
	v_and_b32_e32 v3, 16, v3
	ds_write_b8 v3, v6 offset:128
	ds_write_b64 v3, v[1:2] offset:136
.LBB439_350:
	s_or_b64 exec, exec, s[0:1]
	v_cmp_gt_u32_e32 vcc, 2, v0
	s_waitcnt lgkmcnt(0)
	s_barrier
	s_and_saveexec_b64 s[0:1], vcc
	s_cbranch_execz .LBB439_358
; %bb.351:
	v_lshlrev_b32_e32 v1, 4, v5
	ds_read_u8 v6, v1 offset:128
	ds_read_b64 v[1:2], v1 offset:136
	v_or_b32_e32 v4, 4, v9
	s_add_i32 s8, s8, 63
	v_and_b32_e32 v5, 1, v5
	s_waitcnt lgkmcnt(1)
	v_and_b32_e32 v7, 0xff, v6
	s_waitcnt lgkmcnt(0)
	ds_bpermute_b32 v3, v4, v1
	ds_bpermute_b32 v8, v4, v7
	;; [unrolled: 1-line block ×3, first 2 shown]
	s_lshr_b32 s2, s8, 6
	v_add_u32_e32 v5, 1, v5
	v_cmp_gt_u32_e32 vcc, s2, v5
	s_and_saveexec_b64 s[2:3], vcc
	s_cbranch_execz .LBB439_357
; %bb.352:
	s_waitcnt lgkmcnt(1)
	v_and_b32_e32 v5, v7, v8
	v_and_b32_e32 v5, 1, v5
	v_cmp_eq_u32_e32 vcc, 1, v5
	s_and_saveexec_b64 s[8:9], vcc
	s_xor_b64 s[8:9], exec, s[8:9]
	s_cbranch_execz .LBB439_354
; %bb.353:
	s_waitcnt lgkmcnt(0)
	v_cmp_lt_i64_e32 vcc, v[3:4], v[1:2]
                                        ; implicit-def: $vgpr6
                                        ; implicit-def: $vgpr8
	v_cndmask_b32_e32 v2, v2, v4, vcc
	v_cndmask_b32_e32 v1, v1, v3, vcc
                                        ; implicit-def: $vgpr3_vgpr4
.LBB439_354:
	s_or_saveexec_b64 s[8:9], s[8:9]
	v_mov_b32_e32 v7, 1
	s_xor_b64 exec, exec, s[8:9]
	s_cbranch_execz .LBB439_356
; %bb.355:
	v_and_b32_e32 v5, 1, v6
	v_cmp_eq_u32_e32 vcc, 1, v5
	s_waitcnt lgkmcnt(0)
	v_cndmask_b32_e32 v2, v4, v2, vcc
	v_cndmask_b32_e32 v1, v3, v1, vcc
	v_cndmask_b32_e64 v7, v8, 1, vcc
.LBB439_356:
	s_or_b64 exec, exec, s[8:9]
.LBB439_357:
	s_or_b64 exec, exec, s[2:3]
.LBB439_358:
	s_or_b64 exec, exec, s[0:1]
.LBB439_359:
	v_cmp_eq_u32_e32 vcc, 0, v0
                                        ; implicit-def: $vgpr3_vgpr4
                                        ; implicit-def: $vgpr5
	s_and_saveexec_b64 s[8:9], vcc
	s_cbranch_execz .LBB439_363
; %bb.360:
	s_waitcnt lgkmcnt(0)
	v_mov_b32_e32 v3, s28
	s_cmp_eq_u64 s[22:23], 0
	v_mov_b32_e32 v4, s29
	v_mov_b32_e32 v5, s33
	s_cbranch_scc1 .LBB439_362
; %bb.361:
	v_and_b32_e32 v0, 1, v7
	v_cmp_gt_i64_e64 s[0:1], s[28:29], v[1:2]
	s_bitcmp1_b32 s33, 0
	v_cmp_eq_u32_e32 vcc, 1, v0
	s_cselect_b64 s[2:3], -1, 0
	v_mov_b32_e32 v0, s28
	s_and_b64 vcc, vcc, s[0:1]
	v_mov_b32_e32 v3, s29
	v_cndmask_b32_e32 v0, v0, v1, vcc
	v_cndmask_b32_e32 v3, v3, v2, vcc
	v_cndmask_b32_e64 v5, v7, 1, s[2:3]
	v_cndmask_b32_e64 v4, v2, v3, s[2:3]
	;; [unrolled: 1-line block ×3, first 2 shown]
.LBB439_362:
	s_or_b64 s[14:15], s[14:15], exec
.LBB439_363:
	s_or_b64 exec, exec, s[8:9]
	v_mov_b32_e32 v1, s6
	v_mov_b32_e32 v2, s7
	s_and_saveexec_b64 s[0:1], s[14:15]
	s_cbranch_execnz .LBB439_307
	s_branch .LBB439_308
	.section	.rodata,"a",@progbits
	.p2align	6, 0x0
	.amdhsa_kernel _ZN7rocprim17ROCPRIM_400000_NS6detail17trampoline_kernelINS0_14default_configENS1_22reduce_config_selectorIN6thrust23THRUST_200600_302600_NS5tupleIblNS6_9null_typeES8_S8_S8_S8_S8_S8_S8_EEEEZNS1_11reduce_implILb1ES3_NS6_12zip_iteratorINS7_INS6_11hip_rocprim26transform_input_iterator_tIbNSD_35transform_pair_of_input_iterators_tIbNS6_6detail15normal_iteratorINS6_10device_ptrIKdEEEESL_NS6_8equal_toIdEEEENSG_9not_fun_tINSD_8identityEEEEENSD_19counting_iterator_tIlEES8_S8_S8_S8_S8_S8_S8_S8_EEEEPS9_S9_NSD_9__find_if7functorIS9_EEEE10hipError_tPvRmT1_T2_T3_mT4_P12ihipStream_tbEUlT_E1_NS1_11comp_targetILNS1_3genE2ELNS1_11target_archE906ELNS1_3gpuE6ELNS1_3repE0EEENS1_30default_config_static_selectorELNS0_4arch9wavefront6targetE1EEEvS14_
		.amdhsa_group_segment_fixed_size 160
		.amdhsa_private_segment_fixed_size 0
		.amdhsa_kernarg_size 88
		.amdhsa_user_sgpr_count 6
		.amdhsa_user_sgpr_private_segment_buffer 1
		.amdhsa_user_sgpr_dispatch_ptr 0
		.amdhsa_user_sgpr_queue_ptr 0
		.amdhsa_user_sgpr_kernarg_segment_ptr 1
		.amdhsa_user_sgpr_dispatch_id 0
		.amdhsa_user_sgpr_flat_scratch_init 0
		.amdhsa_user_sgpr_private_segment_size 0
		.amdhsa_uses_dynamic_stack 0
		.amdhsa_system_sgpr_private_segment_wavefront_offset 0
		.amdhsa_system_sgpr_workgroup_id_x 1
		.amdhsa_system_sgpr_workgroup_id_y 0
		.amdhsa_system_sgpr_workgroup_id_z 0
		.amdhsa_system_sgpr_workgroup_info 0
		.amdhsa_system_vgpr_workitem_id 0
		.amdhsa_next_free_vgpr 28
		.amdhsa_next_free_sgpr 42
		.amdhsa_reserve_vcc 1
		.amdhsa_reserve_flat_scratch 0
		.amdhsa_float_round_mode_32 0
		.amdhsa_float_round_mode_16_64 0
		.amdhsa_float_denorm_mode_32 3
		.amdhsa_float_denorm_mode_16_64 3
		.amdhsa_dx10_clamp 1
		.amdhsa_ieee_mode 1
		.amdhsa_fp16_overflow 0
		.amdhsa_exception_fp_ieee_invalid_op 0
		.amdhsa_exception_fp_denorm_src 0
		.amdhsa_exception_fp_ieee_div_zero 0
		.amdhsa_exception_fp_ieee_overflow 0
		.amdhsa_exception_fp_ieee_underflow 0
		.amdhsa_exception_fp_ieee_inexact 0
		.amdhsa_exception_int_div_zero 0
	.end_amdhsa_kernel
	.section	.text._ZN7rocprim17ROCPRIM_400000_NS6detail17trampoline_kernelINS0_14default_configENS1_22reduce_config_selectorIN6thrust23THRUST_200600_302600_NS5tupleIblNS6_9null_typeES8_S8_S8_S8_S8_S8_S8_EEEEZNS1_11reduce_implILb1ES3_NS6_12zip_iteratorINS7_INS6_11hip_rocprim26transform_input_iterator_tIbNSD_35transform_pair_of_input_iterators_tIbNS6_6detail15normal_iteratorINS6_10device_ptrIKdEEEESL_NS6_8equal_toIdEEEENSG_9not_fun_tINSD_8identityEEEEENSD_19counting_iterator_tIlEES8_S8_S8_S8_S8_S8_S8_S8_EEEEPS9_S9_NSD_9__find_if7functorIS9_EEEE10hipError_tPvRmT1_T2_T3_mT4_P12ihipStream_tbEUlT_E1_NS1_11comp_targetILNS1_3genE2ELNS1_11target_archE906ELNS1_3gpuE6ELNS1_3repE0EEENS1_30default_config_static_selectorELNS0_4arch9wavefront6targetE1EEEvS14_,"axG",@progbits,_ZN7rocprim17ROCPRIM_400000_NS6detail17trampoline_kernelINS0_14default_configENS1_22reduce_config_selectorIN6thrust23THRUST_200600_302600_NS5tupleIblNS6_9null_typeES8_S8_S8_S8_S8_S8_S8_EEEEZNS1_11reduce_implILb1ES3_NS6_12zip_iteratorINS7_INS6_11hip_rocprim26transform_input_iterator_tIbNSD_35transform_pair_of_input_iterators_tIbNS6_6detail15normal_iteratorINS6_10device_ptrIKdEEEESL_NS6_8equal_toIdEEEENSG_9not_fun_tINSD_8identityEEEEENSD_19counting_iterator_tIlEES8_S8_S8_S8_S8_S8_S8_S8_EEEEPS9_S9_NSD_9__find_if7functorIS9_EEEE10hipError_tPvRmT1_T2_T3_mT4_P12ihipStream_tbEUlT_E1_NS1_11comp_targetILNS1_3genE2ELNS1_11target_archE906ELNS1_3gpuE6ELNS1_3repE0EEENS1_30default_config_static_selectorELNS0_4arch9wavefront6targetE1EEEvS14_,comdat
.Lfunc_end439:
	.size	_ZN7rocprim17ROCPRIM_400000_NS6detail17trampoline_kernelINS0_14default_configENS1_22reduce_config_selectorIN6thrust23THRUST_200600_302600_NS5tupleIblNS6_9null_typeES8_S8_S8_S8_S8_S8_S8_EEEEZNS1_11reduce_implILb1ES3_NS6_12zip_iteratorINS7_INS6_11hip_rocprim26transform_input_iterator_tIbNSD_35transform_pair_of_input_iterators_tIbNS6_6detail15normal_iteratorINS6_10device_ptrIKdEEEESL_NS6_8equal_toIdEEEENSG_9not_fun_tINSD_8identityEEEEENSD_19counting_iterator_tIlEES8_S8_S8_S8_S8_S8_S8_S8_EEEEPS9_S9_NSD_9__find_if7functorIS9_EEEE10hipError_tPvRmT1_T2_T3_mT4_P12ihipStream_tbEUlT_E1_NS1_11comp_targetILNS1_3genE2ELNS1_11target_archE906ELNS1_3gpuE6ELNS1_3repE0EEENS1_30default_config_static_selectorELNS0_4arch9wavefront6targetE1EEEvS14_, .Lfunc_end439-_ZN7rocprim17ROCPRIM_400000_NS6detail17trampoline_kernelINS0_14default_configENS1_22reduce_config_selectorIN6thrust23THRUST_200600_302600_NS5tupleIblNS6_9null_typeES8_S8_S8_S8_S8_S8_S8_EEEEZNS1_11reduce_implILb1ES3_NS6_12zip_iteratorINS7_INS6_11hip_rocprim26transform_input_iterator_tIbNSD_35transform_pair_of_input_iterators_tIbNS6_6detail15normal_iteratorINS6_10device_ptrIKdEEEESL_NS6_8equal_toIdEEEENSG_9not_fun_tINSD_8identityEEEEENSD_19counting_iterator_tIlEES8_S8_S8_S8_S8_S8_S8_S8_EEEEPS9_S9_NSD_9__find_if7functorIS9_EEEE10hipError_tPvRmT1_T2_T3_mT4_P12ihipStream_tbEUlT_E1_NS1_11comp_targetILNS1_3genE2ELNS1_11target_archE906ELNS1_3gpuE6ELNS1_3repE0EEENS1_30default_config_static_selectorELNS0_4arch9wavefront6targetE1EEEvS14_
                                        ; -- End function
	.set _ZN7rocprim17ROCPRIM_400000_NS6detail17trampoline_kernelINS0_14default_configENS1_22reduce_config_selectorIN6thrust23THRUST_200600_302600_NS5tupleIblNS6_9null_typeES8_S8_S8_S8_S8_S8_S8_EEEEZNS1_11reduce_implILb1ES3_NS6_12zip_iteratorINS7_INS6_11hip_rocprim26transform_input_iterator_tIbNSD_35transform_pair_of_input_iterators_tIbNS6_6detail15normal_iteratorINS6_10device_ptrIKdEEEESL_NS6_8equal_toIdEEEENSG_9not_fun_tINSD_8identityEEEEENSD_19counting_iterator_tIlEES8_S8_S8_S8_S8_S8_S8_S8_EEEEPS9_S9_NSD_9__find_if7functorIS9_EEEE10hipError_tPvRmT1_T2_T3_mT4_P12ihipStream_tbEUlT_E1_NS1_11comp_targetILNS1_3genE2ELNS1_11target_archE906ELNS1_3gpuE6ELNS1_3repE0EEENS1_30default_config_static_selectorELNS0_4arch9wavefront6targetE1EEEvS14_.num_vgpr, 28
	.set _ZN7rocprim17ROCPRIM_400000_NS6detail17trampoline_kernelINS0_14default_configENS1_22reduce_config_selectorIN6thrust23THRUST_200600_302600_NS5tupleIblNS6_9null_typeES8_S8_S8_S8_S8_S8_S8_EEEEZNS1_11reduce_implILb1ES3_NS6_12zip_iteratorINS7_INS6_11hip_rocprim26transform_input_iterator_tIbNSD_35transform_pair_of_input_iterators_tIbNS6_6detail15normal_iteratorINS6_10device_ptrIKdEEEESL_NS6_8equal_toIdEEEENSG_9not_fun_tINSD_8identityEEEEENSD_19counting_iterator_tIlEES8_S8_S8_S8_S8_S8_S8_S8_EEEEPS9_S9_NSD_9__find_if7functorIS9_EEEE10hipError_tPvRmT1_T2_T3_mT4_P12ihipStream_tbEUlT_E1_NS1_11comp_targetILNS1_3genE2ELNS1_11target_archE906ELNS1_3gpuE6ELNS1_3repE0EEENS1_30default_config_static_selectorELNS0_4arch9wavefront6targetE1EEEvS14_.num_agpr, 0
	.set _ZN7rocprim17ROCPRIM_400000_NS6detail17trampoline_kernelINS0_14default_configENS1_22reduce_config_selectorIN6thrust23THRUST_200600_302600_NS5tupleIblNS6_9null_typeES8_S8_S8_S8_S8_S8_S8_EEEEZNS1_11reduce_implILb1ES3_NS6_12zip_iteratorINS7_INS6_11hip_rocprim26transform_input_iterator_tIbNSD_35transform_pair_of_input_iterators_tIbNS6_6detail15normal_iteratorINS6_10device_ptrIKdEEEESL_NS6_8equal_toIdEEEENSG_9not_fun_tINSD_8identityEEEEENSD_19counting_iterator_tIlEES8_S8_S8_S8_S8_S8_S8_S8_EEEEPS9_S9_NSD_9__find_if7functorIS9_EEEE10hipError_tPvRmT1_T2_T3_mT4_P12ihipStream_tbEUlT_E1_NS1_11comp_targetILNS1_3genE2ELNS1_11target_archE906ELNS1_3gpuE6ELNS1_3repE0EEENS1_30default_config_static_selectorELNS0_4arch9wavefront6targetE1EEEvS14_.numbered_sgpr, 42
	.set _ZN7rocprim17ROCPRIM_400000_NS6detail17trampoline_kernelINS0_14default_configENS1_22reduce_config_selectorIN6thrust23THRUST_200600_302600_NS5tupleIblNS6_9null_typeES8_S8_S8_S8_S8_S8_S8_EEEEZNS1_11reduce_implILb1ES3_NS6_12zip_iteratorINS7_INS6_11hip_rocprim26transform_input_iterator_tIbNSD_35transform_pair_of_input_iterators_tIbNS6_6detail15normal_iteratorINS6_10device_ptrIKdEEEESL_NS6_8equal_toIdEEEENSG_9not_fun_tINSD_8identityEEEEENSD_19counting_iterator_tIlEES8_S8_S8_S8_S8_S8_S8_S8_EEEEPS9_S9_NSD_9__find_if7functorIS9_EEEE10hipError_tPvRmT1_T2_T3_mT4_P12ihipStream_tbEUlT_E1_NS1_11comp_targetILNS1_3genE2ELNS1_11target_archE906ELNS1_3gpuE6ELNS1_3repE0EEENS1_30default_config_static_selectorELNS0_4arch9wavefront6targetE1EEEvS14_.num_named_barrier, 0
	.set _ZN7rocprim17ROCPRIM_400000_NS6detail17trampoline_kernelINS0_14default_configENS1_22reduce_config_selectorIN6thrust23THRUST_200600_302600_NS5tupleIblNS6_9null_typeES8_S8_S8_S8_S8_S8_S8_EEEEZNS1_11reduce_implILb1ES3_NS6_12zip_iteratorINS7_INS6_11hip_rocprim26transform_input_iterator_tIbNSD_35transform_pair_of_input_iterators_tIbNS6_6detail15normal_iteratorINS6_10device_ptrIKdEEEESL_NS6_8equal_toIdEEEENSG_9not_fun_tINSD_8identityEEEEENSD_19counting_iterator_tIlEES8_S8_S8_S8_S8_S8_S8_S8_EEEEPS9_S9_NSD_9__find_if7functorIS9_EEEE10hipError_tPvRmT1_T2_T3_mT4_P12ihipStream_tbEUlT_E1_NS1_11comp_targetILNS1_3genE2ELNS1_11target_archE906ELNS1_3gpuE6ELNS1_3repE0EEENS1_30default_config_static_selectorELNS0_4arch9wavefront6targetE1EEEvS14_.private_seg_size, 0
	.set _ZN7rocprim17ROCPRIM_400000_NS6detail17trampoline_kernelINS0_14default_configENS1_22reduce_config_selectorIN6thrust23THRUST_200600_302600_NS5tupleIblNS6_9null_typeES8_S8_S8_S8_S8_S8_S8_EEEEZNS1_11reduce_implILb1ES3_NS6_12zip_iteratorINS7_INS6_11hip_rocprim26transform_input_iterator_tIbNSD_35transform_pair_of_input_iterators_tIbNS6_6detail15normal_iteratorINS6_10device_ptrIKdEEEESL_NS6_8equal_toIdEEEENSG_9not_fun_tINSD_8identityEEEEENSD_19counting_iterator_tIlEES8_S8_S8_S8_S8_S8_S8_S8_EEEEPS9_S9_NSD_9__find_if7functorIS9_EEEE10hipError_tPvRmT1_T2_T3_mT4_P12ihipStream_tbEUlT_E1_NS1_11comp_targetILNS1_3genE2ELNS1_11target_archE906ELNS1_3gpuE6ELNS1_3repE0EEENS1_30default_config_static_selectorELNS0_4arch9wavefront6targetE1EEEvS14_.uses_vcc, 1
	.set _ZN7rocprim17ROCPRIM_400000_NS6detail17trampoline_kernelINS0_14default_configENS1_22reduce_config_selectorIN6thrust23THRUST_200600_302600_NS5tupleIblNS6_9null_typeES8_S8_S8_S8_S8_S8_S8_EEEEZNS1_11reduce_implILb1ES3_NS6_12zip_iteratorINS7_INS6_11hip_rocprim26transform_input_iterator_tIbNSD_35transform_pair_of_input_iterators_tIbNS6_6detail15normal_iteratorINS6_10device_ptrIKdEEEESL_NS6_8equal_toIdEEEENSG_9not_fun_tINSD_8identityEEEEENSD_19counting_iterator_tIlEES8_S8_S8_S8_S8_S8_S8_S8_EEEEPS9_S9_NSD_9__find_if7functorIS9_EEEE10hipError_tPvRmT1_T2_T3_mT4_P12ihipStream_tbEUlT_E1_NS1_11comp_targetILNS1_3genE2ELNS1_11target_archE906ELNS1_3gpuE6ELNS1_3repE0EEENS1_30default_config_static_selectorELNS0_4arch9wavefront6targetE1EEEvS14_.uses_flat_scratch, 0
	.set _ZN7rocprim17ROCPRIM_400000_NS6detail17trampoline_kernelINS0_14default_configENS1_22reduce_config_selectorIN6thrust23THRUST_200600_302600_NS5tupleIblNS6_9null_typeES8_S8_S8_S8_S8_S8_S8_EEEEZNS1_11reduce_implILb1ES3_NS6_12zip_iteratorINS7_INS6_11hip_rocprim26transform_input_iterator_tIbNSD_35transform_pair_of_input_iterators_tIbNS6_6detail15normal_iteratorINS6_10device_ptrIKdEEEESL_NS6_8equal_toIdEEEENSG_9not_fun_tINSD_8identityEEEEENSD_19counting_iterator_tIlEES8_S8_S8_S8_S8_S8_S8_S8_EEEEPS9_S9_NSD_9__find_if7functorIS9_EEEE10hipError_tPvRmT1_T2_T3_mT4_P12ihipStream_tbEUlT_E1_NS1_11comp_targetILNS1_3genE2ELNS1_11target_archE906ELNS1_3gpuE6ELNS1_3repE0EEENS1_30default_config_static_selectorELNS0_4arch9wavefront6targetE1EEEvS14_.has_dyn_sized_stack, 0
	.set _ZN7rocprim17ROCPRIM_400000_NS6detail17trampoline_kernelINS0_14default_configENS1_22reduce_config_selectorIN6thrust23THRUST_200600_302600_NS5tupleIblNS6_9null_typeES8_S8_S8_S8_S8_S8_S8_EEEEZNS1_11reduce_implILb1ES3_NS6_12zip_iteratorINS7_INS6_11hip_rocprim26transform_input_iterator_tIbNSD_35transform_pair_of_input_iterators_tIbNS6_6detail15normal_iteratorINS6_10device_ptrIKdEEEESL_NS6_8equal_toIdEEEENSG_9not_fun_tINSD_8identityEEEEENSD_19counting_iterator_tIlEES8_S8_S8_S8_S8_S8_S8_S8_EEEEPS9_S9_NSD_9__find_if7functorIS9_EEEE10hipError_tPvRmT1_T2_T3_mT4_P12ihipStream_tbEUlT_E1_NS1_11comp_targetILNS1_3genE2ELNS1_11target_archE906ELNS1_3gpuE6ELNS1_3repE0EEENS1_30default_config_static_selectorELNS0_4arch9wavefront6targetE1EEEvS14_.has_recursion, 0
	.set _ZN7rocprim17ROCPRIM_400000_NS6detail17trampoline_kernelINS0_14default_configENS1_22reduce_config_selectorIN6thrust23THRUST_200600_302600_NS5tupleIblNS6_9null_typeES8_S8_S8_S8_S8_S8_S8_EEEEZNS1_11reduce_implILb1ES3_NS6_12zip_iteratorINS7_INS6_11hip_rocprim26transform_input_iterator_tIbNSD_35transform_pair_of_input_iterators_tIbNS6_6detail15normal_iteratorINS6_10device_ptrIKdEEEESL_NS6_8equal_toIdEEEENSG_9not_fun_tINSD_8identityEEEEENSD_19counting_iterator_tIlEES8_S8_S8_S8_S8_S8_S8_S8_EEEEPS9_S9_NSD_9__find_if7functorIS9_EEEE10hipError_tPvRmT1_T2_T3_mT4_P12ihipStream_tbEUlT_E1_NS1_11comp_targetILNS1_3genE2ELNS1_11target_archE906ELNS1_3gpuE6ELNS1_3repE0EEENS1_30default_config_static_selectorELNS0_4arch9wavefront6targetE1EEEvS14_.has_indirect_call, 0
	.section	.AMDGPU.csdata,"",@progbits
; Kernel info:
; codeLenInByte = 13204
; TotalNumSgprs: 46
; NumVgprs: 28
; ScratchSize: 0
; MemoryBound: 0
; FloatMode: 240
; IeeeMode: 1
; LDSByteSize: 160 bytes/workgroup (compile time only)
; SGPRBlocks: 5
; VGPRBlocks: 6
; NumSGPRsForWavesPerEU: 46
; NumVGPRsForWavesPerEU: 28
; Occupancy: 9
; WaveLimiterHint : 0
; COMPUTE_PGM_RSRC2:SCRATCH_EN: 0
; COMPUTE_PGM_RSRC2:USER_SGPR: 6
; COMPUTE_PGM_RSRC2:TRAP_HANDLER: 0
; COMPUTE_PGM_RSRC2:TGID_X_EN: 1
; COMPUTE_PGM_RSRC2:TGID_Y_EN: 0
; COMPUTE_PGM_RSRC2:TGID_Z_EN: 0
; COMPUTE_PGM_RSRC2:TIDIG_COMP_CNT: 0
	.section	.text._ZN7rocprim17ROCPRIM_400000_NS6detail17trampoline_kernelINS0_14default_configENS1_22reduce_config_selectorIN6thrust23THRUST_200600_302600_NS5tupleIblNS6_9null_typeES8_S8_S8_S8_S8_S8_S8_EEEEZNS1_11reduce_implILb1ES3_NS6_12zip_iteratorINS7_INS6_11hip_rocprim26transform_input_iterator_tIbNSD_35transform_pair_of_input_iterators_tIbNS6_6detail15normal_iteratorINS6_10device_ptrIKdEEEESL_NS6_8equal_toIdEEEENSG_9not_fun_tINSD_8identityEEEEENSD_19counting_iterator_tIlEES8_S8_S8_S8_S8_S8_S8_S8_EEEEPS9_S9_NSD_9__find_if7functorIS9_EEEE10hipError_tPvRmT1_T2_T3_mT4_P12ihipStream_tbEUlT_E1_NS1_11comp_targetILNS1_3genE10ELNS1_11target_archE1201ELNS1_3gpuE5ELNS1_3repE0EEENS1_30default_config_static_selectorELNS0_4arch9wavefront6targetE1EEEvS14_,"axG",@progbits,_ZN7rocprim17ROCPRIM_400000_NS6detail17trampoline_kernelINS0_14default_configENS1_22reduce_config_selectorIN6thrust23THRUST_200600_302600_NS5tupleIblNS6_9null_typeES8_S8_S8_S8_S8_S8_S8_EEEEZNS1_11reduce_implILb1ES3_NS6_12zip_iteratorINS7_INS6_11hip_rocprim26transform_input_iterator_tIbNSD_35transform_pair_of_input_iterators_tIbNS6_6detail15normal_iteratorINS6_10device_ptrIKdEEEESL_NS6_8equal_toIdEEEENSG_9not_fun_tINSD_8identityEEEEENSD_19counting_iterator_tIlEES8_S8_S8_S8_S8_S8_S8_S8_EEEEPS9_S9_NSD_9__find_if7functorIS9_EEEE10hipError_tPvRmT1_T2_T3_mT4_P12ihipStream_tbEUlT_E1_NS1_11comp_targetILNS1_3genE10ELNS1_11target_archE1201ELNS1_3gpuE5ELNS1_3repE0EEENS1_30default_config_static_selectorELNS0_4arch9wavefront6targetE1EEEvS14_,comdat
	.protected	_ZN7rocprim17ROCPRIM_400000_NS6detail17trampoline_kernelINS0_14default_configENS1_22reduce_config_selectorIN6thrust23THRUST_200600_302600_NS5tupleIblNS6_9null_typeES8_S8_S8_S8_S8_S8_S8_EEEEZNS1_11reduce_implILb1ES3_NS6_12zip_iteratorINS7_INS6_11hip_rocprim26transform_input_iterator_tIbNSD_35transform_pair_of_input_iterators_tIbNS6_6detail15normal_iteratorINS6_10device_ptrIKdEEEESL_NS6_8equal_toIdEEEENSG_9not_fun_tINSD_8identityEEEEENSD_19counting_iterator_tIlEES8_S8_S8_S8_S8_S8_S8_S8_EEEEPS9_S9_NSD_9__find_if7functorIS9_EEEE10hipError_tPvRmT1_T2_T3_mT4_P12ihipStream_tbEUlT_E1_NS1_11comp_targetILNS1_3genE10ELNS1_11target_archE1201ELNS1_3gpuE5ELNS1_3repE0EEENS1_30default_config_static_selectorELNS0_4arch9wavefront6targetE1EEEvS14_ ; -- Begin function _ZN7rocprim17ROCPRIM_400000_NS6detail17trampoline_kernelINS0_14default_configENS1_22reduce_config_selectorIN6thrust23THRUST_200600_302600_NS5tupleIblNS6_9null_typeES8_S8_S8_S8_S8_S8_S8_EEEEZNS1_11reduce_implILb1ES3_NS6_12zip_iteratorINS7_INS6_11hip_rocprim26transform_input_iterator_tIbNSD_35transform_pair_of_input_iterators_tIbNS6_6detail15normal_iteratorINS6_10device_ptrIKdEEEESL_NS6_8equal_toIdEEEENSG_9not_fun_tINSD_8identityEEEEENSD_19counting_iterator_tIlEES8_S8_S8_S8_S8_S8_S8_S8_EEEEPS9_S9_NSD_9__find_if7functorIS9_EEEE10hipError_tPvRmT1_T2_T3_mT4_P12ihipStream_tbEUlT_E1_NS1_11comp_targetILNS1_3genE10ELNS1_11target_archE1201ELNS1_3gpuE5ELNS1_3repE0EEENS1_30default_config_static_selectorELNS0_4arch9wavefront6targetE1EEEvS14_
	.globl	_ZN7rocprim17ROCPRIM_400000_NS6detail17trampoline_kernelINS0_14default_configENS1_22reduce_config_selectorIN6thrust23THRUST_200600_302600_NS5tupleIblNS6_9null_typeES8_S8_S8_S8_S8_S8_S8_EEEEZNS1_11reduce_implILb1ES3_NS6_12zip_iteratorINS7_INS6_11hip_rocprim26transform_input_iterator_tIbNSD_35transform_pair_of_input_iterators_tIbNS6_6detail15normal_iteratorINS6_10device_ptrIKdEEEESL_NS6_8equal_toIdEEEENSG_9not_fun_tINSD_8identityEEEEENSD_19counting_iterator_tIlEES8_S8_S8_S8_S8_S8_S8_S8_EEEEPS9_S9_NSD_9__find_if7functorIS9_EEEE10hipError_tPvRmT1_T2_T3_mT4_P12ihipStream_tbEUlT_E1_NS1_11comp_targetILNS1_3genE10ELNS1_11target_archE1201ELNS1_3gpuE5ELNS1_3repE0EEENS1_30default_config_static_selectorELNS0_4arch9wavefront6targetE1EEEvS14_
	.p2align	8
	.type	_ZN7rocprim17ROCPRIM_400000_NS6detail17trampoline_kernelINS0_14default_configENS1_22reduce_config_selectorIN6thrust23THRUST_200600_302600_NS5tupleIblNS6_9null_typeES8_S8_S8_S8_S8_S8_S8_EEEEZNS1_11reduce_implILb1ES3_NS6_12zip_iteratorINS7_INS6_11hip_rocprim26transform_input_iterator_tIbNSD_35transform_pair_of_input_iterators_tIbNS6_6detail15normal_iteratorINS6_10device_ptrIKdEEEESL_NS6_8equal_toIdEEEENSG_9not_fun_tINSD_8identityEEEEENSD_19counting_iterator_tIlEES8_S8_S8_S8_S8_S8_S8_S8_EEEEPS9_S9_NSD_9__find_if7functorIS9_EEEE10hipError_tPvRmT1_T2_T3_mT4_P12ihipStream_tbEUlT_E1_NS1_11comp_targetILNS1_3genE10ELNS1_11target_archE1201ELNS1_3gpuE5ELNS1_3repE0EEENS1_30default_config_static_selectorELNS0_4arch9wavefront6targetE1EEEvS14_,@function
_ZN7rocprim17ROCPRIM_400000_NS6detail17trampoline_kernelINS0_14default_configENS1_22reduce_config_selectorIN6thrust23THRUST_200600_302600_NS5tupleIblNS6_9null_typeES8_S8_S8_S8_S8_S8_S8_EEEEZNS1_11reduce_implILb1ES3_NS6_12zip_iteratorINS7_INS6_11hip_rocprim26transform_input_iterator_tIbNSD_35transform_pair_of_input_iterators_tIbNS6_6detail15normal_iteratorINS6_10device_ptrIKdEEEESL_NS6_8equal_toIdEEEENSG_9not_fun_tINSD_8identityEEEEENSD_19counting_iterator_tIlEES8_S8_S8_S8_S8_S8_S8_S8_EEEEPS9_S9_NSD_9__find_if7functorIS9_EEEE10hipError_tPvRmT1_T2_T3_mT4_P12ihipStream_tbEUlT_E1_NS1_11comp_targetILNS1_3genE10ELNS1_11target_archE1201ELNS1_3gpuE5ELNS1_3repE0EEENS1_30default_config_static_selectorELNS0_4arch9wavefront6targetE1EEEvS14_: ; @_ZN7rocprim17ROCPRIM_400000_NS6detail17trampoline_kernelINS0_14default_configENS1_22reduce_config_selectorIN6thrust23THRUST_200600_302600_NS5tupleIblNS6_9null_typeES8_S8_S8_S8_S8_S8_S8_EEEEZNS1_11reduce_implILb1ES3_NS6_12zip_iteratorINS7_INS6_11hip_rocprim26transform_input_iterator_tIbNSD_35transform_pair_of_input_iterators_tIbNS6_6detail15normal_iteratorINS6_10device_ptrIKdEEEESL_NS6_8equal_toIdEEEENSG_9not_fun_tINSD_8identityEEEEENSD_19counting_iterator_tIlEES8_S8_S8_S8_S8_S8_S8_S8_EEEEPS9_S9_NSD_9__find_if7functorIS9_EEEE10hipError_tPvRmT1_T2_T3_mT4_P12ihipStream_tbEUlT_E1_NS1_11comp_targetILNS1_3genE10ELNS1_11target_archE1201ELNS1_3gpuE5ELNS1_3repE0EEENS1_30default_config_static_selectorELNS0_4arch9wavefront6targetE1EEEvS14_
; %bb.0:
	.section	.rodata,"a",@progbits
	.p2align	6, 0x0
	.amdhsa_kernel _ZN7rocprim17ROCPRIM_400000_NS6detail17trampoline_kernelINS0_14default_configENS1_22reduce_config_selectorIN6thrust23THRUST_200600_302600_NS5tupleIblNS6_9null_typeES8_S8_S8_S8_S8_S8_S8_EEEEZNS1_11reduce_implILb1ES3_NS6_12zip_iteratorINS7_INS6_11hip_rocprim26transform_input_iterator_tIbNSD_35transform_pair_of_input_iterators_tIbNS6_6detail15normal_iteratorINS6_10device_ptrIKdEEEESL_NS6_8equal_toIdEEEENSG_9not_fun_tINSD_8identityEEEEENSD_19counting_iterator_tIlEES8_S8_S8_S8_S8_S8_S8_S8_EEEEPS9_S9_NSD_9__find_if7functorIS9_EEEE10hipError_tPvRmT1_T2_T3_mT4_P12ihipStream_tbEUlT_E1_NS1_11comp_targetILNS1_3genE10ELNS1_11target_archE1201ELNS1_3gpuE5ELNS1_3repE0EEENS1_30default_config_static_selectorELNS0_4arch9wavefront6targetE1EEEvS14_
		.amdhsa_group_segment_fixed_size 0
		.amdhsa_private_segment_fixed_size 0
		.amdhsa_kernarg_size 88
		.amdhsa_user_sgpr_count 6
		.amdhsa_user_sgpr_private_segment_buffer 1
		.amdhsa_user_sgpr_dispatch_ptr 0
		.amdhsa_user_sgpr_queue_ptr 0
		.amdhsa_user_sgpr_kernarg_segment_ptr 1
		.amdhsa_user_sgpr_dispatch_id 0
		.amdhsa_user_sgpr_flat_scratch_init 0
		.amdhsa_user_sgpr_private_segment_size 0
		.amdhsa_uses_dynamic_stack 0
		.amdhsa_system_sgpr_private_segment_wavefront_offset 0
		.amdhsa_system_sgpr_workgroup_id_x 1
		.amdhsa_system_sgpr_workgroup_id_y 0
		.amdhsa_system_sgpr_workgroup_id_z 0
		.amdhsa_system_sgpr_workgroup_info 0
		.amdhsa_system_vgpr_workitem_id 0
		.amdhsa_next_free_vgpr 1
		.amdhsa_next_free_sgpr 0
		.amdhsa_reserve_vcc 0
		.amdhsa_reserve_flat_scratch 0
		.amdhsa_float_round_mode_32 0
		.amdhsa_float_round_mode_16_64 0
		.amdhsa_float_denorm_mode_32 3
		.amdhsa_float_denorm_mode_16_64 3
		.amdhsa_dx10_clamp 1
		.amdhsa_ieee_mode 1
		.amdhsa_fp16_overflow 0
		.amdhsa_exception_fp_ieee_invalid_op 0
		.amdhsa_exception_fp_denorm_src 0
		.amdhsa_exception_fp_ieee_div_zero 0
		.amdhsa_exception_fp_ieee_overflow 0
		.amdhsa_exception_fp_ieee_underflow 0
		.amdhsa_exception_fp_ieee_inexact 0
		.amdhsa_exception_int_div_zero 0
	.end_amdhsa_kernel
	.section	.text._ZN7rocprim17ROCPRIM_400000_NS6detail17trampoline_kernelINS0_14default_configENS1_22reduce_config_selectorIN6thrust23THRUST_200600_302600_NS5tupleIblNS6_9null_typeES8_S8_S8_S8_S8_S8_S8_EEEEZNS1_11reduce_implILb1ES3_NS6_12zip_iteratorINS7_INS6_11hip_rocprim26transform_input_iterator_tIbNSD_35transform_pair_of_input_iterators_tIbNS6_6detail15normal_iteratorINS6_10device_ptrIKdEEEESL_NS6_8equal_toIdEEEENSG_9not_fun_tINSD_8identityEEEEENSD_19counting_iterator_tIlEES8_S8_S8_S8_S8_S8_S8_S8_EEEEPS9_S9_NSD_9__find_if7functorIS9_EEEE10hipError_tPvRmT1_T2_T3_mT4_P12ihipStream_tbEUlT_E1_NS1_11comp_targetILNS1_3genE10ELNS1_11target_archE1201ELNS1_3gpuE5ELNS1_3repE0EEENS1_30default_config_static_selectorELNS0_4arch9wavefront6targetE1EEEvS14_,"axG",@progbits,_ZN7rocprim17ROCPRIM_400000_NS6detail17trampoline_kernelINS0_14default_configENS1_22reduce_config_selectorIN6thrust23THRUST_200600_302600_NS5tupleIblNS6_9null_typeES8_S8_S8_S8_S8_S8_S8_EEEEZNS1_11reduce_implILb1ES3_NS6_12zip_iteratorINS7_INS6_11hip_rocprim26transform_input_iterator_tIbNSD_35transform_pair_of_input_iterators_tIbNS6_6detail15normal_iteratorINS6_10device_ptrIKdEEEESL_NS6_8equal_toIdEEEENSG_9not_fun_tINSD_8identityEEEEENSD_19counting_iterator_tIlEES8_S8_S8_S8_S8_S8_S8_S8_EEEEPS9_S9_NSD_9__find_if7functorIS9_EEEE10hipError_tPvRmT1_T2_T3_mT4_P12ihipStream_tbEUlT_E1_NS1_11comp_targetILNS1_3genE10ELNS1_11target_archE1201ELNS1_3gpuE5ELNS1_3repE0EEENS1_30default_config_static_selectorELNS0_4arch9wavefront6targetE1EEEvS14_,comdat
.Lfunc_end440:
	.size	_ZN7rocprim17ROCPRIM_400000_NS6detail17trampoline_kernelINS0_14default_configENS1_22reduce_config_selectorIN6thrust23THRUST_200600_302600_NS5tupleIblNS6_9null_typeES8_S8_S8_S8_S8_S8_S8_EEEEZNS1_11reduce_implILb1ES3_NS6_12zip_iteratorINS7_INS6_11hip_rocprim26transform_input_iterator_tIbNSD_35transform_pair_of_input_iterators_tIbNS6_6detail15normal_iteratorINS6_10device_ptrIKdEEEESL_NS6_8equal_toIdEEEENSG_9not_fun_tINSD_8identityEEEEENSD_19counting_iterator_tIlEES8_S8_S8_S8_S8_S8_S8_S8_EEEEPS9_S9_NSD_9__find_if7functorIS9_EEEE10hipError_tPvRmT1_T2_T3_mT4_P12ihipStream_tbEUlT_E1_NS1_11comp_targetILNS1_3genE10ELNS1_11target_archE1201ELNS1_3gpuE5ELNS1_3repE0EEENS1_30default_config_static_selectorELNS0_4arch9wavefront6targetE1EEEvS14_, .Lfunc_end440-_ZN7rocprim17ROCPRIM_400000_NS6detail17trampoline_kernelINS0_14default_configENS1_22reduce_config_selectorIN6thrust23THRUST_200600_302600_NS5tupleIblNS6_9null_typeES8_S8_S8_S8_S8_S8_S8_EEEEZNS1_11reduce_implILb1ES3_NS6_12zip_iteratorINS7_INS6_11hip_rocprim26transform_input_iterator_tIbNSD_35transform_pair_of_input_iterators_tIbNS6_6detail15normal_iteratorINS6_10device_ptrIKdEEEESL_NS6_8equal_toIdEEEENSG_9not_fun_tINSD_8identityEEEEENSD_19counting_iterator_tIlEES8_S8_S8_S8_S8_S8_S8_S8_EEEEPS9_S9_NSD_9__find_if7functorIS9_EEEE10hipError_tPvRmT1_T2_T3_mT4_P12ihipStream_tbEUlT_E1_NS1_11comp_targetILNS1_3genE10ELNS1_11target_archE1201ELNS1_3gpuE5ELNS1_3repE0EEENS1_30default_config_static_selectorELNS0_4arch9wavefront6targetE1EEEvS14_
                                        ; -- End function
	.set _ZN7rocprim17ROCPRIM_400000_NS6detail17trampoline_kernelINS0_14default_configENS1_22reduce_config_selectorIN6thrust23THRUST_200600_302600_NS5tupleIblNS6_9null_typeES8_S8_S8_S8_S8_S8_S8_EEEEZNS1_11reduce_implILb1ES3_NS6_12zip_iteratorINS7_INS6_11hip_rocprim26transform_input_iterator_tIbNSD_35transform_pair_of_input_iterators_tIbNS6_6detail15normal_iteratorINS6_10device_ptrIKdEEEESL_NS6_8equal_toIdEEEENSG_9not_fun_tINSD_8identityEEEEENSD_19counting_iterator_tIlEES8_S8_S8_S8_S8_S8_S8_S8_EEEEPS9_S9_NSD_9__find_if7functorIS9_EEEE10hipError_tPvRmT1_T2_T3_mT4_P12ihipStream_tbEUlT_E1_NS1_11comp_targetILNS1_3genE10ELNS1_11target_archE1201ELNS1_3gpuE5ELNS1_3repE0EEENS1_30default_config_static_selectorELNS0_4arch9wavefront6targetE1EEEvS14_.num_vgpr, 0
	.set _ZN7rocprim17ROCPRIM_400000_NS6detail17trampoline_kernelINS0_14default_configENS1_22reduce_config_selectorIN6thrust23THRUST_200600_302600_NS5tupleIblNS6_9null_typeES8_S8_S8_S8_S8_S8_S8_EEEEZNS1_11reduce_implILb1ES3_NS6_12zip_iteratorINS7_INS6_11hip_rocprim26transform_input_iterator_tIbNSD_35transform_pair_of_input_iterators_tIbNS6_6detail15normal_iteratorINS6_10device_ptrIKdEEEESL_NS6_8equal_toIdEEEENSG_9not_fun_tINSD_8identityEEEEENSD_19counting_iterator_tIlEES8_S8_S8_S8_S8_S8_S8_S8_EEEEPS9_S9_NSD_9__find_if7functorIS9_EEEE10hipError_tPvRmT1_T2_T3_mT4_P12ihipStream_tbEUlT_E1_NS1_11comp_targetILNS1_3genE10ELNS1_11target_archE1201ELNS1_3gpuE5ELNS1_3repE0EEENS1_30default_config_static_selectorELNS0_4arch9wavefront6targetE1EEEvS14_.num_agpr, 0
	.set _ZN7rocprim17ROCPRIM_400000_NS6detail17trampoline_kernelINS0_14default_configENS1_22reduce_config_selectorIN6thrust23THRUST_200600_302600_NS5tupleIblNS6_9null_typeES8_S8_S8_S8_S8_S8_S8_EEEEZNS1_11reduce_implILb1ES3_NS6_12zip_iteratorINS7_INS6_11hip_rocprim26transform_input_iterator_tIbNSD_35transform_pair_of_input_iterators_tIbNS6_6detail15normal_iteratorINS6_10device_ptrIKdEEEESL_NS6_8equal_toIdEEEENSG_9not_fun_tINSD_8identityEEEEENSD_19counting_iterator_tIlEES8_S8_S8_S8_S8_S8_S8_S8_EEEEPS9_S9_NSD_9__find_if7functorIS9_EEEE10hipError_tPvRmT1_T2_T3_mT4_P12ihipStream_tbEUlT_E1_NS1_11comp_targetILNS1_3genE10ELNS1_11target_archE1201ELNS1_3gpuE5ELNS1_3repE0EEENS1_30default_config_static_selectorELNS0_4arch9wavefront6targetE1EEEvS14_.numbered_sgpr, 0
	.set _ZN7rocprim17ROCPRIM_400000_NS6detail17trampoline_kernelINS0_14default_configENS1_22reduce_config_selectorIN6thrust23THRUST_200600_302600_NS5tupleIblNS6_9null_typeES8_S8_S8_S8_S8_S8_S8_EEEEZNS1_11reduce_implILb1ES3_NS6_12zip_iteratorINS7_INS6_11hip_rocprim26transform_input_iterator_tIbNSD_35transform_pair_of_input_iterators_tIbNS6_6detail15normal_iteratorINS6_10device_ptrIKdEEEESL_NS6_8equal_toIdEEEENSG_9not_fun_tINSD_8identityEEEEENSD_19counting_iterator_tIlEES8_S8_S8_S8_S8_S8_S8_S8_EEEEPS9_S9_NSD_9__find_if7functorIS9_EEEE10hipError_tPvRmT1_T2_T3_mT4_P12ihipStream_tbEUlT_E1_NS1_11comp_targetILNS1_3genE10ELNS1_11target_archE1201ELNS1_3gpuE5ELNS1_3repE0EEENS1_30default_config_static_selectorELNS0_4arch9wavefront6targetE1EEEvS14_.num_named_barrier, 0
	.set _ZN7rocprim17ROCPRIM_400000_NS6detail17trampoline_kernelINS0_14default_configENS1_22reduce_config_selectorIN6thrust23THRUST_200600_302600_NS5tupleIblNS6_9null_typeES8_S8_S8_S8_S8_S8_S8_EEEEZNS1_11reduce_implILb1ES3_NS6_12zip_iteratorINS7_INS6_11hip_rocprim26transform_input_iterator_tIbNSD_35transform_pair_of_input_iterators_tIbNS6_6detail15normal_iteratorINS6_10device_ptrIKdEEEESL_NS6_8equal_toIdEEEENSG_9not_fun_tINSD_8identityEEEEENSD_19counting_iterator_tIlEES8_S8_S8_S8_S8_S8_S8_S8_EEEEPS9_S9_NSD_9__find_if7functorIS9_EEEE10hipError_tPvRmT1_T2_T3_mT4_P12ihipStream_tbEUlT_E1_NS1_11comp_targetILNS1_3genE10ELNS1_11target_archE1201ELNS1_3gpuE5ELNS1_3repE0EEENS1_30default_config_static_selectorELNS0_4arch9wavefront6targetE1EEEvS14_.private_seg_size, 0
	.set _ZN7rocprim17ROCPRIM_400000_NS6detail17trampoline_kernelINS0_14default_configENS1_22reduce_config_selectorIN6thrust23THRUST_200600_302600_NS5tupleIblNS6_9null_typeES8_S8_S8_S8_S8_S8_S8_EEEEZNS1_11reduce_implILb1ES3_NS6_12zip_iteratorINS7_INS6_11hip_rocprim26transform_input_iterator_tIbNSD_35transform_pair_of_input_iterators_tIbNS6_6detail15normal_iteratorINS6_10device_ptrIKdEEEESL_NS6_8equal_toIdEEEENSG_9not_fun_tINSD_8identityEEEEENSD_19counting_iterator_tIlEES8_S8_S8_S8_S8_S8_S8_S8_EEEEPS9_S9_NSD_9__find_if7functorIS9_EEEE10hipError_tPvRmT1_T2_T3_mT4_P12ihipStream_tbEUlT_E1_NS1_11comp_targetILNS1_3genE10ELNS1_11target_archE1201ELNS1_3gpuE5ELNS1_3repE0EEENS1_30default_config_static_selectorELNS0_4arch9wavefront6targetE1EEEvS14_.uses_vcc, 0
	.set _ZN7rocprim17ROCPRIM_400000_NS6detail17trampoline_kernelINS0_14default_configENS1_22reduce_config_selectorIN6thrust23THRUST_200600_302600_NS5tupleIblNS6_9null_typeES8_S8_S8_S8_S8_S8_S8_EEEEZNS1_11reduce_implILb1ES3_NS6_12zip_iteratorINS7_INS6_11hip_rocprim26transform_input_iterator_tIbNSD_35transform_pair_of_input_iterators_tIbNS6_6detail15normal_iteratorINS6_10device_ptrIKdEEEESL_NS6_8equal_toIdEEEENSG_9not_fun_tINSD_8identityEEEEENSD_19counting_iterator_tIlEES8_S8_S8_S8_S8_S8_S8_S8_EEEEPS9_S9_NSD_9__find_if7functorIS9_EEEE10hipError_tPvRmT1_T2_T3_mT4_P12ihipStream_tbEUlT_E1_NS1_11comp_targetILNS1_3genE10ELNS1_11target_archE1201ELNS1_3gpuE5ELNS1_3repE0EEENS1_30default_config_static_selectorELNS0_4arch9wavefront6targetE1EEEvS14_.uses_flat_scratch, 0
	.set _ZN7rocprim17ROCPRIM_400000_NS6detail17trampoline_kernelINS0_14default_configENS1_22reduce_config_selectorIN6thrust23THRUST_200600_302600_NS5tupleIblNS6_9null_typeES8_S8_S8_S8_S8_S8_S8_EEEEZNS1_11reduce_implILb1ES3_NS6_12zip_iteratorINS7_INS6_11hip_rocprim26transform_input_iterator_tIbNSD_35transform_pair_of_input_iterators_tIbNS6_6detail15normal_iteratorINS6_10device_ptrIKdEEEESL_NS6_8equal_toIdEEEENSG_9not_fun_tINSD_8identityEEEEENSD_19counting_iterator_tIlEES8_S8_S8_S8_S8_S8_S8_S8_EEEEPS9_S9_NSD_9__find_if7functorIS9_EEEE10hipError_tPvRmT1_T2_T3_mT4_P12ihipStream_tbEUlT_E1_NS1_11comp_targetILNS1_3genE10ELNS1_11target_archE1201ELNS1_3gpuE5ELNS1_3repE0EEENS1_30default_config_static_selectorELNS0_4arch9wavefront6targetE1EEEvS14_.has_dyn_sized_stack, 0
	.set _ZN7rocprim17ROCPRIM_400000_NS6detail17trampoline_kernelINS0_14default_configENS1_22reduce_config_selectorIN6thrust23THRUST_200600_302600_NS5tupleIblNS6_9null_typeES8_S8_S8_S8_S8_S8_S8_EEEEZNS1_11reduce_implILb1ES3_NS6_12zip_iteratorINS7_INS6_11hip_rocprim26transform_input_iterator_tIbNSD_35transform_pair_of_input_iterators_tIbNS6_6detail15normal_iteratorINS6_10device_ptrIKdEEEESL_NS6_8equal_toIdEEEENSG_9not_fun_tINSD_8identityEEEEENSD_19counting_iterator_tIlEES8_S8_S8_S8_S8_S8_S8_S8_EEEEPS9_S9_NSD_9__find_if7functorIS9_EEEE10hipError_tPvRmT1_T2_T3_mT4_P12ihipStream_tbEUlT_E1_NS1_11comp_targetILNS1_3genE10ELNS1_11target_archE1201ELNS1_3gpuE5ELNS1_3repE0EEENS1_30default_config_static_selectorELNS0_4arch9wavefront6targetE1EEEvS14_.has_recursion, 0
	.set _ZN7rocprim17ROCPRIM_400000_NS6detail17trampoline_kernelINS0_14default_configENS1_22reduce_config_selectorIN6thrust23THRUST_200600_302600_NS5tupleIblNS6_9null_typeES8_S8_S8_S8_S8_S8_S8_EEEEZNS1_11reduce_implILb1ES3_NS6_12zip_iteratorINS7_INS6_11hip_rocprim26transform_input_iterator_tIbNSD_35transform_pair_of_input_iterators_tIbNS6_6detail15normal_iteratorINS6_10device_ptrIKdEEEESL_NS6_8equal_toIdEEEENSG_9not_fun_tINSD_8identityEEEEENSD_19counting_iterator_tIlEES8_S8_S8_S8_S8_S8_S8_S8_EEEEPS9_S9_NSD_9__find_if7functorIS9_EEEE10hipError_tPvRmT1_T2_T3_mT4_P12ihipStream_tbEUlT_E1_NS1_11comp_targetILNS1_3genE10ELNS1_11target_archE1201ELNS1_3gpuE5ELNS1_3repE0EEENS1_30default_config_static_selectorELNS0_4arch9wavefront6targetE1EEEvS14_.has_indirect_call, 0
	.section	.AMDGPU.csdata,"",@progbits
; Kernel info:
; codeLenInByte = 0
; TotalNumSgprs: 4
; NumVgprs: 0
; ScratchSize: 0
; MemoryBound: 0
; FloatMode: 240
; IeeeMode: 1
; LDSByteSize: 0 bytes/workgroup (compile time only)
; SGPRBlocks: 0
; VGPRBlocks: 0
; NumSGPRsForWavesPerEU: 4
; NumVGPRsForWavesPerEU: 1
; Occupancy: 10
; WaveLimiterHint : 0
; COMPUTE_PGM_RSRC2:SCRATCH_EN: 0
; COMPUTE_PGM_RSRC2:USER_SGPR: 6
; COMPUTE_PGM_RSRC2:TRAP_HANDLER: 0
; COMPUTE_PGM_RSRC2:TGID_X_EN: 1
; COMPUTE_PGM_RSRC2:TGID_Y_EN: 0
; COMPUTE_PGM_RSRC2:TGID_Z_EN: 0
; COMPUTE_PGM_RSRC2:TIDIG_COMP_CNT: 0
	.section	.text._ZN7rocprim17ROCPRIM_400000_NS6detail17trampoline_kernelINS0_14default_configENS1_22reduce_config_selectorIN6thrust23THRUST_200600_302600_NS5tupleIblNS6_9null_typeES8_S8_S8_S8_S8_S8_S8_EEEEZNS1_11reduce_implILb1ES3_NS6_12zip_iteratorINS7_INS6_11hip_rocprim26transform_input_iterator_tIbNSD_35transform_pair_of_input_iterators_tIbNS6_6detail15normal_iteratorINS6_10device_ptrIKdEEEESL_NS6_8equal_toIdEEEENSG_9not_fun_tINSD_8identityEEEEENSD_19counting_iterator_tIlEES8_S8_S8_S8_S8_S8_S8_S8_EEEEPS9_S9_NSD_9__find_if7functorIS9_EEEE10hipError_tPvRmT1_T2_T3_mT4_P12ihipStream_tbEUlT_E1_NS1_11comp_targetILNS1_3genE10ELNS1_11target_archE1200ELNS1_3gpuE4ELNS1_3repE0EEENS1_30default_config_static_selectorELNS0_4arch9wavefront6targetE1EEEvS14_,"axG",@progbits,_ZN7rocprim17ROCPRIM_400000_NS6detail17trampoline_kernelINS0_14default_configENS1_22reduce_config_selectorIN6thrust23THRUST_200600_302600_NS5tupleIblNS6_9null_typeES8_S8_S8_S8_S8_S8_S8_EEEEZNS1_11reduce_implILb1ES3_NS6_12zip_iteratorINS7_INS6_11hip_rocprim26transform_input_iterator_tIbNSD_35transform_pair_of_input_iterators_tIbNS6_6detail15normal_iteratorINS6_10device_ptrIKdEEEESL_NS6_8equal_toIdEEEENSG_9not_fun_tINSD_8identityEEEEENSD_19counting_iterator_tIlEES8_S8_S8_S8_S8_S8_S8_S8_EEEEPS9_S9_NSD_9__find_if7functorIS9_EEEE10hipError_tPvRmT1_T2_T3_mT4_P12ihipStream_tbEUlT_E1_NS1_11comp_targetILNS1_3genE10ELNS1_11target_archE1200ELNS1_3gpuE4ELNS1_3repE0EEENS1_30default_config_static_selectorELNS0_4arch9wavefront6targetE1EEEvS14_,comdat
	.protected	_ZN7rocprim17ROCPRIM_400000_NS6detail17trampoline_kernelINS0_14default_configENS1_22reduce_config_selectorIN6thrust23THRUST_200600_302600_NS5tupleIblNS6_9null_typeES8_S8_S8_S8_S8_S8_S8_EEEEZNS1_11reduce_implILb1ES3_NS6_12zip_iteratorINS7_INS6_11hip_rocprim26transform_input_iterator_tIbNSD_35transform_pair_of_input_iterators_tIbNS6_6detail15normal_iteratorINS6_10device_ptrIKdEEEESL_NS6_8equal_toIdEEEENSG_9not_fun_tINSD_8identityEEEEENSD_19counting_iterator_tIlEES8_S8_S8_S8_S8_S8_S8_S8_EEEEPS9_S9_NSD_9__find_if7functorIS9_EEEE10hipError_tPvRmT1_T2_T3_mT4_P12ihipStream_tbEUlT_E1_NS1_11comp_targetILNS1_3genE10ELNS1_11target_archE1200ELNS1_3gpuE4ELNS1_3repE0EEENS1_30default_config_static_selectorELNS0_4arch9wavefront6targetE1EEEvS14_ ; -- Begin function _ZN7rocprim17ROCPRIM_400000_NS6detail17trampoline_kernelINS0_14default_configENS1_22reduce_config_selectorIN6thrust23THRUST_200600_302600_NS5tupleIblNS6_9null_typeES8_S8_S8_S8_S8_S8_S8_EEEEZNS1_11reduce_implILb1ES3_NS6_12zip_iteratorINS7_INS6_11hip_rocprim26transform_input_iterator_tIbNSD_35transform_pair_of_input_iterators_tIbNS6_6detail15normal_iteratorINS6_10device_ptrIKdEEEESL_NS6_8equal_toIdEEEENSG_9not_fun_tINSD_8identityEEEEENSD_19counting_iterator_tIlEES8_S8_S8_S8_S8_S8_S8_S8_EEEEPS9_S9_NSD_9__find_if7functorIS9_EEEE10hipError_tPvRmT1_T2_T3_mT4_P12ihipStream_tbEUlT_E1_NS1_11comp_targetILNS1_3genE10ELNS1_11target_archE1200ELNS1_3gpuE4ELNS1_3repE0EEENS1_30default_config_static_selectorELNS0_4arch9wavefront6targetE1EEEvS14_
	.globl	_ZN7rocprim17ROCPRIM_400000_NS6detail17trampoline_kernelINS0_14default_configENS1_22reduce_config_selectorIN6thrust23THRUST_200600_302600_NS5tupleIblNS6_9null_typeES8_S8_S8_S8_S8_S8_S8_EEEEZNS1_11reduce_implILb1ES3_NS6_12zip_iteratorINS7_INS6_11hip_rocprim26transform_input_iterator_tIbNSD_35transform_pair_of_input_iterators_tIbNS6_6detail15normal_iteratorINS6_10device_ptrIKdEEEESL_NS6_8equal_toIdEEEENSG_9not_fun_tINSD_8identityEEEEENSD_19counting_iterator_tIlEES8_S8_S8_S8_S8_S8_S8_S8_EEEEPS9_S9_NSD_9__find_if7functorIS9_EEEE10hipError_tPvRmT1_T2_T3_mT4_P12ihipStream_tbEUlT_E1_NS1_11comp_targetILNS1_3genE10ELNS1_11target_archE1200ELNS1_3gpuE4ELNS1_3repE0EEENS1_30default_config_static_selectorELNS0_4arch9wavefront6targetE1EEEvS14_
	.p2align	8
	.type	_ZN7rocprim17ROCPRIM_400000_NS6detail17trampoline_kernelINS0_14default_configENS1_22reduce_config_selectorIN6thrust23THRUST_200600_302600_NS5tupleIblNS6_9null_typeES8_S8_S8_S8_S8_S8_S8_EEEEZNS1_11reduce_implILb1ES3_NS6_12zip_iteratorINS7_INS6_11hip_rocprim26transform_input_iterator_tIbNSD_35transform_pair_of_input_iterators_tIbNS6_6detail15normal_iteratorINS6_10device_ptrIKdEEEESL_NS6_8equal_toIdEEEENSG_9not_fun_tINSD_8identityEEEEENSD_19counting_iterator_tIlEES8_S8_S8_S8_S8_S8_S8_S8_EEEEPS9_S9_NSD_9__find_if7functorIS9_EEEE10hipError_tPvRmT1_T2_T3_mT4_P12ihipStream_tbEUlT_E1_NS1_11comp_targetILNS1_3genE10ELNS1_11target_archE1200ELNS1_3gpuE4ELNS1_3repE0EEENS1_30default_config_static_selectorELNS0_4arch9wavefront6targetE1EEEvS14_,@function
_ZN7rocprim17ROCPRIM_400000_NS6detail17trampoline_kernelINS0_14default_configENS1_22reduce_config_selectorIN6thrust23THRUST_200600_302600_NS5tupleIblNS6_9null_typeES8_S8_S8_S8_S8_S8_S8_EEEEZNS1_11reduce_implILb1ES3_NS6_12zip_iteratorINS7_INS6_11hip_rocprim26transform_input_iterator_tIbNSD_35transform_pair_of_input_iterators_tIbNS6_6detail15normal_iteratorINS6_10device_ptrIKdEEEESL_NS6_8equal_toIdEEEENSG_9not_fun_tINSD_8identityEEEEENSD_19counting_iterator_tIlEES8_S8_S8_S8_S8_S8_S8_S8_EEEEPS9_S9_NSD_9__find_if7functorIS9_EEEE10hipError_tPvRmT1_T2_T3_mT4_P12ihipStream_tbEUlT_E1_NS1_11comp_targetILNS1_3genE10ELNS1_11target_archE1200ELNS1_3gpuE4ELNS1_3repE0EEENS1_30default_config_static_selectorELNS0_4arch9wavefront6targetE1EEEvS14_: ; @_ZN7rocprim17ROCPRIM_400000_NS6detail17trampoline_kernelINS0_14default_configENS1_22reduce_config_selectorIN6thrust23THRUST_200600_302600_NS5tupleIblNS6_9null_typeES8_S8_S8_S8_S8_S8_S8_EEEEZNS1_11reduce_implILb1ES3_NS6_12zip_iteratorINS7_INS6_11hip_rocprim26transform_input_iterator_tIbNSD_35transform_pair_of_input_iterators_tIbNS6_6detail15normal_iteratorINS6_10device_ptrIKdEEEESL_NS6_8equal_toIdEEEENSG_9not_fun_tINSD_8identityEEEEENSD_19counting_iterator_tIlEES8_S8_S8_S8_S8_S8_S8_S8_EEEEPS9_S9_NSD_9__find_if7functorIS9_EEEE10hipError_tPvRmT1_T2_T3_mT4_P12ihipStream_tbEUlT_E1_NS1_11comp_targetILNS1_3genE10ELNS1_11target_archE1200ELNS1_3gpuE4ELNS1_3repE0EEENS1_30default_config_static_selectorELNS0_4arch9wavefront6targetE1EEEvS14_
; %bb.0:
	.section	.rodata,"a",@progbits
	.p2align	6, 0x0
	.amdhsa_kernel _ZN7rocprim17ROCPRIM_400000_NS6detail17trampoline_kernelINS0_14default_configENS1_22reduce_config_selectorIN6thrust23THRUST_200600_302600_NS5tupleIblNS6_9null_typeES8_S8_S8_S8_S8_S8_S8_EEEEZNS1_11reduce_implILb1ES3_NS6_12zip_iteratorINS7_INS6_11hip_rocprim26transform_input_iterator_tIbNSD_35transform_pair_of_input_iterators_tIbNS6_6detail15normal_iteratorINS6_10device_ptrIKdEEEESL_NS6_8equal_toIdEEEENSG_9not_fun_tINSD_8identityEEEEENSD_19counting_iterator_tIlEES8_S8_S8_S8_S8_S8_S8_S8_EEEEPS9_S9_NSD_9__find_if7functorIS9_EEEE10hipError_tPvRmT1_T2_T3_mT4_P12ihipStream_tbEUlT_E1_NS1_11comp_targetILNS1_3genE10ELNS1_11target_archE1200ELNS1_3gpuE4ELNS1_3repE0EEENS1_30default_config_static_selectorELNS0_4arch9wavefront6targetE1EEEvS14_
		.amdhsa_group_segment_fixed_size 0
		.amdhsa_private_segment_fixed_size 0
		.amdhsa_kernarg_size 88
		.amdhsa_user_sgpr_count 6
		.amdhsa_user_sgpr_private_segment_buffer 1
		.amdhsa_user_sgpr_dispatch_ptr 0
		.amdhsa_user_sgpr_queue_ptr 0
		.amdhsa_user_sgpr_kernarg_segment_ptr 1
		.amdhsa_user_sgpr_dispatch_id 0
		.amdhsa_user_sgpr_flat_scratch_init 0
		.amdhsa_user_sgpr_private_segment_size 0
		.amdhsa_uses_dynamic_stack 0
		.amdhsa_system_sgpr_private_segment_wavefront_offset 0
		.amdhsa_system_sgpr_workgroup_id_x 1
		.amdhsa_system_sgpr_workgroup_id_y 0
		.amdhsa_system_sgpr_workgroup_id_z 0
		.amdhsa_system_sgpr_workgroup_info 0
		.amdhsa_system_vgpr_workitem_id 0
		.amdhsa_next_free_vgpr 1
		.amdhsa_next_free_sgpr 0
		.amdhsa_reserve_vcc 0
		.amdhsa_reserve_flat_scratch 0
		.amdhsa_float_round_mode_32 0
		.amdhsa_float_round_mode_16_64 0
		.amdhsa_float_denorm_mode_32 3
		.amdhsa_float_denorm_mode_16_64 3
		.amdhsa_dx10_clamp 1
		.amdhsa_ieee_mode 1
		.amdhsa_fp16_overflow 0
		.amdhsa_exception_fp_ieee_invalid_op 0
		.amdhsa_exception_fp_denorm_src 0
		.amdhsa_exception_fp_ieee_div_zero 0
		.amdhsa_exception_fp_ieee_overflow 0
		.amdhsa_exception_fp_ieee_underflow 0
		.amdhsa_exception_fp_ieee_inexact 0
		.amdhsa_exception_int_div_zero 0
	.end_amdhsa_kernel
	.section	.text._ZN7rocprim17ROCPRIM_400000_NS6detail17trampoline_kernelINS0_14default_configENS1_22reduce_config_selectorIN6thrust23THRUST_200600_302600_NS5tupleIblNS6_9null_typeES8_S8_S8_S8_S8_S8_S8_EEEEZNS1_11reduce_implILb1ES3_NS6_12zip_iteratorINS7_INS6_11hip_rocprim26transform_input_iterator_tIbNSD_35transform_pair_of_input_iterators_tIbNS6_6detail15normal_iteratorINS6_10device_ptrIKdEEEESL_NS6_8equal_toIdEEEENSG_9not_fun_tINSD_8identityEEEEENSD_19counting_iterator_tIlEES8_S8_S8_S8_S8_S8_S8_S8_EEEEPS9_S9_NSD_9__find_if7functorIS9_EEEE10hipError_tPvRmT1_T2_T3_mT4_P12ihipStream_tbEUlT_E1_NS1_11comp_targetILNS1_3genE10ELNS1_11target_archE1200ELNS1_3gpuE4ELNS1_3repE0EEENS1_30default_config_static_selectorELNS0_4arch9wavefront6targetE1EEEvS14_,"axG",@progbits,_ZN7rocprim17ROCPRIM_400000_NS6detail17trampoline_kernelINS0_14default_configENS1_22reduce_config_selectorIN6thrust23THRUST_200600_302600_NS5tupleIblNS6_9null_typeES8_S8_S8_S8_S8_S8_S8_EEEEZNS1_11reduce_implILb1ES3_NS6_12zip_iteratorINS7_INS6_11hip_rocprim26transform_input_iterator_tIbNSD_35transform_pair_of_input_iterators_tIbNS6_6detail15normal_iteratorINS6_10device_ptrIKdEEEESL_NS6_8equal_toIdEEEENSG_9not_fun_tINSD_8identityEEEEENSD_19counting_iterator_tIlEES8_S8_S8_S8_S8_S8_S8_S8_EEEEPS9_S9_NSD_9__find_if7functorIS9_EEEE10hipError_tPvRmT1_T2_T3_mT4_P12ihipStream_tbEUlT_E1_NS1_11comp_targetILNS1_3genE10ELNS1_11target_archE1200ELNS1_3gpuE4ELNS1_3repE0EEENS1_30default_config_static_selectorELNS0_4arch9wavefront6targetE1EEEvS14_,comdat
.Lfunc_end441:
	.size	_ZN7rocprim17ROCPRIM_400000_NS6detail17trampoline_kernelINS0_14default_configENS1_22reduce_config_selectorIN6thrust23THRUST_200600_302600_NS5tupleIblNS6_9null_typeES8_S8_S8_S8_S8_S8_S8_EEEEZNS1_11reduce_implILb1ES3_NS6_12zip_iteratorINS7_INS6_11hip_rocprim26transform_input_iterator_tIbNSD_35transform_pair_of_input_iterators_tIbNS6_6detail15normal_iteratorINS6_10device_ptrIKdEEEESL_NS6_8equal_toIdEEEENSG_9not_fun_tINSD_8identityEEEEENSD_19counting_iterator_tIlEES8_S8_S8_S8_S8_S8_S8_S8_EEEEPS9_S9_NSD_9__find_if7functorIS9_EEEE10hipError_tPvRmT1_T2_T3_mT4_P12ihipStream_tbEUlT_E1_NS1_11comp_targetILNS1_3genE10ELNS1_11target_archE1200ELNS1_3gpuE4ELNS1_3repE0EEENS1_30default_config_static_selectorELNS0_4arch9wavefront6targetE1EEEvS14_, .Lfunc_end441-_ZN7rocprim17ROCPRIM_400000_NS6detail17trampoline_kernelINS0_14default_configENS1_22reduce_config_selectorIN6thrust23THRUST_200600_302600_NS5tupleIblNS6_9null_typeES8_S8_S8_S8_S8_S8_S8_EEEEZNS1_11reduce_implILb1ES3_NS6_12zip_iteratorINS7_INS6_11hip_rocprim26transform_input_iterator_tIbNSD_35transform_pair_of_input_iterators_tIbNS6_6detail15normal_iteratorINS6_10device_ptrIKdEEEESL_NS6_8equal_toIdEEEENSG_9not_fun_tINSD_8identityEEEEENSD_19counting_iterator_tIlEES8_S8_S8_S8_S8_S8_S8_S8_EEEEPS9_S9_NSD_9__find_if7functorIS9_EEEE10hipError_tPvRmT1_T2_T3_mT4_P12ihipStream_tbEUlT_E1_NS1_11comp_targetILNS1_3genE10ELNS1_11target_archE1200ELNS1_3gpuE4ELNS1_3repE0EEENS1_30default_config_static_selectorELNS0_4arch9wavefront6targetE1EEEvS14_
                                        ; -- End function
	.set _ZN7rocprim17ROCPRIM_400000_NS6detail17trampoline_kernelINS0_14default_configENS1_22reduce_config_selectorIN6thrust23THRUST_200600_302600_NS5tupleIblNS6_9null_typeES8_S8_S8_S8_S8_S8_S8_EEEEZNS1_11reduce_implILb1ES3_NS6_12zip_iteratorINS7_INS6_11hip_rocprim26transform_input_iterator_tIbNSD_35transform_pair_of_input_iterators_tIbNS6_6detail15normal_iteratorINS6_10device_ptrIKdEEEESL_NS6_8equal_toIdEEEENSG_9not_fun_tINSD_8identityEEEEENSD_19counting_iterator_tIlEES8_S8_S8_S8_S8_S8_S8_S8_EEEEPS9_S9_NSD_9__find_if7functorIS9_EEEE10hipError_tPvRmT1_T2_T3_mT4_P12ihipStream_tbEUlT_E1_NS1_11comp_targetILNS1_3genE10ELNS1_11target_archE1200ELNS1_3gpuE4ELNS1_3repE0EEENS1_30default_config_static_selectorELNS0_4arch9wavefront6targetE1EEEvS14_.num_vgpr, 0
	.set _ZN7rocprim17ROCPRIM_400000_NS6detail17trampoline_kernelINS0_14default_configENS1_22reduce_config_selectorIN6thrust23THRUST_200600_302600_NS5tupleIblNS6_9null_typeES8_S8_S8_S8_S8_S8_S8_EEEEZNS1_11reduce_implILb1ES3_NS6_12zip_iteratorINS7_INS6_11hip_rocprim26transform_input_iterator_tIbNSD_35transform_pair_of_input_iterators_tIbNS6_6detail15normal_iteratorINS6_10device_ptrIKdEEEESL_NS6_8equal_toIdEEEENSG_9not_fun_tINSD_8identityEEEEENSD_19counting_iterator_tIlEES8_S8_S8_S8_S8_S8_S8_S8_EEEEPS9_S9_NSD_9__find_if7functorIS9_EEEE10hipError_tPvRmT1_T2_T3_mT4_P12ihipStream_tbEUlT_E1_NS1_11comp_targetILNS1_3genE10ELNS1_11target_archE1200ELNS1_3gpuE4ELNS1_3repE0EEENS1_30default_config_static_selectorELNS0_4arch9wavefront6targetE1EEEvS14_.num_agpr, 0
	.set _ZN7rocprim17ROCPRIM_400000_NS6detail17trampoline_kernelINS0_14default_configENS1_22reduce_config_selectorIN6thrust23THRUST_200600_302600_NS5tupleIblNS6_9null_typeES8_S8_S8_S8_S8_S8_S8_EEEEZNS1_11reduce_implILb1ES3_NS6_12zip_iteratorINS7_INS6_11hip_rocprim26transform_input_iterator_tIbNSD_35transform_pair_of_input_iterators_tIbNS6_6detail15normal_iteratorINS6_10device_ptrIKdEEEESL_NS6_8equal_toIdEEEENSG_9not_fun_tINSD_8identityEEEEENSD_19counting_iterator_tIlEES8_S8_S8_S8_S8_S8_S8_S8_EEEEPS9_S9_NSD_9__find_if7functorIS9_EEEE10hipError_tPvRmT1_T2_T3_mT4_P12ihipStream_tbEUlT_E1_NS1_11comp_targetILNS1_3genE10ELNS1_11target_archE1200ELNS1_3gpuE4ELNS1_3repE0EEENS1_30default_config_static_selectorELNS0_4arch9wavefront6targetE1EEEvS14_.numbered_sgpr, 0
	.set _ZN7rocprim17ROCPRIM_400000_NS6detail17trampoline_kernelINS0_14default_configENS1_22reduce_config_selectorIN6thrust23THRUST_200600_302600_NS5tupleIblNS6_9null_typeES8_S8_S8_S8_S8_S8_S8_EEEEZNS1_11reduce_implILb1ES3_NS6_12zip_iteratorINS7_INS6_11hip_rocprim26transform_input_iterator_tIbNSD_35transform_pair_of_input_iterators_tIbNS6_6detail15normal_iteratorINS6_10device_ptrIKdEEEESL_NS6_8equal_toIdEEEENSG_9not_fun_tINSD_8identityEEEEENSD_19counting_iterator_tIlEES8_S8_S8_S8_S8_S8_S8_S8_EEEEPS9_S9_NSD_9__find_if7functorIS9_EEEE10hipError_tPvRmT1_T2_T3_mT4_P12ihipStream_tbEUlT_E1_NS1_11comp_targetILNS1_3genE10ELNS1_11target_archE1200ELNS1_3gpuE4ELNS1_3repE0EEENS1_30default_config_static_selectorELNS0_4arch9wavefront6targetE1EEEvS14_.num_named_barrier, 0
	.set _ZN7rocprim17ROCPRIM_400000_NS6detail17trampoline_kernelINS0_14default_configENS1_22reduce_config_selectorIN6thrust23THRUST_200600_302600_NS5tupleIblNS6_9null_typeES8_S8_S8_S8_S8_S8_S8_EEEEZNS1_11reduce_implILb1ES3_NS6_12zip_iteratorINS7_INS6_11hip_rocprim26transform_input_iterator_tIbNSD_35transform_pair_of_input_iterators_tIbNS6_6detail15normal_iteratorINS6_10device_ptrIKdEEEESL_NS6_8equal_toIdEEEENSG_9not_fun_tINSD_8identityEEEEENSD_19counting_iterator_tIlEES8_S8_S8_S8_S8_S8_S8_S8_EEEEPS9_S9_NSD_9__find_if7functorIS9_EEEE10hipError_tPvRmT1_T2_T3_mT4_P12ihipStream_tbEUlT_E1_NS1_11comp_targetILNS1_3genE10ELNS1_11target_archE1200ELNS1_3gpuE4ELNS1_3repE0EEENS1_30default_config_static_selectorELNS0_4arch9wavefront6targetE1EEEvS14_.private_seg_size, 0
	.set _ZN7rocprim17ROCPRIM_400000_NS6detail17trampoline_kernelINS0_14default_configENS1_22reduce_config_selectorIN6thrust23THRUST_200600_302600_NS5tupleIblNS6_9null_typeES8_S8_S8_S8_S8_S8_S8_EEEEZNS1_11reduce_implILb1ES3_NS6_12zip_iteratorINS7_INS6_11hip_rocprim26transform_input_iterator_tIbNSD_35transform_pair_of_input_iterators_tIbNS6_6detail15normal_iteratorINS6_10device_ptrIKdEEEESL_NS6_8equal_toIdEEEENSG_9not_fun_tINSD_8identityEEEEENSD_19counting_iterator_tIlEES8_S8_S8_S8_S8_S8_S8_S8_EEEEPS9_S9_NSD_9__find_if7functorIS9_EEEE10hipError_tPvRmT1_T2_T3_mT4_P12ihipStream_tbEUlT_E1_NS1_11comp_targetILNS1_3genE10ELNS1_11target_archE1200ELNS1_3gpuE4ELNS1_3repE0EEENS1_30default_config_static_selectorELNS0_4arch9wavefront6targetE1EEEvS14_.uses_vcc, 0
	.set _ZN7rocprim17ROCPRIM_400000_NS6detail17trampoline_kernelINS0_14default_configENS1_22reduce_config_selectorIN6thrust23THRUST_200600_302600_NS5tupleIblNS6_9null_typeES8_S8_S8_S8_S8_S8_S8_EEEEZNS1_11reduce_implILb1ES3_NS6_12zip_iteratorINS7_INS6_11hip_rocprim26transform_input_iterator_tIbNSD_35transform_pair_of_input_iterators_tIbNS6_6detail15normal_iteratorINS6_10device_ptrIKdEEEESL_NS6_8equal_toIdEEEENSG_9not_fun_tINSD_8identityEEEEENSD_19counting_iterator_tIlEES8_S8_S8_S8_S8_S8_S8_S8_EEEEPS9_S9_NSD_9__find_if7functorIS9_EEEE10hipError_tPvRmT1_T2_T3_mT4_P12ihipStream_tbEUlT_E1_NS1_11comp_targetILNS1_3genE10ELNS1_11target_archE1200ELNS1_3gpuE4ELNS1_3repE0EEENS1_30default_config_static_selectorELNS0_4arch9wavefront6targetE1EEEvS14_.uses_flat_scratch, 0
	.set _ZN7rocprim17ROCPRIM_400000_NS6detail17trampoline_kernelINS0_14default_configENS1_22reduce_config_selectorIN6thrust23THRUST_200600_302600_NS5tupleIblNS6_9null_typeES8_S8_S8_S8_S8_S8_S8_EEEEZNS1_11reduce_implILb1ES3_NS6_12zip_iteratorINS7_INS6_11hip_rocprim26transform_input_iterator_tIbNSD_35transform_pair_of_input_iterators_tIbNS6_6detail15normal_iteratorINS6_10device_ptrIKdEEEESL_NS6_8equal_toIdEEEENSG_9not_fun_tINSD_8identityEEEEENSD_19counting_iterator_tIlEES8_S8_S8_S8_S8_S8_S8_S8_EEEEPS9_S9_NSD_9__find_if7functorIS9_EEEE10hipError_tPvRmT1_T2_T3_mT4_P12ihipStream_tbEUlT_E1_NS1_11comp_targetILNS1_3genE10ELNS1_11target_archE1200ELNS1_3gpuE4ELNS1_3repE0EEENS1_30default_config_static_selectorELNS0_4arch9wavefront6targetE1EEEvS14_.has_dyn_sized_stack, 0
	.set _ZN7rocprim17ROCPRIM_400000_NS6detail17trampoline_kernelINS0_14default_configENS1_22reduce_config_selectorIN6thrust23THRUST_200600_302600_NS5tupleIblNS6_9null_typeES8_S8_S8_S8_S8_S8_S8_EEEEZNS1_11reduce_implILb1ES3_NS6_12zip_iteratorINS7_INS6_11hip_rocprim26transform_input_iterator_tIbNSD_35transform_pair_of_input_iterators_tIbNS6_6detail15normal_iteratorINS6_10device_ptrIKdEEEESL_NS6_8equal_toIdEEEENSG_9not_fun_tINSD_8identityEEEEENSD_19counting_iterator_tIlEES8_S8_S8_S8_S8_S8_S8_S8_EEEEPS9_S9_NSD_9__find_if7functorIS9_EEEE10hipError_tPvRmT1_T2_T3_mT4_P12ihipStream_tbEUlT_E1_NS1_11comp_targetILNS1_3genE10ELNS1_11target_archE1200ELNS1_3gpuE4ELNS1_3repE0EEENS1_30default_config_static_selectorELNS0_4arch9wavefront6targetE1EEEvS14_.has_recursion, 0
	.set _ZN7rocprim17ROCPRIM_400000_NS6detail17trampoline_kernelINS0_14default_configENS1_22reduce_config_selectorIN6thrust23THRUST_200600_302600_NS5tupleIblNS6_9null_typeES8_S8_S8_S8_S8_S8_S8_EEEEZNS1_11reduce_implILb1ES3_NS6_12zip_iteratorINS7_INS6_11hip_rocprim26transform_input_iterator_tIbNSD_35transform_pair_of_input_iterators_tIbNS6_6detail15normal_iteratorINS6_10device_ptrIKdEEEESL_NS6_8equal_toIdEEEENSG_9not_fun_tINSD_8identityEEEEENSD_19counting_iterator_tIlEES8_S8_S8_S8_S8_S8_S8_S8_EEEEPS9_S9_NSD_9__find_if7functorIS9_EEEE10hipError_tPvRmT1_T2_T3_mT4_P12ihipStream_tbEUlT_E1_NS1_11comp_targetILNS1_3genE10ELNS1_11target_archE1200ELNS1_3gpuE4ELNS1_3repE0EEENS1_30default_config_static_selectorELNS0_4arch9wavefront6targetE1EEEvS14_.has_indirect_call, 0
	.section	.AMDGPU.csdata,"",@progbits
; Kernel info:
; codeLenInByte = 0
; TotalNumSgprs: 4
; NumVgprs: 0
; ScratchSize: 0
; MemoryBound: 0
; FloatMode: 240
; IeeeMode: 1
; LDSByteSize: 0 bytes/workgroup (compile time only)
; SGPRBlocks: 0
; VGPRBlocks: 0
; NumSGPRsForWavesPerEU: 4
; NumVGPRsForWavesPerEU: 1
; Occupancy: 10
; WaveLimiterHint : 0
; COMPUTE_PGM_RSRC2:SCRATCH_EN: 0
; COMPUTE_PGM_RSRC2:USER_SGPR: 6
; COMPUTE_PGM_RSRC2:TRAP_HANDLER: 0
; COMPUTE_PGM_RSRC2:TGID_X_EN: 1
; COMPUTE_PGM_RSRC2:TGID_Y_EN: 0
; COMPUTE_PGM_RSRC2:TGID_Z_EN: 0
; COMPUTE_PGM_RSRC2:TIDIG_COMP_CNT: 0
	.section	.text._ZN7rocprim17ROCPRIM_400000_NS6detail17trampoline_kernelINS0_14default_configENS1_22reduce_config_selectorIN6thrust23THRUST_200600_302600_NS5tupleIblNS6_9null_typeES8_S8_S8_S8_S8_S8_S8_EEEEZNS1_11reduce_implILb1ES3_NS6_12zip_iteratorINS7_INS6_11hip_rocprim26transform_input_iterator_tIbNSD_35transform_pair_of_input_iterators_tIbNS6_6detail15normal_iteratorINS6_10device_ptrIKdEEEESL_NS6_8equal_toIdEEEENSG_9not_fun_tINSD_8identityEEEEENSD_19counting_iterator_tIlEES8_S8_S8_S8_S8_S8_S8_S8_EEEEPS9_S9_NSD_9__find_if7functorIS9_EEEE10hipError_tPvRmT1_T2_T3_mT4_P12ihipStream_tbEUlT_E1_NS1_11comp_targetILNS1_3genE9ELNS1_11target_archE1100ELNS1_3gpuE3ELNS1_3repE0EEENS1_30default_config_static_selectorELNS0_4arch9wavefront6targetE1EEEvS14_,"axG",@progbits,_ZN7rocprim17ROCPRIM_400000_NS6detail17trampoline_kernelINS0_14default_configENS1_22reduce_config_selectorIN6thrust23THRUST_200600_302600_NS5tupleIblNS6_9null_typeES8_S8_S8_S8_S8_S8_S8_EEEEZNS1_11reduce_implILb1ES3_NS6_12zip_iteratorINS7_INS6_11hip_rocprim26transform_input_iterator_tIbNSD_35transform_pair_of_input_iterators_tIbNS6_6detail15normal_iteratorINS6_10device_ptrIKdEEEESL_NS6_8equal_toIdEEEENSG_9not_fun_tINSD_8identityEEEEENSD_19counting_iterator_tIlEES8_S8_S8_S8_S8_S8_S8_S8_EEEEPS9_S9_NSD_9__find_if7functorIS9_EEEE10hipError_tPvRmT1_T2_T3_mT4_P12ihipStream_tbEUlT_E1_NS1_11comp_targetILNS1_3genE9ELNS1_11target_archE1100ELNS1_3gpuE3ELNS1_3repE0EEENS1_30default_config_static_selectorELNS0_4arch9wavefront6targetE1EEEvS14_,comdat
	.protected	_ZN7rocprim17ROCPRIM_400000_NS6detail17trampoline_kernelINS0_14default_configENS1_22reduce_config_selectorIN6thrust23THRUST_200600_302600_NS5tupleIblNS6_9null_typeES8_S8_S8_S8_S8_S8_S8_EEEEZNS1_11reduce_implILb1ES3_NS6_12zip_iteratorINS7_INS6_11hip_rocprim26transform_input_iterator_tIbNSD_35transform_pair_of_input_iterators_tIbNS6_6detail15normal_iteratorINS6_10device_ptrIKdEEEESL_NS6_8equal_toIdEEEENSG_9not_fun_tINSD_8identityEEEEENSD_19counting_iterator_tIlEES8_S8_S8_S8_S8_S8_S8_S8_EEEEPS9_S9_NSD_9__find_if7functorIS9_EEEE10hipError_tPvRmT1_T2_T3_mT4_P12ihipStream_tbEUlT_E1_NS1_11comp_targetILNS1_3genE9ELNS1_11target_archE1100ELNS1_3gpuE3ELNS1_3repE0EEENS1_30default_config_static_selectorELNS0_4arch9wavefront6targetE1EEEvS14_ ; -- Begin function _ZN7rocprim17ROCPRIM_400000_NS6detail17trampoline_kernelINS0_14default_configENS1_22reduce_config_selectorIN6thrust23THRUST_200600_302600_NS5tupleIblNS6_9null_typeES8_S8_S8_S8_S8_S8_S8_EEEEZNS1_11reduce_implILb1ES3_NS6_12zip_iteratorINS7_INS6_11hip_rocprim26transform_input_iterator_tIbNSD_35transform_pair_of_input_iterators_tIbNS6_6detail15normal_iteratorINS6_10device_ptrIKdEEEESL_NS6_8equal_toIdEEEENSG_9not_fun_tINSD_8identityEEEEENSD_19counting_iterator_tIlEES8_S8_S8_S8_S8_S8_S8_S8_EEEEPS9_S9_NSD_9__find_if7functorIS9_EEEE10hipError_tPvRmT1_T2_T3_mT4_P12ihipStream_tbEUlT_E1_NS1_11comp_targetILNS1_3genE9ELNS1_11target_archE1100ELNS1_3gpuE3ELNS1_3repE0EEENS1_30default_config_static_selectorELNS0_4arch9wavefront6targetE1EEEvS14_
	.globl	_ZN7rocprim17ROCPRIM_400000_NS6detail17trampoline_kernelINS0_14default_configENS1_22reduce_config_selectorIN6thrust23THRUST_200600_302600_NS5tupleIblNS6_9null_typeES8_S8_S8_S8_S8_S8_S8_EEEEZNS1_11reduce_implILb1ES3_NS6_12zip_iteratorINS7_INS6_11hip_rocprim26transform_input_iterator_tIbNSD_35transform_pair_of_input_iterators_tIbNS6_6detail15normal_iteratorINS6_10device_ptrIKdEEEESL_NS6_8equal_toIdEEEENSG_9not_fun_tINSD_8identityEEEEENSD_19counting_iterator_tIlEES8_S8_S8_S8_S8_S8_S8_S8_EEEEPS9_S9_NSD_9__find_if7functorIS9_EEEE10hipError_tPvRmT1_T2_T3_mT4_P12ihipStream_tbEUlT_E1_NS1_11comp_targetILNS1_3genE9ELNS1_11target_archE1100ELNS1_3gpuE3ELNS1_3repE0EEENS1_30default_config_static_selectorELNS0_4arch9wavefront6targetE1EEEvS14_
	.p2align	8
	.type	_ZN7rocprim17ROCPRIM_400000_NS6detail17trampoline_kernelINS0_14default_configENS1_22reduce_config_selectorIN6thrust23THRUST_200600_302600_NS5tupleIblNS6_9null_typeES8_S8_S8_S8_S8_S8_S8_EEEEZNS1_11reduce_implILb1ES3_NS6_12zip_iteratorINS7_INS6_11hip_rocprim26transform_input_iterator_tIbNSD_35transform_pair_of_input_iterators_tIbNS6_6detail15normal_iteratorINS6_10device_ptrIKdEEEESL_NS6_8equal_toIdEEEENSG_9not_fun_tINSD_8identityEEEEENSD_19counting_iterator_tIlEES8_S8_S8_S8_S8_S8_S8_S8_EEEEPS9_S9_NSD_9__find_if7functorIS9_EEEE10hipError_tPvRmT1_T2_T3_mT4_P12ihipStream_tbEUlT_E1_NS1_11comp_targetILNS1_3genE9ELNS1_11target_archE1100ELNS1_3gpuE3ELNS1_3repE0EEENS1_30default_config_static_selectorELNS0_4arch9wavefront6targetE1EEEvS14_,@function
_ZN7rocprim17ROCPRIM_400000_NS6detail17trampoline_kernelINS0_14default_configENS1_22reduce_config_selectorIN6thrust23THRUST_200600_302600_NS5tupleIblNS6_9null_typeES8_S8_S8_S8_S8_S8_S8_EEEEZNS1_11reduce_implILb1ES3_NS6_12zip_iteratorINS7_INS6_11hip_rocprim26transform_input_iterator_tIbNSD_35transform_pair_of_input_iterators_tIbNS6_6detail15normal_iteratorINS6_10device_ptrIKdEEEESL_NS6_8equal_toIdEEEENSG_9not_fun_tINSD_8identityEEEEENSD_19counting_iterator_tIlEES8_S8_S8_S8_S8_S8_S8_S8_EEEEPS9_S9_NSD_9__find_if7functorIS9_EEEE10hipError_tPvRmT1_T2_T3_mT4_P12ihipStream_tbEUlT_E1_NS1_11comp_targetILNS1_3genE9ELNS1_11target_archE1100ELNS1_3gpuE3ELNS1_3repE0EEENS1_30default_config_static_selectorELNS0_4arch9wavefront6targetE1EEEvS14_: ; @_ZN7rocprim17ROCPRIM_400000_NS6detail17trampoline_kernelINS0_14default_configENS1_22reduce_config_selectorIN6thrust23THRUST_200600_302600_NS5tupleIblNS6_9null_typeES8_S8_S8_S8_S8_S8_S8_EEEEZNS1_11reduce_implILb1ES3_NS6_12zip_iteratorINS7_INS6_11hip_rocprim26transform_input_iterator_tIbNSD_35transform_pair_of_input_iterators_tIbNS6_6detail15normal_iteratorINS6_10device_ptrIKdEEEESL_NS6_8equal_toIdEEEENSG_9not_fun_tINSD_8identityEEEEENSD_19counting_iterator_tIlEES8_S8_S8_S8_S8_S8_S8_S8_EEEEPS9_S9_NSD_9__find_if7functorIS9_EEEE10hipError_tPvRmT1_T2_T3_mT4_P12ihipStream_tbEUlT_E1_NS1_11comp_targetILNS1_3genE9ELNS1_11target_archE1100ELNS1_3gpuE3ELNS1_3repE0EEENS1_30default_config_static_selectorELNS0_4arch9wavefront6targetE1EEEvS14_
; %bb.0:
	.section	.rodata,"a",@progbits
	.p2align	6, 0x0
	.amdhsa_kernel _ZN7rocprim17ROCPRIM_400000_NS6detail17trampoline_kernelINS0_14default_configENS1_22reduce_config_selectorIN6thrust23THRUST_200600_302600_NS5tupleIblNS6_9null_typeES8_S8_S8_S8_S8_S8_S8_EEEEZNS1_11reduce_implILb1ES3_NS6_12zip_iteratorINS7_INS6_11hip_rocprim26transform_input_iterator_tIbNSD_35transform_pair_of_input_iterators_tIbNS6_6detail15normal_iteratorINS6_10device_ptrIKdEEEESL_NS6_8equal_toIdEEEENSG_9not_fun_tINSD_8identityEEEEENSD_19counting_iterator_tIlEES8_S8_S8_S8_S8_S8_S8_S8_EEEEPS9_S9_NSD_9__find_if7functorIS9_EEEE10hipError_tPvRmT1_T2_T3_mT4_P12ihipStream_tbEUlT_E1_NS1_11comp_targetILNS1_3genE9ELNS1_11target_archE1100ELNS1_3gpuE3ELNS1_3repE0EEENS1_30default_config_static_selectorELNS0_4arch9wavefront6targetE1EEEvS14_
		.amdhsa_group_segment_fixed_size 0
		.amdhsa_private_segment_fixed_size 0
		.amdhsa_kernarg_size 88
		.amdhsa_user_sgpr_count 6
		.amdhsa_user_sgpr_private_segment_buffer 1
		.amdhsa_user_sgpr_dispatch_ptr 0
		.amdhsa_user_sgpr_queue_ptr 0
		.amdhsa_user_sgpr_kernarg_segment_ptr 1
		.amdhsa_user_sgpr_dispatch_id 0
		.amdhsa_user_sgpr_flat_scratch_init 0
		.amdhsa_user_sgpr_private_segment_size 0
		.amdhsa_uses_dynamic_stack 0
		.amdhsa_system_sgpr_private_segment_wavefront_offset 0
		.amdhsa_system_sgpr_workgroup_id_x 1
		.amdhsa_system_sgpr_workgroup_id_y 0
		.amdhsa_system_sgpr_workgroup_id_z 0
		.amdhsa_system_sgpr_workgroup_info 0
		.amdhsa_system_vgpr_workitem_id 0
		.amdhsa_next_free_vgpr 1
		.amdhsa_next_free_sgpr 0
		.amdhsa_reserve_vcc 0
		.amdhsa_reserve_flat_scratch 0
		.amdhsa_float_round_mode_32 0
		.amdhsa_float_round_mode_16_64 0
		.amdhsa_float_denorm_mode_32 3
		.amdhsa_float_denorm_mode_16_64 3
		.amdhsa_dx10_clamp 1
		.amdhsa_ieee_mode 1
		.amdhsa_fp16_overflow 0
		.amdhsa_exception_fp_ieee_invalid_op 0
		.amdhsa_exception_fp_denorm_src 0
		.amdhsa_exception_fp_ieee_div_zero 0
		.amdhsa_exception_fp_ieee_overflow 0
		.amdhsa_exception_fp_ieee_underflow 0
		.amdhsa_exception_fp_ieee_inexact 0
		.amdhsa_exception_int_div_zero 0
	.end_amdhsa_kernel
	.section	.text._ZN7rocprim17ROCPRIM_400000_NS6detail17trampoline_kernelINS0_14default_configENS1_22reduce_config_selectorIN6thrust23THRUST_200600_302600_NS5tupleIblNS6_9null_typeES8_S8_S8_S8_S8_S8_S8_EEEEZNS1_11reduce_implILb1ES3_NS6_12zip_iteratorINS7_INS6_11hip_rocprim26transform_input_iterator_tIbNSD_35transform_pair_of_input_iterators_tIbNS6_6detail15normal_iteratorINS6_10device_ptrIKdEEEESL_NS6_8equal_toIdEEEENSG_9not_fun_tINSD_8identityEEEEENSD_19counting_iterator_tIlEES8_S8_S8_S8_S8_S8_S8_S8_EEEEPS9_S9_NSD_9__find_if7functorIS9_EEEE10hipError_tPvRmT1_T2_T3_mT4_P12ihipStream_tbEUlT_E1_NS1_11comp_targetILNS1_3genE9ELNS1_11target_archE1100ELNS1_3gpuE3ELNS1_3repE0EEENS1_30default_config_static_selectorELNS0_4arch9wavefront6targetE1EEEvS14_,"axG",@progbits,_ZN7rocprim17ROCPRIM_400000_NS6detail17trampoline_kernelINS0_14default_configENS1_22reduce_config_selectorIN6thrust23THRUST_200600_302600_NS5tupleIblNS6_9null_typeES8_S8_S8_S8_S8_S8_S8_EEEEZNS1_11reduce_implILb1ES3_NS6_12zip_iteratorINS7_INS6_11hip_rocprim26transform_input_iterator_tIbNSD_35transform_pair_of_input_iterators_tIbNS6_6detail15normal_iteratorINS6_10device_ptrIKdEEEESL_NS6_8equal_toIdEEEENSG_9not_fun_tINSD_8identityEEEEENSD_19counting_iterator_tIlEES8_S8_S8_S8_S8_S8_S8_S8_EEEEPS9_S9_NSD_9__find_if7functorIS9_EEEE10hipError_tPvRmT1_T2_T3_mT4_P12ihipStream_tbEUlT_E1_NS1_11comp_targetILNS1_3genE9ELNS1_11target_archE1100ELNS1_3gpuE3ELNS1_3repE0EEENS1_30default_config_static_selectorELNS0_4arch9wavefront6targetE1EEEvS14_,comdat
.Lfunc_end442:
	.size	_ZN7rocprim17ROCPRIM_400000_NS6detail17trampoline_kernelINS0_14default_configENS1_22reduce_config_selectorIN6thrust23THRUST_200600_302600_NS5tupleIblNS6_9null_typeES8_S8_S8_S8_S8_S8_S8_EEEEZNS1_11reduce_implILb1ES3_NS6_12zip_iteratorINS7_INS6_11hip_rocprim26transform_input_iterator_tIbNSD_35transform_pair_of_input_iterators_tIbNS6_6detail15normal_iteratorINS6_10device_ptrIKdEEEESL_NS6_8equal_toIdEEEENSG_9not_fun_tINSD_8identityEEEEENSD_19counting_iterator_tIlEES8_S8_S8_S8_S8_S8_S8_S8_EEEEPS9_S9_NSD_9__find_if7functorIS9_EEEE10hipError_tPvRmT1_T2_T3_mT4_P12ihipStream_tbEUlT_E1_NS1_11comp_targetILNS1_3genE9ELNS1_11target_archE1100ELNS1_3gpuE3ELNS1_3repE0EEENS1_30default_config_static_selectorELNS0_4arch9wavefront6targetE1EEEvS14_, .Lfunc_end442-_ZN7rocprim17ROCPRIM_400000_NS6detail17trampoline_kernelINS0_14default_configENS1_22reduce_config_selectorIN6thrust23THRUST_200600_302600_NS5tupleIblNS6_9null_typeES8_S8_S8_S8_S8_S8_S8_EEEEZNS1_11reduce_implILb1ES3_NS6_12zip_iteratorINS7_INS6_11hip_rocprim26transform_input_iterator_tIbNSD_35transform_pair_of_input_iterators_tIbNS6_6detail15normal_iteratorINS6_10device_ptrIKdEEEESL_NS6_8equal_toIdEEEENSG_9not_fun_tINSD_8identityEEEEENSD_19counting_iterator_tIlEES8_S8_S8_S8_S8_S8_S8_S8_EEEEPS9_S9_NSD_9__find_if7functorIS9_EEEE10hipError_tPvRmT1_T2_T3_mT4_P12ihipStream_tbEUlT_E1_NS1_11comp_targetILNS1_3genE9ELNS1_11target_archE1100ELNS1_3gpuE3ELNS1_3repE0EEENS1_30default_config_static_selectorELNS0_4arch9wavefront6targetE1EEEvS14_
                                        ; -- End function
	.set _ZN7rocprim17ROCPRIM_400000_NS6detail17trampoline_kernelINS0_14default_configENS1_22reduce_config_selectorIN6thrust23THRUST_200600_302600_NS5tupleIblNS6_9null_typeES8_S8_S8_S8_S8_S8_S8_EEEEZNS1_11reduce_implILb1ES3_NS6_12zip_iteratorINS7_INS6_11hip_rocprim26transform_input_iterator_tIbNSD_35transform_pair_of_input_iterators_tIbNS6_6detail15normal_iteratorINS6_10device_ptrIKdEEEESL_NS6_8equal_toIdEEEENSG_9not_fun_tINSD_8identityEEEEENSD_19counting_iterator_tIlEES8_S8_S8_S8_S8_S8_S8_S8_EEEEPS9_S9_NSD_9__find_if7functorIS9_EEEE10hipError_tPvRmT1_T2_T3_mT4_P12ihipStream_tbEUlT_E1_NS1_11comp_targetILNS1_3genE9ELNS1_11target_archE1100ELNS1_3gpuE3ELNS1_3repE0EEENS1_30default_config_static_selectorELNS0_4arch9wavefront6targetE1EEEvS14_.num_vgpr, 0
	.set _ZN7rocprim17ROCPRIM_400000_NS6detail17trampoline_kernelINS0_14default_configENS1_22reduce_config_selectorIN6thrust23THRUST_200600_302600_NS5tupleIblNS6_9null_typeES8_S8_S8_S8_S8_S8_S8_EEEEZNS1_11reduce_implILb1ES3_NS6_12zip_iteratorINS7_INS6_11hip_rocprim26transform_input_iterator_tIbNSD_35transform_pair_of_input_iterators_tIbNS6_6detail15normal_iteratorINS6_10device_ptrIKdEEEESL_NS6_8equal_toIdEEEENSG_9not_fun_tINSD_8identityEEEEENSD_19counting_iterator_tIlEES8_S8_S8_S8_S8_S8_S8_S8_EEEEPS9_S9_NSD_9__find_if7functorIS9_EEEE10hipError_tPvRmT1_T2_T3_mT4_P12ihipStream_tbEUlT_E1_NS1_11comp_targetILNS1_3genE9ELNS1_11target_archE1100ELNS1_3gpuE3ELNS1_3repE0EEENS1_30default_config_static_selectorELNS0_4arch9wavefront6targetE1EEEvS14_.num_agpr, 0
	.set _ZN7rocprim17ROCPRIM_400000_NS6detail17trampoline_kernelINS0_14default_configENS1_22reduce_config_selectorIN6thrust23THRUST_200600_302600_NS5tupleIblNS6_9null_typeES8_S8_S8_S8_S8_S8_S8_EEEEZNS1_11reduce_implILb1ES3_NS6_12zip_iteratorINS7_INS6_11hip_rocprim26transform_input_iterator_tIbNSD_35transform_pair_of_input_iterators_tIbNS6_6detail15normal_iteratorINS6_10device_ptrIKdEEEESL_NS6_8equal_toIdEEEENSG_9not_fun_tINSD_8identityEEEEENSD_19counting_iterator_tIlEES8_S8_S8_S8_S8_S8_S8_S8_EEEEPS9_S9_NSD_9__find_if7functorIS9_EEEE10hipError_tPvRmT1_T2_T3_mT4_P12ihipStream_tbEUlT_E1_NS1_11comp_targetILNS1_3genE9ELNS1_11target_archE1100ELNS1_3gpuE3ELNS1_3repE0EEENS1_30default_config_static_selectorELNS0_4arch9wavefront6targetE1EEEvS14_.numbered_sgpr, 0
	.set _ZN7rocprim17ROCPRIM_400000_NS6detail17trampoline_kernelINS0_14default_configENS1_22reduce_config_selectorIN6thrust23THRUST_200600_302600_NS5tupleIblNS6_9null_typeES8_S8_S8_S8_S8_S8_S8_EEEEZNS1_11reduce_implILb1ES3_NS6_12zip_iteratorINS7_INS6_11hip_rocprim26transform_input_iterator_tIbNSD_35transform_pair_of_input_iterators_tIbNS6_6detail15normal_iteratorINS6_10device_ptrIKdEEEESL_NS6_8equal_toIdEEEENSG_9not_fun_tINSD_8identityEEEEENSD_19counting_iterator_tIlEES8_S8_S8_S8_S8_S8_S8_S8_EEEEPS9_S9_NSD_9__find_if7functorIS9_EEEE10hipError_tPvRmT1_T2_T3_mT4_P12ihipStream_tbEUlT_E1_NS1_11comp_targetILNS1_3genE9ELNS1_11target_archE1100ELNS1_3gpuE3ELNS1_3repE0EEENS1_30default_config_static_selectorELNS0_4arch9wavefront6targetE1EEEvS14_.num_named_barrier, 0
	.set _ZN7rocprim17ROCPRIM_400000_NS6detail17trampoline_kernelINS0_14default_configENS1_22reduce_config_selectorIN6thrust23THRUST_200600_302600_NS5tupleIblNS6_9null_typeES8_S8_S8_S8_S8_S8_S8_EEEEZNS1_11reduce_implILb1ES3_NS6_12zip_iteratorINS7_INS6_11hip_rocprim26transform_input_iterator_tIbNSD_35transform_pair_of_input_iterators_tIbNS6_6detail15normal_iteratorINS6_10device_ptrIKdEEEESL_NS6_8equal_toIdEEEENSG_9not_fun_tINSD_8identityEEEEENSD_19counting_iterator_tIlEES8_S8_S8_S8_S8_S8_S8_S8_EEEEPS9_S9_NSD_9__find_if7functorIS9_EEEE10hipError_tPvRmT1_T2_T3_mT4_P12ihipStream_tbEUlT_E1_NS1_11comp_targetILNS1_3genE9ELNS1_11target_archE1100ELNS1_3gpuE3ELNS1_3repE0EEENS1_30default_config_static_selectorELNS0_4arch9wavefront6targetE1EEEvS14_.private_seg_size, 0
	.set _ZN7rocprim17ROCPRIM_400000_NS6detail17trampoline_kernelINS0_14default_configENS1_22reduce_config_selectorIN6thrust23THRUST_200600_302600_NS5tupleIblNS6_9null_typeES8_S8_S8_S8_S8_S8_S8_EEEEZNS1_11reduce_implILb1ES3_NS6_12zip_iteratorINS7_INS6_11hip_rocprim26transform_input_iterator_tIbNSD_35transform_pair_of_input_iterators_tIbNS6_6detail15normal_iteratorINS6_10device_ptrIKdEEEESL_NS6_8equal_toIdEEEENSG_9not_fun_tINSD_8identityEEEEENSD_19counting_iterator_tIlEES8_S8_S8_S8_S8_S8_S8_S8_EEEEPS9_S9_NSD_9__find_if7functorIS9_EEEE10hipError_tPvRmT1_T2_T3_mT4_P12ihipStream_tbEUlT_E1_NS1_11comp_targetILNS1_3genE9ELNS1_11target_archE1100ELNS1_3gpuE3ELNS1_3repE0EEENS1_30default_config_static_selectorELNS0_4arch9wavefront6targetE1EEEvS14_.uses_vcc, 0
	.set _ZN7rocprim17ROCPRIM_400000_NS6detail17trampoline_kernelINS0_14default_configENS1_22reduce_config_selectorIN6thrust23THRUST_200600_302600_NS5tupleIblNS6_9null_typeES8_S8_S8_S8_S8_S8_S8_EEEEZNS1_11reduce_implILb1ES3_NS6_12zip_iteratorINS7_INS6_11hip_rocprim26transform_input_iterator_tIbNSD_35transform_pair_of_input_iterators_tIbNS6_6detail15normal_iteratorINS6_10device_ptrIKdEEEESL_NS6_8equal_toIdEEEENSG_9not_fun_tINSD_8identityEEEEENSD_19counting_iterator_tIlEES8_S8_S8_S8_S8_S8_S8_S8_EEEEPS9_S9_NSD_9__find_if7functorIS9_EEEE10hipError_tPvRmT1_T2_T3_mT4_P12ihipStream_tbEUlT_E1_NS1_11comp_targetILNS1_3genE9ELNS1_11target_archE1100ELNS1_3gpuE3ELNS1_3repE0EEENS1_30default_config_static_selectorELNS0_4arch9wavefront6targetE1EEEvS14_.uses_flat_scratch, 0
	.set _ZN7rocprim17ROCPRIM_400000_NS6detail17trampoline_kernelINS0_14default_configENS1_22reduce_config_selectorIN6thrust23THRUST_200600_302600_NS5tupleIblNS6_9null_typeES8_S8_S8_S8_S8_S8_S8_EEEEZNS1_11reduce_implILb1ES3_NS6_12zip_iteratorINS7_INS6_11hip_rocprim26transform_input_iterator_tIbNSD_35transform_pair_of_input_iterators_tIbNS6_6detail15normal_iteratorINS6_10device_ptrIKdEEEESL_NS6_8equal_toIdEEEENSG_9not_fun_tINSD_8identityEEEEENSD_19counting_iterator_tIlEES8_S8_S8_S8_S8_S8_S8_S8_EEEEPS9_S9_NSD_9__find_if7functorIS9_EEEE10hipError_tPvRmT1_T2_T3_mT4_P12ihipStream_tbEUlT_E1_NS1_11comp_targetILNS1_3genE9ELNS1_11target_archE1100ELNS1_3gpuE3ELNS1_3repE0EEENS1_30default_config_static_selectorELNS0_4arch9wavefront6targetE1EEEvS14_.has_dyn_sized_stack, 0
	.set _ZN7rocprim17ROCPRIM_400000_NS6detail17trampoline_kernelINS0_14default_configENS1_22reduce_config_selectorIN6thrust23THRUST_200600_302600_NS5tupleIblNS6_9null_typeES8_S8_S8_S8_S8_S8_S8_EEEEZNS1_11reduce_implILb1ES3_NS6_12zip_iteratorINS7_INS6_11hip_rocprim26transform_input_iterator_tIbNSD_35transform_pair_of_input_iterators_tIbNS6_6detail15normal_iteratorINS6_10device_ptrIKdEEEESL_NS6_8equal_toIdEEEENSG_9not_fun_tINSD_8identityEEEEENSD_19counting_iterator_tIlEES8_S8_S8_S8_S8_S8_S8_S8_EEEEPS9_S9_NSD_9__find_if7functorIS9_EEEE10hipError_tPvRmT1_T2_T3_mT4_P12ihipStream_tbEUlT_E1_NS1_11comp_targetILNS1_3genE9ELNS1_11target_archE1100ELNS1_3gpuE3ELNS1_3repE0EEENS1_30default_config_static_selectorELNS0_4arch9wavefront6targetE1EEEvS14_.has_recursion, 0
	.set _ZN7rocprim17ROCPRIM_400000_NS6detail17trampoline_kernelINS0_14default_configENS1_22reduce_config_selectorIN6thrust23THRUST_200600_302600_NS5tupleIblNS6_9null_typeES8_S8_S8_S8_S8_S8_S8_EEEEZNS1_11reduce_implILb1ES3_NS6_12zip_iteratorINS7_INS6_11hip_rocprim26transform_input_iterator_tIbNSD_35transform_pair_of_input_iterators_tIbNS6_6detail15normal_iteratorINS6_10device_ptrIKdEEEESL_NS6_8equal_toIdEEEENSG_9not_fun_tINSD_8identityEEEEENSD_19counting_iterator_tIlEES8_S8_S8_S8_S8_S8_S8_S8_EEEEPS9_S9_NSD_9__find_if7functorIS9_EEEE10hipError_tPvRmT1_T2_T3_mT4_P12ihipStream_tbEUlT_E1_NS1_11comp_targetILNS1_3genE9ELNS1_11target_archE1100ELNS1_3gpuE3ELNS1_3repE0EEENS1_30default_config_static_selectorELNS0_4arch9wavefront6targetE1EEEvS14_.has_indirect_call, 0
	.section	.AMDGPU.csdata,"",@progbits
; Kernel info:
; codeLenInByte = 0
; TotalNumSgprs: 4
; NumVgprs: 0
; ScratchSize: 0
; MemoryBound: 0
; FloatMode: 240
; IeeeMode: 1
; LDSByteSize: 0 bytes/workgroup (compile time only)
; SGPRBlocks: 0
; VGPRBlocks: 0
; NumSGPRsForWavesPerEU: 4
; NumVGPRsForWavesPerEU: 1
; Occupancy: 10
; WaveLimiterHint : 0
; COMPUTE_PGM_RSRC2:SCRATCH_EN: 0
; COMPUTE_PGM_RSRC2:USER_SGPR: 6
; COMPUTE_PGM_RSRC2:TRAP_HANDLER: 0
; COMPUTE_PGM_RSRC2:TGID_X_EN: 1
; COMPUTE_PGM_RSRC2:TGID_Y_EN: 0
; COMPUTE_PGM_RSRC2:TGID_Z_EN: 0
; COMPUTE_PGM_RSRC2:TIDIG_COMP_CNT: 0
	.section	.text._ZN7rocprim17ROCPRIM_400000_NS6detail17trampoline_kernelINS0_14default_configENS1_22reduce_config_selectorIN6thrust23THRUST_200600_302600_NS5tupleIblNS6_9null_typeES8_S8_S8_S8_S8_S8_S8_EEEEZNS1_11reduce_implILb1ES3_NS6_12zip_iteratorINS7_INS6_11hip_rocprim26transform_input_iterator_tIbNSD_35transform_pair_of_input_iterators_tIbNS6_6detail15normal_iteratorINS6_10device_ptrIKdEEEESL_NS6_8equal_toIdEEEENSG_9not_fun_tINSD_8identityEEEEENSD_19counting_iterator_tIlEES8_S8_S8_S8_S8_S8_S8_S8_EEEEPS9_S9_NSD_9__find_if7functorIS9_EEEE10hipError_tPvRmT1_T2_T3_mT4_P12ihipStream_tbEUlT_E1_NS1_11comp_targetILNS1_3genE8ELNS1_11target_archE1030ELNS1_3gpuE2ELNS1_3repE0EEENS1_30default_config_static_selectorELNS0_4arch9wavefront6targetE1EEEvS14_,"axG",@progbits,_ZN7rocprim17ROCPRIM_400000_NS6detail17trampoline_kernelINS0_14default_configENS1_22reduce_config_selectorIN6thrust23THRUST_200600_302600_NS5tupleIblNS6_9null_typeES8_S8_S8_S8_S8_S8_S8_EEEEZNS1_11reduce_implILb1ES3_NS6_12zip_iteratorINS7_INS6_11hip_rocprim26transform_input_iterator_tIbNSD_35transform_pair_of_input_iterators_tIbNS6_6detail15normal_iteratorINS6_10device_ptrIKdEEEESL_NS6_8equal_toIdEEEENSG_9not_fun_tINSD_8identityEEEEENSD_19counting_iterator_tIlEES8_S8_S8_S8_S8_S8_S8_S8_EEEEPS9_S9_NSD_9__find_if7functorIS9_EEEE10hipError_tPvRmT1_T2_T3_mT4_P12ihipStream_tbEUlT_E1_NS1_11comp_targetILNS1_3genE8ELNS1_11target_archE1030ELNS1_3gpuE2ELNS1_3repE0EEENS1_30default_config_static_selectorELNS0_4arch9wavefront6targetE1EEEvS14_,comdat
	.protected	_ZN7rocprim17ROCPRIM_400000_NS6detail17trampoline_kernelINS0_14default_configENS1_22reduce_config_selectorIN6thrust23THRUST_200600_302600_NS5tupleIblNS6_9null_typeES8_S8_S8_S8_S8_S8_S8_EEEEZNS1_11reduce_implILb1ES3_NS6_12zip_iteratorINS7_INS6_11hip_rocprim26transform_input_iterator_tIbNSD_35transform_pair_of_input_iterators_tIbNS6_6detail15normal_iteratorINS6_10device_ptrIKdEEEESL_NS6_8equal_toIdEEEENSG_9not_fun_tINSD_8identityEEEEENSD_19counting_iterator_tIlEES8_S8_S8_S8_S8_S8_S8_S8_EEEEPS9_S9_NSD_9__find_if7functorIS9_EEEE10hipError_tPvRmT1_T2_T3_mT4_P12ihipStream_tbEUlT_E1_NS1_11comp_targetILNS1_3genE8ELNS1_11target_archE1030ELNS1_3gpuE2ELNS1_3repE0EEENS1_30default_config_static_selectorELNS0_4arch9wavefront6targetE1EEEvS14_ ; -- Begin function _ZN7rocprim17ROCPRIM_400000_NS6detail17trampoline_kernelINS0_14default_configENS1_22reduce_config_selectorIN6thrust23THRUST_200600_302600_NS5tupleIblNS6_9null_typeES8_S8_S8_S8_S8_S8_S8_EEEEZNS1_11reduce_implILb1ES3_NS6_12zip_iteratorINS7_INS6_11hip_rocprim26transform_input_iterator_tIbNSD_35transform_pair_of_input_iterators_tIbNS6_6detail15normal_iteratorINS6_10device_ptrIKdEEEESL_NS6_8equal_toIdEEEENSG_9not_fun_tINSD_8identityEEEEENSD_19counting_iterator_tIlEES8_S8_S8_S8_S8_S8_S8_S8_EEEEPS9_S9_NSD_9__find_if7functorIS9_EEEE10hipError_tPvRmT1_T2_T3_mT4_P12ihipStream_tbEUlT_E1_NS1_11comp_targetILNS1_3genE8ELNS1_11target_archE1030ELNS1_3gpuE2ELNS1_3repE0EEENS1_30default_config_static_selectorELNS0_4arch9wavefront6targetE1EEEvS14_
	.globl	_ZN7rocprim17ROCPRIM_400000_NS6detail17trampoline_kernelINS0_14default_configENS1_22reduce_config_selectorIN6thrust23THRUST_200600_302600_NS5tupleIblNS6_9null_typeES8_S8_S8_S8_S8_S8_S8_EEEEZNS1_11reduce_implILb1ES3_NS6_12zip_iteratorINS7_INS6_11hip_rocprim26transform_input_iterator_tIbNSD_35transform_pair_of_input_iterators_tIbNS6_6detail15normal_iteratorINS6_10device_ptrIKdEEEESL_NS6_8equal_toIdEEEENSG_9not_fun_tINSD_8identityEEEEENSD_19counting_iterator_tIlEES8_S8_S8_S8_S8_S8_S8_S8_EEEEPS9_S9_NSD_9__find_if7functorIS9_EEEE10hipError_tPvRmT1_T2_T3_mT4_P12ihipStream_tbEUlT_E1_NS1_11comp_targetILNS1_3genE8ELNS1_11target_archE1030ELNS1_3gpuE2ELNS1_3repE0EEENS1_30default_config_static_selectorELNS0_4arch9wavefront6targetE1EEEvS14_
	.p2align	8
	.type	_ZN7rocprim17ROCPRIM_400000_NS6detail17trampoline_kernelINS0_14default_configENS1_22reduce_config_selectorIN6thrust23THRUST_200600_302600_NS5tupleIblNS6_9null_typeES8_S8_S8_S8_S8_S8_S8_EEEEZNS1_11reduce_implILb1ES3_NS6_12zip_iteratorINS7_INS6_11hip_rocprim26transform_input_iterator_tIbNSD_35transform_pair_of_input_iterators_tIbNS6_6detail15normal_iteratorINS6_10device_ptrIKdEEEESL_NS6_8equal_toIdEEEENSG_9not_fun_tINSD_8identityEEEEENSD_19counting_iterator_tIlEES8_S8_S8_S8_S8_S8_S8_S8_EEEEPS9_S9_NSD_9__find_if7functorIS9_EEEE10hipError_tPvRmT1_T2_T3_mT4_P12ihipStream_tbEUlT_E1_NS1_11comp_targetILNS1_3genE8ELNS1_11target_archE1030ELNS1_3gpuE2ELNS1_3repE0EEENS1_30default_config_static_selectorELNS0_4arch9wavefront6targetE1EEEvS14_,@function
_ZN7rocprim17ROCPRIM_400000_NS6detail17trampoline_kernelINS0_14default_configENS1_22reduce_config_selectorIN6thrust23THRUST_200600_302600_NS5tupleIblNS6_9null_typeES8_S8_S8_S8_S8_S8_S8_EEEEZNS1_11reduce_implILb1ES3_NS6_12zip_iteratorINS7_INS6_11hip_rocprim26transform_input_iterator_tIbNSD_35transform_pair_of_input_iterators_tIbNS6_6detail15normal_iteratorINS6_10device_ptrIKdEEEESL_NS6_8equal_toIdEEEENSG_9not_fun_tINSD_8identityEEEEENSD_19counting_iterator_tIlEES8_S8_S8_S8_S8_S8_S8_S8_EEEEPS9_S9_NSD_9__find_if7functorIS9_EEEE10hipError_tPvRmT1_T2_T3_mT4_P12ihipStream_tbEUlT_E1_NS1_11comp_targetILNS1_3genE8ELNS1_11target_archE1030ELNS1_3gpuE2ELNS1_3repE0EEENS1_30default_config_static_selectorELNS0_4arch9wavefront6targetE1EEEvS14_: ; @_ZN7rocprim17ROCPRIM_400000_NS6detail17trampoline_kernelINS0_14default_configENS1_22reduce_config_selectorIN6thrust23THRUST_200600_302600_NS5tupleIblNS6_9null_typeES8_S8_S8_S8_S8_S8_S8_EEEEZNS1_11reduce_implILb1ES3_NS6_12zip_iteratorINS7_INS6_11hip_rocprim26transform_input_iterator_tIbNSD_35transform_pair_of_input_iterators_tIbNS6_6detail15normal_iteratorINS6_10device_ptrIKdEEEESL_NS6_8equal_toIdEEEENSG_9not_fun_tINSD_8identityEEEEENSD_19counting_iterator_tIlEES8_S8_S8_S8_S8_S8_S8_S8_EEEEPS9_S9_NSD_9__find_if7functorIS9_EEEE10hipError_tPvRmT1_T2_T3_mT4_P12ihipStream_tbEUlT_E1_NS1_11comp_targetILNS1_3genE8ELNS1_11target_archE1030ELNS1_3gpuE2ELNS1_3repE0EEENS1_30default_config_static_selectorELNS0_4arch9wavefront6targetE1EEEvS14_
; %bb.0:
	.section	.rodata,"a",@progbits
	.p2align	6, 0x0
	.amdhsa_kernel _ZN7rocprim17ROCPRIM_400000_NS6detail17trampoline_kernelINS0_14default_configENS1_22reduce_config_selectorIN6thrust23THRUST_200600_302600_NS5tupleIblNS6_9null_typeES8_S8_S8_S8_S8_S8_S8_EEEEZNS1_11reduce_implILb1ES3_NS6_12zip_iteratorINS7_INS6_11hip_rocprim26transform_input_iterator_tIbNSD_35transform_pair_of_input_iterators_tIbNS6_6detail15normal_iteratorINS6_10device_ptrIKdEEEESL_NS6_8equal_toIdEEEENSG_9not_fun_tINSD_8identityEEEEENSD_19counting_iterator_tIlEES8_S8_S8_S8_S8_S8_S8_S8_EEEEPS9_S9_NSD_9__find_if7functorIS9_EEEE10hipError_tPvRmT1_T2_T3_mT4_P12ihipStream_tbEUlT_E1_NS1_11comp_targetILNS1_3genE8ELNS1_11target_archE1030ELNS1_3gpuE2ELNS1_3repE0EEENS1_30default_config_static_selectorELNS0_4arch9wavefront6targetE1EEEvS14_
		.amdhsa_group_segment_fixed_size 0
		.amdhsa_private_segment_fixed_size 0
		.amdhsa_kernarg_size 88
		.amdhsa_user_sgpr_count 6
		.amdhsa_user_sgpr_private_segment_buffer 1
		.amdhsa_user_sgpr_dispatch_ptr 0
		.amdhsa_user_sgpr_queue_ptr 0
		.amdhsa_user_sgpr_kernarg_segment_ptr 1
		.amdhsa_user_sgpr_dispatch_id 0
		.amdhsa_user_sgpr_flat_scratch_init 0
		.amdhsa_user_sgpr_private_segment_size 0
		.amdhsa_uses_dynamic_stack 0
		.amdhsa_system_sgpr_private_segment_wavefront_offset 0
		.amdhsa_system_sgpr_workgroup_id_x 1
		.amdhsa_system_sgpr_workgroup_id_y 0
		.amdhsa_system_sgpr_workgroup_id_z 0
		.amdhsa_system_sgpr_workgroup_info 0
		.amdhsa_system_vgpr_workitem_id 0
		.amdhsa_next_free_vgpr 1
		.amdhsa_next_free_sgpr 0
		.amdhsa_reserve_vcc 0
		.amdhsa_reserve_flat_scratch 0
		.amdhsa_float_round_mode_32 0
		.amdhsa_float_round_mode_16_64 0
		.amdhsa_float_denorm_mode_32 3
		.amdhsa_float_denorm_mode_16_64 3
		.amdhsa_dx10_clamp 1
		.amdhsa_ieee_mode 1
		.amdhsa_fp16_overflow 0
		.amdhsa_exception_fp_ieee_invalid_op 0
		.amdhsa_exception_fp_denorm_src 0
		.amdhsa_exception_fp_ieee_div_zero 0
		.amdhsa_exception_fp_ieee_overflow 0
		.amdhsa_exception_fp_ieee_underflow 0
		.amdhsa_exception_fp_ieee_inexact 0
		.amdhsa_exception_int_div_zero 0
	.end_amdhsa_kernel
	.section	.text._ZN7rocprim17ROCPRIM_400000_NS6detail17trampoline_kernelINS0_14default_configENS1_22reduce_config_selectorIN6thrust23THRUST_200600_302600_NS5tupleIblNS6_9null_typeES8_S8_S8_S8_S8_S8_S8_EEEEZNS1_11reduce_implILb1ES3_NS6_12zip_iteratorINS7_INS6_11hip_rocprim26transform_input_iterator_tIbNSD_35transform_pair_of_input_iterators_tIbNS6_6detail15normal_iteratorINS6_10device_ptrIKdEEEESL_NS6_8equal_toIdEEEENSG_9not_fun_tINSD_8identityEEEEENSD_19counting_iterator_tIlEES8_S8_S8_S8_S8_S8_S8_S8_EEEEPS9_S9_NSD_9__find_if7functorIS9_EEEE10hipError_tPvRmT1_T2_T3_mT4_P12ihipStream_tbEUlT_E1_NS1_11comp_targetILNS1_3genE8ELNS1_11target_archE1030ELNS1_3gpuE2ELNS1_3repE0EEENS1_30default_config_static_selectorELNS0_4arch9wavefront6targetE1EEEvS14_,"axG",@progbits,_ZN7rocprim17ROCPRIM_400000_NS6detail17trampoline_kernelINS0_14default_configENS1_22reduce_config_selectorIN6thrust23THRUST_200600_302600_NS5tupleIblNS6_9null_typeES8_S8_S8_S8_S8_S8_S8_EEEEZNS1_11reduce_implILb1ES3_NS6_12zip_iteratorINS7_INS6_11hip_rocprim26transform_input_iterator_tIbNSD_35transform_pair_of_input_iterators_tIbNS6_6detail15normal_iteratorINS6_10device_ptrIKdEEEESL_NS6_8equal_toIdEEEENSG_9not_fun_tINSD_8identityEEEEENSD_19counting_iterator_tIlEES8_S8_S8_S8_S8_S8_S8_S8_EEEEPS9_S9_NSD_9__find_if7functorIS9_EEEE10hipError_tPvRmT1_T2_T3_mT4_P12ihipStream_tbEUlT_E1_NS1_11comp_targetILNS1_3genE8ELNS1_11target_archE1030ELNS1_3gpuE2ELNS1_3repE0EEENS1_30default_config_static_selectorELNS0_4arch9wavefront6targetE1EEEvS14_,comdat
.Lfunc_end443:
	.size	_ZN7rocprim17ROCPRIM_400000_NS6detail17trampoline_kernelINS0_14default_configENS1_22reduce_config_selectorIN6thrust23THRUST_200600_302600_NS5tupleIblNS6_9null_typeES8_S8_S8_S8_S8_S8_S8_EEEEZNS1_11reduce_implILb1ES3_NS6_12zip_iteratorINS7_INS6_11hip_rocprim26transform_input_iterator_tIbNSD_35transform_pair_of_input_iterators_tIbNS6_6detail15normal_iteratorINS6_10device_ptrIKdEEEESL_NS6_8equal_toIdEEEENSG_9not_fun_tINSD_8identityEEEEENSD_19counting_iterator_tIlEES8_S8_S8_S8_S8_S8_S8_S8_EEEEPS9_S9_NSD_9__find_if7functorIS9_EEEE10hipError_tPvRmT1_T2_T3_mT4_P12ihipStream_tbEUlT_E1_NS1_11comp_targetILNS1_3genE8ELNS1_11target_archE1030ELNS1_3gpuE2ELNS1_3repE0EEENS1_30default_config_static_selectorELNS0_4arch9wavefront6targetE1EEEvS14_, .Lfunc_end443-_ZN7rocprim17ROCPRIM_400000_NS6detail17trampoline_kernelINS0_14default_configENS1_22reduce_config_selectorIN6thrust23THRUST_200600_302600_NS5tupleIblNS6_9null_typeES8_S8_S8_S8_S8_S8_S8_EEEEZNS1_11reduce_implILb1ES3_NS6_12zip_iteratorINS7_INS6_11hip_rocprim26transform_input_iterator_tIbNSD_35transform_pair_of_input_iterators_tIbNS6_6detail15normal_iteratorINS6_10device_ptrIKdEEEESL_NS6_8equal_toIdEEEENSG_9not_fun_tINSD_8identityEEEEENSD_19counting_iterator_tIlEES8_S8_S8_S8_S8_S8_S8_S8_EEEEPS9_S9_NSD_9__find_if7functorIS9_EEEE10hipError_tPvRmT1_T2_T3_mT4_P12ihipStream_tbEUlT_E1_NS1_11comp_targetILNS1_3genE8ELNS1_11target_archE1030ELNS1_3gpuE2ELNS1_3repE0EEENS1_30default_config_static_selectorELNS0_4arch9wavefront6targetE1EEEvS14_
                                        ; -- End function
	.set _ZN7rocprim17ROCPRIM_400000_NS6detail17trampoline_kernelINS0_14default_configENS1_22reduce_config_selectorIN6thrust23THRUST_200600_302600_NS5tupleIblNS6_9null_typeES8_S8_S8_S8_S8_S8_S8_EEEEZNS1_11reduce_implILb1ES3_NS6_12zip_iteratorINS7_INS6_11hip_rocprim26transform_input_iterator_tIbNSD_35transform_pair_of_input_iterators_tIbNS6_6detail15normal_iteratorINS6_10device_ptrIKdEEEESL_NS6_8equal_toIdEEEENSG_9not_fun_tINSD_8identityEEEEENSD_19counting_iterator_tIlEES8_S8_S8_S8_S8_S8_S8_S8_EEEEPS9_S9_NSD_9__find_if7functorIS9_EEEE10hipError_tPvRmT1_T2_T3_mT4_P12ihipStream_tbEUlT_E1_NS1_11comp_targetILNS1_3genE8ELNS1_11target_archE1030ELNS1_3gpuE2ELNS1_3repE0EEENS1_30default_config_static_selectorELNS0_4arch9wavefront6targetE1EEEvS14_.num_vgpr, 0
	.set _ZN7rocprim17ROCPRIM_400000_NS6detail17trampoline_kernelINS0_14default_configENS1_22reduce_config_selectorIN6thrust23THRUST_200600_302600_NS5tupleIblNS6_9null_typeES8_S8_S8_S8_S8_S8_S8_EEEEZNS1_11reduce_implILb1ES3_NS6_12zip_iteratorINS7_INS6_11hip_rocprim26transform_input_iterator_tIbNSD_35transform_pair_of_input_iterators_tIbNS6_6detail15normal_iteratorINS6_10device_ptrIKdEEEESL_NS6_8equal_toIdEEEENSG_9not_fun_tINSD_8identityEEEEENSD_19counting_iterator_tIlEES8_S8_S8_S8_S8_S8_S8_S8_EEEEPS9_S9_NSD_9__find_if7functorIS9_EEEE10hipError_tPvRmT1_T2_T3_mT4_P12ihipStream_tbEUlT_E1_NS1_11comp_targetILNS1_3genE8ELNS1_11target_archE1030ELNS1_3gpuE2ELNS1_3repE0EEENS1_30default_config_static_selectorELNS0_4arch9wavefront6targetE1EEEvS14_.num_agpr, 0
	.set _ZN7rocprim17ROCPRIM_400000_NS6detail17trampoline_kernelINS0_14default_configENS1_22reduce_config_selectorIN6thrust23THRUST_200600_302600_NS5tupleIblNS6_9null_typeES8_S8_S8_S8_S8_S8_S8_EEEEZNS1_11reduce_implILb1ES3_NS6_12zip_iteratorINS7_INS6_11hip_rocprim26transform_input_iterator_tIbNSD_35transform_pair_of_input_iterators_tIbNS6_6detail15normal_iteratorINS6_10device_ptrIKdEEEESL_NS6_8equal_toIdEEEENSG_9not_fun_tINSD_8identityEEEEENSD_19counting_iterator_tIlEES8_S8_S8_S8_S8_S8_S8_S8_EEEEPS9_S9_NSD_9__find_if7functorIS9_EEEE10hipError_tPvRmT1_T2_T3_mT4_P12ihipStream_tbEUlT_E1_NS1_11comp_targetILNS1_3genE8ELNS1_11target_archE1030ELNS1_3gpuE2ELNS1_3repE0EEENS1_30default_config_static_selectorELNS0_4arch9wavefront6targetE1EEEvS14_.numbered_sgpr, 0
	.set _ZN7rocprim17ROCPRIM_400000_NS6detail17trampoline_kernelINS0_14default_configENS1_22reduce_config_selectorIN6thrust23THRUST_200600_302600_NS5tupleIblNS6_9null_typeES8_S8_S8_S8_S8_S8_S8_EEEEZNS1_11reduce_implILb1ES3_NS6_12zip_iteratorINS7_INS6_11hip_rocprim26transform_input_iterator_tIbNSD_35transform_pair_of_input_iterators_tIbNS6_6detail15normal_iteratorINS6_10device_ptrIKdEEEESL_NS6_8equal_toIdEEEENSG_9not_fun_tINSD_8identityEEEEENSD_19counting_iterator_tIlEES8_S8_S8_S8_S8_S8_S8_S8_EEEEPS9_S9_NSD_9__find_if7functorIS9_EEEE10hipError_tPvRmT1_T2_T3_mT4_P12ihipStream_tbEUlT_E1_NS1_11comp_targetILNS1_3genE8ELNS1_11target_archE1030ELNS1_3gpuE2ELNS1_3repE0EEENS1_30default_config_static_selectorELNS0_4arch9wavefront6targetE1EEEvS14_.num_named_barrier, 0
	.set _ZN7rocprim17ROCPRIM_400000_NS6detail17trampoline_kernelINS0_14default_configENS1_22reduce_config_selectorIN6thrust23THRUST_200600_302600_NS5tupleIblNS6_9null_typeES8_S8_S8_S8_S8_S8_S8_EEEEZNS1_11reduce_implILb1ES3_NS6_12zip_iteratorINS7_INS6_11hip_rocprim26transform_input_iterator_tIbNSD_35transform_pair_of_input_iterators_tIbNS6_6detail15normal_iteratorINS6_10device_ptrIKdEEEESL_NS6_8equal_toIdEEEENSG_9not_fun_tINSD_8identityEEEEENSD_19counting_iterator_tIlEES8_S8_S8_S8_S8_S8_S8_S8_EEEEPS9_S9_NSD_9__find_if7functorIS9_EEEE10hipError_tPvRmT1_T2_T3_mT4_P12ihipStream_tbEUlT_E1_NS1_11comp_targetILNS1_3genE8ELNS1_11target_archE1030ELNS1_3gpuE2ELNS1_3repE0EEENS1_30default_config_static_selectorELNS0_4arch9wavefront6targetE1EEEvS14_.private_seg_size, 0
	.set _ZN7rocprim17ROCPRIM_400000_NS6detail17trampoline_kernelINS0_14default_configENS1_22reduce_config_selectorIN6thrust23THRUST_200600_302600_NS5tupleIblNS6_9null_typeES8_S8_S8_S8_S8_S8_S8_EEEEZNS1_11reduce_implILb1ES3_NS6_12zip_iteratorINS7_INS6_11hip_rocprim26transform_input_iterator_tIbNSD_35transform_pair_of_input_iterators_tIbNS6_6detail15normal_iteratorINS6_10device_ptrIKdEEEESL_NS6_8equal_toIdEEEENSG_9not_fun_tINSD_8identityEEEEENSD_19counting_iterator_tIlEES8_S8_S8_S8_S8_S8_S8_S8_EEEEPS9_S9_NSD_9__find_if7functorIS9_EEEE10hipError_tPvRmT1_T2_T3_mT4_P12ihipStream_tbEUlT_E1_NS1_11comp_targetILNS1_3genE8ELNS1_11target_archE1030ELNS1_3gpuE2ELNS1_3repE0EEENS1_30default_config_static_selectorELNS0_4arch9wavefront6targetE1EEEvS14_.uses_vcc, 0
	.set _ZN7rocprim17ROCPRIM_400000_NS6detail17trampoline_kernelINS0_14default_configENS1_22reduce_config_selectorIN6thrust23THRUST_200600_302600_NS5tupleIblNS6_9null_typeES8_S8_S8_S8_S8_S8_S8_EEEEZNS1_11reduce_implILb1ES3_NS6_12zip_iteratorINS7_INS6_11hip_rocprim26transform_input_iterator_tIbNSD_35transform_pair_of_input_iterators_tIbNS6_6detail15normal_iteratorINS6_10device_ptrIKdEEEESL_NS6_8equal_toIdEEEENSG_9not_fun_tINSD_8identityEEEEENSD_19counting_iterator_tIlEES8_S8_S8_S8_S8_S8_S8_S8_EEEEPS9_S9_NSD_9__find_if7functorIS9_EEEE10hipError_tPvRmT1_T2_T3_mT4_P12ihipStream_tbEUlT_E1_NS1_11comp_targetILNS1_3genE8ELNS1_11target_archE1030ELNS1_3gpuE2ELNS1_3repE0EEENS1_30default_config_static_selectorELNS0_4arch9wavefront6targetE1EEEvS14_.uses_flat_scratch, 0
	.set _ZN7rocprim17ROCPRIM_400000_NS6detail17trampoline_kernelINS0_14default_configENS1_22reduce_config_selectorIN6thrust23THRUST_200600_302600_NS5tupleIblNS6_9null_typeES8_S8_S8_S8_S8_S8_S8_EEEEZNS1_11reduce_implILb1ES3_NS6_12zip_iteratorINS7_INS6_11hip_rocprim26transform_input_iterator_tIbNSD_35transform_pair_of_input_iterators_tIbNS6_6detail15normal_iteratorINS6_10device_ptrIKdEEEESL_NS6_8equal_toIdEEEENSG_9not_fun_tINSD_8identityEEEEENSD_19counting_iterator_tIlEES8_S8_S8_S8_S8_S8_S8_S8_EEEEPS9_S9_NSD_9__find_if7functorIS9_EEEE10hipError_tPvRmT1_T2_T3_mT4_P12ihipStream_tbEUlT_E1_NS1_11comp_targetILNS1_3genE8ELNS1_11target_archE1030ELNS1_3gpuE2ELNS1_3repE0EEENS1_30default_config_static_selectorELNS0_4arch9wavefront6targetE1EEEvS14_.has_dyn_sized_stack, 0
	.set _ZN7rocprim17ROCPRIM_400000_NS6detail17trampoline_kernelINS0_14default_configENS1_22reduce_config_selectorIN6thrust23THRUST_200600_302600_NS5tupleIblNS6_9null_typeES8_S8_S8_S8_S8_S8_S8_EEEEZNS1_11reduce_implILb1ES3_NS6_12zip_iteratorINS7_INS6_11hip_rocprim26transform_input_iterator_tIbNSD_35transform_pair_of_input_iterators_tIbNS6_6detail15normal_iteratorINS6_10device_ptrIKdEEEESL_NS6_8equal_toIdEEEENSG_9not_fun_tINSD_8identityEEEEENSD_19counting_iterator_tIlEES8_S8_S8_S8_S8_S8_S8_S8_EEEEPS9_S9_NSD_9__find_if7functorIS9_EEEE10hipError_tPvRmT1_T2_T3_mT4_P12ihipStream_tbEUlT_E1_NS1_11comp_targetILNS1_3genE8ELNS1_11target_archE1030ELNS1_3gpuE2ELNS1_3repE0EEENS1_30default_config_static_selectorELNS0_4arch9wavefront6targetE1EEEvS14_.has_recursion, 0
	.set _ZN7rocprim17ROCPRIM_400000_NS6detail17trampoline_kernelINS0_14default_configENS1_22reduce_config_selectorIN6thrust23THRUST_200600_302600_NS5tupleIblNS6_9null_typeES8_S8_S8_S8_S8_S8_S8_EEEEZNS1_11reduce_implILb1ES3_NS6_12zip_iteratorINS7_INS6_11hip_rocprim26transform_input_iterator_tIbNSD_35transform_pair_of_input_iterators_tIbNS6_6detail15normal_iteratorINS6_10device_ptrIKdEEEESL_NS6_8equal_toIdEEEENSG_9not_fun_tINSD_8identityEEEEENSD_19counting_iterator_tIlEES8_S8_S8_S8_S8_S8_S8_S8_EEEEPS9_S9_NSD_9__find_if7functorIS9_EEEE10hipError_tPvRmT1_T2_T3_mT4_P12ihipStream_tbEUlT_E1_NS1_11comp_targetILNS1_3genE8ELNS1_11target_archE1030ELNS1_3gpuE2ELNS1_3repE0EEENS1_30default_config_static_selectorELNS0_4arch9wavefront6targetE1EEEvS14_.has_indirect_call, 0
	.section	.AMDGPU.csdata,"",@progbits
; Kernel info:
; codeLenInByte = 0
; TotalNumSgprs: 4
; NumVgprs: 0
; ScratchSize: 0
; MemoryBound: 0
; FloatMode: 240
; IeeeMode: 1
; LDSByteSize: 0 bytes/workgroup (compile time only)
; SGPRBlocks: 0
; VGPRBlocks: 0
; NumSGPRsForWavesPerEU: 4
; NumVGPRsForWavesPerEU: 1
; Occupancy: 10
; WaveLimiterHint : 0
; COMPUTE_PGM_RSRC2:SCRATCH_EN: 0
; COMPUTE_PGM_RSRC2:USER_SGPR: 6
; COMPUTE_PGM_RSRC2:TRAP_HANDLER: 0
; COMPUTE_PGM_RSRC2:TGID_X_EN: 1
; COMPUTE_PGM_RSRC2:TGID_Y_EN: 0
; COMPUTE_PGM_RSRC2:TGID_Z_EN: 0
; COMPUTE_PGM_RSRC2:TIDIG_COMP_CNT: 0
	.section	.text._ZN6thrust23THRUST_200600_302600_NS11hip_rocprim14__parallel_for6kernelILj256ENS1_10for_each_fINS0_7pointerINS0_5tupleIblNS0_9null_typeES7_S7_S7_S7_S7_S7_S7_EENS1_3tagENS0_11use_defaultESA_EENS0_6detail16wrapped_functionINSC_23allocator_traits_detail24construct1_via_allocatorINSC_18no_throw_allocatorINSC_19temporary_allocatorIS8_S9_EEEEEEvEEEEmLj1EEEvT0_T1_SO_,"axG",@progbits,_ZN6thrust23THRUST_200600_302600_NS11hip_rocprim14__parallel_for6kernelILj256ENS1_10for_each_fINS0_7pointerINS0_5tupleIblNS0_9null_typeES7_S7_S7_S7_S7_S7_S7_EENS1_3tagENS0_11use_defaultESA_EENS0_6detail16wrapped_functionINSC_23allocator_traits_detail24construct1_via_allocatorINSC_18no_throw_allocatorINSC_19temporary_allocatorIS8_S9_EEEEEEvEEEEmLj1EEEvT0_T1_SO_,comdat
	.protected	_ZN6thrust23THRUST_200600_302600_NS11hip_rocprim14__parallel_for6kernelILj256ENS1_10for_each_fINS0_7pointerINS0_5tupleIblNS0_9null_typeES7_S7_S7_S7_S7_S7_S7_EENS1_3tagENS0_11use_defaultESA_EENS0_6detail16wrapped_functionINSC_23allocator_traits_detail24construct1_via_allocatorINSC_18no_throw_allocatorINSC_19temporary_allocatorIS8_S9_EEEEEEvEEEEmLj1EEEvT0_T1_SO_ ; -- Begin function _ZN6thrust23THRUST_200600_302600_NS11hip_rocprim14__parallel_for6kernelILj256ENS1_10for_each_fINS0_7pointerINS0_5tupleIblNS0_9null_typeES7_S7_S7_S7_S7_S7_S7_EENS1_3tagENS0_11use_defaultESA_EENS0_6detail16wrapped_functionINSC_23allocator_traits_detail24construct1_via_allocatorINSC_18no_throw_allocatorINSC_19temporary_allocatorIS8_S9_EEEEEEvEEEEmLj1EEEvT0_T1_SO_
	.globl	_ZN6thrust23THRUST_200600_302600_NS11hip_rocprim14__parallel_for6kernelILj256ENS1_10for_each_fINS0_7pointerINS0_5tupleIblNS0_9null_typeES7_S7_S7_S7_S7_S7_S7_EENS1_3tagENS0_11use_defaultESA_EENS0_6detail16wrapped_functionINSC_23allocator_traits_detail24construct1_via_allocatorINSC_18no_throw_allocatorINSC_19temporary_allocatorIS8_S9_EEEEEEvEEEEmLj1EEEvT0_T1_SO_
	.p2align	8
	.type	_ZN6thrust23THRUST_200600_302600_NS11hip_rocprim14__parallel_for6kernelILj256ENS1_10for_each_fINS0_7pointerINS0_5tupleIblNS0_9null_typeES7_S7_S7_S7_S7_S7_S7_EENS1_3tagENS0_11use_defaultESA_EENS0_6detail16wrapped_functionINSC_23allocator_traits_detail24construct1_via_allocatorINSC_18no_throw_allocatorINSC_19temporary_allocatorIS8_S9_EEEEEEvEEEEmLj1EEEvT0_T1_SO_,@function
_ZN6thrust23THRUST_200600_302600_NS11hip_rocprim14__parallel_for6kernelILj256ENS1_10for_each_fINS0_7pointerINS0_5tupleIblNS0_9null_typeES7_S7_S7_S7_S7_S7_S7_EENS1_3tagENS0_11use_defaultESA_EENS0_6detail16wrapped_functionINSC_23allocator_traits_detail24construct1_via_allocatorINSC_18no_throw_allocatorINSC_19temporary_allocatorIS8_S9_EEEEEEvEEEEmLj1EEEvT0_T1_SO_: ; @_ZN6thrust23THRUST_200600_302600_NS11hip_rocprim14__parallel_for6kernelILj256ENS1_10for_each_fINS0_7pointerINS0_5tupleIblNS0_9null_typeES7_S7_S7_S7_S7_S7_S7_EENS1_3tagENS0_11use_defaultESA_EENS0_6detail16wrapped_functionINSC_23allocator_traits_detail24construct1_via_allocatorINSC_18no_throw_allocatorINSC_19temporary_allocatorIS8_S9_EEEEEEvEEEEmLj1EEEvT0_T1_SO_
; %bb.0:
	s_load_dwordx4 s[8:11], s[4:5], 0x10
	s_load_dwordx2 s[0:1], s[4:5], 0x0
	s_lshl_b32 s2, s6, 8
	v_mov_b32_e32 v1, 0xff
	v_mov_b32_e32 v2, 0
	s_waitcnt lgkmcnt(0)
	s_add_u32 s2, s10, s2
	s_addc_u32 s3, s11, 0
	s_sub_u32 s4, s8, s2
	s_subb_u32 s5, s9, s3
	v_cmp_gt_u64_e32 vcc, s[4:5], v[1:2]
	s_mov_b64 s[6:7], -1
	s_cbranch_vccz .LBB444_3
; %bb.1:
	s_andn2_b64 vcc, exec, s[6:7]
	s_cbranch_vccz .LBB444_6
.LBB444_2:
	s_endpgm
.LBB444_3:
	v_cmp_gt_u32_e32 vcc, s4, v0
	s_and_saveexec_b64 s[4:5], vcc
	s_cbranch_execz .LBB444_5
; %bb.4:
	s_lshl_b64 s[6:7], s[2:3], 4
	s_add_u32 s6, s0, s6
	s_addc_u32 s7, s1, s7
	v_lshlrev_b32_e32 v2, 4, v0
	v_mov_b32_e32 v1, 0
	v_mov_b32_e32 v4, s7
	v_add_co_u32_e32 v3, vcc, s6, v2
	v_addc_co_u32_e32 v4, vcc, 0, v4, vcc
	v_mov_b32_e32 v2, v1
	flat_store_byte v[3:4], v1
	flat_store_dwordx2 v[3:4], v[1:2] offset:8
.LBB444_5:
	s_or_b64 exec, exec, s[4:5]
	s_cbranch_execnz .LBB444_2
.LBB444_6:
	s_lshl_b64 s[2:3], s[2:3], 4
	s_add_u32 s0, s0, s2
	s_addc_u32 s1, s1, s3
	v_lshlrev_b32_e32 v1, 4, v0
	v_mov_b32_e32 v0, 0
	v_mov_b32_e32 v3, s1
	v_add_co_u32_e32 v2, vcc, s0, v1
	v_addc_co_u32_e32 v3, vcc, 0, v3, vcc
	v_mov_b32_e32 v1, v0
	flat_store_byte v[2:3], v0
	flat_store_dwordx2 v[2:3], v[0:1] offset:8
	s_endpgm
	.section	.rodata,"a",@progbits
	.p2align	6, 0x0
	.amdhsa_kernel _ZN6thrust23THRUST_200600_302600_NS11hip_rocprim14__parallel_for6kernelILj256ENS1_10for_each_fINS0_7pointerINS0_5tupleIblNS0_9null_typeES7_S7_S7_S7_S7_S7_S7_EENS1_3tagENS0_11use_defaultESA_EENS0_6detail16wrapped_functionINSC_23allocator_traits_detail24construct1_via_allocatorINSC_18no_throw_allocatorINSC_19temporary_allocatorIS8_S9_EEEEEEvEEEEmLj1EEEvT0_T1_SO_
		.amdhsa_group_segment_fixed_size 0
		.amdhsa_private_segment_fixed_size 0
		.amdhsa_kernarg_size 32
		.amdhsa_user_sgpr_count 6
		.amdhsa_user_sgpr_private_segment_buffer 1
		.amdhsa_user_sgpr_dispatch_ptr 0
		.amdhsa_user_sgpr_queue_ptr 0
		.amdhsa_user_sgpr_kernarg_segment_ptr 1
		.amdhsa_user_sgpr_dispatch_id 0
		.amdhsa_user_sgpr_flat_scratch_init 0
		.amdhsa_user_sgpr_private_segment_size 0
		.amdhsa_uses_dynamic_stack 0
		.amdhsa_system_sgpr_private_segment_wavefront_offset 0
		.amdhsa_system_sgpr_workgroup_id_x 1
		.amdhsa_system_sgpr_workgroup_id_y 0
		.amdhsa_system_sgpr_workgroup_id_z 0
		.amdhsa_system_sgpr_workgroup_info 0
		.amdhsa_system_vgpr_workitem_id 0
		.amdhsa_next_free_vgpr 5
		.amdhsa_next_free_sgpr 12
		.amdhsa_reserve_vcc 1
		.amdhsa_reserve_flat_scratch 0
		.amdhsa_float_round_mode_32 0
		.amdhsa_float_round_mode_16_64 0
		.amdhsa_float_denorm_mode_32 3
		.amdhsa_float_denorm_mode_16_64 3
		.amdhsa_dx10_clamp 1
		.amdhsa_ieee_mode 1
		.amdhsa_fp16_overflow 0
		.amdhsa_exception_fp_ieee_invalid_op 0
		.amdhsa_exception_fp_denorm_src 0
		.amdhsa_exception_fp_ieee_div_zero 0
		.amdhsa_exception_fp_ieee_overflow 0
		.amdhsa_exception_fp_ieee_underflow 0
		.amdhsa_exception_fp_ieee_inexact 0
		.amdhsa_exception_int_div_zero 0
	.end_amdhsa_kernel
	.section	.text._ZN6thrust23THRUST_200600_302600_NS11hip_rocprim14__parallel_for6kernelILj256ENS1_10for_each_fINS0_7pointerINS0_5tupleIblNS0_9null_typeES7_S7_S7_S7_S7_S7_S7_EENS1_3tagENS0_11use_defaultESA_EENS0_6detail16wrapped_functionINSC_23allocator_traits_detail24construct1_via_allocatorINSC_18no_throw_allocatorINSC_19temporary_allocatorIS8_S9_EEEEEEvEEEEmLj1EEEvT0_T1_SO_,"axG",@progbits,_ZN6thrust23THRUST_200600_302600_NS11hip_rocprim14__parallel_for6kernelILj256ENS1_10for_each_fINS0_7pointerINS0_5tupleIblNS0_9null_typeES7_S7_S7_S7_S7_S7_S7_EENS1_3tagENS0_11use_defaultESA_EENS0_6detail16wrapped_functionINSC_23allocator_traits_detail24construct1_via_allocatorINSC_18no_throw_allocatorINSC_19temporary_allocatorIS8_S9_EEEEEEvEEEEmLj1EEEvT0_T1_SO_,comdat
.Lfunc_end444:
	.size	_ZN6thrust23THRUST_200600_302600_NS11hip_rocprim14__parallel_for6kernelILj256ENS1_10for_each_fINS0_7pointerINS0_5tupleIblNS0_9null_typeES7_S7_S7_S7_S7_S7_S7_EENS1_3tagENS0_11use_defaultESA_EENS0_6detail16wrapped_functionINSC_23allocator_traits_detail24construct1_via_allocatorINSC_18no_throw_allocatorINSC_19temporary_allocatorIS8_S9_EEEEEEvEEEEmLj1EEEvT0_T1_SO_, .Lfunc_end444-_ZN6thrust23THRUST_200600_302600_NS11hip_rocprim14__parallel_for6kernelILj256ENS1_10for_each_fINS0_7pointerINS0_5tupleIblNS0_9null_typeES7_S7_S7_S7_S7_S7_S7_EENS1_3tagENS0_11use_defaultESA_EENS0_6detail16wrapped_functionINSC_23allocator_traits_detail24construct1_via_allocatorINSC_18no_throw_allocatorINSC_19temporary_allocatorIS8_S9_EEEEEEvEEEEmLj1EEEvT0_T1_SO_
                                        ; -- End function
	.set _ZN6thrust23THRUST_200600_302600_NS11hip_rocprim14__parallel_for6kernelILj256ENS1_10for_each_fINS0_7pointerINS0_5tupleIblNS0_9null_typeES7_S7_S7_S7_S7_S7_S7_EENS1_3tagENS0_11use_defaultESA_EENS0_6detail16wrapped_functionINSC_23allocator_traits_detail24construct1_via_allocatorINSC_18no_throw_allocatorINSC_19temporary_allocatorIS8_S9_EEEEEEvEEEEmLj1EEEvT0_T1_SO_.num_vgpr, 5
	.set _ZN6thrust23THRUST_200600_302600_NS11hip_rocprim14__parallel_for6kernelILj256ENS1_10for_each_fINS0_7pointerINS0_5tupleIblNS0_9null_typeES7_S7_S7_S7_S7_S7_S7_EENS1_3tagENS0_11use_defaultESA_EENS0_6detail16wrapped_functionINSC_23allocator_traits_detail24construct1_via_allocatorINSC_18no_throw_allocatorINSC_19temporary_allocatorIS8_S9_EEEEEEvEEEEmLj1EEEvT0_T1_SO_.num_agpr, 0
	.set _ZN6thrust23THRUST_200600_302600_NS11hip_rocprim14__parallel_for6kernelILj256ENS1_10for_each_fINS0_7pointerINS0_5tupleIblNS0_9null_typeES7_S7_S7_S7_S7_S7_S7_EENS1_3tagENS0_11use_defaultESA_EENS0_6detail16wrapped_functionINSC_23allocator_traits_detail24construct1_via_allocatorINSC_18no_throw_allocatorINSC_19temporary_allocatorIS8_S9_EEEEEEvEEEEmLj1EEEvT0_T1_SO_.numbered_sgpr, 12
	.set _ZN6thrust23THRUST_200600_302600_NS11hip_rocprim14__parallel_for6kernelILj256ENS1_10for_each_fINS0_7pointerINS0_5tupleIblNS0_9null_typeES7_S7_S7_S7_S7_S7_S7_EENS1_3tagENS0_11use_defaultESA_EENS0_6detail16wrapped_functionINSC_23allocator_traits_detail24construct1_via_allocatorINSC_18no_throw_allocatorINSC_19temporary_allocatorIS8_S9_EEEEEEvEEEEmLj1EEEvT0_T1_SO_.num_named_barrier, 0
	.set _ZN6thrust23THRUST_200600_302600_NS11hip_rocprim14__parallel_for6kernelILj256ENS1_10for_each_fINS0_7pointerINS0_5tupleIblNS0_9null_typeES7_S7_S7_S7_S7_S7_S7_EENS1_3tagENS0_11use_defaultESA_EENS0_6detail16wrapped_functionINSC_23allocator_traits_detail24construct1_via_allocatorINSC_18no_throw_allocatorINSC_19temporary_allocatorIS8_S9_EEEEEEvEEEEmLj1EEEvT0_T1_SO_.private_seg_size, 0
	.set _ZN6thrust23THRUST_200600_302600_NS11hip_rocprim14__parallel_for6kernelILj256ENS1_10for_each_fINS0_7pointerINS0_5tupleIblNS0_9null_typeES7_S7_S7_S7_S7_S7_S7_EENS1_3tagENS0_11use_defaultESA_EENS0_6detail16wrapped_functionINSC_23allocator_traits_detail24construct1_via_allocatorINSC_18no_throw_allocatorINSC_19temporary_allocatorIS8_S9_EEEEEEvEEEEmLj1EEEvT0_T1_SO_.uses_vcc, 1
	.set _ZN6thrust23THRUST_200600_302600_NS11hip_rocprim14__parallel_for6kernelILj256ENS1_10for_each_fINS0_7pointerINS0_5tupleIblNS0_9null_typeES7_S7_S7_S7_S7_S7_S7_EENS1_3tagENS0_11use_defaultESA_EENS0_6detail16wrapped_functionINSC_23allocator_traits_detail24construct1_via_allocatorINSC_18no_throw_allocatorINSC_19temporary_allocatorIS8_S9_EEEEEEvEEEEmLj1EEEvT0_T1_SO_.uses_flat_scratch, 0
	.set _ZN6thrust23THRUST_200600_302600_NS11hip_rocprim14__parallel_for6kernelILj256ENS1_10for_each_fINS0_7pointerINS0_5tupleIblNS0_9null_typeES7_S7_S7_S7_S7_S7_S7_EENS1_3tagENS0_11use_defaultESA_EENS0_6detail16wrapped_functionINSC_23allocator_traits_detail24construct1_via_allocatorINSC_18no_throw_allocatorINSC_19temporary_allocatorIS8_S9_EEEEEEvEEEEmLj1EEEvT0_T1_SO_.has_dyn_sized_stack, 0
	.set _ZN6thrust23THRUST_200600_302600_NS11hip_rocprim14__parallel_for6kernelILj256ENS1_10for_each_fINS0_7pointerINS0_5tupleIblNS0_9null_typeES7_S7_S7_S7_S7_S7_S7_EENS1_3tagENS0_11use_defaultESA_EENS0_6detail16wrapped_functionINSC_23allocator_traits_detail24construct1_via_allocatorINSC_18no_throw_allocatorINSC_19temporary_allocatorIS8_S9_EEEEEEvEEEEmLj1EEEvT0_T1_SO_.has_recursion, 0
	.set _ZN6thrust23THRUST_200600_302600_NS11hip_rocprim14__parallel_for6kernelILj256ENS1_10for_each_fINS0_7pointerINS0_5tupleIblNS0_9null_typeES7_S7_S7_S7_S7_S7_S7_EENS1_3tagENS0_11use_defaultESA_EENS0_6detail16wrapped_functionINSC_23allocator_traits_detail24construct1_via_allocatorINSC_18no_throw_allocatorINSC_19temporary_allocatorIS8_S9_EEEEEEvEEEEmLj1EEEvT0_T1_SO_.has_indirect_call, 0
	.section	.AMDGPU.csdata,"",@progbits
; Kernel info:
; codeLenInByte = 204
; TotalNumSgprs: 16
; NumVgprs: 5
; ScratchSize: 0
; MemoryBound: 0
; FloatMode: 240
; IeeeMode: 1
; LDSByteSize: 0 bytes/workgroup (compile time only)
; SGPRBlocks: 1
; VGPRBlocks: 1
; NumSGPRsForWavesPerEU: 16
; NumVGPRsForWavesPerEU: 5
; Occupancy: 10
; WaveLimiterHint : 0
; COMPUTE_PGM_RSRC2:SCRATCH_EN: 0
; COMPUTE_PGM_RSRC2:USER_SGPR: 6
; COMPUTE_PGM_RSRC2:TRAP_HANDLER: 0
; COMPUTE_PGM_RSRC2:TGID_X_EN: 1
; COMPUTE_PGM_RSRC2:TGID_Y_EN: 0
; COMPUTE_PGM_RSRC2:TGID_Z_EN: 0
; COMPUTE_PGM_RSRC2:TIDIG_COMP_CNT: 0
	.section	.text._ZN6thrust23THRUST_200600_302600_NS11hip_rocprim14__parallel_for6kernelILj256ENS1_10for_each_fINS0_7pointerINS0_5tupleIblNS0_9null_typeES7_S7_S7_S7_S7_S7_S7_EENS1_3tagENS0_11use_defaultESA_EENS0_6detail16wrapped_functionINSC_23allocator_traits_detail5gozerEvEEEElLj1EEEvT0_T1_SJ_,"axG",@progbits,_ZN6thrust23THRUST_200600_302600_NS11hip_rocprim14__parallel_for6kernelILj256ENS1_10for_each_fINS0_7pointerINS0_5tupleIblNS0_9null_typeES7_S7_S7_S7_S7_S7_S7_EENS1_3tagENS0_11use_defaultESA_EENS0_6detail16wrapped_functionINSC_23allocator_traits_detail5gozerEvEEEElLj1EEEvT0_T1_SJ_,comdat
	.protected	_ZN6thrust23THRUST_200600_302600_NS11hip_rocprim14__parallel_for6kernelILj256ENS1_10for_each_fINS0_7pointerINS0_5tupleIblNS0_9null_typeES7_S7_S7_S7_S7_S7_S7_EENS1_3tagENS0_11use_defaultESA_EENS0_6detail16wrapped_functionINSC_23allocator_traits_detail5gozerEvEEEElLj1EEEvT0_T1_SJ_ ; -- Begin function _ZN6thrust23THRUST_200600_302600_NS11hip_rocprim14__parallel_for6kernelILj256ENS1_10for_each_fINS0_7pointerINS0_5tupleIblNS0_9null_typeES7_S7_S7_S7_S7_S7_S7_EENS1_3tagENS0_11use_defaultESA_EENS0_6detail16wrapped_functionINSC_23allocator_traits_detail5gozerEvEEEElLj1EEEvT0_T1_SJ_
	.globl	_ZN6thrust23THRUST_200600_302600_NS11hip_rocprim14__parallel_for6kernelILj256ENS1_10for_each_fINS0_7pointerINS0_5tupleIblNS0_9null_typeES7_S7_S7_S7_S7_S7_S7_EENS1_3tagENS0_11use_defaultESA_EENS0_6detail16wrapped_functionINSC_23allocator_traits_detail5gozerEvEEEElLj1EEEvT0_T1_SJ_
	.p2align	8
	.type	_ZN6thrust23THRUST_200600_302600_NS11hip_rocprim14__parallel_for6kernelILj256ENS1_10for_each_fINS0_7pointerINS0_5tupleIblNS0_9null_typeES7_S7_S7_S7_S7_S7_S7_EENS1_3tagENS0_11use_defaultESA_EENS0_6detail16wrapped_functionINSC_23allocator_traits_detail5gozerEvEEEElLj1EEEvT0_T1_SJ_,@function
_ZN6thrust23THRUST_200600_302600_NS11hip_rocprim14__parallel_for6kernelILj256ENS1_10for_each_fINS0_7pointerINS0_5tupleIblNS0_9null_typeES7_S7_S7_S7_S7_S7_S7_EENS1_3tagENS0_11use_defaultESA_EENS0_6detail16wrapped_functionINSC_23allocator_traits_detail5gozerEvEEEElLj1EEEvT0_T1_SJ_: ; @_ZN6thrust23THRUST_200600_302600_NS11hip_rocprim14__parallel_for6kernelILj256ENS1_10for_each_fINS0_7pointerINS0_5tupleIblNS0_9null_typeES7_S7_S7_S7_S7_S7_S7_EENS1_3tagENS0_11use_defaultESA_EENS0_6detail16wrapped_functionINSC_23allocator_traits_detail5gozerEvEEEElLj1EEEvT0_T1_SJ_
; %bb.0:
	s_endpgm
	.section	.rodata,"a",@progbits
	.p2align	6, 0x0
	.amdhsa_kernel _ZN6thrust23THRUST_200600_302600_NS11hip_rocprim14__parallel_for6kernelILj256ENS1_10for_each_fINS0_7pointerINS0_5tupleIblNS0_9null_typeES7_S7_S7_S7_S7_S7_S7_EENS1_3tagENS0_11use_defaultESA_EENS0_6detail16wrapped_functionINSC_23allocator_traits_detail5gozerEvEEEElLj1EEEvT0_T1_SJ_
		.amdhsa_group_segment_fixed_size 0
		.amdhsa_private_segment_fixed_size 0
		.amdhsa_kernarg_size 32
		.amdhsa_user_sgpr_count 6
		.amdhsa_user_sgpr_private_segment_buffer 1
		.amdhsa_user_sgpr_dispatch_ptr 0
		.amdhsa_user_sgpr_queue_ptr 0
		.amdhsa_user_sgpr_kernarg_segment_ptr 1
		.amdhsa_user_sgpr_dispatch_id 0
		.amdhsa_user_sgpr_flat_scratch_init 0
		.amdhsa_user_sgpr_private_segment_size 0
		.amdhsa_uses_dynamic_stack 0
		.amdhsa_system_sgpr_private_segment_wavefront_offset 0
		.amdhsa_system_sgpr_workgroup_id_x 1
		.amdhsa_system_sgpr_workgroup_id_y 0
		.amdhsa_system_sgpr_workgroup_id_z 0
		.amdhsa_system_sgpr_workgroup_info 0
		.amdhsa_system_vgpr_workitem_id 0
		.amdhsa_next_free_vgpr 1
		.amdhsa_next_free_sgpr 0
		.amdhsa_reserve_vcc 0
		.amdhsa_reserve_flat_scratch 0
		.amdhsa_float_round_mode_32 0
		.amdhsa_float_round_mode_16_64 0
		.amdhsa_float_denorm_mode_32 3
		.amdhsa_float_denorm_mode_16_64 3
		.amdhsa_dx10_clamp 1
		.amdhsa_ieee_mode 1
		.amdhsa_fp16_overflow 0
		.amdhsa_exception_fp_ieee_invalid_op 0
		.amdhsa_exception_fp_denorm_src 0
		.amdhsa_exception_fp_ieee_div_zero 0
		.amdhsa_exception_fp_ieee_overflow 0
		.amdhsa_exception_fp_ieee_underflow 0
		.amdhsa_exception_fp_ieee_inexact 0
		.amdhsa_exception_int_div_zero 0
	.end_amdhsa_kernel
	.section	.text._ZN6thrust23THRUST_200600_302600_NS11hip_rocprim14__parallel_for6kernelILj256ENS1_10for_each_fINS0_7pointerINS0_5tupleIblNS0_9null_typeES7_S7_S7_S7_S7_S7_S7_EENS1_3tagENS0_11use_defaultESA_EENS0_6detail16wrapped_functionINSC_23allocator_traits_detail5gozerEvEEEElLj1EEEvT0_T1_SJ_,"axG",@progbits,_ZN6thrust23THRUST_200600_302600_NS11hip_rocprim14__parallel_for6kernelILj256ENS1_10for_each_fINS0_7pointerINS0_5tupleIblNS0_9null_typeES7_S7_S7_S7_S7_S7_S7_EENS1_3tagENS0_11use_defaultESA_EENS0_6detail16wrapped_functionINSC_23allocator_traits_detail5gozerEvEEEElLj1EEEvT0_T1_SJ_,comdat
.Lfunc_end445:
	.size	_ZN6thrust23THRUST_200600_302600_NS11hip_rocprim14__parallel_for6kernelILj256ENS1_10for_each_fINS0_7pointerINS0_5tupleIblNS0_9null_typeES7_S7_S7_S7_S7_S7_S7_EENS1_3tagENS0_11use_defaultESA_EENS0_6detail16wrapped_functionINSC_23allocator_traits_detail5gozerEvEEEElLj1EEEvT0_T1_SJ_, .Lfunc_end445-_ZN6thrust23THRUST_200600_302600_NS11hip_rocprim14__parallel_for6kernelILj256ENS1_10for_each_fINS0_7pointerINS0_5tupleIblNS0_9null_typeES7_S7_S7_S7_S7_S7_S7_EENS1_3tagENS0_11use_defaultESA_EENS0_6detail16wrapped_functionINSC_23allocator_traits_detail5gozerEvEEEElLj1EEEvT0_T1_SJ_
                                        ; -- End function
	.set _ZN6thrust23THRUST_200600_302600_NS11hip_rocprim14__parallel_for6kernelILj256ENS1_10for_each_fINS0_7pointerINS0_5tupleIblNS0_9null_typeES7_S7_S7_S7_S7_S7_S7_EENS1_3tagENS0_11use_defaultESA_EENS0_6detail16wrapped_functionINSC_23allocator_traits_detail5gozerEvEEEElLj1EEEvT0_T1_SJ_.num_vgpr, 0
	.set _ZN6thrust23THRUST_200600_302600_NS11hip_rocprim14__parallel_for6kernelILj256ENS1_10for_each_fINS0_7pointerINS0_5tupleIblNS0_9null_typeES7_S7_S7_S7_S7_S7_S7_EENS1_3tagENS0_11use_defaultESA_EENS0_6detail16wrapped_functionINSC_23allocator_traits_detail5gozerEvEEEElLj1EEEvT0_T1_SJ_.num_agpr, 0
	.set _ZN6thrust23THRUST_200600_302600_NS11hip_rocprim14__parallel_for6kernelILj256ENS1_10for_each_fINS0_7pointerINS0_5tupleIblNS0_9null_typeES7_S7_S7_S7_S7_S7_S7_EENS1_3tagENS0_11use_defaultESA_EENS0_6detail16wrapped_functionINSC_23allocator_traits_detail5gozerEvEEEElLj1EEEvT0_T1_SJ_.numbered_sgpr, 0
	.set _ZN6thrust23THRUST_200600_302600_NS11hip_rocprim14__parallel_for6kernelILj256ENS1_10for_each_fINS0_7pointerINS0_5tupleIblNS0_9null_typeES7_S7_S7_S7_S7_S7_S7_EENS1_3tagENS0_11use_defaultESA_EENS0_6detail16wrapped_functionINSC_23allocator_traits_detail5gozerEvEEEElLj1EEEvT0_T1_SJ_.num_named_barrier, 0
	.set _ZN6thrust23THRUST_200600_302600_NS11hip_rocprim14__parallel_for6kernelILj256ENS1_10for_each_fINS0_7pointerINS0_5tupleIblNS0_9null_typeES7_S7_S7_S7_S7_S7_S7_EENS1_3tagENS0_11use_defaultESA_EENS0_6detail16wrapped_functionINSC_23allocator_traits_detail5gozerEvEEEElLj1EEEvT0_T1_SJ_.private_seg_size, 0
	.set _ZN6thrust23THRUST_200600_302600_NS11hip_rocprim14__parallel_for6kernelILj256ENS1_10for_each_fINS0_7pointerINS0_5tupleIblNS0_9null_typeES7_S7_S7_S7_S7_S7_S7_EENS1_3tagENS0_11use_defaultESA_EENS0_6detail16wrapped_functionINSC_23allocator_traits_detail5gozerEvEEEElLj1EEEvT0_T1_SJ_.uses_vcc, 0
	.set _ZN6thrust23THRUST_200600_302600_NS11hip_rocprim14__parallel_for6kernelILj256ENS1_10for_each_fINS0_7pointerINS0_5tupleIblNS0_9null_typeES7_S7_S7_S7_S7_S7_S7_EENS1_3tagENS0_11use_defaultESA_EENS0_6detail16wrapped_functionINSC_23allocator_traits_detail5gozerEvEEEElLj1EEEvT0_T1_SJ_.uses_flat_scratch, 0
	.set _ZN6thrust23THRUST_200600_302600_NS11hip_rocprim14__parallel_for6kernelILj256ENS1_10for_each_fINS0_7pointerINS0_5tupleIblNS0_9null_typeES7_S7_S7_S7_S7_S7_S7_EENS1_3tagENS0_11use_defaultESA_EENS0_6detail16wrapped_functionINSC_23allocator_traits_detail5gozerEvEEEElLj1EEEvT0_T1_SJ_.has_dyn_sized_stack, 0
	.set _ZN6thrust23THRUST_200600_302600_NS11hip_rocprim14__parallel_for6kernelILj256ENS1_10for_each_fINS0_7pointerINS0_5tupleIblNS0_9null_typeES7_S7_S7_S7_S7_S7_S7_EENS1_3tagENS0_11use_defaultESA_EENS0_6detail16wrapped_functionINSC_23allocator_traits_detail5gozerEvEEEElLj1EEEvT0_T1_SJ_.has_recursion, 0
	.set _ZN6thrust23THRUST_200600_302600_NS11hip_rocprim14__parallel_for6kernelILj256ENS1_10for_each_fINS0_7pointerINS0_5tupleIblNS0_9null_typeES7_S7_S7_S7_S7_S7_S7_EENS1_3tagENS0_11use_defaultESA_EENS0_6detail16wrapped_functionINSC_23allocator_traits_detail5gozerEvEEEElLj1EEEvT0_T1_SJ_.has_indirect_call, 0
	.section	.AMDGPU.csdata,"",@progbits
; Kernel info:
; codeLenInByte = 4
; TotalNumSgprs: 4
; NumVgprs: 0
; ScratchSize: 0
; MemoryBound: 0
; FloatMode: 240
; IeeeMode: 1
; LDSByteSize: 0 bytes/workgroup (compile time only)
; SGPRBlocks: 0
; VGPRBlocks: 0
; NumSGPRsForWavesPerEU: 4
; NumVGPRsForWavesPerEU: 1
; Occupancy: 10
; WaveLimiterHint : 0
; COMPUTE_PGM_RSRC2:SCRATCH_EN: 0
; COMPUTE_PGM_RSRC2:USER_SGPR: 6
; COMPUTE_PGM_RSRC2:TRAP_HANDLER: 0
; COMPUTE_PGM_RSRC2:TGID_X_EN: 1
; COMPUTE_PGM_RSRC2:TGID_Y_EN: 0
; COMPUTE_PGM_RSRC2:TGID_Z_EN: 0
; COMPUTE_PGM_RSRC2:TIDIG_COMP_CNT: 0
	.section	.text._ZN6thrust23THRUST_200600_302600_NS11hip_rocprim14__parallel_for6kernelILj256ENS1_20__uninitialized_copy7functorIPNS0_5tupleIblNS0_9null_typeES7_S7_S7_S7_S7_S7_S7_EENS0_7pointerIS8_NS1_3tagENS0_11use_defaultESC_EEEEmLj1EEEvT0_T1_SG_,"axG",@progbits,_ZN6thrust23THRUST_200600_302600_NS11hip_rocprim14__parallel_for6kernelILj256ENS1_20__uninitialized_copy7functorIPNS0_5tupleIblNS0_9null_typeES7_S7_S7_S7_S7_S7_S7_EENS0_7pointerIS8_NS1_3tagENS0_11use_defaultESC_EEEEmLj1EEEvT0_T1_SG_,comdat
	.protected	_ZN6thrust23THRUST_200600_302600_NS11hip_rocprim14__parallel_for6kernelILj256ENS1_20__uninitialized_copy7functorIPNS0_5tupleIblNS0_9null_typeES7_S7_S7_S7_S7_S7_S7_EENS0_7pointerIS8_NS1_3tagENS0_11use_defaultESC_EEEEmLj1EEEvT0_T1_SG_ ; -- Begin function _ZN6thrust23THRUST_200600_302600_NS11hip_rocprim14__parallel_for6kernelILj256ENS1_20__uninitialized_copy7functorIPNS0_5tupleIblNS0_9null_typeES7_S7_S7_S7_S7_S7_S7_EENS0_7pointerIS8_NS1_3tagENS0_11use_defaultESC_EEEEmLj1EEEvT0_T1_SG_
	.globl	_ZN6thrust23THRUST_200600_302600_NS11hip_rocprim14__parallel_for6kernelILj256ENS1_20__uninitialized_copy7functorIPNS0_5tupleIblNS0_9null_typeES7_S7_S7_S7_S7_S7_S7_EENS0_7pointerIS8_NS1_3tagENS0_11use_defaultESC_EEEEmLj1EEEvT0_T1_SG_
	.p2align	8
	.type	_ZN6thrust23THRUST_200600_302600_NS11hip_rocprim14__parallel_for6kernelILj256ENS1_20__uninitialized_copy7functorIPNS0_5tupleIblNS0_9null_typeES7_S7_S7_S7_S7_S7_S7_EENS0_7pointerIS8_NS1_3tagENS0_11use_defaultESC_EEEEmLj1EEEvT0_T1_SG_,@function
_ZN6thrust23THRUST_200600_302600_NS11hip_rocprim14__parallel_for6kernelILj256ENS1_20__uninitialized_copy7functorIPNS0_5tupleIblNS0_9null_typeES7_S7_S7_S7_S7_S7_S7_EENS0_7pointerIS8_NS1_3tagENS0_11use_defaultESC_EEEEmLj1EEEvT0_T1_SG_: ; @_ZN6thrust23THRUST_200600_302600_NS11hip_rocprim14__parallel_for6kernelILj256ENS1_20__uninitialized_copy7functorIPNS0_5tupleIblNS0_9null_typeES7_S7_S7_S7_S7_S7_S7_EENS0_7pointerIS8_NS1_3tagENS0_11use_defaultESC_EEEEmLj1EEEvT0_T1_SG_
; %bb.0:
	s_load_dwordx8 s[8:15], s[4:5], 0x0
	s_lshl_b32 s0, s6, 8
	v_mov_b32_e32 v1, 0xff
	v_mov_b32_e32 v2, 0
	s_waitcnt lgkmcnt(0)
	s_add_u32 s4, s14, s0
	s_addc_u32 s5, s15, 0
	s_sub_u32 s0, s12, s4
	s_subb_u32 s1, s13, s5
	v_cmp_gt_u64_e32 vcc, s[0:1], v[1:2]
	s_cbranch_vccnz .LBB446_2
; %bb.1:
	v_cmp_gt_u32_e32 vcc, s0, v0
	s_and_b64 s[0:1], vcc, exec
	s_cbranch_execz .LBB446_3
	s_branch .LBB446_4
.LBB446_2:
	s_mov_b64 s[0:1], 0
.LBB446_3:
	s_or_b64 s[0:1], s[0:1], exec
.LBB446_4:
	s_and_saveexec_b64 s[2:3], s[0:1]
	s_cbranch_execnz .LBB446_6
; %bb.5:
	s_endpgm
.LBB446_6:
	v_mov_b32_e32 v1, s5
	v_add_co_u32_e32 v0, vcc, s4, v0
	v_addc_co_u32_e32 v1, vcc, 0, v1, vcc
	v_lshlrev_b64 v[4:5], 4, v[0:1]
	v_mov_b32_e32 v1, s9
	v_add_co_u32_e32 v0, vcc, s8, v4
	v_addc_co_u32_e32 v1, vcc, v1, v5, vcc
	global_load_dwordx4 v[0:3], v[0:1], off
	v_mov_b32_e32 v6, s11
	v_add_co_u32_e32 v4, vcc, s10, v4
	v_addc_co_u32_e32 v5, vcc, v6, v5, vcc
	s_waitcnt vmcnt(0)
	flat_store_dwordx4 v[4:5], v[0:3]
	s_endpgm
	.section	.rodata,"a",@progbits
	.p2align	6, 0x0
	.amdhsa_kernel _ZN6thrust23THRUST_200600_302600_NS11hip_rocprim14__parallel_for6kernelILj256ENS1_20__uninitialized_copy7functorIPNS0_5tupleIblNS0_9null_typeES7_S7_S7_S7_S7_S7_S7_EENS0_7pointerIS8_NS1_3tagENS0_11use_defaultESC_EEEEmLj1EEEvT0_T1_SG_
		.amdhsa_group_segment_fixed_size 0
		.amdhsa_private_segment_fixed_size 0
		.amdhsa_kernarg_size 32
		.amdhsa_user_sgpr_count 6
		.amdhsa_user_sgpr_private_segment_buffer 1
		.amdhsa_user_sgpr_dispatch_ptr 0
		.amdhsa_user_sgpr_queue_ptr 0
		.amdhsa_user_sgpr_kernarg_segment_ptr 1
		.amdhsa_user_sgpr_dispatch_id 0
		.amdhsa_user_sgpr_flat_scratch_init 0
		.amdhsa_user_sgpr_private_segment_size 0
		.amdhsa_uses_dynamic_stack 0
		.amdhsa_system_sgpr_private_segment_wavefront_offset 0
		.amdhsa_system_sgpr_workgroup_id_x 1
		.amdhsa_system_sgpr_workgroup_id_y 0
		.amdhsa_system_sgpr_workgroup_id_z 0
		.amdhsa_system_sgpr_workgroup_info 0
		.amdhsa_system_vgpr_workitem_id 0
		.amdhsa_next_free_vgpr 7
		.amdhsa_next_free_sgpr 16
		.amdhsa_reserve_vcc 1
		.amdhsa_reserve_flat_scratch 0
		.amdhsa_float_round_mode_32 0
		.amdhsa_float_round_mode_16_64 0
		.amdhsa_float_denorm_mode_32 3
		.amdhsa_float_denorm_mode_16_64 3
		.amdhsa_dx10_clamp 1
		.amdhsa_ieee_mode 1
		.amdhsa_fp16_overflow 0
		.amdhsa_exception_fp_ieee_invalid_op 0
		.amdhsa_exception_fp_denorm_src 0
		.amdhsa_exception_fp_ieee_div_zero 0
		.amdhsa_exception_fp_ieee_overflow 0
		.amdhsa_exception_fp_ieee_underflow 0
		.amdhsa_exception_fp_ieee_inexact 0
		.amdhsa_exception_int_div_zero 0
	.end_amdhsa_kernel
	.section	.text._ZN6thrust23THRUST_200600_302600_NS11hip_rocprim14__parallel_for6kernelILj256ENS1_20__uninitialized_copy7functorIPNS0_5tupleIblNS0_9null_typeES7_S7_S7_S7_S7_S7_S7_EENS0_7pointerIS8_NS1_3tagENS0_11use_defaultESC_EEEEmLj1EEEvT0_T1_SG_,"axG",@progbits,_ZN6thrust23THRUST_200600_302600_NS11hip_rocprim14__parallel_for6kernelILj256ENS1_20__uninitialized_copy7functorIPNS0_5tupleIblNS0_9null_typeES7_S7_S7_S7_S7_S7_S7_EENS0_7pointerIS8_NS1_3tagENS0_11use_defaultESC_EEEEmLj1EEEvT0_T1_SG_,comdat
.Lfunc_end446:
	.size	_ZN6thrust23THRUST_200600_302600_NS11hip_rocprim14__parallel_for6kernelILj256ENS1_20__uninitialized_copy7functorIPNS0_5tupleIblNS0_9null_typeES7_S7_S7_S7_S7_S7_S7_EENS0_7pointerIS8_NS1_3tagENS0_11use_defaultESC_EEEEmLj1EEEvT0_T1_SG_, .Lfunc_end446-_ZN6thrust23THRUST_200600_302600_NS11hip_rocprim14__parallel_for6kernelILj256ENS1_20__uninitialized_copy7functorIPNS0_5tupleIblNS0_9null_typeES7_S7_S7_S7_S7_S7_S7_EENS0_7pointerIS8_NS1_3tagENS0_11use_defaultESC_EEEEmLj1EEEvT0_T1_SG_
                                        ; -- End function
	.set _ZN6thrust23THRUST_200600_302600_NS11hip_rocprim14__parallel_for6kernelILj256ENS1_20__uninitialized_copy7functorIPNS0_5tupleIblNS0_9null_typeES7_S7_S7_S7_S7_S7_S7_EENS0_7pointerIS8_NS1_3tagENS0_11use_defaultESC_EEEEmLj1EEEvT0_T1_SG_.num_vgpr, 7
	.set _ZN6thrust23THRUST_200600_302600_NS11hip_rocprim14__parallel_for6kernelILj256ENS1_20__uninitialized_copy7functorIPNS0_5tupleIblNS0_9null_typeES7_S7_S7_S7_S7_S7_S7_EENS0_7pointerIS8_NS1_3tagENS0_11use_defaultESC_EEEEmLj1EEEvT0_T1_SG_.num_agpr, 0
	.set _ZN6thrust23THRUST_200600_302600_NS11hip_rocprim14__parallel_for6kernelILj256ENS1_20__uninitialized_copy7functorIPNS0_5tupleIblNS0_9null_typeES7_S7_S7_S7_S7_S7_S7_EENS0_7pointerIS8_NS1_3tagENS0_11use_defaultESC_EEEEmLj1EEEvT0_T1_SG_.numbered_sgpr, 16
	.set _ZN6thrust23THRUST_200600_302600_NS11hip_rocprim14__parallel_for6kernelILj256ENS1_20__uninitialized_copy7functorIPNS0_5tupleIblNS0_9null_typeES7_S7_S7_S7_S7_S7_S7_EENS0_7pointerIS8_NS1_3tagENS0_11use_defaultESC_EEEEmLj1EEEvT0_T1_SG_.num_named_barrier, 0
	.set _ZN6thrust23THRUST_200600_302600_NS11hip_rocprim14__parallel_for6kernelILj256ENS1_20__uninitialized_copy7functorIPNS0_5tupleIblNS0_9null_typeES7_S7_S7_S7_S7_S7_S7_EENS0_7pointerIS8_NS1_3tagENS0_11use_defaultESC_EEEEmLj1EEEvT0_T1_SG_.private_seg_size, 0
	.set _ZN6thrust23THRUST_200600_302600_NS11hip_rocprim14__parallel_for6kernelILj256ENS1_20__uninitialized_copy7functorIPNS0_5tupleIblNS0_9null_typeES7_S7_S7_S7_S7_S7_S7_EENS0_7pointerIS8_NS1_3tagENS0_11use_defaultESC_EEEEmLj1EEEvT0_T1_SG_.uses_vcc, 1
	.set _ZN6thrust23THRUST_200600_302600_NS11hip_rocprim14__parallel_for6kernelILj256ENS1_20__uninitialized_copy7functorIPNS0_5tupleIblNS0_9null_typeES7_S7_S7_S7_S7_S7_S7_EENS0_7pointerIS8_NS1_3tagENS0_11use_defaultESC_EEEEmLj1EEEvT0_T1_SG_.uses_flat_scratch, 0
	.set _ZN6thrust23THRUST_200600_302600_NS11hip_rocprim14__parallel_for6kernelILj256ENS1_20__uninitialized_copy7functorIPNS0_5tupleIblNS0_9null_typeES7_S7_S7_S7_S7_S7_S7_EENS0_7pointerIS8_NS1_3tagENS0_11use_defaultESC_EEEEmLj1EEEvT0_T1_SG_.has_dyn_sized_stack, 0
	.set _ZN6thrust23THRUST_200600_302600_NS11hip_rocprim14__parallel_for6kernelILj256ENS1_20__uninitialized_copy7functorIPNS0_5tupleIblNS0_9null_typeES7_S7_S7_S7_S7_S7_S7_EENS0_7pointerIS8_NS1_3tagENS0_11use_defaultESC_EEEEmLj1EEEvT0_T1_SG_.has_recursion, 0
	.set _ZN6thrust23THRUST_200600_302600_NS11hip_rocprim14__parallel_for6kernelILj256ENS1_20__uninitialized_copy7functorIPNS0_5tupleIblNS0_9null_typeES7_S7_S7_S7_S7_S7_S7_EENS0_7pointerIS8_NS1_3tagENS0_11use_defaultESC_EEEEmLj1EEEvT0_T1_SG_.has_indirect_call, 0
	.section	.AMDGPU.csdata,"",@progbits
; Kernel info:
; codeLenInByte = 156
; TotalNumSgprs: 20
; NumVgprs: 7
; ScratchSize: 0
; MemoryBound: 0
; FloatMode: 240
; IeeeMode: 1
; LDSByteSize: 0 bytes/workgroup (compile time only)
; SGPRBlocks: 2
; VGPRBlocks: 1
; NumSGPRsForWavesPerEU: 20
; NumVGPRsForWavesPerEU: 7
; Occupancy: 10
; WaveLimiterHint : 0
; COMPUTE_PGM_RSRC2:SCRATCH_EN: 0
; COMPUTE_PGM_RSRC2:USER_SGPR: 6
; COMPUTE_PGM_RSRC2:TRAP_HANDLER: 0
; COMPUTE_PGM_RSRC2:TGID_X_EN: 1
; COMPUTE_PGM_RSRC2:TGID_Y_EN: 0
; COMPUTE_PGM_RSRC2:TGID_Z_EN: 0
; COMPUTE_PGM_RSRC2:TIDIG_COMP_CNT: 0
	.section	.text._ZN7rocprim17ROCPRIM_400000_NS6detail17trampoline_kernelINS0_14default_configENS1_22reduce_config_selectorIN6thrust23THRUST_200600_302600_NS5tupleIblNS6_9null_typeES8_S8_S8_S8_S8_S8_S8_EEEEZNS1_11reduce_implILb1ES3_NS6_12zip_iteratorINS7_INS6_11hip_rocprim26transform_input_iterator_tIbNSD_35transform_pair_of_input_iterators_tIbNS6_6detail15normal_iteratorINS6_10device_ptrIKfEEEESL_NS6_8equal_toIfEEEENSG_9not_fun_tINSD_8identityEEEEENSD_19counting_iterator_tIlEES8_S8_S8_S8_S8_S8_S8_S8_EEEEPS9_S9_NSD_9__find_if7functorIS9_EEEE10hipError_tPvRmT1_T2_T3_mT4_P12ihipStream_tbEUlT_E0_NS1_11comp_targetILNS1_3genE0ELNS1_11target_archE4294967295ELNS1_3gpuE0ELNS1_3repE0EEENS1_30default_config_static_selectorELNS0_4arch9wavefront6targetE1EEEvS14_,"axG",@progbits,_ZN7rocprim17ROCPRIM_400000_NS6detail17trampoline_kernelINS0_14default_configENS1_22reduce_config_selectorIN6thrust23THRUST_200600_302600_NS5tupleIblNS6_9null_typeES8_S8_S8_S8_S8_S8_S8_EEEEZNS1_11reduce_implILb1ES3_NS6_12zip_iteratorINS7_INS6_11hip_rocprim26transform_input_iterator_tIbNSD_35transform_pair_of_input_iterators_tIbNS6_6detail15normal_iteratorINS6_10device_ptrIKfEEEESL_NS6_8equal_toIfEEEENSG_9not_fun_tINSD_8identityEEEEENSD_19counting_iterator_tIlEES8_S8_S8_S8_S8_S8_S8_S8_EEEEPS9_S9_NSD_9__find_if7functorIS9_EEEE10hipError_tPvRmT1_T2_T3_mT4_P12ihipStream_tbEUlT_E0_NS1_11comp_targetILNS1_3genE0ELNS1_11target_archE4294967295ELNS1_3gpuE0ELNS1_3repE0EEENS1_30default_config_static_selectorELNS0_4arch9wavefront6targetE1EEEvS14_,comdat
	.protected	_ZN7rocprim17ROCPRIM_400000_NS6detail17trampoline_kernelINS0_14default_configENS1_22reduce_config_selectorIN6thrust23THRUST_200600_302600_NS5tupleIblNS6_9null_typeES8_S8_S8_S8_S8_S8_S8_EEEEZNS1_11reduce_implILb1ES3_NS6_12zip_iteratorINS7_INS6_11hip_rocprim26transform_input_iterator_tIbNSD_35transform_pair_of_input_iterators_tIbNS6_6detail15normal_iteratorINS6_10device_ptrIKfEEEESL_NS6_8equal_toIfEEEENSG_9not_fun_tINSD_8identityEEEEENSD_19counting_iterator_tIlEES8_S8_S8_S8_S8_S8_S8_S8_EEEEPS9_S9_NSD_9__find_if7functorIS9_EEEE10hipError_tPvRmT1_T2_T3_mT4_P12ihipStream_tbEUlT_E0_NS1_11comp_targetILNS1_3genE0ELNS1_11target_archE4294967295ELNS1_3gpuE0ELNS1_3repE0EEENS1_30default_config_static_selectorELNS0_4arch9wavefront6targetE1EEEvS14_ ; -- Begin function _ZN7rocprim17ROCPRIM_400000_NS6detail17trampoline_kernelINS0_14default_configENS1_22reduce_config_selectorIN6thrust23THRUST_200600_302600_NS5tupleIblNS6_9null_typeES8_S8_S8_S8_S8_S8_S8_EEEEZNS1_11reduce_implILb1ES3_NS6_12zip_iteratorINS7_INS6_11hip_rocprim26transform_input_iterator_tIbNSD_35transform_pair_of_input_iterators_tIbNS6_6detail15normal_iteratorINS6_10device_ptrIKfEEEESL_NS6_8equal_toIfEEEENSG_9not_fun_tINSD_8identityEEEEENSD_19counting_iterator_tIlEES8_S8_S8_S8_S8_S8_S8_S8_EEEEPS9_S9_NSD_9__find_if7functorIS9_EEEE10hipError_tPvRmT1_T2_T3_mT4_P12ihipStream_tbEUlT_E0_NS1_11comp_targetILNS1_3genE0ELNS1_11target_archE4294967295ELNS1_3gpuE0ELNS1_3repE0EEENS1_30default_config_static_selectorELNS0_4arch9wavefront6targetE1EEEvS14_
	.globl	_ZN7rocprim17ROCPRIM_400000_NS6detail17trampoline_kernelINS0_14default_configENS1_22reduce_config_selectorIN6thrust23THRUST_200600_302600_NS5tupleIblNS6_9null_typeES8_S8_S8_S8_S8_S8_S8_EEEEZNS1_11reduce_implILb1ES3_NS6_12zip_iteratorINS7_INS6_11hip_rocprim26transform_input_iterator_tIbNSD_35transform_pair_of_input_iterators_tIbNS6_6detail15normal_iteratorINS6_10device_ptrIKfEEEESL_NS6_8equal_toIfEEEENSG_9not_fun_tINSD_8identityEEEEENSD_19counting_iterator_tIlEES8_S8_S8_S8_S8_S8_S8_S8_EEEEPS9_S9_NSD_9__find_if7functorIS9_EEEE10hipError_tPvRmT1_T2_T3_mT4_P12ihipStream_tbEUlT_E0_NS1_11comp_targetILNS1_3genE0ELNS1_11target_archE4294967295ELNS1_3gpuE0ELNS1_3repE0EEENS1_30default_config_static_selectorELNS0_4arch9wavefront6targetE1EEEvS14_
	.p2align	8
	.type	_ZN7rocprim17ROCPRIM_400000_NS6detail17trampoline_kernelINS0_14default_configENS1_22reduce_config_selectorIN6thrust23THRUST_200600_302600_NS5tupleIblNS6_9null_typeES8_S8_S8_S8_S8_S8_S8_EEEEZNS1_11reduce_implILb1ES3_NS6_12zip_iteratorINS7_INS6_11hip_rocprim26transform_input_iterator_tIbNSD_35transform_pair_of_input_iterators_tIbNS6_6detail15normal_iteratorINS6_10device_ptrIKfEEEESL_NS6_8equal_toIfEEEENSG_9not_fun_tINSD_8identityEEEEENSD_19counting_iterator_tIlEES8_S8_S8_S8_S8_S8_S8_S8_EEEEPS9_S9_NSD_9__find_if7functorIS9_EEEE10hipError_tPvRmT1_T2_T3_mT4_P12ihipStream_tbEUlT_E0_NS1_11comp_targetILNS1_3genE0ELNS1_11target_archE4294967295ELNS1_3gpuE0ELNS1_3repE0EEENS1_30default_config_static_selectorELNS0_4arch9wavefront6targetE1EEEvS14_,@function
_ZN7rocprim17ROCPRIM_400000_NS6detail17trampoline_kernelINS0_14default_configENS1_22reduce_config_selectorIN6thrust23THRUST_200600_302600_NS5tupleIblNS6_9null_typeES8_S8_S8_S8_S8_S8_S8_EEEEZNS1_11reduce_implILb1ES3_NS6_12zip_iteratorINS7_INS6_11hip_rocprim26transform_input_iterator_tIbNSD_35transform_pair_of_input_iterators_tIbNS6_6detail15normal_iteratorINS6_10device_ptrIKfEEEESL_NS6_8equal_toIfEEEENSG_9not_fun_tINSD_8identityEEEEENSD_19counting_iterator_tIlEES8_S8_S8_S8_S8_S8_S8_S8_EEEEPS9_S9_NSD_9__find_if7functorIS9_EEEE10hipError_tPvRmT1_T2_T3_mT4_P12ihipStream_tbEUlT_E0_NS1_11comp_targetILNS1_3genE0ELNS1_11target_archE4294967295ELNS1_3gpuE0ELNS1_3repE0EEENS1_30default_config_static_selectorELNS0_4arch9wavefront6targetE1EEEvS14_: ; @_ZN7rocprim17ROCPRIM_400000_NS6detail17trampoline_kernelINS0_14default_configENS1_22reduce_config_selectorIN6thrust23THRUST_200600_302600_NS5tupleIblNS6_9null_typeES8_S8_S8_S8_S8_S8_S8_EEEEZNS1_11reduce_implILb1ES3_NS6_12zip_iteratorINS7_INS6_11hip_rocprim26transform_input_iterator_tIbNSD_35transform_pair_of_input_iterators_tIbNS6_6detail15normal_iteratorINS6_10device_ptrIKfEEEESL_NS6_8equal_toIfEEEENSG_9not_fun_tINSD_8identityEEEEENSD_19counting_iterator_tIlEES8_S8_S8_S8_S8_S8_S8_S8_EEEEPS9_S9_NSD_9__find_if7functorIS9_EEEE10hipError_tPvRmT1_T2_T3_mT4_P12ihipStream_tbEUlT_E0_NS1_11comp_targetILNS1_3genE0ELNS1_11target_archE4294967295ELNS1_3gpuE0ELNS1_3repE0EEENS1_30default_config_static_selectorELNS0_4arch9wavefront6targetE1EEEvS14_
; %bb.0:
	.section	.rodata,"a",@progbits
	.p2align	6, 0x0
	.amdhsa_kernel _ZN7rocprim17ROCPRIM_400000_NS6detail17trampoline_kernelINS0_14default_configENS1_22reduce_config_selectorIN6thrust23THRUST_200600_302600_NS5tupleIblNS6_9null_typeES8_S8_S8_S8_S8_S8_S8_EEEEZNS1_11reduce_implILb1ES3_NS6_12zip_iteratorINS7_INS6_11hip_rocprim26transform_input_iterator_tIbNSD_35transform_pair_of_input_iterators_tIbNS6_6detail15normal_iteratorINS6_10device_ptrIKfEEEESL_NS6_8equal_toIfEEEENSG_9not_fun_tINSD_8identityEEEEENSD_19counting_iterator_tIlEES8_S8_S8_S8_S8_S8_S8_S8_EEEEPS9_S9_NSD_9__find_if7functorIS9_EEEE10hipError_tPvRmT1_T2_T3_mT4_P12ihipStream_tbEUlT_E0_NS1_11comp_targetILNS1_3genE0ELNS1_11target_archE4294967295ELNS1_3gpuE0ELNS1_3repE0EEENS1_30default_config_static_selectorELNS0_4arch9wavefront6targetE1EEEvS14_
		.amdhsa_group_segment_fixed_size 0
		.amdhsa_private_segment_fixed_size 0
		.amdhsa_kernarg_size 104
		.amdhsa_user_sgpr_count 6
		.amdhsa_user_sgpr_private_segment_buffer 1
		.amdhsa_user_sgpr_dispatch_ptr 0
		.amdhsa_user_sgpr_queue_ptr 0
		.amdhsa_user_sgpr_kernarg_segment_ptr 1
		.amdhsa_user_sgpr_dispatch_id 0
		.amdhsa_user_sgpr_flat_scratch_init 0
		.amdhsa_user_sgpr_private_segment_size 0
		.amdhsa_uses_dynamic_stack 0
		.amdhsa_system_sgpr_private_segment_wavefront_offset 0
		.amdhsa_system_sgpr_workgroup_id_x 1
		.amdhsa_system_sgpr_workgroup_id_y 0
		.amdhsa_system_sgpr_workgroup_id_z 0
		.amdhsa_system_sgpr_workgroup_info 0
		.amdhsa_system_vgpr_workitem_id 0
		.amdhsa_next_free_vgpr 1
		.amdhsa_next_free_sgpr 0
		.amdhsa_reserve_vcc 0
		.amdhsa_reserve_flat_scratch 0
		.amdhsa_float_round_mode_32 0
		.amdhsa_float_round_mode_16_64 0
		.amdhsa_float_denorm_mode_32 3
		.amdhsa_float_denorm_mode_16_64 3
		.amdhsa_dx10_clamp 1
		.amdhsa_ieee_mode 1
		.amdhsa_fp16_overflow 0
		.amdhsa_exception_fp_ieee_invalid_op 0
		.amdhsa_exception_fp_denorm_src 0
		.amdhsa_exception_fp_ieee_div_zero 0
		.amdhsa_exception_fp_ieee_overflow 0
		.amdhsa_exception_fp_ieee_underflow 0
		.amdhsa_exception_fp_ieee_inexact 0
		.amdhsa_exception_int_div_zero 0
	.end_amdhsa_kernel
	.section	.text._ZN7rocprim17ROCPRIM_400000_NS6detail17trampoline_kernelINS0_14default_configENS1_22reduce_config_selectorIN6thrust23THRUST_200600_302600_NS5tupleIblNS6_9null_typeES8_S8_S8_S8_S8_S8_S8_EEEEZNS1_11reduce_implILb1ES3_NS6_12zip_iteratorINS7_INS6_11hip_rocprim26transform_input_iterator_tIbNSD_35transform_pair_of_input_iterators_tIbNS6_6detail15normal_iteratorINS6_10device_ptrIKfEEEESL_NS6_8equal_toIfEEEENSG_9not_fun_tINSD_8identityEEEEENSD_19counting_iterator_tIlEES8_S8_S8_S8_S8_S8_S8_S8_EEEEPS9_S9_NSD_9__find_if7functorIS9_EEEE10hipError_tPvRmT1_T2_T3_mT4_P12ihipStream_tbEUlT_E0_NS1_11comp_targetILNS1_3genE0ELNS1_11target_archE4294967295ELNS1_3gpuE0ELNS1_3repE0EEENS1_30default_config_static_selectorELNS0_4arch9wavefront6targetE1EEEvS14_,"axG",@progbits,_ZN7rocprim17ROCPRIM_400000_NS6detail17trampoline_kernelINS0_14default_configENS1_22reduce_config_selectorIN6thrust23THRUST_200600_302600_NS5tupleIblNS6_9null_typeES8_S8_S8_S8_S8_S8_S8_EEEEZNS1_11reduce_implILb1ES3_NS6_12zip_iteratorINS7_INS6_11hip_rocprim26transform_input_iterator_tIbNSD_35transform_pair_of_input_iterators_tIbNS6_6detail15normal_iteratorINS6_10device_ptrIKfEEEESL_NS6_8equal_toIfEEEENSG_9not_fun_tINSD_8identityEEEEENSD_19counting_iterator_tIlEES8_S8_S8_S8_S8_S8_S8_S8_EEEEPS9_S9_NSD_9__find_if7functorIS9_EEEE10hipError_tPvRmT1_T2_T3_mT4_P12ihipStream_tbEUlT_E0_NS1_11comp_targetILNS1_3genE0ELNS1_11target_archE4294967295ELNS1_3gpuE0ELNS1_3repE0EEENS1_30default_config_static_selectorELNS0_4arch9wavefront6targetE1EEEvS14_,comdat
.Lfunc_end447:
	.size	_ZN7rocprim17ROCPRIM_400000_NS6detail17trampoline_kernelINS0_14default_configENS1_22reduce_config_selectorIN6thrust23THRUST_200600_302600_NS5tupleIblNS6_9null_typeES8_S8_S8_S8_S8_S8_S8_EEEEZNS1_11reduce_implILb1ES3_NS6_12zip_iteratorINS7_INS6_11hip_rocprim26transform_input_iterator_tIbNSD_35transform_pair_of_input_iterators_tIbNS6_6detail15normal_iteratorINS6_10device_ptrIKfEEEESL_NS6_8equal_toIfEEEENSG_9not_fun_tINSD_8identityEEEEENSD_19counting_iterator_tIlEES8_S8_S8_S8_S8_S8_S8_S8_EEEEPS9_S9_NSD_9__find_if7functorIS9_EEEE10hipError_tPvRmT1_T2_T3_mT4_P12ihipStream_tbEUlT_E0_NS1_11comp_targetILNS1_3genE0ELNS1_11target_archE4294967295ELNS1_3gpuE0ELNS1_3repE0EEENS1_30default_config_static_selectorELNS0_4arch9wavefront6targetE1EEEvS14_, .Lfunc_end447-_ZN7rocprim17ROCPRIM_400000_NS6detail17trampoline_kernelINS0_14default_configENS1_22reduce_config_selectorIN6thrust23THRUST_200600_302600_NS5tupleIblNS6_9null_typeES8_S8_S8_S8_S8_S8_S8_EEEEZNS1_11reduce_implILb1ES3_NS6_12zip_iteratorINS7_INS6_11hip_rocprim26transform_input_iterator_tIbNSD_35transform_pair_of_input_iterators_tIbNS6_6detail15normal_iteratorINS6_10device_ptrIKfEEEESL_NS6_8equal_toIfEEEENSG_9not_fun_tINSD_8identityEEEEENSD_19counting_iterator_tIlEES8_S8_S8_S8_S8_S8_S8_S8_EEEEPS9_S9_NSD_9__find_if7functorIS9_EEEE10hipError_tPvRmT1_T2_T3_mT4_P12ihipStream_tbEUlT_E0_NS1_11comp_targetILNS1_3genE0ELNS1_11target_archE4294967295ELNS1_3gpuE0ELNS1_3repE0EEENS1_30default_config_static_selectorELNS0_4arch9wavefront6targetE1EEEvS14_
                                        ; -- End function
	.set _ZN7rocprim17ROCPRIM_400000_NS6detail17trampoline_kernelINS0_14default_configENS1_22reduce_config_selectorIN6thrust23THRUST_200600_302600_NS5tupleIblNS6_9null_typeES8_S8_S8_S8_S8_S8_S8_EEEEZNS1_11reduce_implILb1ES3_NS6_12zip_iteratorINS7_INS6_11hip_rocprim26transform_input_iterator_tIbNSD_35transform_pair_of_input_iterators_tIbNS6_6detail15normal_iteratorINS6_10device_ptrIKfEEEESL_NS6_8equal_toIfEEEENSG_9not_fun_tINSD_8identityEEEEENSD_19counting_iterator_tIlEES8_S8_S8_S8_S8_S8_S8_S8_EEEEPS9_S9_NSD_9__find_if7functorIS9_EEEE10hipError_tPvRmT1_T2_T3_mT4_P12ihipStream_tbEUlT_E0_NS1_11comp_targetILNS1_3genE0ELNS1_11target_archE4294967295ELNS1_3gpuE0ELNS1_3repE0EEENS1_30default_config_static_selectorELNS0_4arch9wavefront6targetE1EEEvS14_.num_vgpr, 0
	.set _ZN7rocprim17ROCPRIM_400000_NS6detail17trampoline_kernelINS0_14default_configENS1_22reduce_config_selectorIN6thrust23THRUST_200600_302600_NS5tupleIblNS6_9null_typeES8_S8_S8_S8_S8_S8_S8_EEEEZNS1_11reduce_implILb1ES3_NS6_12zip_iteratorINS7_INS6_11hip_rocprim26transform_input_iterator_tIbNSD_35transform_pair_of_input_iterators_tIbNS6_6detail15normal_iteratorINS6_10device_ptrIKfEEEESL_NS6_8equal_toIfEEEENSG_9not_fun_tINSD_8identityEEEEENSD_19counting_iterator_tIlEES8_S8_S8_S8_S8_S8_S8_S8_EEEEPS9_S9_NSD_9__find_if7functorIS9_EEEE10hipError_tPvRmT1_T2_T3_mT4_P12ihipStream_tbEUlT_E0_NS1_11comp_targetILNS1_3genE0ELNS1_11target_archE4294967295ELNS1_3gpuE0ELNS1_3repE0EEENS1_30default_config_static_selectorELNS0_4arch9wavefront6targetE1EEEvS14_.num_agpr, 0
	.set _ZN7rocprim17ROCPRIM_400000_NS6detail17trampoline_kernelINS0_14default_configENS1_22reduce_config_selectorIN6thrust23THRUST_200600_302600_NS5tupleIblNS6_9null_typeES8_S8_S8_S8_S8_S8_S8_EEEEZNS1_11reduce_implILb1ES3_NS6_12zip_iteratorINS7_INS6_11hip_rocprim26transform_input_iterator_tIbNSD_35transform_pair_of_input_iterators_tIbNS6_6detail15normal_iteratorINS6_10device_ptrIKfEEEESL_NS6_8equal_toIfEEEENSG_9not_fun_tINSD_8identityEEEEENSD_19counting_iterator_tIlEES8_S8_S8_S8_S8_S8_S8_S8_EEEEPS9_S9_NSD_9__find_if7functorIS9_EEEE10hipError_tPvRmT1_T2_T3_mT4_P12ihipStream_tbEUlT_E0_NS1_11comp_targetILNS1_3genE0ELNS1_11target_archE4294967295ELNS1_3gpuE0ELNS1_3repE0EEENS1_30default_config_static_selectorELNS0_4arch9wavefront6targetE1EEEvS14_.numbered_sgpr, 0
	.set _ZN7rocprim17ROCPRIM_400000_NS6detail17trampoline_kernelINS0_14default_configENS1_22reduce_config_selectorIN6thrust23THRUST_200600_302600_NS5tupleIblNS6_9null_typeES8_S8_S8_S8_S8_S8_S8_EEEEZNS1_11reduce_implILb1ES3_NS6_12zip_iteratorINS7_INS6_11hip_rocprim26transform_input_iterator_tIbNSD_35transform_pair_of_input_iterators_tIbNS6_6detail15normal_iteratorINS6_10device_ptrIKfEEEESL_NS6_8equal_toIfEEEENSG_9not_fun_tINSD_8identityEEEEENSD_19counting_iterator_tIlEES8_S8_S8_S8_S8_S8_S8_S8_EEEEPS9_S9_NSD_9__find_if7functorIS9_EEEE10hipError_tPvRmT1_T2_T3_mT4_P12ihipStream_tbEUlT_E0_NS1_11comp_targetILNS1_3genE0ELNS1_11target_archE4294967295ELNS1_3gpuE0ELNS1_3repE0EEENS1_30default_config_static_selectorELNS0_4arch9wavefront6targetE1EEEvS14_.num_named_barrier, 0
	.set _ZN7rocprim17ROCPRIM_400000_NS6detail17trampoline_kernelINS0_14default_configENS1_22reduce_config_selectorIN6thrust23THRUST_200600_302600_NS5tupleIblNS6_9null_typeES8_S8_S8_S8_S8_S8_S8_EEEEZNS1_11reduce_implILb1ES3_NS6_12zip_iteratorINS7_INS6_11hip_rocprim26transform_input_iterator_tIbNSD_35transform_pair_of_input_iterators_tIbNS6_6detail15normal_iteratorINS6_10device_ptrIKfEEEESL_NS6_8equal_toIfEEEENSG_9not_fun_tINSD_8identityEEEEENSD_19counting_iterator_tIlEES8_S8_S8_S8_S8_S8_S8_S8_EEEEPS9_S9_NSD_9__find_if7functorIS9_EEEE10hipError_tPvRmT1_T2_T3_mT4_P12ihipStream_tbEUlT_E0_NS1_11comp_targetILNS1_3genE0ELNS1_11target_archE4294967295ELNS1_3gpuE0ELNS1_3repE0EEENS1_30default_config_static_selectorELNS0_4arch9wavefront6targetE1EEEvS14_.private_seg_size, 0
	.set _ZN7rocprim17ROCPRIM_400000_NS6detail17trampoline_kernelINS0_14default_configENS1_22reduce_config_selectorIN6thrust23THRUST_200600_302600_NS5tupleIblNS6_9null_typeES8_S8_S8_S8_S8_S8_S8_EEEEZNS1_11reduce_implILb1ES3_NS6_12zip_iteratorINS7_INS6_11hip_rocprim26transform_input_iterator_tIbNSD_35transform_pair_of_input_iterators_tIbNS6_6detail15normal_iteratorINS6_10device_ptrIKfEEEESL_NS6_8equal_toIfEEEENSG_9not_fun_tINSD_8identityEEEEENSD_19counting_iterator_tIlEES8_S8_S8_S8_S8_S8_S8_S8_EEEEPS9_S9_NSD_9__find_if7functorIS9_EEEE10hipError_tPvRmT1_T2_T3_mT4_P12ihipStream_tbEUlT_E0_NS1_11comp_targetILNS1_3genE0ELNS1_11target_archE4294967295ELNS1_3gpuE0ELNS1_3repE0EEENS1_30default_config_static_selectorELNS0_4arch9wavefront6targetE1EEEvS14_.uses_vcc, 0
	.set _ZN7rocprim17ROCPRIM_400000_NS6detail17trampoline_kernelINS0_14default_configENS1_22reduce_config_selectorIN6thrust23THRUST_200600_302600_NS5tupleIblNS6_9null_typeES8_S8_S8_S8_S8_S8_S8_EEEEZNS1_11reduce_implILb1ES3_NS6_12zip_iteratorINS7_INS6_11hip_rocprim26transform_input_iterator_tIbNSD_35transform_pair_of_input_iterators_tIbNS6_6detail15normal_iteratorINS6_10device_ptrIKfEEEESL_NS6_8equal_toIfEEEENSG_9not_fun_tINSD_8identityEEEEENSD_19counting_iterator_tIlEES8_S8_S8_S8_S8_S8_S8_S8_EEEEPS9_S9_NSD_9__find_if7functorIS9_EEEE10hipError_tPvRmT1_T2_T3_mT4_P12ihipStream_tbEUlT_E0_NS1_11comp_targetILNS1_3genE0ELNS1_11target_archE4294967295ELNS1_3gpuE0ELNS1_3repE0EEENS1_30default_config_static_selectorELNS0_4arch9wavefront6targetE1EEEvS14_.uses_flat_scratch, 0
	.set _ZN7rocprim17ROCPRIM_400000_NS6detail17trampoline_kernelINS0_14default_configENS1_22reduce_config_selectorIN6thrust23THRUST_200600_302600_NS5tupleIblNS6_9null_typeES8_S8_S8_S8_S8_S8_S8_EEEEZNS1_11reduce_implILb1ES3_NS6_12zip_iteratorINS7_INS6_11hip_rocprim26transform_input_iterator_tIbNSD_35transform_pair_of_input_iterators_tIbNS6_6detail15normal_iteratorINS6_10device_ptrIKfEEEESL_NS6_8equal_toIfEEEENSG_9not_fun_tINSD_8identityEEEEENSD_19counting_iterator_tIlEES8_S8_S8_S8_S8_S8_S8_S8_EEEEPS9_S9_NSD_9__find_if7functorIS9_EEEE10hipError_tPvRmT1_T2_T3_mT4_P12ihipStream_tbEUlT_E0_NS1_11comp_targetILNS1_3genE0ELNS1_11target_archE4294967295ELNS1_3gpuE0ELNS1_3repE0EEENS1_30default_config_static_selectorELNS0_4arch9wavefront6targetE1EEEvS14_.has_dyn_sized_stack, 0
	.set _ZN7rocprim17ROCPRIM_400000_NS6detail17trampoline_kernelINS0_14default_configENS1_22reduce_config_selectorIN6thrust23THRUST_200600_302600_NS5tupleIblNS6_9null_typeES8_S8_S8_S8_S8_S8_S8_EEEEZNS1_11reduce_implILb1ES3_NS6_12zip_iteratorINS7_INS6_11hip_rocprim26transform_input_iterator_tIbNSD_35transform_pair_of_input_iterators_tIbNS6_6detail15normal_iteratorINS6_10device_ptrIKfEEEESL_NS6_8equal_toIfEEEENSG_9not_fun_tINSD_8identityEEEEENSD_19counting_iterator_tIlEES8_S8_S8_S8_S8_S8_S8_S8_EEEEPS9_S9_NSD_9__find_if7functorIS9_EEEE10hipError_tPvRmT1_T2_T3_mT4_P12ihipStream_tbEUlT_E0_NS1_11comp_targetILNS1_3genE0ELNS1_11target_archE4294967295ELNS1_3gpuE0ELNS1_3repE0EEENS1_30default_config_static_selectorELNS0_4arch9wavefront6targetE1EEEvS14_.has_recursion, 0
	.set _ZN7rocprim17ROCPRIM_400000_NS6detail17trampoline_kernelINS0_14default_configENS1_22reduce_config_selectorIN6thrust23THRUST_200600_302600_NS5tupleIblNS6_9null_typeES8_S8_S8_S8_S8_S8_S8_EEEEZNS1_11reduce_implILb1ES3_NS6_12zip_iteratorINS7_INS6_11hip_rocprim26transform_input_iterator_tIbNSD_35transform_pair_of_input_iterators_tIbNS6_6detail15normal_iteratorINS6_10device_ptrIKfEEEESL_NS6_8equal_toIfEEEENSG_9not_fun_tINSD_8identityEEEEENSD_19counting_iterator_tIlEES8_S8_S8_S8_S8_S8_S8_S8_EEEEPS9_S9_NSD_9__find_if7functorIS9_EEEE10hipError_tPvRmT1_T2_T3_mT4_P12ihipStream_tbEUlT_E0_NS1_11comp_targetILNS1_3genE0ELNS1_11target_archE4294967295ELNS1_3gpuE0ELNS1_3repE0EEENS1_30default_config_static_selectorELNS0_4arch9wavefront6targetE1EEEvS14_.has_indirect_call, 0
	.section	.AMDGPU.csdata,"",@progbits
; Kernel info:
; codeLenInByte = 0
; TotalNumSgprs: 4
; NumVgprs: 0
; ScratchSize: 0
; MemoryBound: 0
; FloatMode: 240
; IeeeMode: 1
; LDSByteSize: 0 bytes/workgroup (compile time only)
; SGPRBlocks: 0
; VGPRBlocks: 0
; NumSGPRsForWavesPerEU: 4
; NumVGPRsForWavesPerEU: 1
; Occupancy: 10
; WaveLimiterHint : 0
; COMPUTE_PGM_RSRC2:SCRATCH_EN: 0
; COMPUTE_PGM_RSRC2:USER_SGPR: 6
; COMPUTE_PGM_RSRC2:TRAP_HANDLER: 0
; COMPUTE_PGM_RSRC2:TGID_X_EN: 1
; COMPUTE_PGM_RSRC2:TGID_Y_EN: 0
; COMPUTE_PGM_RSRC2:TGID_Z_EN: 0
; COMPUTE_PGM_RSRC2:TIDIG_COMP_CNT: 0
	.section	.text._ZN7rocprim17ROCPRIM_400000_NS6detail17trampoline_kernelINS0_14default_configENS1_22reduce_config_selectorIN6thrust23THRUST_200600_302600_NS5tupleIblNS6_9null_typeES8_S8_S8_S8_S8_S8_S8_EEEEZNS1_11reduce_implILb1ES3_NS6_12zip_iteratorINS7_INS6_11hip_rocprim26transform_input_iterator_tIbNSD_35transform_pair_of_input_iterators_tIbNS6_6detail15normal_iteratorINS6_10device_ptrIKfEEEESL_NS6_8equal_toIfEEEENSG_9not_fun_tINSD_8identityEEEEENSD_19counting_iterator_tIlEES8_S8_S8_S8_S8_S8_S8_S8_EEEEPS9_S9_NSD_9__find_if7functorIS9_EEEE10hipError_tPvRmT1_T2_T3_mT4_P12ihipStream_tbEUlT_E0_NS1_11comp_targetILNS1_3genE5ELNS1_11target_archE942ELNS1_3gpuE9ELNS1_3repE0EEENS1_30default_config_static_selectorELNS0_4arch9wavefront6targetE1EEEvS14_,"axG",@progbits,_ZN7rocprim17ROCPRIM_400000_NS6detail17trampoline_kernelINS0_14default_configENS1_22reduce_config_selectorIN6thrust23THRUST_200600_302600_NS5tupleIblNS6_9null_typeES8_S8_S8_S8_S8_S8_S8_EEEEZNS1_11reduce_implILb1ES3_NS6_12zip_iteratorINS7_INS6_11hip_rocprim26transform_input_iterator_tIbNSD_35transform_pair_of_input_iterators_tIbNS6_6detail15normal_iteratorINS6_10device_ptrIKfEEEESL_NS6_8equal_toIfEEEENSG_9not_fun_tINSD_8identityEEEEENSD_19counting_iterator_tIlEES8_S8_S8_S8_S8_S8_S8_S8_EEEEPS9_S9_NSD_9__find_if7functorIS9_EEEE10hipError_tPvRmT1_T2_T3_mT4_P12ihipStream_tbEUlT_E0_NS1_11comp_targetILNS1_3genE5ELNS1_11target_archE942ELNS1_3gpuE9ELNS1_3repE0EEENS1_30default_config_static_selectorELNS0_4arch9wavefront6targetE1EEEvS14_,comdat
	.protected	_ZN7rocprim17ROCPRIM_400000_NS6detail17trampoline_kernelINS0_14default_configENS1_22reduce_config_selectorIN6thrust23THRUST_200600_302600_NS5tupleIblNS6_9null_typeES8_S8_S8_S8_S8_S8_S8_EEEEZNS1_11reduce_implILb1ES3_NS6_12zip_iteratorINS7_INS6_11hip_rocprim26transform_input_iterator_tIbNSD_35transform_pair_of_input_iterators_tIbNS6_6detail15normal_iteratorINS6_10device_ptrIKfEEEESL_NS6_8equal_toIfEEEENSG_9not_fun_tINSD_8identityEEEEENSD_19counting_iterator_tIlEES8_S8_S8_S8_S8_S8_S8_S8_EEEEPS9_S9_NSD_9__find_if7functorIS9_EEEE10hipError_tPvRmT1_T2_T3_mT4_P12ihipStream_tbEUlT_E0_NS1_11comp_targetILNS1_3genE5ELNS1_11target_archE942ELNS1_3gpuE9ELNS1_3repE0EEENS1_30default_config_static_selectorELNS0_4arch9wavefront6targetE1EEEvS14_ ; -- Begin function _ZN7rocprim17ROCPRIM_400000_NS6detail17trampoline_kernelINS0_14default_configENS1_22reduce_config_selectorIN6thrust23THRUST_200600_302600_NS5tupleIblNS6_9null_typeES8_S8_S8_S8_S8_S8_S8_EEEEZNS1_11reduce_implILb1ES3_NS6_12zip_iteratorINS7_INS6_11hip_rocprim26transform_input_iterator_tIbNSD_35transform_pair_of_input_iterators_tIbNS6_6detail15normal_iteratorINS6_10device_ptrIKfEEEESL_NS6_8equal_toIfEEEENSG_9not_fun_tINSD_8identityEEEEENSD_19counting_iterator_tIlEES8_S8_S8_S8_S8_S8_S8_S8_EEEEPS9_S9_NSD_9__find_if7functorIS9_EEEE10hipError_tPvRmT1_T2_T3_mT4_P12ihipStream_tbEUlT_E0_NS1_11comp_targetILNS1_3genE5ELNS1_11target_archE942ELNS1_3gpuE9ELNS1_3repE0EEENS1_30default_config_static_selectorELNS0_4arch9wavefront6targetE1EEEvS14_
	.globl	_ZN7rocprim17ROCPRIM_400000_NS6detail17trampoline_kernelINS0_14default_configENS1_22reduce_config_selectorIN6thrust23THRUST_200600_302600_NS5tupleIblNS6_9null_typeES8_S8_S8_S8_S8_S8_S8_EEEEZNS1_11reduce_implILb1ES3_NS6_12zip_iteratorINS7_INS6_11hip_rocprim26transform_input_iterator_tIbNSD_35transform_pair_of_input_iterators_tIbNS6_6detail15normal_iteratorINS6_10device_ptrIKfEEEESL_NS6_8equal_toIfEEEENSG_9not_fun_tINSD_8identityEEEEENSD_19counting_iterator_tIlEES8_S8_S8_S8_S8_S8_S8_S8_EEEEPS9_S9_NSD_9__find_if7functorIS9_EEEE10hipError_tPvRmT1_T2_T3_mT4_P12ihipStream_tbEUlT_E0_NS1_11comp_targetILNS1_3genE5ELNS1_11target_archE942ELNS1_3gpuE9ELNS1_3repE0EEENS1_30default_config_static_selectorELNS0_4arch9wavefront6targetE1EEEvS14_
	.p2align	8
	.type	_ZN7rocprim17ROCPRIM_400000_NS6detail17trampoline_kernelINS0_14default_configENS1_22reduce_config_selectorIN6thrust23THRUST_200600_302600_NS5tupleIblNS6_9null_typeES8_S8_S8_S8_S8_S8_S8_EEEEZNS1_11reduce_implILb1ES3_NS6_12zip_iteratorINS7_INS6_11hip_rocprim26transform_input_iterator_tIbNSD_35transform_pair_of_input_iterators_tIbNS6_6detail15normal_iteratorINS6_10device_ptrIKfEEEESL_NS6_8equal_toIfEEEENSG_9not_fun_tINSD_8identityEEEEENSD_19counting_iterator_tIlEES8_S8_S8_S8_S8_S8_S8_S8_EEEEPS9_S9_NSD_9__find_if7functorIS9_EEEE10hipError_tPvRmT1_T2_T3_mT4_P12ihipStream_tbEUlT_E0_NS1_11comp_targetILNS1_3genE5ELNS1_11target_archE942ELNS1_3gpuE9ELNS1_3repE0EEENS1_30default_config_static_selectorELNS0_4arch9wavefront6targetE1EEEvS14_,@function
_ZN7rocprim17ROCPRIM_400000_NS6detail17trampoline_kernelINS0_14default_configENS1_22reduce_config_selectorIN6thrust23THRUST_200600_302600_NS5tupleIblNS6_9null_typeES8_S8_S8_S8_S8_S8_S8_EEEEZNS1_11reduce_implILb1ES3_NS6_12zip_iteratorINS7_INS6_11hip_rocprim26transform_input_iterator_tIbNSD_35transform_pair_of_input_iterators_tIbNS6_6detail15normal_iteratorINS6_10device_ptrIKfEEEESL_NS6_8equal_toIfEEEENSG_9not_fun_tINSD_8identityEEEEENSD_19counting_iterator_tIlEES8_S8_S8_S8_S8_S8_S8_S8_EEEEPS9_S9_NSD_9__find_if7functorIS9_EEEE10hipError_tPvRmT1_T2_T3_mT4_P12ihipStream_tbEUlT_E0_NS1_11comp_targetILNS1_3genE5ELNS1_11target_archE942ELNS1_3gpuE9ELNS1_3repE0EEENS1_30default_config_static_selectorELNS0_4arch9wavefront6targetE1EEEvS14_: ; @_ZN7rocprim17ROCPRIM_400000_NS6detail17trampoline_kernelINS0_14default_configENS1_22reduce_config_selectorIN6thrust23THRUST_200600_302600_NS5tupleIblNS6_9null_typeES8_S8_S8_S8_S8_S8_S8_EEEEZNS1_11reduce_implILb1ES3_NS6_12zip_iteratorINS7_INS6_11hip_rocprim26transform_input_iterator_tIbNSD_35transform_pair_of_input_iterators_tIbNS6_6detail15normal_iteratorINS6_10device_ptrIKfEEEESL_NS6_8equal_toIfEEEENSG_9not_fun_tINSD_8identityEEEEENSD_19counting_iterator_tIlEES8_S8_S8_S8_S8_S8_S8_S8_EEEEPS9_S9_NSD_9__find_if7functorIS9_EEEE10hipError_tPvRmT1_T2_T3_mT4_P12ihipStream_tbEUlT_E0_NS1_11comp_targetILNS1_3genE5ELNS1_11target_archE942ELNS1_3gpuE9ELNS1_3repE0EEENS1_30default_config_static_selectorELNS0_4arch9wavefront6targetE1EEEvS14_
; %bb.0:
	.section	.rodata,"a",@progbits
	.p2align	6, 0x0
	.amdhsa_kernel _ZN7rocprim17ROCPRIM_400000_NS6detail17trampoline_kernelINS0_14default_configENS1_22reduce_config_selectorIN6thrust23THRUST_200600_302600_NS5tupleIblNS6_9null_typeES8_S8_S8_S8_S8_S8_S8_EEEEZNS1_11reduce_implILb1ES3_NS6_12zip_iteratorINS7_INS6_11hip_rocprim26transform_input_iterator_tIbNSD_35transform_pair_of_input_iterators_tIbNS6_6detail15normal_iteratorINS6_10device_ptrIKfEEEESL_NS6_8equal_toIfEEEENSG_9not_fun_tINSD_8identityEEEEENSD_19counting_iterator_tIlEES8_S8_S8_S8_S8_S8_S8_S8_EEEEPS9_S9_NSD_9__find_if7functorIS9_EEEE10hipError_tPvRmT1_T2_T3_mT4_P12ihipStream_tbEUlT_E0_NS1_11comp_targetILNS1_3genE5ELNS1_11target_archE942ELNS1_3gpuE9ELNS1_3repE0EEENS1_30default_config_static_selectorELNS0_4arch9wavefront6targetE1EEEvS14_
		.amdhsa_group_segment_fixed_size 0
		.amdhsa_private_segment_fixed_size 0
		.amdhsa_kernarg_size 104
		.amdhsa_user_sgpr_count 6
		.amdhsa_user_sgpr_private_segment_buffer 1
		.amdhsa_user_sgpr_dispatch_ptr 0
		.amdhsa_user_sgpr_queue_ptr 0
		.amdhsa_user_sgpr_kernarg_segment_ptr 1
		.amdhsa_user_sgpr_dispatch_id 0
		.amdhsa_user_sgpr_flat_scratch_init 0
		.amdhsa_user_sgpr_private_segment_size 0
		.amdhsa_uses_dynamic_stack 0
		.amdhsa_system_sgpr_private_segment_wavefront_offset 0
		.amdhsa_system_sgpr_workgroup_id_x 1
		.amdhsa_system_sgpr_workgroup_id_y 0
		.amdhsa_system_sgpr_workgroup_id_z 0
		.amdhsa_system_sgpr_workgroup_info 0
		.amdhsa_system_vgpr_workitem_id 0
		.amdhsa_next_free_vgpr 1
		.amdhsa_next_free_sgpr 0
		.amdhsa_reserve_vcc 0
		.amdhsa_reserve_flat_scratch 0
		.amdhsa_float_round_mode_32 0
		.amdhsa_float_round_mode_16_64 0
		.amdhsa_float_denorm_mode_32 3
		.amdhsa_float_denorm_mode_16_64 3
		.amdhsa_dx10_clamp 1
		.amdhsa_ieee_mode 1
		.amdhsa_fp16_overflow 0
		.amdhsa_exception_fp_ieee_invalid_op 0
		.amdhsa_exception_fp_denorm_src 0
		.amdhsa_exception_fp_ieee_div_zero 0
		.amdhsa_exception_fp_ieee_overflow 0
		.amdhsa_exception_fp_ieee_underflow 0
		.amdhsa_exception_fp_ieee_inexact 0
		.amdhsa_exception_int_div_zero 0
	.end_amdhsa_kernel
	.section	.text._ZN7rocprim17ROCPRIM_400000_NS6detail17trampoline_kernelINS0_14default_configENS1_22reduce_config_selectorIN6thrust23THRUST_200600_302600_NS5tupleIblNS6_9null_typeES8_S8_S8_S8_S8_S8_S8_EEEEZNS1_11reduce_implILb1ES3_NS6_12zip_iteratorINS7_INS6_11hip_rocprim26transform_input_iterator_tIbNSD_35transform_pair_of_input_iterators_tIbNS6_6detail15normal_iteratorINS6_10device_ptrIKfEEEESL_NS6_8equal_toIfEEEENSG_9not_fun_tINSD_8identityEEEEENSD_19counting_iterator_tIlEES8_S8_S8_S8_S8_S8_S8_S8_EEEEPS9_S9_NSD_9__find_if7functorIS9_EEEE10hipError_tPvRmT1_T2_T3_mT4_P12ihipStream_tbEUlT_E0_NS1_11comp_targetILNS1_3genE5ELNS1_11target_archE942ELNS1_3gpuE9ELNS1_3repE0EEENS1_30default_config_static_selectorELNS0_4arch9wavefront6targetE1EEEvS14_,"axG",@progbits,_ZN7rocprim17ROCPRIM_400000_NS6detail17trampoline_kernelINS0_14default_configENS1_22reduce_config_selectorIN6thrust23THRUST_200600_302600_NS5tupleIblNS6_9null_typeES8_S8_S8_S8_S8_S8_S8_EEEEZNS1_11reduce_implILb1ES3_NS6_12zip_iteratorINS7_INS6_11hip_rocprim26transform_input_iterator_tIbNSD_35transform_pair_of_input_iterators_tIbNS6_6detail15normal_iteratorINS6_10device_ptrIKfEEEESL_NS6_8equal_toIfEEEENSG_9not_fun_tINSD_8identityEEEEENSD_19counting_iterator_tIlEES8_S8_S8_S8_S8_S8_S8_S8_EEEEPS9_S9_NSD_9__find_if7functorIS9_EEEE10hipError_tPvRmT1_T2_T3_mT4_P12ihipStream_tbEUlT_E0_NS1_11comp_targetILNS1_3genE5ELNS1_11target_archE942ELNS1_3gpuE9ELNS1_3repE0EEENS1_30default_config_static_selectorELNS0_4arch9wavefront6targetE1EEEvS14_,comdat
.Lfunc_end448:
	.size	_ZN7rocprim17ROCPRIM_400000_NS6detail17trampoline_kernelINS0_14default_configENS1_22reduce_config_selectorIN6thrust23THRUST_200600_302600_NS5tupleIblNS6_9null_typeES8_S8_S8_S8_S8_S8_S8_EEEEZNS1_11reduce_implILb1ES3_NS6_12zip_iteratorINS7_INS6_11hip_rocprim26transform_input_iterator_tIbNSD_35transform_pair_of_input_iterators_tIbNS6_6detail15normal_iteratorINS6_10device_ptrIKfEEEESL_NS6_8equal_toIfEEEENSG_9not_fun_tINSD_8identityEEEEENSD_19counting_iterator_tIlEES8_S8_S8_S8_S8_S8_S8_S8_EEEEPS9_S9_NSD_9__find_if7functorIS9_EEEE10hipError_tPvRmT1_T2_T3_mT4_P12ihipStream_tbEUlT_E0_NS1_11comp_targetILNS1_3genE5ELNS1_11target_archE942ELNS1_3gpuE9ELNS1_3repE0EEENS1_30default_config_static_selectorELNS0_4arch9wavefront6targetE1EEEvS14_, .Lfunc_end448-_ZN7rocprim17ROCPRIM_400000_NS6detail17trampoline_kernelINS0_14default_configENS1_22reduce_config_selectorIN6thrust23THRUST_200600_302600_NS5tupleIblNS6_9null_typeES8_S8_S8_S8_S8_S8_S8_EEEEZNS1_11reduce_implILb1ES3_NS6_12zip_iteratorINS7_INS6_11hip_rocprim26transform_input_iterator_tIbNSD_35transform_pair_of_input_iterators_tIbNS6_6detail15normal_iteratorINS6_10device_ptrIKfEEEESL_NS6_8equal_toIfEEEENSG_9not_fun_tINSD_8identityEEEEENSD_19counting_iterator_tIlEES8_S8_S8_S8_S8_S8_S8_S8_EEEEPS9_S9_NSD_9__find_if7functorIS9_EEEE10hipError_tPvRmT1_T2_T3_mT4_P12ihipStream_tbEUlT_E0_NS1_11comp_targetILNS1_3genE5ELNS1_11target_archE942ELNS1_3gpuE9ELNS1_3repE0EEENS1_30default_config_static_selectorELNS0_4arch9wavefront6targetE1EEEvS14_
                                        ; -- End function
	.set _ZN7rocprim17ROCPRIM_400000_NS6detail17trampoline_kernelINS0_14default_configENS1_22reduce_config_selectorIN6thrust23THRUST_200600_302600_NS5tupleIblNS6_9null_typeES8_S8_S8_S8_S8_S8_S8_EEEEZNS1_11reduce_implILb1ES3_NS6_12zip_iteratorINS7_INS6_11hip_rocprim26transform_input_iterator_tIbNSD_35transform_pair_of_input_iterators_tIbNS6_6detail15normal_iteratorINS6_10device_ptrIKfEEEESL_NS6_8equal_toIfEEEENSG_9not_fun_tINSD_8identityEEEEENSD_19counting_iterator_tIlEES8_S8_S8_S8_S8_S8_S8_S8_EEEEPS9_S9_NSD_9__find_if7functorIS9_EEEE10hipError_tPvRmT1_T2_T3_mT4_P12ihipStream_tbEUlT_E0_NS1_11comp_targetILNS1_3genE5ELNS1_11target_archE942ELNS1_3gpuE9ELNS1_3repE0EEENS1_30default_config_static_selectorELNS0_4arch9wavefront6targetE1EEEvS14_.num_vgpr, 0
	.set _ZN7rocprim17ROCPRIM_400000_NS6detail17trampoline_kernelINS0_14default_configENS1_22reduce_config_selectorIN6thrust23THRUST_200600_302600_NS5tupleIblNS6_9null_typeES8_S8_S8_S8_S8_S8_S8_EEEEZNS1_11reduce_implILb1ES3_NS6_12zip_iteratorINS7_INS6_11hip_rocprim26transform_input_iterator_tIbNSD_35transform_pair_of_input_iterators_tIbNS6_6detail15normal_iteratorINS6_10device_ptrIKfEEEESL_NS6_8equal_toIfEEEENSG_9not_fun_tINSD_8identityEEEEENSD_19counting_iterator_tIlEES8_S8_S8_S8_S8_S8_S8_S8_EEEEPS9_S9_NSD_9__find_if7functorIS9_EEEE10hipError_tPvRmT1_T2_T3_mT4_P12ihipStream_tbEUlT_E0_NS1_11comp_targetILNS1_3genE5ELNS1_11target_archE942ELNS1_3gpuE9ELNS1_3repE0EEENS1_30default_config_static_selectorELNS0_4arch9wavefront6targetE1EEEvS14_.num_agpr, 0
	.set _ZN7rocprim17ROCPRIM_400000_NS6detail17trampoline_kernelINS0_14default_configENS1_22reduce_config_selectorIN6thrust23THRUST_200600_302600_NS5tupleIblNS6_9null_typeES8_S8_S8_S8_S8_S8_S8_EEEEZNS1_11reduce_implILb1ES3_NS6_12zip_iteratorINS7_INS6_11hip_rocprim26transform_input_iterator_tIbNSD_35transform_pair_of_input_iterators_tIbNS6_6detail15normal_iteratorINS6_10device_ptrIKfEEEESL_NS6_8equal_toIfEEEENSG_9not_fun_tINSD_8identityEEEEENSD_19counting_iterator_tIlEES8_S8_S8_S8_S8_S8_S8_S8_EEEEPS9_S9_NSD_9__find_if7functorIS9_EEEE10hipError_tPvRmT1_T2_T3_mT4_P12ihipStream_tbEUlT_E0_NS1_11comp_targetILNS1_3genE5ELNS1_11target_archE942ELNS1_3gpuE9ELNS1_3repE0EEENS1_30default_config_static_selectorELNS0_4arch9wavefront6targetE1EEEvS14_.numbered_sgpr, 0
	.set _ZN7rocprim17ROCPRIM_400000_NS6detail17trampoline_kernelINS0_14default_configENS1_22reduce_config_selectorIN6thrust23THRUST_200600_302600_NS5tupleIblNS6_9null_typeES8_S8_S8_S8_S8_S8_S8_EEEEZNS1_11reduce_implILb1ES3_NS6_12zip_iteratorINS7_INS6_11hip_rocprim26transform_input_iterator_tIbNSD_35transform_pair_of_input_iterators_tIbNS6_6detail15normal_iteratorINS6_10device_ptrIKfEEEESL_NS6_8equal_toIfEEEENSG_9not_fun_tINSD_8identityEEEEENSD_19counting_iterator_tIlEES8_S8_S8_S8_S8_S8_S8_S8_EEEEPS9_S9_NSD_9__find_if7functorIS9_EEEE10hipError_tPvRmT1_T2_T3_mT4_P12ihipStream_tbEUlT_E0_NS1_11comp_targetILNS1_3genE5ELNS1_11target_archE942ELNS1_3gpuE9ELNS1_3repE0EEENS1_30default_config_static_selectorELNS0_4arch9wavefront6targetE1EEEvS14_.num_named_barrier, 0
	.set _ZN7rocprim17ROCPRIM_400000_NS6detail17trampoline_kernelINS0_14default_configENS1_22reduce_config_selectorIN6thrust23THRUST_200600_302600_NS5tupleIblNS6_9null_typeES8_S8_S8_S8_S8_S8_S8_EEEEZNS1_11reduce_implILb1ES3_NS6_12zip_iteratorINS7_INS6_11hip_rocprim26transform_input_iterator_tIbNSD_35transform_pair_of_input_iterators_tIbNS6_6detail15normal_iteratorINS6_10device_ptrIKfEEEESL_NS6_8equal_toIfEEEENSG_9not_fun_tINSD_8identityEEEEENSD_19counting_iterator_tIlEES8_S8_S8_S8_S8_S8_S8_S8_EEEEPS9_S9_NSD_9__find_if7functorIS9_EEEE10hipError_tPvRmT1_T2_T3_mT4_P12ihipStream_tbEUlT_E0_NS1_11comp_targetILNS1_3genE5ELNS1_11target_archE942ELNS1_3gpuE9ELNS1_3repE0EEENS1_30default_config_static_selectorELNS0_4arch9wavefront6targetE1EEEvS14_.private_seg_size, 0
	.set _ZN7rocprim17ROCPRIM_400000_NS6detail17trampoline_kernelINS0_14default_configENS1_22reduce_config_selectorIN6thrust23THRUST_200600_302600_NS5tupleIblNS6_9null_typeES8_S8_S8_S8_S8_S8_S8_EEEEZNS1_11reduce_implILb1ES3_NS6_12zip_iteratorINS7_INS6_11hip_rocprim26transform_input_iterator_tIbNSD_35transform_pair_of_input_iterators_tIbNS6_6detail15normal_iteratorINS6_10device_ptrIKfEEEESL_NS6_8equal_toIfEEEENSG_9not_fun_tINSD_8identityEEEEENSD_19counting_iterator_tIlEES8_S8_S8_S8_S8_S8_S8_S8_EEEEPS9_S9_NSD_9__find_if7functorIS9_EEEE10hipError_tPvRmT1_T2_T3_mT4_P12ihipStream_tbEUlT_E0_NS1_11comp_targetILNS1_3genE5ELNS1_11target_archE942ELNS1_3gpuE9ELNS1_3repE0EEENS1_30default_config_static_selectorELNS0_4arch9wavefront6targetE1EEEvS14_.uses_vcc, 0
	.set _ZN7rocprim17ROCPRIM_400000_NS6detail17trampoline_kernelINS0_14default_configENS1_22reduce_config_selectorIN6thrust23THRUST_200600_302600_NS5tupleIblNS6_9null_typeES8_S8_S8_S8_S8_S8_S8_EEEEZNS1_11reduce_implILb1ES3_NS6_12zip_iteratorINS7_INS6_11hip_rocprim26transform_input_iterator_tIbNSD_35transform_pair_of_input_iterators_tIbNS6_6detail15normal_iteratorINS6_10device_ptrIKfEEEESL_NS6_8equal_toIfEEEENSG_9not_fun_tINSD_8identityEEEEENSD_19counting_iterator_tIlEES8_S8_S8_S8_S8_S8_S8_S8_EEEEPS9_S9_NSD_9__find_if7functorIS9_EEEE10hipError_tPvRmT1_T2_T3_mT4_P12ihipStream_tbEUlT_E0_NS1_11comp_targetILNS1_3genE5ELNS1_11target_archE942ELNS1_3gpuE9ELNS1_3repE0EEENS1_30default_config_static_selectorELNS0_4arch9wavefront6targetE1EEEvS14_.uses_flat_scratch, 0
	.set _ZN7rocprim17ROCPRIM_400000_NS6detail17trampoline_kernelINS0_14default_configENS1_22reduce_config_selectorIN6thrust23THRUST_200600_302600_NS5tupleIblNS6_9null_typeES8_S8_S8_S8_S8_S8_S8_EEEEZNS1_11reduce_implILb1ES3_NS6_12zip_iteratorINS7_INS6_11hip_rocprim26transform_input_iterator_tIbNSD_35transform_pair_of_input_iterators_tIbNS6_6detail15normal_iteratorINS6_10device_ptrIKfEEEESL_NS6_8equal_toIfEEEENSG_9not_fun_tINSD_8identityEEEEENSD_19counting_iterator_tIlEES8_S8_S8_S8_S8_S8_S8_S8_EEEEPS9_S9_NSD_9__find_if7functorIS9_EEEE10hipError_tPvRmT1_T2_T3_mT4_P12ihipStream_tbEUlT_E0_NS1_11comp_targetILNS1_3genE5ELNS1_11target_archE942ELNS1_3gpuE9ELNS1_3repE0EEENS1_30default_config_static_selectorELNS0_4arch9wavefront6targetE1EEEvS14_.has_dyn_sized_stack, 0
	.set _ZN7rocprim17ROCPRIM_400000_NS6detail17trampoline_kernelINS0_14default_configENS1_22reduce_config_selectorIN6thrust23THRUST_200600_302600_NS5tupleIblNS6_9null_typeES8_S8_S8_S8_S8_S8_S8_EEEEZNS1_11reduce_implILb1ES3_NS6_12zip_iteratorINS7_INS6_11hip_rocprim26transform_input_iterator_tIbNSD_35transform_pair_of_input_iterators_tIbNS6_6detail15normal_iteratorINS6_10device_ptrIKfEEEESL_NS6_8equal_toIfEEEENSG_9not_fun_tINSD_8identityEEEEENSD_19counting_iterator_tIlEES8_S8_S8_S8_S8_S8_S8_S8_EEEEPS9_S9_NSD_9__find_if7functorIS9_EEEE10hipError_tPvRmT1_T2_T3_mT4_P12ihipStream_tbEUlT_E0_NS1_11comp_targetILNS1_3genE5ELNS1_11target_archE942ELNS1_3gpuE9ELNS1_3repE0EEENS1_30default_config_static_selectorELNS0_4arch9wavefront6targetE1EEEvS14_.has_recursion, 0
	.set _ZN7rocprim17ROCPRIM_400000_NS6detail17trampoline_kernelINS0_14default_configENS1_22reduce_config_selectorIN6thrust23THRUST_200600_302600_NS5tupleIblNS6_9null_typeES8_S8_S8_S8_S8_S8_S8_EEEEZNS1_11reduce_implILb1ES3_NS6_12zip_iteratorINS7_INS6_11hip_rocprim26transform_input_iterator_tIbNSD_35transform_pair_of_input_iterators_tIbNS6_6detail15normal_iteratorINS6_10device_ptrIKfEEEESL_NS6_8equal_toIfEEEENSG_9not_fun_tINSD_8identityEEEEENSD_19counting_iterator_tIlEES8_S8_S8_S8_S8_S8_S8_S8_EEEEPS9_S9_NSD_9__find_if7functorIS9_EEEE10hipError_tPvRmT1_T2_T3_mT4_P12ihipStream_tbEUlT_E0_NS1_11comp_targetILNS1_3genE5ELNS1_11target_archE942ELNS1_3gpuE9ELNS1_3repE0EEENS1_30default_config_static_selectorELNS0_4arch9wavefront6targetE1EEEvS14_.has_indirect_call, 0
	.section	.AMDGPU.csdata,"",@progbits
; Kernel info:
; codeLenInByte = 0
; TotalNumSgprs: 4
; NumVgprs: 0
; ScratchSize: 0
; MemoryBound: 0
; FloatMode: 240
; IeeeMode: 1
; LDSByteSize: 0 bytes/workgroup (compile time only)
; SGPRBlocks: 0
; VGPRBlocks: 0
; NumSGPRsForWavesPerEU: 4
; NumVGPRsForWavesPerEU: 1
; Occupancy: 10
; WaveLimiterHint : 0
; COMPUTE_PGM_RSRC2:SCRATCH_EN: 0
; COMPUTE_PGM_RSRC2:USER_SGPR: 6
; COMPUTE_PGM_RSRC2:TRAP_HANDLER: 0
; COMPUTE_PGM_RSRC2:TGID_X_EN: 1
; COMPUTE_PGM_RSRC2:TGID_Y_EN: 0
; COMPUTE_PGM_RSRC2:TGID_Z_EN: 0
; COMPUTE_PGM_RSRC2:TIDIG_COMP_CNT: 0
	.section	.text._ZN7rocprim17ROCPRIM_400000_NS6detail17trampoline_kernelINS0_14default_configENS1_22reduce_config_selectorIN6thrust23THRUST_200600_302600_NS5tupleIblNS6_9null_typeES8_S8_S8_S8_S8_S8_S8_EEEEZNS1_11reduce_implILb1ES3_NS6_12zip_iteratorINS7_INS6_11hip_rocprim26transform_input_iterator_tIbNSD_35transform_pair_of_input_iterators_tIbNS6_6detail15normal_iteratorINS6_10device_ptrIKfEEEESL_NS6_8equal_toIfEEEENSG_9not_fun_tINSD_8identityEEEEENSD_19counting_iterator_tIlEES8_S8_S8_S8_S8_S8_S8_S8_EEEEPS9_S9_NSD_9__find_if7functorIS9_EEEE10hipError_tPvRmT1_T2_T3_mT4_P12ihipStream_tbEUlT_E0_NS1_11comp_targetILNS1_3genE4ELNS1_11target_archE910ELNS1_3gpuE8ELNS1_3repE0EEENS1_30default_config_static_selectorELNS0_4arch9wavefront6targetE1EEEvS14_,"axG",@progbits,_ZN7rocprim17ROCPRIM_400000_NS6detail17trampoline_kernelINS0_14default_configENS1_22reduce_config_selectorIN6thrust23THRUST_200600_302600_NS5tupleIblNS6_9null_typeES8_S8_S8_S8_S8_S8_S8_EEEEZNS1_11reduce_implILb1ES3_NS6_12zip_iteratorINS7_INS6_11hip_rocprim26transform_input_iterator_tIbNSD_35transform_pair_of_input_iterators_tIbNS6_6detail15normal_iteratorINS6_10device_ptrIKfEEEESL_NS6_8equal_toIfEEEENSG_9not_fun_tINSD_8identityEEEEENSD_19counting_iterator_tIlEES8_S8_S8_S8_S8_S8_S8_S8_EEEEPS9_S9_NSD_9__find_if7functorIS9_EEEE10hipError_tPvRmT1_T2_T3_mT4_P12ihipStream_tbEUlT_E0_NS1_11comp_targetILNS1_3genE4ELNS1_11target_archE910ELNS1_3gpuE8ELNS1_3repE0EEENS1_30default_config_static_selectorELNS0_4arch9wavefront6targetE1EEEvS14_,comdat
	.protected	_ZN7rocprim17ROCPRIM_400000_NS6detail17trampoline_kernelINS0_14default_configENS1_22reduce_config_selectorIN6thrust23THRUST_200600_302600_NS5tupleIblNS6_9null_typeES8_S8_S8_S8_S8_S8_S8_EEEEZNS1_11reduce_implILb1ES3_NS6_12zip_iteratorINS7_INS6_11hip_rocprim26transform_input_iterator_tIbNSD_35transform_pair_of_input_iterators_tIbNS6_6detail15normal_iteratorINS6_10device_ptrIKfEEEESL_NS6_8equal_toIfEEEENSG_9not_fun_tINSD_8identityEEEEENSD_19counting_iterator_tIlEES8_S8_S8_S8_S8_S8_S8_S8_EEEEPS9_S9_NSD_9__find_if7functorIS9_EEEE10hipError_tPvRmT1_T2_T3_mT4_P12ihipStream_tbEUlT_E0_NS1_11comp_targetILNS1_3genE4ELNS1_11target_archE910ELNS1_3gpuE8ELNS1_3repE0EEENS1_30default_config_static_selectorELNS0_4arch9wavefront6targetE1EEEvS14_ ; -- Begin function _ZN7rocprim17ROCPRIM_400000_NS6detail17trampoline_kernelINS0_14default_configENS1_22reduce_config_selectorIN6thrust23THRUST_200600_302600_NS5tupleIblNS6_9null_typeES8_S8_S8_S8_S8_S8_S8_EEEEZNS1_11reduce_implILb1ES3_NS6_12zip_iteratorINS7_INS6_11hip_rocprim26transform_input_iterator_tIbNSD_35transform_pair_of_input_iterators_tIbNS6_6detail15normal_iteratorINS6_10device_ptrIKfEEEESL_NS6_8equal_toIfEEEENSG_9not_fun_tINSD_8identityEEEEENSD_19counting_iterator_tIlEES8_S8_S8_S8_S8_S8_S8_S8_EEEEPS9_S9_NSD_9__find_if7functorIS9_EEEE10hipError_tPvRmT1_T2_T3_mT4_P12ihipStream_tbEUlT_E0_NS1_11comp_targetILNS1_3genE4ELNS1_11target_archE910ELNS1_3gpuE8ELNS1_3repE0EEENS1_30default_config_static_selectorELNS0_4arch9wavefront6targetE1EEEvS14_
	.globl	_ZN7rocprim17ROCPRIM_400000_NS6detail17trampoline_kernelINS0_14default_configENS1_22reduce_config_selectorIN6thrust23THRUST_200600_302600_NS5tupleIblNS6_9null_typeES8_S8_S8_S8_S8_S8_S8_EEEEZNS1_11reduce_implILb1ES3_NS6_12zip_iteratorINS7_INS6_11hip_rocprim26transform_input_iterator_tIbNSD_35transform_pair_of_input_iterators_tIbNS6_6detail15normal_iteratorINS6_10device_ptrIKfEEEESL_NS6_8equal_toIfEEEENSG_9not_fun_tINSD_8identityEEEEENSD_19counting_iterator_tIlEES8_S8_S8_S8_S8_S8_S8_S8_EEEEPS9_S9_NSD_9__find_if7functorIS9_EEEE10hipError_tPvRmT1_T2_T3_mT4_P12ihipStream_tbEUlT_E0_NS1_11comp_targetILNS1_3genE4ELNS1_11target_archE910ELNS1_3gpuE8ELNS1_3repE0EEENS1_30default_config_static_selectorELNS0_4arch9wavefront6targetE1EEEvS14_
	.p2align	8
	.type	_ZN7rocprim17ROCPRIM_400000_NS6detail17trampoline_kernelINS0_14default_configENS1_22reduce_config_selectorIN6thrust23THRUST_200600_302600_NS5tupleIblNS6_9null_typeES8_S8_S8_S8_S8_S8_S8_EEEEZNS1_11reduce_implILb1ES3_NS6_12zip_iteratorINS7_INS6_11hip_rocprim26transform_input_iterator_tIbNSD_35transform_pair_of_input_iterators_tIbNS6_6detail15normal_iteratorINS6_10device_ptrIKfEEEESL_NS6_8equal_toIfEEEENSG_9not_fun_tINSD_8identityEEEEENSD_19counting_iterator_tIlEES8_S8_S8_S8_S8_S8_S8_S8_EEEEPS9_S9_NSD_9__find_if7functorIS9_EEEE10hipError_tPvRmT1_T2_T3_mT4_P12ihipStream_tbEUlT_E0_NS1_11comp_targetILNS1_3genE4ELNS1_11target_archE910ELNS1_3gpuE8ELNS1_3repE0EEENS1_30default_config_static_selectorELNS0_4arch9wavefront6targetE1EEEvS14_,@function
_ZN7rocprim17ROCPRIM_400000_NS6detail17trampoline_kernelINS0_14default_configENS1_22reduce_config_selectorIN6thrust23THRUST_200600_302600_NS5tupleIblNS6_9null_typeES8_S8_S8_S8_S8_S8_S8_EEEEZNS1_11reduce_implILb1ES3_NS6_12zip_iteratorINS7_INS6_11hip_rocprim26transform_input_iterator_tIbNSD_35transform_pair_of_input_iterators_tIbNS6_6detail15normal_iteratorINS6_10device_ptrIKfEEEESL_NS6_8equal_toIfEEEENSG_9not_fun_tINSD_8identityEEEEENSD_19counting_iterator_tIlEES8_S8_S8_S8_S8_S8_S8_S8_EEEEPS9_S9_NSD_9__find_if7functorIS9_EEEE10hipError_tPvRmT1_T2_T3_mT4_P12ihipStream_tbEUlT_E0_NS1_11comp_targetILNS1_3genE4ELNS1_11target_archE910ELNS1_3gpuE8ELNS1_3repE0EEENS1_30default_config_static_selectorELNS0_4arch9wavefront6targetE1EEEvS14_: ; @_ZN7rocprim17ROCPRIM_400000_NS6detail17trampoline_kernelINS0_14default_configENS1_22reduce_config_selectorIN6thrust23THRUST_200600_302600_NS5tupleIblNS6_9null_typeES8_S8_S8_S8_S8_S8_S8_EEEEZNS1_11reduce_implILb1ES3_NS6_12zip_iteratorINS7_INS6_11hip_rocprim26transform_input_iterator_tIbNSD_35transform_pair_of_input_iterators_tIbNS6_6detail15normal_iteratorINS6_10device_ptrIKfEEEESL_NS6_8equal_toIfEEEENSG_9not_fun_tINSD_8identityEEEEENSD_19counting_iterator_tIlEES8_S8_S8_S8_S8_S8_S8_S8_EEEEPS9_S9_NSD_9__find_if7functorIS9_EEEE10hipError_tPvRmT1_T2_T3_mT4_P12ihipStream_tbEUlT_E0_NS1_11comp_targetILNS1_3genE4ELNS1_11target_archE910ELNS1_3gpuE8ELNS1_3repE0EEENS1_30default_config_static_selectorELNS0_4arch9wavefront6targetE1EEEvS14_
; %bb.0:
	.section	.rodata,"a",@progbits
	.p2align	6, 0x0
	.amdhsa_kernel _ZN7rocprim17ROCPRIM_400000_NS6detail17trampoline_kernelINS0_14default_configENS1_22reduce_config_selectorIN6thrust23THRUST_200600_302600_NS5tupleIblNS6_9null_typeES8_S8_S8_S8_S8_S8_S8_EEEEZNS1_11reduce_implILb1ES3_NS6_12zip_iteratorINS7_INS6_11hip_rocprim26transform_input_iterator_tIbNSD_35transform_pair_of_input_iterators_tIbNS6_6detail15normal_iteratorINS6_10device_ptrIKfEEEESL_NS6_8equal_toIfEEEENSG_9not_fun_tINSD_8identityEEEEENSD_19counting_iterator_tIlEES8_S8_S8_S8_S8_S8_S8_S8_EEEEPS9_S9_NSD_9__find_if7functorIS9_EEEE10hipError_tPvRmT1_T2_T3_mT4_P12ihipStream_tbEUlT_E0_NS1_11comp_targetILNS1_3genE4ELNS1_11target_archE910ELNS1_3gpuE8ELNS1_3repE0EEENS1_30default_config_static_selectorELNS0_4arch9wavefront6targetE1EEEvS14_
		.amdhsa_group_segment_fixed_size 0
		.amdhsa_private_segment_fixed_size 0
		.amdhsa_kernarg_size 104
		.amdhsa_user_sgpr_count 6
		.amdhsa_user_sgpr_private_segment_buffer 1
		.amdhsa_user_sgpr_dispatch_ptr 0
		.amdhsa_user_sgpr_queue_ptr 0
		.amdhsa_user_sgpr_kernarg_segment_ptr 1
		.amdhsa_user_sgpr_dispatch_id 0
		.amdhsa_user_sgpr_flat_scratch_init 0
		.amdhsa_user_sgpr_private_segment_size 0
		.amdhsa_uses_dynamic_stack 0
		.amdhsa_system_sgpr_private_segment_wavefront_offset 0
		.amdhsa_system_sgpr_workgroup_id_x 1
		.amdhsa_system_sgpr_workgroup_id_y 0
		.amdhsa_system_sgpr_workgroup_id_z 0
		.amdhsa_system_sgpr_workgroup_info 0
		.amdhsa_system_vgpr_workitem_id 0
		.amdhsa_next_free_vgpr 1
		.amdhsa_next_free_sgpr 0
		.amdhsa_reserve_vcc 0
		.amdhsa_reserve_flat_scratch 0
		.amdhsa_float_round_mode_32 0
		.amdhsa_float_round_mode_16_64 0
		.amdhsa_float_denorm_mode_32 3
		.amdhsa_float_denorm_mode_16_64 3
		.amdhsa_dx10_clamp 1
		.amdhsa_ieee_mode 1
		.amdhsa_fp16_overflow 0
		.amdhsa_exception_fp_ieee_invalid_op 0
		.amdhsa_exception_fp_denorm_src 0
		.amdhsa_exception_fp_ieee_div_zero 0
		.amdhsa_exception_fp_ieee_overflow 0
		.amdhsa_exception_fp_ieee_underflow 0
		.amdhsa_exception_fp_ieee_inexact 0
		.amdhsa_exception_int_div_zero 0
	.end_amdhsa_kernel
	.section	.text._ZN7rocprim17ROCPRIM_400000_NS6detail17trampoline_kernelINS0_14default_configENS1_22reduce_config_selectorIN6thrust23THRUST_200600_302600_NS5tupleIblNS6_9null_typeES8_S8_S8_S8_S8_S8_S8_EEEEZNS1_11reduce_implILb1ES3_NS6_12zip_iteratorINS7_INS6_11hip_rocprim26transform_input_iterator_tIbNSD_35transform_pair_of_input_iterators_tIbNS6_6detail15normal_iteratorINS6_10device_ptrIKfEEEESL_NS6_8equal_toIfEEEENSG_9not_fun_tINSD_8identityEEEEENSD_19counting_iterator_tIlEES8_S8_S8_S8_S8_S8_S8_S8_EEEEPS9_S9_NSD_9__find_if7functorIS9_EEEE10hipError_tPvRmT1_T2_T3_mT4_P12ihipStream_tbEUlT_E0_NS1_11comp_targetILNS1_3genE4ELNS1_11target_archE910ELNS1_3gpuE8ELNS1_3repE0EEENS1_30default_config_static_selectorELNS0_4arch9wavefront6targetE1EEEvS14_,"axG",@progbits,_ZN7rocprim17ROCPRIM_400000_NS6detail17trampoline_kernelINS0_14default_configENS1_22reduce_config_selectorIN6thrust23THRUST_200600_302600_NS5tupleIblNS6_9null_typeES8_S8_S8_S8_S8_S8_S8_EEEEZNS1_11reduce_implILb1ES3_NS6_12zip_iteratorINS7_INS6_11hip_rocprim26transform_input_iterator_tIbNSD_35transform_pair_of_input_iterators_tIbNS6_6detail15normal_iteratorINS6_10device_ptrIKfEEEESL_NS6_8equal_toIfEEEENSG_9not_fun_tINSD_8identityEEEEENSD_19counting_iterator_tIlEES8_S8_S8_S8_S8_S8_S8_S8_EEEEPS9_S9_NSD_9__find_if7functorIS9_EEEE10hipError_tPvRmT1_T2_T3_mT4_P12ihipStream_tbEUlT_E0_NS1_11comp_targetILNS1_3genE4ELNS1_11target_archE910ELNS1_3gpuE8ELNS1_3repE0EEENS1_30default_config_static_selectorELNS0_4arch9wavefront6targetE1EEEvS14_,comdat
.Lfunc_end449:
	.size	_ZN7rocprim17ROCPRIM_400000_NS6detail17trampoline_kernelINS0_14default_configENS1_22reduce_config_selectorIN6thrust23THRUST_200600_302600_NS5tupleIblNS6_9null_typeES8_S8_S8_S8_S8_S8_S8_EEEEZNS1_11reduce_implILb1ES3_NS6_12zip_iteratorINS7_INS6_11hip_rocprim26transform_input_iterator_tIbNSD_35transform_pair_of_input_iterators_tIbNS6_6detail15normal_iteratorINS6_10device_ptrIKfEEEESL_NS6_8equal_toIfEEEENSG_9not_fun_tINSD_8identityEEEEENSD_19counting_iterator_tIlEES8_S8_S8_S8_S8_S8_S8_S8_EEEEPS9_S9_NSD_9__find_if7functorIS9_EEEE10hipError_tPvRmT1_T2_T3_mT4_P12ihipStream_tbEUlT_E0_NS1_11comp_targetILNS1_3genE4ELNS1_11target_archE910ELNS1_3gpuE8ELNS1_3repE0EEENS1_30default_config_static_selectorELNS0_4arch9wavefront6targetE1EEEvS14_, .Lfunc_end449-_ZN7rocprim17ROCPRIM_400000_NS6detail17trampoline_kernelINS0_14default_configENS1_22reduce_config_selectorIN6thrust23THRUST_200600_302600_NS5tupleIblNS6_9null_typeES8_S8_S8_S8_S8_S8_S8_EEEEZNS1_11reduce_implILb1ES3_NS6_12zip_iteratorINS7_INS6_11hip_rocprim26transform_input_iterator_tIbNSD_35transform_pair_of_input_iterators_tIbNS6_6detail15normal_iteratorINS6_10device_ptrIKfEEEESL_NS6_8equal_toIfEEEENSG_9not_fun_tINSD_8identityEEEEENSD_19counting_iterator_tIlEES8_S8_S8_S8_S8_S8_S8_S8_EEEEPS9_S9_NSD_9__find_if7functorIS9_EEEE10hipError_tPvRmT1_T2_T3_mT4_P12ihipStream_tbEUlT_E0_NS1_11comp_targetILNS1_3genE4ELNS1_11target_archE910ELNS1_3gpuE8ELNS1_3repE0EEENS1_30default_config_static_selectorELNS0_4arch9wavefront6targetE1EEEvS14_
                                        ; -- End function
	.set _ZN7rocprim17ROCPRIM_400000_NS6detail17trampoline_kernelINS0_14default_configENS1_22reduce_config_selectorIN6thrust23THRUST_200600_302600_NS5tupleIblNS6_9null_typeES8_S8_S8_S8_S8_S8_S8_EEEEZNS1_11reduce_implILb1ES3_NS6_12zip_iteratorINS7_INS6_11hip_rocprim26transform_input_iterator_tIbNSD_35transform_pair_of_input_iterators_tIbNS6_6detail15normal_iteratorINS6_10device_ptrIKfEEEESL_NS6_8equal_toIfEEEENSG_9not_fun_tINSD_8identityEEEEENSD_19counting_iterator_tIlEES8_S8_S8_S8_S8_S8_S8_S8_EEEEPS9_S9_NSD_9__find_if7functorIS9_EEEE10hipError_tPvRmT1_T2_T3_mT4_P12ihipStream_tbEUlT_E0_NS1_11comp_targetILNS1_3genE4ELNS1_11target_archE910ELNS1_3gpuE8ELNS1_3repE0EEENS1_30default_config_static_selectorELNS0_4arch9wavefront6targetE1EEEvS14_.num_vgpr, 0
	.set _ZN7rocprim17ROCPRIM_400000_NS6detail17trampoline_kernelINS0_14default_configENS1_22reduce_config_selectorIN6thrust23THRUST_200600_302600_NS5tupleIblNS6_9null_typeES8_S8_S8_S8_S8_S8_S8_EEEEZNS1_11reduce_implILb1ES3_NS6_12zip_iteratorINS7_INS6_11hip_rocprim26transform_input_iterator_tIbNSD_35transform_pair_of_input_iterators_tIbNS6_6detail15normal_iteratorINS6_10device_ptrIKfEEEESL_NS6_8equal_toIfEEEENSG_9not_fun_tINSD_8identityEEEEENSD_19counting_iterator_tIlEES8_S8_S8_S8_S8_S8_S8_S8_EEEEPS9_S9_NSD_9__find_if7functorIS9_EEEE10hipError_tPvRmT1_T2_T3_mT4_P12ihipStream_tbEUlT_E0_NS1_11comp_targetILNS1_3genE4ELNS1_11target_archE910ELNS1_3gpuE8ELNS1_3repE0EEENS1_30default_config_static_selectorELNS0_4arch9wavefront6targetE1EEEvS14_.num_agpr, 0
	.set _ZN7rocprim17ROCPRIM_400000_NS6detail17trampoline_kernelINS0_14default_configENS1_22reduce_config_selectorIN6thrust23THRUST_200600_302600_NS5tupleIblNS6_9null_typeES8_S8_S8_S8_S8_S8_S8_EEEEZNS1_11reduce_implILb1ES3_NS6_12zip_iteratorINS7_INS6_11hip_rocprim26transform_input_iterator_tIbNSD_35transform_pair_of_input_iterators_tIbNS6_6detail15normal_iteratorINS6_10device_ptrIKfEEEESL_NS6_8equal_toIfEEEENSG_9not_fun_tINSD_8identityEEEEENSD_19counting_iterator_tIlEES8_S8_S8_S8_S8_S8_S8_S8_EEEEPS9_S9_NSD_9__find_if7functorIS9_EEEE10hipError_tPvRmT1_T2_T3_mT4_P12ihipStream_tbEUlT_E0_NS1_11comp_targetILNS1_3genE4ELNS1_11target_archE910ELNS1_3gpuE8ELNS1_3repE0EEENS1_30default_config_static_selectorELNS0_4arch9wavefront6targetE1EEEvS14_.numbered_sgpr, 0
	.set _ZN7rocprim17ROCPRIM_400000_NS6detail17trampoline_kernelINS0_14default_configENS1_22reduce_config_selectorIN6thrust23THRUST_200600_302600_NS5tupleIblNS6_9null_typeES8_S8_S8_S8_S8_S8_S8_EEEEZNS1_11reduce_implILb1ES3_NS6_12zip_iteratorINS7_INS6_11hip_rocprim26transform_input_iterator_tIbNSD_35transform_pair_of_input_iterators_tIbNS6_6detail15normal_iteratorINS6_10device_ptrIKfEEEESL_NS6_8equal_toIfEEEENSG_9not_fun_tINSD_8identityEEEEENSD_19counting_iterator_tIlEES8_S8_S8_S8_S8_S8_S8_S8_EEEEPS9_S9_NSD_9__find_if7functorIS9_EEEE10hipError_tPvRmT1_T2_T3_mT4_P12ihipStream_tbEUlT_E0_NS1_11comp_targetILNS1_3genE4ELNS1_11target_archE910ELNS1_3gpuE8ELNS1_3repE0EEENS1_30default_config_static_selectorELNS0_4arch9wavefront6targetE1EEEvS14_.num_named_barrier, 0
	.set _ZN7rocprim17ROCPRIM_400000_NS6detail17trampoline_kernelINS0_14default_configENS1_22reduce_config_selectorIN6thrust23THRUST_200600_302600_NS5tupleIblNS6_9null_typeES8_S8_S8_S8_S8_S8_S8_EEEEZNS1_11reduce_implILb1ES3_NS6_12zip_iteratorINS7_INS6_11hip_rocprim26transform_input_iterator_tIbNSD_35transform_pair_of_input_iterators_tIbNS6_6detail15normal_iteratorINS6_10device_ptrIKfEEEESL_NS6_8equal_toIfEEEENSG_9not_fun_tINSD_8identityEEEEENSD_19counting_iterator_tIlEES8_S8_S8_S8_S8_S8_S8_S8_EEEEPS9_S9_NSD_9__find_if7functorIS9_EEEE10hipError_tPvRmT1_T2_T3_mT4_P12ihipStream_tbEUlT_E0_NS1_11comp_targetILNS1_3genE4ELNS1_11target_archE910ELNS1_3gpuE8ELNS1_3repE0EEENS1_30default_config_static_selectorELNS0_4arch9wavefront6targetE1EEEvS14_.private_seg_size, 0
	.set _ZN7rocprim17ROCPRIM_400000_NS6detail17trampoline_kernelINS0_14default_configENS1_22reduce_config_selectorIN6thrust23THRUST_200600_302600_NS5tupleIblNS6_9null_typeES8_S8_S8_S8_S8_S8_S8_EEEEZNS1_11reduce_implILb1ES3_NS6_12zip_iteratorINS7_INS6_11hip_rocprim26transform_input_iterator_tIbNSD_35transform_pair_of_input_iterators_tIbNS6_6detail15normal_iteratorINS6_10device_ptrIKfEEEESL_NS6_8equal_toIfEEEENSG_9not_fun_tINSD_8identityEEEEENSD_19counting_iterator_tIlEES8_S8_S8_S8_S8_S8_S8_S8_EEEEPS9_S9_NSD_9__find_if7functorIS9_EEEE10hipError_tPvRmT1_T2_T3_mT4_P12ihipStream_tbEUlT_E0_NS1_11comp_targetILNS1_3genE4ELNS1_11target_archE910ELNS1_3gpuE8ELNS1_3repE0EEENS1_30default_config_static_selectorELNS0_4arch9wavefront6targetE1EEEvS14_.uses_vcc, 0
	.set _ZN7rocprim17ROCPRIM_400000_NS6detail17trampoline_kernelINS0_14default_configENS1_22reduce_config_selectorIN6thrust23THRUST_200600_302600_NS5tupleIblNS6_9null_typeES8_S8_S8_S8_S8_S8_S8_EEEEZNS1_11reduce_implILb1ES3_NS6_12zip_iteratorINS7_INS6_11hip_rocprim26transform_input_iterator_tIbNSD_35transform_pair_of_input_iterators_tIbNS6_6detail15normal_iteratorINS6_10device_ptrIKfEEEESL_NS6_8equal_toIfEEEENSG_9not_fun_tINSD_8identityEEEEENSD_19counting_iterator_tIlEES8_S8_S8_S8_S8_S8_S8_S8_EEEEPS9_S9_NSD_9__find_if7functorIS9_EEEE10hipError_tPvRmT1_T2_T3_mT4_P12ihipStream_tbEUlT_E0_NS1_11comp_targetILNS1_3genE4ELNS1_11target_archE910ELNS1_3gpuE8ELNS1_3repE0EEENS1_30default_config_static_selectorELNS0_4arch9wavefront6targetE1EEEvS14_.uses_flat_scratch, 0
	.set _ZN7rocprim17ROCPRIM_400000_NS6detail17trampoline_kernelINS0_14default_configENS1_22reduce_config_selectorIN6thrust23THRUST_200600_302600_NS5tupleIblNS6_9null_typeES8_S8_S8_S8_S8_S8_S8_EEEEZNS1_11reduce_implILb1ES3_NS6_12zip_iteratorINS7_INS6_11hip_rocprim26transform_input_iterator_tIbNSD_35transform_pair_of_input_iterators_tIbNS6_6detail15normal_iteratorINS6_10device_ptrIKfEEEESL_NS6_8equal_toIfEEEENSG_9not_fun_tINSD_8identityEEEEENSD_19counting_iterator_tIlEES8_S8_S8_S8_S8_S8_S8_S8_EEEEPS9_S9_NSD_9__find_if7functorIS9_EEEE10hipError_tPvRmT1_T2_T3_mT4_P12ihipStream_tbEUlT_E0_NS1_11comp_targetILNS1_3genE4ELNS1_11target_archE910ELNS1_3gpuE8ELNS1_3repE0EEENS1_30default_config_static_selectorELNS0_4arch9wavefront6targetE1EEEvS14_.has_dyn_sized_stack, 0
	.set _ZN7rocprim17ROCPRIM_400000_NS6detail17trampoline_kernelINS0_14default_configENS1_22reduce_config_selectorIN6thrust23THRUST_200600_302600_NS5tupleIblNS6_9null_typeES8_S8_S8_S8_S8_S8_S8_EEEEZNS1_11reduce_implILb1ES3_NS6_12zip_iteratorINS7_INS6_11hip_rocprim26transform_input_iterator_tIbNSD_35transform_pair_of_input_iterators_tIbNS6_6detail15normal_iteratorINS6_10device_ptrIKfEEEESL_NS6_8equal_toIfEEEENSG_9not_fun_tINSD_8identityEEEEENSD_19counting_iterator_tIlEES8_S8_S8_S8_S8_S8_S8_S8_EEEEPS9_S9_NSD_9__find_if7functorIS9_EEEE10hipError_tPvRmT1_T2_T3_mT4_P12ihipStream_tbEUlT_E0_NS1_11comp_targetILNS1_3genE4ELNS1_11target_archE910ELNS1_3gpuE8ELNS1_3repE0EEENS1_30default_config_static_selectorELNS0_4arch9wavefront6targetE1EEEvS14_.has_recursion, 0
	.set _ZN7rocprim17ROCPRIM_400000_NS6detail17trampoline_kernelINS0_14default_configENS1_22reduce_config_selectorIN6thrust23THRUST_200600_302600_NS5tupleIblNS6_9null_typeES8_S8_S8_S8_S8_S8_S8_EEEEZNS1_11reduce_implILb1ES3_NS6_12zip_iteratorINS7_INS6_11hip_rocprim26transform_input_iterator_tIbNSD_35transform_pair_of_input_iterators_tIbNS6_6detail15normal_iteratorINS6_10device_ptrIKfEEEESL_NS6_8equal_toIfEEEENSG_9not_fun_tINSD_8identityEEEEENSD_19counting_iterator_tIlEES8_S8_S8_S8_S8_S8_S8_S8_EEEEPS9_S9_NSD_9__find_if7functorIS9_EEEE10hipError_tPvRmT1_T2_T3_mT4_P12ihipStream_tbEUlT_E0_NS1_11comp_targetILNS1_3genE4ELNS1_11target_archE910ELNS1_3gpuE8ELNS1_3repE0EEENS1_30default_config_static_selectorELNS0_4arch9wavefront6targetE1EEEvS14_.has_indirect_call, 0
	.section	.AMDGPU.csdata,"",@progbits
; Kernel info:
; codeLenInByte = 0
; TotalNumSgprs: 4
; NumVgprs: 0
; ScratchSize: 0
; MemoryBound: 0
; FloatMode: 240
; IeeeMode: 1
; LDSByteSize: 0 bytes/workgroup (compile time only)
; SGPRBlocks: 0
; VGPRBlocks: 0
; NumSGPRsForWavesPerEU: 4
; NumVGPRsForWavesPerEU: 1
; Occupancy: 10
; WaveLimiterHint : 0
; COMPUTE_PGM_RSRC2:SCRATCH_EN: 0
; COMPUTE_PGM_RSRC2:USER_SGPR: 6
; COMPUTE_PGM_RSRC2:TRAP_HANDLER: 0
; COMPUTE_PGM_RSRC2:TGID_X_EN: 1
; COMPUTE_PGM_RSRC2:TGID_Y_EN: 0
; COMPUTE_PGM_RSRC2:TGID_Z_EN: 0
; COMPUTE_PGM_RSRC2:TIDIG_COMP_CNT: 0
	.section	.text._ZN7rocprim17ROCPRIM_400000_NS6detail17trampoline_kernelINS0_14default_configENS1_22reduce_config_selectorIN6thrust23THRUST_200600_302600_NS5tupleIblNS6_9null_typeES8_S8_S8_S8_S8_S8_S8_EEEEZNS1_11reduce_implILb1ES3_NS6_12zip_iteratorINS7_INS6_11hip_rocprim26transform_input_iterator_tIbNSD_35transform_pair_of_input_iterators_tIbNS6_6detail15normal_iteratorINS6_10device_ptrIKfEEEESL_NS6_8equal_toIfEEEENSG_9not_fun_tINSD_8identityEEEEENSD_19counting_iterator_tIlEES8_S8_S8_S8_S8_S8_S8_S8_EEEEPS9_S9_NSD_9__find_if7functorIS9_EEEE10hipError_tPvRmT1_T2_T3_mT4_P12ihipStream_tbEUlT_E0_NS1_11comp_targetILNS1_3genE3ELNS1_11target_archE908ELNS1_3gpuE7ELNS1_3repE0EEENS1_30default_config_static_selectorELNS0_4arch9wavefront6targetE1EEEvS14_,"axG",@progbits,_ZN7rocprim17ROCPRIM_400000_NS6detail17trampoline_kernelINS0_14default_configENS1_22reduce_config_selectorIN6thrust23THRUST_200600_302600_NS5tupleIblNS6_9null_typeES8_S8_S8_S8_S8_S8_S8_EEEEZNS1_11reduce_implILb1ES3_NS6_12zip_iteratorINS7_INS6_11hip_rocprim26transform_input_iterator_tIbNSD_35transform_pair_of_input_iterators_tIbNS6_6detail15normal_iteratorINS6_10device_ptrIKfEEEESL_NS6_8equal_toIfEEEENSG_9not_fun_tINSD_8identityEEEEENSD_19counting_iterator_tIlEES8_S8_S8_S8_S8_S8_S8_S8_EEEEPS9_S9_NSD_9__find_if7functorIS9_EEEE10hipError_tPvRmT1_T2_T3_mT4_P12ihipStream_tbEUlT_E0_NS1_11comp_targetILNS1_3genE3ELNS1_11target_archE908ELNS1_3gpuE7ELNS1_3repE0EEENS1_30default_config_static_selectorELNS0_4arch9wavefront6targetE1EEEvS14_,comdat
	.protected	_ZN7rocprim17ROCPRIM_400000_NS6detail17trampoline_kernelINS0_14default_configENS1_22reduce_config_selectorIN6thrust23THRUST_200600_302600_NS5tupleIblNS6_9null_typeES8_S8_S8_S8_S8_S8_S8_EEEEZNS1_11reduce_implILb1ES3_NS6_12zip_iteratorINS7_INS6_11hip_rocprim26transform_input_iterator_tIbNSD_35transform_pair_of_input_iterators_tIbNS6_6detail15normal_iteratorINS6_10device_ptrIKfEEEESL_NS6_8equal_toIfEEEENSG_9not_fun_tINSD_8identityEEEEENSD_19counting_iterator_tIlEES8_S8_S8_S8_S8_S8_S8_S8_EEEEPS9_S9_NSD_9__find_if7functorIS9_EEEE10hipError_tPvRmT1_T2_T3_mT4_P12ihipStream_tbEUlT_E0_NS1_11comp_targetILNS1_3genE3ELNS1_11target_archE908ELNS1_3gpuE7ELNS1_3repE0EEENS1_30default_config_static_selectorELNS0_4arch9wavefront6targetE1EEEvS14_ ; -- Begin function _ZN7rocprim17ROCPRIM_400000_NS6detail17trampoline_kernelINS0_14default_configENS1_22reduce_config_selectorIN6thrust23THRUST_200600_302600_NS5tupleIblNS6_9null_typeES8_S8_S8_S8_S8_S8_S8_EEEEZNS1_11reduce_implILb1ES3_NS6_12zip_iteratorINS7_INS6_11hip_rocprim26transform_input_iterator_tIbNSD_35transform_pair_of_input_iterators_tIbNS6_6detail15normal_iteratorINS6_10device_ptrIKfEEEESL_NS6_8equal_toIfEEEENSG_9not_fun_tINSD_8identityEEEEENSD_19counting_iterator_tIlEES8_S8_S8_S8_S8_S8_S8_S8_EEEEPS9_S9_NSD_9__find_if7functorIS9_EEEE10hipError_tPvRmT1_T2_T3_mT4_P12ihipStream_tbEUlT_E0_NS1_11comp_targetILNS1_3genE3ELNS1_11target_archE908ELNS1_3gpuE7ELNS1_3repE0EEENS1_30default_config_static_selectorELNS0_4arch9wavefront6targetE1EEEvS14_
	.globl	_ZN7rocprim17ROCPRIM_400000_NS6detail17trampoline_kernelINS0_14default_configENS1_22reduce_config_selectorIN6thrust23THRUST_200600_302600_NS5tupleIblNS6_9null_typeES8_S8_S8_S8_S8_S8_S8_EEEEZNS1_11reduce_implILb1ES3_NS6_12zip_iteratorINS7_INS6_11hip_rocprim26transform_input_iterator_tIbNSD_35transform_pair_of_input_iterators_tIbNS6_6detail15normal_iteratorINS6_10device_ptrIKfEEEESL_NS6_8equal_toIfEEEENSG_9not_fun_tINSD_8identityEEEEENSD_19counting_iterator_tIlEES8_S8_S8_S8_S8_S8_S8_S8_EEEEPS9_S9_NSD_9__find_if7functorIS9_EEEE10hipError_tPvRmT1_T2_T3_mT4_P12ihipStream_tbEUlT_E0_NS1_11comp_targetILNS1_3genE3ELNS1_11target_archE908ELNS1_3gpuE7ELNS1_3repE0EEENS1_30default_config_static_selectorELNS0_4arch9wavefront6targetE1EEEvS14_
	.p2align	8
	.type	_ZN7rocprim17ROCPRIM_400000_NS6detail17trampoline_kernelINS0_14default_configENS1_22reduce_config_selectorIN6thrust23THRUST_200600_302600_NS5tupleIblNS6_9null_typeES8_S8_S8_S8_S8_S8_S8_EEEEZNS1_11reduce_implILb1ES3_NS6_12zip_iteratorINS7_INS6_11hip_rocprim26transform_input_iterator_tIbNSD_35transform_pair_of_input_iterators_tIbNS6_6detail15normal_iteratorINS6_10device_ptrIKfEEEESL_NS6_8equal_toIfEEEENSG_9not_fun_tINSD_8identityEEEEENSD_19counting_iterator_tIlEES8_S8_S8_S8_S8_S8_S8_S8_EEEEPS9_S9_NSD_9__find_if7functorIS9_EEEE10hipError_tPvRmT1_T2_T3_mT4_P12ihipStream_tbEUlT_E0_NS1_11comp_targetILNS1_3genE3ELNS1_11target_archE908ELNS1_3gpuE7ELNS1_3repE0EEENS1_30default_config_static_selectorELNS0_4arch9wavefront6targetE1EEEvS14_,@function
_ZN7rocprim17ROCPRIM_400000_NS6detail17trampoline_kernelINS0_14default_configENS1_22reduce_config_selectorIN6thrust23THRUST_200600_302600_NS5tupleIblNS6_9null_typeES8_S8_S8_S8_S8_S8_S8_EEEEZNS1_11reduce_implILb1ES3_NS6_12zip_iteratorINS7_INS6_11hip_rocprim26transform_input_iterator_tIbNSD_35transform_pair_of_input_iterators_tIbNS6_6detail15normal_iteratorINS6_10device_ptrIKfEEEESL_NS6_8equal_toIfEEEENSG_9not_fun_tINSD_8identityEEEEENSD_19counting_iterator_tIlEES8_S8_S8_S8_S8_S8_S8_S8_EEEEPS9_S9_NSD_9__find_if7functorIS9_EEEE10hipError_tPvRmT1_T2_T3_mT4_P12ihipStream_tbEUlT_E0_NS1_11comp_targetILNS1_3genE3ELNS1_11target_archE908ELNS1_3gpuE7ELNS1_3repE0EEENS1_30default_config_static_selectorELNS0_4arch9wavefront6targetE1EEEvS14_: ; @_ZN7rocprim17ROCPRIM_400000_NS6detail17trampoline_kernelINS0_14default_configENS1_22reduce_config_selectorIN6thrust23THRUST_200600_302600_NS5tupleIblNS6_9null_typeES8_S8_S8_S8_S8_S8_S8_EEEEZNS1_11reduce_implILb1ES3_NS6_12zip_iteratorINS7_INS6_11hip_rocprim26transform_input_iterator_tIbNSD_35transform_pair_of_input_iterators_tIbNS6_6detail15normal_iteratorINS6_10device_ptrIKfEEEESL_NS6_8equal_toIfEEEENSG_9not_fun_tINSD_8identityEEEEENSD_19counting_iterator_tIlEES8_S8_S8_S8_S8_S8_S8_S8_EEEEPS9_S9_NSD_9__find_if7functorIS9_EEEE10hipError_tPvRmT1_T2_T3_mT4_P12ihipStream_tbEUlT_E0_NS1_11comp_targetILNS1_3genE3ELNS1_11target_archE908ELNS1_3gpuE7ELNS1_3repE0EEENS1_30default_config_static_selectorELNS0_4arch9wavefront6targetE1EEEvS14_
; %bb.0:
	.section	.rodata,"a",@progbits
	.p2align	6, 0x0
	.amdhsa_kernel _ZN7rocprim17ROCPRIM_400000_NS6detail17trampoline_kernelINS0_14default_configENS1_22reduce_config_selectorIN6thrust23THRUST_200600_302600_NS5tupleIblNS6_9null_typeES8_S8_S8_S8_S8_S8_S8_EEEEZNS1_11reduce_implILb1ES3_NS6_12zip_iteratorINS7_INS6_11hip_rocprim26transform_input_iterator_tIbNSD_35transform_pair_of_input_iterators_tIbNS6_6detail15normal_iteratorINS6_10device_ptrIKfEEEESL_NS6_8equal_toIfEEEENSG_9not_fun_tINSD_8identityEEEEENSD_19counting_iterator_tIlEES8_S8_S8_S8_S8_S8_S8_S8_EEEEPS9_S9_NSD_9__find_if7functorIS9_EEEE10hipError_tPvRmT1_T2_T3_mT4_P12ihipStream_tbEUlT_E0_NS1_11comp_targetILNS1_3genE3ELNS1_11target_archE908ELNS1_3gpuE7ELNS1_3repE0EEENS1_30default_config_static_selectorELNS0_4arch9wavefront6targetE1EEEvS14_
		.amdhsa_group_segment_fixed_size 0
		.amdhsa_private_segment_fixed_size 0
		.amdhsa_kernarg_size 104
		.amdhsa_user_sgpr_count 6
		.amdhsa_user_sgpr_private_segment_buffer 1
		.amdhsa_user_sgpr_dispatch_ptr 0
		.amdhsa_user_sgpr_queue_ptr 0
		.amdhsa_user_sgpr_kernarg_segment_ptr 1
		.amdhsa_user_sgpr_dispatch_id 0
		.amdhsa_user_sgpr_flat_scratch_init 0
		.amdhsa_user_sgpr_private_segment_size 0
		.amdhsa_uses_dynamic_stack 0
		.amdhsa_system_sgpr_private_segment_wavefront_offset 0
		.amdhsa_system_sgpr_workgroup_id_x 1
		.amdhsa_system_sgpr_workgroup_id_y 0
		.amdhsa_system_sgpr_workgroup_id_z 0
		.amdhsa_system_sgpr_workgroup_info 0
		.amdhsa_system_vgpr_workitem_id 0
		.amdhsa_next_free_vgpr 1
		.amdhsa_next_free_sgpr 0
		.amdhsa_reserve_vcc 0
		.amdhsa_reserve_flat_scratch 0
		.amdhsa_float_round_mode_32 0
		.amdhsa_float_round_mode_16_64 0
		.amdhsa_float_denorm_mode_32 3
		.amdhsa_float_denorm_mode_16_64 3
		.amdhsa_dx10_clamp 1
		.amdhsa_ieee_mode 1
		.amdhsa_fp16_overflow 0
		.amdhsa_exception_fp_ieee_invalid_op 0
		.amdhsa_exception_fp_denorm_src 0
		.amdhsa_exception_fp_ieee_div_zero 0
		.amdhsa_exception_fp_ieee_overflow 0
		.amdhsa_exception_fp_ieee_underflow 0
		.amdhsa_exception_fp_ieee_inexact 0
		.amdhsa_exception_int_div_zero 0
	.end_amdhsa_kernel
	.section	.text._ZN7rocprim17ROCPRIM_400000_NS6detail17trampoline_kernelINS0_14default_configENS1_22reduce_config_selectorIN6thrust23THRUST_200600_302600_NS5tupleIblNS6_9null_typeES8_S8_S8_S8_S8_S8_S8_EEEEZNS1_11reduce_implILb1ES3_NS6_12zip_iteratorINS7_INS6_11hip_rocprim26transform_input_iterator_tIbNSD_35transform_pair_of_input_iterators_tIbNS6_6detail15normal_iteratorINS6_10device_ptrIKfEEEESL_NS6_8equal_toIfEEEENSG_9not_fun_tINSD_8identityEEEEENSD_19counting_iterator_tIlEES8_S8_S8_S8_S8_S8_S8_S8_EEEEPS9_S9_NSD_9__find_if7functorIS9_EEEE10hipError_tPvRmT1_T2_T3_mT4_P12ihipStream_tbEUlT_E0_NS1_11comp_targetILNS1_3genE3ELNS1_11target_archE908ELNS1_3gpuE7ELNS1_3repE0EEENS1_30default_config_static_selectorELNS0_4arch9wavefront6targetE1EEEvS14_,"axG",@progbits,_ZN7rocprim17ROCPRIM_400000_NS6detail17trampoline_kernelINS0_14default_configENS1_22reduce_config_selectorIN6thrust23THRUST_200600_302600_NS5tupleIblNS6_9null_typeES8_S8_S8_S8_S8_S8_S8_EEEEZNS1_11reduce_implILb1ES3_NS6_12zip_iteratorINS7_INS6_11hip_rocprim26transform_input_iterator_tIbNSD_35transform_pair_of_input_iterators_tIbNS6_6detail15normal_iteratorINS6_10device_ptrIKfEEEESL_NS6_8equal_toIfEEEENSG_9not_fun_tINSD_8identityEEEEENSD_19counting_iterator_tIlEES8_S8_S8_S8_S8_S8_S8_S8_EEEEPS9_S9_NSD_9__find_if7functorIS9_EEEE10hipError_tPvRmT1_T2_T3_mT4_P12ihipStream_tbEUlT_E0_NS1_11comp_targetILNS1_3genE3ELNS1_11target_archE908ELNS1_3gpuE7ELNS1_3repE0EEENS1_30default_config_static_selectorELNS0_4arch9wavefront6targetE1EEEvS14_,comdat
.Lfunc_end450:
	.size	_ZN7rocprim17ROCPRIM_400000_NS6detail17trampoline_kernelINS0_14default_configENS1_22reduce_config_selectorIN6thrust23THRUST_200600_302600_NS5tupleIblNS6_9null_typeES8_S8_S8_S8_S8_S8_S8_EEEEZNS1_11reduce_implILb1ES3_NS6_12zip_iteratorINS7_INS6_11hip_rocprim26transform_input_iterator_tIbNSD_35transform_pair_of_input_iterators_tIbNS6_6detail15normal_iteratorINS6_10device_ptrIKfEEEESL_NS6_8equal_toIfEEEENSG_9not_fun_tINSD_8identityEEEEENSD_19counting_iterator_tIlEES8_S8_S8_S8_S8_S8_S8_S8_EEEEPS9_S9_NSD_9__find_if7functorIS9_EEEE10hipError_tPvRmT1_T2_T3_mT4_P12ihipStream_tbEUlT_E0_NS1_11comp_targetILNS1_3genE3ELNS1_11target_archE908ELNS1_3gpuE7ELNS1_3repE0EEENS1_30default_config_static_selectorELNS0_4arch9wavefront6targetE1EEEvS14_, .Lfunc_end450-_ZN7rocprim17ROCPRIM_400000_NS6detail17trampoline_kernelINS0_14default_configENS1_22reduce_config_selectorIN6thrust23THRUST_200600_302600_NS5tupleIblNS6_9null_typeES8_S8_S8_S8_S8_S8_S8_EEEEZNS1_11reduce_implILb1ES3_NS6_12zip_iteratorINS7_INS6_11hip_rocprim26transform_input_iterator_tIbNSD_35transform_pair_of_input_iterators_tIbNS6_6detail15normal_iteratorINS6_10device_ptrIKfEEEESL_NS6_8equal_toIfEEEENSG_9not_fun_tINSD_8identityEEEEENSD_19counting_iterator_tIlEES8_S8_S8_S8_S8_S8_S8_S8_EEEEPS9_S9_NSD_9__find_if7functorIS9_EEEE10hipError_tPvRmT1_T2_T3_mT4_P12ihipStream_tbEUlT_E0_NS1_11comp_targetILNS1_3genE3ELNS1_11target_archE908ELNS1_3gpuE7ELNS1_3repE0EEENS1_30default_config_static_selectorELNS0_4arch9wavefront6targetE1EEEvS14_
                                        ; -- End function
	.set _ZN7rocprim17ROCPRIM_400000_NS6detail17trampoline_kernelINS0_14default_configENS1_22reduce_config_selectorIN6thrust23THRUST_200600_302600_NS5tupleIblNS6_9null_typeES8_S8_S8_S8_S8_S8_S8_EEEEZNS1_11reduce_implILb1ES3_NS6_12zip_iteratorINS7_INS6_11hip_rocprim26transform_input_iterator_tIbNSD_35transform_pair_of_input_iterators_tIbNS6_6detail15normal_iteratorINS6_10device_ptrIKfEEEESL_NS6_8equal_toIfEEEENSG_9not_fun_tINSD_8identityEEEEENSD_19counting_iterator_tIlEES8_S8_S8_S8_S8_S8_S8_S8_EEEEPS9_S9_NSD_9__find_if7functorIS9_EEEE10hipError_tPvRmT1_T2_T3_mT4_P12ihipStream_tbEUlT_E0_NS1_11comp_targetILNS1_3genE3ELNS1_11target_archE908ELNS1_3gpuE7ELNS1_3repE0EEENS1_30default_config_static_selectorELNS0_4arch9wavefront6targetE1EEEvS14_.num_vgpr, 0
	.set _ZN7rocprim17ROCPRIM_400000_NS6detail17trampoline_kernelINS0_14default_configENS1_22reduce_config_selectorIN6thrust23THRUST_200600_302600_NS5tupleIblNS6_9null_typeES8_S8_S8_S8_S8_S8_S8_EEEEZNS1_11reduce_implILb1ES3_NS6_12zip_iteratorINS7_INS6_11hip_rocprim26transform_input_iterator_tIbNSD_35transform_pair_of_input_iterators_tIbNS6_6detail15normal_iteratorINS6_10device_ptrIKfEEEESL_NS6_8equal_toIfEEEENSG_9not_fun_tINSD_8identityEEEEENSD_19counting_iterator_tIlEES8_S8_S8_S8_S8_S8_S8_S8_EEEEPS9_S9_NSD_9__find_if7functorIS9_EEEE10hipError_tPvRmT1_T2_T3_mT4_P12ihipStream_tbEUlT_E0_NS1_11comp_targetILNS1_3genE3ELNS1_11target_archE908ELNS1_3gpuE7ELNS1_3repE0EEENS1_30default_config_static_selectorELNS0_4arch9wavefront6targetE1EEEvS14_.num_agpr, 0
	.set _ZN7rocprim17ROCPRIM_400000_NS6detail17trampoline_kernelINS0_14default_configENS1_22reduce_config_selectorIN6thrust23THRUST_200600_302600_NS5tupleIblNS6_9null_typeES8_S8_S8_S8_S8_S8_S8_EEEEZNS1_11reduce_implILb1ES3_NS6_12zip_iteratorINS7_INS6_11hip_rocprim26transform_input_iterator_tIbNSD_35transform_pair_of_input_iterators_tIbNS6_6detail15normal_iteratorINS6_10device_ptrIKfEEEESL_NS6_8equal_toIfEEEENSG_9not_fun_tINSD_8identityEEEEENSD_19counting_iterator_tIlEES8_S8_S8_S8_S8_S8_S8_S8_EEEEPS9_S9_NSD_9__find_if7functorIS9_EEEE10hipError_tPvRmT1_T2_T3_mT4_P12ihipStream_tbEUlT_E0_NS1_11comp_targetILNS1_3genE3ELNS1_11target_archE908ELNS1_3gpuE7ELNS1_3repE0EEENS1_30default_config_static_selectorELNS0_4arch9wavefront6targetE1EEEvS14_.numbered_sgpr, 0
	.set _ZN7rocprim17ROCPRIM_400000_NS6detail17trampoline_kernelINS0_14default_configENS1_22reduce_config_selectorIN6thrust23THRUST_200600_302600_NS5tupleIblNS6_9null_typeES8_S8_S8_S8_S8_S8_S8_EEEEZNS1_11reduce_implILb1ES3_NS6_12zip_iteratorINS7_INS6_11hip_rocprim26transform_input_iterator_tIbNSD_35transform_pair_of_input_iterators_tIbNS6_6detail15normal_iteratorINS6_10device_ptrIKfEEEESL_NS6_8equal_toIfEEEENSG_9not_fun_tINSD_8identityEEEEENSD_19counting_iterator_tIlEES8_S8_S8_S8_S8_S8_S8_S8_EEEEPS9_S9_NSD_9__find_if7functorIS9_EEEE10hipError_tPvRmT1_T2_T3_mT4_P12ihipStream_tbEUlT_E0_NS1_11comp_targetILNS1_3genE3ELNS1_11target_archE908ELNS1_3gpuE7ELNS1_3repE0EEENS1_30default_config_static_selectorELNS0_4arch9wavefront6targetE1EEEvS14_.num_named_barrier, 0
	.set _ZN7rocprim17ROCPRIM_400000_NS6detail17trampoline_kernelINS0_14default_configENS1_22reduce_config_selectorIN6thrust23THRUST_200600_302600_NS5tupleIblNS6_9null_typeES8_S8_S8_S8_S8_S8_S8_EEEEZNS1_11reduce_implILb1ES3_NS6_12zip_iteratorINS7_INS6_11hip_rocprim26transform_input_iterator_tIbNSD_35transform_pair_of_input_iterators_tIbNS6_6detail15normal_iteratorINS6_10device_ptrIKfEEEESL_NS6_8equal_toIfEEEENSG_9not_fun_tINSD_8identityEEEEENSD_19counting_iterator_tIlEES8_S8_S8_S8_S8_S8_S8_S8_EEEEPS9_S9_NSD_9__find_if7functorIS9_EEEE10hipError_tPvRmT1_T2_T3_mT4_P12ihipStream_tbEUlT_E0_NS1_11comp_targetILNS1_3genE3ELNS1_11target_archE908ELNS1_3gpuE7ELNS1_3repE0EEENS1_30default_config_static_selectorELNS0_4arch9wavefront6targetE1EEEvS14_.private_seg_size, 0
	.set _ZN7rocprim17ROCPRIM_400000_NS6detail17trampoline_kernelINS0_14default_configENS1_22reduce_config_selectorIN6thrust23THRUST_200600_302600_NS5tupleIblNS6_9null_typeES8_S8_S8_S8_S8_S8_S8_EEEEZNS1_11reduce_implILb1ES3_NS6_12zip_iteratorINS7_INS6_11hip_rocprim26transform_input_iterator_tIbNSD_35transform_pair_of_input_iterators_tIbNS6_6detail15normal_iteratorINS6_10device_ptrIKfEEEESL_NS6_8equal_toIfEEEENSG_9not_fun_tINSD_8identityEEEEENSD_19counting_iterator_tIlEES8_S8_S8_S8_S8_S8_S8_S8_EEEEPS9_S9_NSD_9__find_if7functorIS9_EEEE10hipError_tPvRmT1_T2_T3_mT4_P12ihipStream_tbEUlT_E0_NS1_11comp_targetILNS1_3genE3ELNS1_11target_archE908ELNS1_3gpuE7ELNS1_3repE0EEENS1_30default_config_static_selectorELNS0_4arch9wavefront6targetE1EEEvS14_.uses_vcc, 0
	.set _ZN7rocprim17ROCPRIM_400000_NS6detail17trampoline_kernelINS0_14default_configENS1_22reduce_config_selectorIN6thrust23THRUST_200600_302600_NS5tupleIblNS6_9null_typeES8_S8_S8_S8_S8_S8_S8_EEEEZNS1_11reduce_implILb1ES3_NS6_12zip_iteratorINS7_INS6_11hip_rocprim26transform_input_iterator_tIbNSD_35transform_pair_of_input_iterators_tIbNS6_6detail15normal_iteratorINS6_10device_ptrIKfEEEESL_NS6_8equal_toIfEEEENSG_9not_fun_tINSD_8identityEEEEENSD_19counting_iterator_tIlEES8_S8_S8_S8_S8_S8_S8_S8_EEEEPS9_S9_NSD_9__find_if7functorIS9_EEEE10hipError_tPvRmT1_T2_T3_mT4_P12ihipStream_tbEUlT_E0_NS1_11comp_targetILNS1_3genE3ELNS1_11target_archE908ELNS1_3gpuE7ELNS1_3repE0EEENS1_30default_config_static_selectorELNS0_4arch9wavefront6targetE1EEEvS14_.uses_flat_scratch, 0
	.set _ZN7rocprim17ROCPRIM_400000_NS6detail17trampoline_kernelINS0_14default_configENS1_22reduce_config_selectorIN6thrust23THRUST_200600_302600_NS5tupleIblNS6_9null_typeES8_S8_S8_S8_S8_S8_S8_EEEEZNS1_11reduce_implILb1ES3_NS6_12zip_iteratorINS7_INS6_11hip_rocprim26transform_input_iterator_tIbNSD_35transform_pair_of_input_iterators_tIbNS6_6detail15normal_iteratorINS6_10device_ptrIKfEEEESL_NS6_8equal_toIfEEEENSG_9not_fun_tINSD_8identityEEEEENSD_19counting_iterator_tIlEES8_S8_S8_S8_S8_S8_S8_S8_EEEEPS9_S9_NSD_9__find_if7functorIS9_EEEE10hipError_tPvRmT1_T2_T3_mT4_P12ihipStream_tbEUlT_E0_NS1_11comp_targetILNS1_3genE3ELNS1_11target_archE908ELNS1_3gpuE7ELNS1_3repE0EEENS1_30default_config_static_selectorELNS0_4arch9wavefront6targetE1EEEvS14_.has_dyn_sized_stack, 0
	.set _ZN7rocprim17ROCPRIM_400000_NS6detail17trampoline_kernelINS0_14default_configENS1_22reduce_config_selectorIN6thrust23THRUST_200600_302600_NS5tupleIblNS6_9null_typeES8_S8_S8_S8_S8_S8_S8_EEEEZNS1_11reduce_implILb1ES3_NS6_12zip_iteratorINS7_INS6_11hip_rocprim26transform_input_iterator_tIbNSD_35transform_pair_of_input_iterators_tIbNS6_6detail15normal_iteratorINS6_10device_ptrIKfEEEESL_NS6_8equal_toIfEEEENSG_9not_fun_tINSD_8identityEEEEENSD_19counting_iterator_tIlEES8_S8_S8_S8_S8_S8_S8_S8_EEEEPS9_S9_NSD_9__find_if7functorIS9_EEEE10hipError_tPvRmT1_T2_T3_mT4_P12ihipStream_tbEUlT_E0_NS1_11comp_targetILNS1_3genE3ELNS1_11target_archE908ELNS1_3gpuE7ELNS1_3repE0EEENS1_30default_config_static_selectorELNS0_4arch9wavefront6targetE1EEEvS14_.has_recursion, 0
	.set _ZN7rocprim17ROCPRIM_400000_NS6detail17trampoline_kernelINS0_14default_configENS1_22reduce_config_selectorIN6thrust23THRUST_200600_302600_NS5tupleIblNS6_9null_typeES8_S8_S8_S8_S8_S8_S8_EEEEZNS1_11reduce_implILb1ES3_NS6_12zip_iteratorINS7_INS6_11hip_rocprim26transform_input_iterator_tIbNSD_35transform_pair_of_input_iterators_tIbNS6_6detail15normal_iteratorINS6_10device_ptrIKfEEEESL_NS6_8equal_toIfEEEENSG_9not_fun_tINSD_8identityEEEEENSD_19counting_iterator_tIlEES8_S8_S8_S8_S8_S8_S8_S8_EEEEPS9_S9_NSD_9__find_if7functorIS9_EEEE10hipError_tPvRmT1_T2_T3_mT4_P12ihipStream_tbEUlT_E0_NS1_11comp_targetILNS1_3genE3ELNS1_11target_archE908ELNS1_3gpuE7ELNS1_3repE0EEENS1_30default_config_static_selectorELNS0_4arch9wavefront6targetE1EEEvS14_.has_indirect_call, 0
	.section	.AMDGPU.csdata,"",@progbits
; Kernel info:
; codeLenInByte = 0
; TotalNumSgprs: 4
; NumVgprs: 0
; ScratchSize: 0
; MemoryBound: 0
; FloatMode: 240
; IeeeMode: 1
; LDSByteSize: 0 bytes/workgroup (compile time only)
; SGPRBlocks: 0
; VGPRBlocks: 0
; NumSGPRsForWavesPerEU: 4
; NumVGPRsForWavesPerEU: 1
; Occupancy: 10
; WaveLimiterHint : 0
; COMPUTE_PGM_RSRC2:SCRATCH_EN: 0
; COMPUTE_PGM_RSRC2:USER_SGPR: 6
; COMPUTE_PGM_RSRC2:TRAP_HANDLER: 0
; COMPUTE_PGM_RSRC2:TGID_X_EN: 1
; COMPUTE_PGM_RSRC2:TGID_Y_EN: 0
; COMPUTE_PGM_RSRC2:TGID_Z_EN: 0
; COMPUTE_PGM_RSRC2:TIDIG_COMP_CNT: 0
	.section	.text._ZN7rocprim17ROCPRIM_400000_NS6detail17trampoline_kernelINS0_14default_configENS1_22reduce_config_selectorIN6thrust23THRUST_200600_302600_NS5tupleIblNS6_9null_typeES8_S8_S8_S8_S8_S8_S8_EEEEZNS1_11reduce_implILb1ES3_NS6_12zip_iteratorINS7_INS6_11hip_rocprim26transform_input_iterator_tIbNSD_35transform_pair_of_input_iterators_tIbNS6_6detail15normal_iteratorINS6_10device_ptrIKfEEEESL_NS6_8equal_toIfEEEENSG_9not_fun_tINSD_8identityEEEEENSD_19counting_iterator_tIlEES8_S8_S8_S8_S8_S8_S8_S8_EEEEPS9_S9_NSD_9__find_if7functorIS9_EEEE10hipError_tPvRmT1_T2_T3_mT4_P12ihipStream_tbEUlT_E0_NS1_11comp_targetILNS1_3genE2ELNS1_11target_archE906ELNS1_3gpuE6ELNS1_3repE0EEENS1_30default_config_static_selectorELNS0_4arch9wavefront6targetE1EEEvS14_,"axG",@progbits,_ZN7rocprim17ROCPRIM_400000_NS6detail17trampoline_kernelINS0_14default_configENS1_22reduce_config_selectorIN6thrust23THRUST_200600_302600_NS5tupleIblNS6_9null_typeES8_S8_S8_S8_S8_S8_S8_EEEEZNS1_11reduce_implILb1ES3_NS6_12zip_iteratorINS7_INS6_11hip_rocprim26transform_input_iterator_tIbNSD_35transform_pair_of_input_iterators_tIbNS6_6detail15normal_iteratorINS6_10device_ptrIKfEEEESL_NS6_8equal_toIfEEEENSG_9not_fun_tINSD_8identityEEEEENSD_19counting_iterator_tIlEES8_S8_S8_S8_S8_S8_S8_S8_EEEEPS9_S9_NSD_9__find_if7functorIS9_EEEE10hipError_tPvRmT1_T2_T3_mT4_P12ihipStream_tbEUlT_E0_NS1_11comp_targetILNS1_3genE2ELNS1_11target_archE906ELNS1_3gpuE6ELNS1_3repE0EEENS1_30default_config_static_selectorELNS0_4arch9wavefront6targetE1EEEvS14_,comdat
	.protected	_ZN7rocprim17ROCPRIM_400000_NS6detail17trampoline_kernelINS0_14default_configENS1_22reduce_config_selectorIN6thrust23THRUST_200600_302600_NS5tupleIblNS6_9null_typeES8_S8_S8_S8_S8_S8_S8_EEEEZNS1_11reduce_implILb1ES3_NS6_12zip_iteratorINS7_INS6_11hip_rocprim26transform_input_iterator_tIbNSD_35transform_pair_of_input_iterators_tIbNS6_6detail15normal_iteratorINS6_10device_ptrIKfEEEESL_NS6_8equal_toIfEEEENSG_9not_fun_tINSD_8identityEEEEENSD_19counting_iterator_tIlEES8_S8_S8_S8_S8_S8_S8_S8_EEEEPS9_S9_NSD_9__find_if7functorIS9_EEEE10hipError_tPvRmT1_T2_T3_mT4_P12ihipStream_tbEUlT_E0_NS1_11comp_targetILNS1_3genE2ELNS1_11target_archE906ELNS1_3gpuE6ELNS1_3repE0EEENS1_30default_config_static_selectorELNS0_4arch9wavefront6targetE1EEEvS14_ ; -- Begin function _ZN7rocprim17ROCPRIM_400000_NS6detail17trampoline_kernelINS0_14default_configENS1_22reduce_config_selectorIN6thrust23THRUST_200600_302600_NS5tupleIblNS6_9null_typeES8_S8_S8_S8_S8_S8_S8_EEEEZNS1_11reduce_implILb1ES3_NS6_12zip_iteratorINS7_INS6_11hip_rocprim26transform_input_iterator_tIbNSD_35transform_pair_of_input_iterators_tIbNS6_6detail15normal_iteratorINS6_10device_ptrIKfEEEESL_NS6_8equal_toIfEEEENSG_9not_fun_tINSD_8identityEEEEENSD_19counting_iterator_tIlEES8_S8_S8_S8_S8_S8_S8_S8_EEEEPS9_S9_NSD_9__find_if7functorIS9_EEEE10hipError_tPvRmT1_T2_T3_mT4_P12ihipStream_tbEUlT_E0_NS1_11comp_targetILNS1_3genE2ELNS1_11target_archE906ELNS1_3gpuE6ELNS1_3repE0EEENS1_30default_config_static_selectorELNS0_4arch9wavefront6targetE1EEEvS14_
	.globl	_ZN7rocprim17ROCPRIM_400000_NS6detail17trampoline_kernelINS0_14default_configENS1_22reduce_config_selectorIN6thrust23THRUST_200600_302600_NS5tupleIblNS6_9null_typeES8_S8_S8_S8_S8_S8_S8_EEEEZNS1_11reduce_implILb1ES3_NS6_12zip_iteratorINS7_INS6_11hip_rocprim26transform_input_iterator_tIbNSD_35transform_pair_of_input_iterators_tIbNS6_6detail15normal_iteratorINS6_10device_ptrIKfEEEESL_NS6_8equal_toIfEEEENSG_9not_fun_tINSD_8identityEEEEENSD_19counting_iterator_tIlEES8_S8_S8_S8_S8_S8_S8_S8_EEEEPS9_S9_NSD_9__find_if7functorIS9_EEEE10hipError_tPvRmT1_T2_T3_mT4_P12ihipStream_tbEUlT_E0_NS1_11comp_targetILNS1_3genE2ELNS1_11target_archE906ELNS1_3gpuE6ELNS1_3repE0EEENS1_30default_config_static_selectorELNS0_4arch9wavefront6targetE1EEEvS14_
	.p2align	8
	.type	_ZN7rocprim17ROCPRIM_400000_NS6detail17trampoline_kernelINS0_14default_configENS1_22reduce_config_selectorIN6thrust23THRUST_200600_302600_NS5tupleIblNS6_9null_typeES8_S8_S8_S8_S8_S8_S8_EEEEZNS1_11reduce_implILb1ES3_NS6_12zip_iteratorINS7_INS6_11hip_rocprim26transform_input_iterator_tIbNSD_35transform_pair_of_input_iterators_tIbNS6_6detail15normal_iteratorINS6_10device_ptrIKfEEEESL_NS6_8equal_toIfEEEENSG_9not_fun_tINSD_8identityEEEEENSD_19counting_iterator_tIlEES8_S8_S8_S8_S8_S8_S8_S8_EEEEPS9_S9_NSD_9__find_if7functorIS9_EEEE10hipError_tPvRmT1_T2_T3_mT4_P12ihipStream_tbEUlT_E0_NS1_11comp_targetILNS1_3genE2ELNS1_11target_archE906ELNS1_3gpuE6ELNS1_3repE0EEENS1_30default_config_static_selectorELNS0_4arch9wavefront6targetE1EEEvS14_,@function
_ZN7rocprim17ROCPRIM_400000_NS6detail17trampoline_kernelINS0_14default_configENS1_22reduce_config_selectorIN6thrust23THRUST_200600_302600_NS5tupleIblNS6_9null_typeES8_S8_S8_S8_S8_S8_S8_EEEEZNS1_11reduce_implILb1ES3_NS6_12zip_iteratorINS7_INS6_11hip_rocprim26transform_input_iterator_tIbNSD_35transform_pair_of_input_iterators_tIbNS6_6detail15normal_iteratorINS6_10device_ptrIKfEEEESL_NS6_8equal_toIfEEEENSG_9not_fun_tINSD_8identityEEEEENSD_19counting_iterator_tIlEES8_S8_S8_S8_S8_S8_S8_S8_EEEEPS9_S9_NSD_9__find_if7functorIS9_EEEE10hipError_tPvRmT1_T2_T3_mT4_P12ihipStream_tbEUlT_E0_NS1_11comp_targetILNS1_3genE2ELNS1_11target_archE906ELNS1_3gpuE6ELNS1_3repE0EEENS1_30default_config_static_selectorELNS0_4arch9wavefront6targetE1EEEvS14_: ; @_ZN7rocprim17ROCPRIM_400000_NS6detail17trampoline_kernelINS0_14default_configENS1_22reduce_config_selectorIN6thrust23THRUST_200600_302600_NS5tupleIblNS6_9null_typeES8_S8_S8_S8_S8_S8_S8_EEEEZNS1_11reduce_implILb1ES3_NS6_12zip_iteratorINS7_INS6_11hip_rocprim26transform_input_iterator_tIbNSD_35transform_pair_of_input_iterators_tIbNS6_6detail15normal_iteratorINS6_10device_ptrIKfEEEESL_NS6_8equal_toIfEEEENSG_9not_fun_tINSD_8identityEEEEENSD_19counting_iterator_tIlEES8_S8_S8_S8_S8_S8_S8_S8_EEEEPS9_S9_NSD_9__find_if7functorIS9_EEEE10hipError_tPvRmT1_T2_T3_mT4_P12ihipStream_tbEUlT_E0_NS1_11comp_targetILNS1_3genE2ELNS1_11target_archE906ELNS1_3gpuE6ELNS1_3repE0EEENS1_30default_config_static_selectorELNS0_4arch9wavefront6targetE1EEEvS14_
; %bb.0:
	s_load_dwordx8 s[12:19], s[4:5], 0x20
	s_load_dwordx4 s[0:3], s[4:5], 0x0
	s_load_dwordx4 s[20:23], s[4:5], 0x40
	s_mov_b32 s29, 0
	s_mov_b32 s7, s29
	s_waitcnt lgkmcnt(0)
	s_lshl_b64 s[8:9], s[14:15], 2
	s_add_u32 s10, s0, s8
	s_addc_u32 s11, s1, s9
	s_add_u32 s8, s2, s8
	s_addc_u32 s9, s3, s9
	s_lshl_b32 s28, s6, 8
	s_lshr_b64 s[0:1], s[16:17], 8
	s_lshl_b64 s[2:3], s[28:29], 2
	s_add_u32 s24, s10, s2
	s_addc_u32 s25, s11, s3
	s_add_u32 s26, s8, s2
	s_addc_u32 s27, s9, s3
	;; [unrolled: 2-line block ×4, first 2 shown]
	s_cmp_lg_u64 s[0:1], s[6:7]
	v_lshlrev_b32_e32 v9, 2, v0
	v_mbcnt_lo_u32_b32 v8, -1, 0
	s_cbranch_scc0 .LBB451_10
; %bb.1:
	global_load_dword v1, v9, s[26:27]
	global_load_dword v2, v9, s[26:27] offset:512
	global_load_dword v4, v9, s[24:25] offset:512
	global_load_dword v6, v9, s[24:25]
	v_mov_b32_e32 v5, s15
	v_add_co_u32_e32 v7, vcc, s14, v0
	v_addc_co_u32_e32 v10, vcc, 0, v5, vcc
	v_add_co_u32_e32 v11, vcc, 0x80, v7
	v_addc_co_u32_e32 v12, vcc, 0, v10, vcc
	v_mbcnt_hi_u32_b32 v3, -1, v8
	v_lshlrev_b32_e32 v5, 2, v3
	v_or_b32_e32 v13, 0xfc, v5
	s_waitcnt vmcnt(1)
	v_cmp_neq_f32_e32 vcc, v4, v2
	s_waitcnt vmcnt(0)
	v_cmp_neq_f32_e64 s[0:1], v6, v1
	v_cndmask_b32_e64 v2, v12, v10, s[0:1]
	v_cndmask_b32_e64 v1, v11, v7, s[0:1]
	s_or_b64 s[0:1], s[0:1], vcc
	v_mov_b32_dpp v7, v2 quad_perm:[1,0,3,2] row_mask:0xf bank_mask:0xf bound_ctrl:1
	v_mov_b32_dpp v6, v1 quad_perm:[1,0,3,2] row_mask:0xf bank_mask:0xf bound_ctrl:1
	v_cndmask_b32_e64 v4, 0, 1, s[0:1]
	v_cmp_lt_i64_e32 vcc, v[1:2], v[6:7]
	s_and_b64 vcc, s[0:1], vcc
	v_mov_b32_dpp v10, v4 quad_perm:[1,0,3,2] row_mask:0xf bank_mask:0xf bound_ctrl:1
	v_and_b32_e32 v10, 1, v10
	v_cndmask_b32_e32 v6, v6, v1, vcc
	v_cndmask_b32_e32 v7, v7, v2, vcc
	v_cmp_eq_u32_e32 vcc, 1, v10
	v_cndmask_b32_e32 v2, v2, v7, vcc
	v_cndmask_b32_e32 v1, v1, v6, vcc
	v_cndmask_b32_e64 v4, v4, 1, vcc
	v_mov_b32_dpp v7, v2 quad_perm:[2,3,0,1] row_mask:0xf bank_mask:0xf bound_ctrl:1
	v_mov_b32_dpp v6, v1 quad_perm:[2,3,0,1] row_mask:0xf bank_mask:0xf bound_ctrl:1
	v_and_b32_e32 v11, 1, v4
	v_cmp_lt_i64_e64 s[0:1], v[1:2], v[6:7]
	v_mov_b32_dpp v10, v4 quad_perm:[2,3,0,1] row_mask:0xf bank_mask:0xf bound_ctrl:1
	v_cmp_eq_u32_e32 vcc, 1, v11
	v_and_b32_e32 v10, 1, v10
	s_and_b64 vcc, vcc, s[0:1]
	v_cmp_eq_u32_e64 s[2:3], 1, v10
	v_cndmask_b32_e32 v6, v6, v1, vcc
	v_cndmask_b32_e32 v7, v7, v2, vcc
	v_cndmask_b32_e64 v1, v1, v6, s[2:3]
	v_cndmask_b32_e64 v2, v2, v7, s[2:3]
	;; [unrolled: 1-line block ×3, first 2 shown]
	v_mov_b32_dpp v6, v1 row_ror:4 row_mask:0xf bank_mask:0xf bound_ctrl:1
	v_mov_b32_dpp v7, v2 row_ror:4 row_mask:0xf bank_mask:0xf bound_ctrl:1
	v_and_b32_e32 v11, 1, v4
	v_cmp_lt_i64_e64 s[2:3], v[1:2], v[6:7]
	v_mov_b32_dpp v10, v4 row_ror:4 row_mask:0xf bank_mask:0xf bound_ctrl:1
	v_cmp_eq_u32_e32 vcc, 1, v11
	v_and_b32_e32 v10, 1, v10
	s_and_b64 vcc, vcc, s[2:3]
	v_cmp_eq_u32_e64 s[0:1], 1, v10
	v_cndmask_b32_e32 v6, v6, v1, vcc
	v_cndmask_b32_e32 v7, v7, v2, vcc
	v_cndmask_b32_e64 v1, v1, v6, s[0:1]
	v_cndmask_b32_e64 v2, v2, v7, s[0:1]
	;; [unrolled: 1-line block ×3, first 2 shown]
	v_mov_b32_dpp v6, v1 row_ror:8 row_mask:0xf bank_mask:0xf bound_ctrl:1
	v_mov_b32_dpp v7, v2 row_ror:8 row_mask:0xf bank_mask:0xf bound_ctrl:1
	v_and_b32_e32 v11, 1, v4
	v_cmp_lt_i64_e64 s[2:3], v[1:2], v[6:7]
	v_mov_b32_dpp v10, v4 row_ror:8 row_mask:0xf bank_mask:0xf bound_ctrl:1
	v_cmp_eq_u32_e64 s[8:9], 1, v11
	v_and_b32_e32 v10, 1, v10
	s_and_b64 s[2:3], s[8:9], s[2:3]
	v_cmp_eq_u32_e64 s[10:11], 1, v10
	v_cndmask_b32_e64 v6, v6, v1, s[2:3]
	v_cndmask_b32_e64 v7, v7, v2, s[2:3]
	;; [unrolled: 1-line block ×5, first 2 shown]
	v_mov_b32_dpp v10, v4 row_bcast:15 row_mask:0xf bank_mask:0xf bound_ctrl:1
	v_mov_b32_dpp v6, v1 row_bcast:15 row_mask:0xf bank_mask:0xf bound_ctrl:1
	;; [unrolled: 1-line block ×3, first 2 shown]
	v_and_b32_e32 v11, 1, v4
	v_and_b32_e32 v10, 1, v10
	v_cmp_lt_i64_e64 s[2:3], v[1:2], v[6:7]
	v_cmp_eq_u32_e32 vcc, 1, v11
	v_cmp_eq_u32_e64 s[0:1], 1, v10
	v_cndmask_b32_e64 v4, v4, 1, s[0:1]
	s_and_b64 vcc, vcc, s[2:3]
	v_cndmask_b32_e32 v6, v6, v1, vcc
	v_mov_b32_dpp v10, v4 row_bcast:31 row_mask:0xf bank_mask:0xf bound_ctrl:1
	v_cndmask_b32_e32 v7, v7, v2, vcc
	v_and_b32_e32 v11, 1, v4
	v_and_b32_e32 v10, 1, v10
	v_cndmask_b32_e64 v1, v1, v6, s[0:1]
	v_cndmask_b32_e64 v2, v2, v7, s[0:1]
	v_cmp_eq_u32_e64 s[12:13], 1, v11
	v_cmp_eq_u32_e64 s[8:9], 1, v10
	v_mov_b32_dpp v10, v1 row_bcast:31 row_mask:0xf bank_mask:0xf bound_ctrl:1
	v_mov_b32_dpp v11, v2 row_bcast:31 row_mask:0xf bank_mask:0xf bound_ctrl:1
	v_cmp_lt_i64_e32 vcc, v[1:2], v[10:11]
	v_cndmask_b32_e64 v4, v4, 1, s[8:9]
	s_and_b64 vcc, s[12:13], vcc
	ds_bpermute_b32 v7, v13, v4
	v_cndmask_b32_e32 v4, v10, v1, vcc
	v_cndmask_b32_e32 v6, v11, v2, vcc
	v_cndmask_b32_e64 v1, v1, v4, s[8:9]
	v_cndmask_b32_e64 v2, v2, v6, s[8:9]
	ds_bpermute_b32 v1, v13, v1
	ds_bpermute_b32 v2, v13, v2
	v_cmp_eq_u32_e32 vcc, 0, v3
	s_and_saveexec_b64 s[0:1], vcc
	s_cbranch_execz .LBB451_3
; %bb.2:
	v_lshrrev_b32_e32 v4, 2, v0
	v_and_b32_e32 v4, 16, v4
	s_waitcnt lgkmcnt(2)
	ds_write_b8 v4, v7
	s_waitcnt lgkmcnt(1)
	ds_write_b64 v4, v[1:2] offset:8
.LBB451_3:
	s_or_b64 exec, exec, s[0:1]
	v_cmp_gt_u32_e32 vcc, 64, v0
	s_waitcnt lgkmcnt(0)
	s_barrier
	s_and_saveexec_b64 s[0:1], vcc
	s_cbranch_execz .LBB451_9
; %bb.4:
	v_and_b32_e32 v1, 1, v3
	v_lshlrev_b32_e32 v1, 4, v1
	ds_read_u8 v10, v1
	ds_read_b64 v[3:4], v1 offset:8
	v_or_b32_e32 v2, 4, v5
	s_waitcnt lgkmcnt(1)
	v_and_b32_e32 v1, 0xff, v10
	ds_bpermute_b32 v11, v2, v1
	s_waitcnt lgkmcnt(1)
	ds_bpermute_b32 v5, v2, v3
	ds_bpermute_b32 v6, v2, v4
	s_waitcnt lgkmcnt(2)
	v_and_b32_e32 v1, v10, v11
	v_and_b32_e32 v1, 1, v1
	v_cmp_eq_u32_e32 vcc, 1, v1
                                        ; implicit-def: $vgpr1_vgpr2
	s_and_saveexec_b64 s[2:3], vcc
	s_xor_b64 s[2:3], exec, s[2:3]
	s_cbranch_execz .LBB451_6
; %bb.5:
	s_waitcnt lgkmcnt(0)
	v_cmp_lt_i64_e32 vcc, v[5:6], v[3:4]
                                        ; implicit-def: $vgpr10
                                        ; implicit-def: $vgpr11
	v_cndmask_b32_e32 v2, v4, v6, vcc
	v_cndmask_b32_e32 v1, v3, v5, vcc
                                        ; implicit-def: $vgpr5_vgpr6
                                        ; implicit-def: $vgpr3_vgpr4
.LBB451_6:
	s_or_saveexec_b64 s[2:3], s[2:3]
	v_mov_b32_e32 v7, 1
	s_xor_b64 exec, exec, s[2:3]
	s_cbranch_execz .LBB451_8
; %bb.7:
	v_and_b32_e32 v1, 1, v10
	v_cmp_eq_u32_e32 vcc, 1, v1
	s_waitcnt lgkmcnt(0)
	v_cndmask_b32_e32 v2, v6, v4, vcc
	v_cndmask_b32_e32 v1, v5, v3, vcc
	v_cndmask_b32_e64 v7, v11, 1, vcc
.LBB451_8:
	s_or_b64 exec, exec, s[2:3]
.LBB451_9:
	s_or_b64 exec, exec, s[0:1]
	s_load_dword s10, s[4:5], 0x50
	s_load_dwordx2 s[8:9], s[4:5], 0x58
	s_branch .LBB451_62
.LBB451_10:
                                        ; implicit-def: $vgpr1_vgpr2
                                        ; implicit-def: $vgpr7
	s_load_dword s10, s[4:5], 0x50
	s_load_dwordx2 s[8:9], s[4:5], 0x58
	s_cbranch_execz .LBB451_62
; %bb.11:
	s_sub_i32 s11, s16, s28
	v_mov_b32_e32 v3, 0
	v_mov_b32_e32 v1, 0
	v_cmp_gt_u32_e32 vcc, s11, v0
	s_waitcnt lgkmcnt(0)
	v_mov_b32_e32 v6, 0
	v_mov_b32_e32 v4, 0
	;; [unrolled: 1-line block ×4, first 2 shown]
	s_and_saveexec_b64 s[0:1], vcc
	s_cbranch_execz .LBB451_13
; %bb.12:
	global_load_dword v5, v9, s[24:25]
	global_load_dword v7, v9, s[26:27]
	v_mov_b32_e32 v2, s15
	v_add_co_u32_e32 v1, vcc, s14, v0
	v_addc_co_u32_e32 v2, vcc, 0, v2, vcc
	s_waitcnt vmcnt(0)
	v_cmp_neq_f32_e32 vcc, v5, v7
	v_cndmask_b32_e64 v5, 0, 1, vcc
.LBB451_13:
	s_or_b64 exec, exec, s[0:1]
	v_or_b32_e32 v7, 0x80, v0
	v_cmp_gt_u32_e32 vcc, s11, v7
	s_and_saveexec_b64 s[2:3], vcc
	s_cbranch_execz .LBB451_15
; %bb.14:
	global_load_dword v6, v9, s[24:25] offset:512
	global_load_dword v10, v9, s[26:27] offset:512
	v_mov_b32_e32 v4, s15
	v_add_co_u32_e64 v3, s[0:1], s14, v7
	v_addc_co_u32_e64 v4, s[0:1], 0, v4, s[0:1]
	s_waitcnt vmcnt(0)
	v_cmp_neq_f32_e64 s[0:1], v6, v10
	v_cndmask_b32_e64 v6, 0, 1, s[0:1]
.LBB451_15:
	s_or_b64 exec, exec, s[2:3]
	v_and_b32_e32 v7, 0xffff, v5
	v_and_b32_e32 v9, 0xffff, v6
	;; [unrolled: 1-line block ×4, first 2 shown]
	v_cmp_lt_i64_e64 s[2:3], v[3:4], v[1:2]
	v_cmp_eq_u32_e64 s[0:1], 1, v6
	v_cmp_eq_u32_e64 s[4:5], 1, v5
	v_cndmask_b32_e64 v5, v9, 1, s[4:5]
	s_and_b64 s[0:1], s[0:1], s[2:3]
	v_cndmask_b32_e64 v6, v2, v4, s[0:1]
	v_cndmask_b32_e64 v9, v1, v3, s[0:1]
	v_cndmask_b32_e32 v7, v7, v5, vcc
	v_mbcnt_hi_u32_b32 v5, -1, v8
	v_cndmask_b32_e64 v3, v3, v9, s[4:5]
	v_cndmask_b32_e64 v4, v4, v6, s[4:5]
	v_and_b32_e32 v6, 63, v5
	v_cndmask_b32_e32 v2, v2, v4, vcc
	v_cndmask_b32_e32 v1, v1, v3, vcc
	v_cmp_ne_u32_e32 vcc, 63, v6
	v_addc_co_u32_e32 v3, vcc, 0, v5, vcc
	v_lshlrev_b32_e32 v4, 2, v3
	ds_bpermute_b32 v9, v4, v7
	ds_bpermute_b32 v3, v4, v1
	;; [unrolled: 1-line block ×3, first 2 shown]
	s_min_u32 s4, s11, 0x80
	v_and_b32_e32 v8, 64, v0
	v_sub_u32_e64 v8, s4, v8 clamp
	v_add_u32_e32 v10, 1, v6
	v_cmp_lt_u32_e32 vcc, v10, v8
	s_and_saveexec_b64 s[0:1], vcc
	s_cbranch_execz .LBB451_21
; %bb.16:
	s_waitcnt lgkmcnt(2)
	v_and_b32_e32 v10, v9, v7
	v_cmp_ne_u32_e32 vcc, 0, v10
	s_and_saveexec_b64 s[2:3], vcc
	s_xor_b64 s[2:3], exec, s[2:3]
	s_cbranch_execz .LBB451_18
; %bb.17:
	s_waitcnt lgkmcnt(0)
	v_cmp_lt_i64_e32 vcc, v[3:4], v[1:2]
                                        ; implicit-def: $vgpr7
                                        ; implicit-def: $vgpr9
	v_cndmask_b32_e32 v2, v2, v4, vcc
	v_cndmask_b32_e32 v1, v1, v3, vcc
                                        ; implicit-def: $vgpr3_vgpr4
.LBB451_18:
	s_or_saveexec_b64 s[2:3], s[2:3]
	v_mov_b32_e32 v10, 1
	s_xor_b64 exec, exec, s[2:3]
	s_cbranch_execz .LBB451_20
; %bb.19:
	v_and_b32_e32 v7, 1, v7
	v_cmp_eq_u32_e32 vcc, 1, v7
	s_waitcnt lgkmcnt(1)
	v_cndmask_b32_e32 v1, v3, v1, vcc
	v_and_b32_e32 v3, 0xff, v9
	s_waitcnt lgkmcnt(0)
	v_cndmask_b32_e32 v2, v4, v2, vcc
	v_cndmask_b32_e64 v10, v3, 1, vcc
.LBB451_20:
	s_or_b64 exec, exec, s[2:3]
	v_mov_b32_e32 v7, v10
.LBB451_21:
	s_or_b64 exec, exec, s[0:1]
	v_cmp_gt_u32_e32 vcc, 62, v6
	s_waitcnt lgkmcnt(1)
	v_cndmask_b32_e64 v3, 0, 2, vcc
	s_waitcnt lgkmcnt(0)
	v_add_lshl_u32 v4, v3, v5, 2
	ds_bpermute_b32 v9, v4, v7
	ds_bpermute_b32 v3, v4, v1
	ds_bpermute_b32 v4, v4, v2
	v_add_u32_e32 v10, 2, v6
	v_cmp_lt_u32_e32 vcc, v10, v8
	s_and_saveexec_b64 s[0:1], vcc
	s_cbranch_execz .LBB451_27
; %bb.22:
	s_waitcnt lgkmcnt(2)
	v_and_b32_e32 v10, v7, v9
	v_and_b32_e32 v10, 1, v10
	v_cmp_eq_u32_e32 vcc, 1, v10
	s_and_saveexec_b64 s[2:3], vcc
	s_xor_b64 s[2:3], exec, s[2:3]
	s_cbranch_execz .LBB451_24
; %bb.23:
	s_waitcnt lgkmcnt(0)
	v_cmp_lt_i64_e32 vcc, v[3:4], v[1:2]
                                        ; implicit-def: $vgpr7
                                        ; implicit-def: $vgpr9
	v_cndmask_b32_e32 v2, v2, v4, vcc
	v_cndmask_b32_e32 v1, v1, v3, vcc
                                        ; implicit-def: $vgpr3_vgpr4
.LBB451_24:
	s_or_saveexec_b64 s[2:3], s[2:3]
	v_mov_b32_e32 v10, 1
	s_xor_b64 exec, exec, s[2:3]
	s_cbranch_execz .LBB451_26
; %bb.25:
	v_and_b32_e32 v7, 1, v7
	v_cmp_eq_u32_e32 vcc, 1, v7
	s_waitcnt lgkmcnt(1)
	v_cndmask_b32_e32 v1, v3, v1, vcc
	v_and_b32_e32 v3, 0xff, v9
	s_waitcnt lgkmcnt(0)
	v_cndmask_b32_e32 v2, v4, v2, vcc
	v_cndmask_b32_e64 v10, v3, 1, vcc
.LBB451_26:
	s_or_b64 exec, exec, s[2:3]
	v_mov_b32_e32 v7, v10
.LBB451_27:
	s_or_b64 exec, exec, s[0:1]
	v_cmp_gt_u32_e32 vcc, 60, v6
	s_waitcnt lgkmcnt(1)
	v_cndmask_b32_e64 v3, 0, 4, vcc
	s_waitcnt lgkmcnt(0)
	v_add_lshl_u32 v4, v3, v5, 2
	ds_bpermute_b32 v9, v4, v7
	ds_bpermute_b32 v3, v4, v1
	ds_bpermute_b32 v4, v4, v2
	v_add_u32_e32 v10, 4, v6
	v_cmp_lt_u32_e32 vcc, v10, v8
	s_and_saveexec_b64 s[0:1], vcc
	s_cbranch_execz .LBB451_33
; %bb.28:
	s_waitcnt lgkmcnt(2)
	v_and_b32_e32 v10, v7, v9
	v_and_b32_e32 v10, 1, v10
	v_cmp_eq_u32_e32 vcc, 1, v10
	s_and_saveexec_b64 s[2:3], vcc
	s_xor_b64 s[2:3], exec, s[2:3]
	s_cbranch_execz .LBB451_30
; %bb.29:
	s_waitcnt lgkmcnt(0)
	v_cmp_lt_i64_e32 vcc, v[3:4], v[1:2]
                                        ; implicit-def: $vgpr7
                                        ; implicit-def: $vgpr9
	v_cndmask_b32_e32 v2, v2, v4, vcc
	v_cndmask_b32_e32 v1, v1, v3, vcc
                                        ; implicit-def: $vgpr3_vgpr4
.LBB451_30:
	s_or_saveexec_b64 s[2:3], s[2:3]
	v_mov_b32_e32 v10, 1
	s_xor_b64 exec, exec, s[2:3]
	s_cbranch_execz .LBB451_32
; %bb.31:
	v_and_b32_e32 v7, 1, v7
	v_cmp_eq_u32_e32 vcc, 1, v7
	s_waitcnt lgkmcnt(1)
	v_cndmask_b32_e32 v1, v3, v1, vcc
	v_and_b32_e32 v3, 0xff, v9
	s_waitcnt lgkmcnt(0)
	v_cndmask_b32_e32 v2, v4, v2, vcc
	v_cndmask_b32_e64 v10, v3, 1, vcc
.LBB451_32:
	s_or_b64 exec, exec, s[2:3]
	v_mov_b32_e32 v7, v10
.LBB451_33:
	;; [unrolled: 47-line block ×4, first 2 shown]
	s_or_b64 exec, exec, s[0:1]
	s_waitcnt lgkmcnt(2)
	v_lshlrev_b32_e32 v9, 2, v5
	s_waitcnt lgkmcnt(0)
	v_or_b32_e32 v4, 0x80, v9
	ds_bpermute_b32 v10, v4, v7
	ds_bpermute_b32 v3, v4, v1
	;; [unrolled: 1-line block ×3, first 2 shown]
	v_add_u32_e32 v6, 32, v6
	v_cmp_lt_u32_e32 vcc, v6, v8
	v_mov_b32_e32 v6, v7
	s_and_saveexec_b64 s[0:1], vcc
	s_cbranch_execz .LBB451_51
; %bb.46:
	s_waitcnt lgkmcnt(2)
	v_and_b32_e32 v6, v7, v10
	v_and_b32_e32 v6, 1, v6
	v_cmp_eq_u32_e32 vcc, 1, v6
	s_and_saveexec_b64 s[2:3], vcc
	s_xor_b64 s[2:3], exec, s[2:3]
	s_cbranch_execz .LBB451_48
; %bb.47:
	s_waitcnt lgkmcnt(0)
	v_cmp_lt_i64_e32 vcc, v[3:4], v[1:2]
                                        ; implicit-def: $vgpr7
                                        ; implicit-def: $vgpr10
	v_cndmask_b32_e32 v2, v2, v4, vcc
	v_cndmask_b32_e32 v1, v1, v3, vcc
                                        ; implicit-def: $vgpr3_vgpr4
.LBB451_48:
	s_or_saveexec_b64 s[2:3], s[2:3]
	v_mov_b32_e32 v6, 1
	s_xor_b64 exec, exec, s[2:3]
	s_cbranch_execz .LBB451_50
; %bb.49:
	v_and_b32_e32 v6, 1, v7
	v_cmp_eq_u32_e32 vcc, 1, v6
	v_cndmask_b32_e64 v6, v10, 1, vcc
	s_waitcnt lgkmcnt(0)
	v_cndmask_b32_e32 v2, v4, v2, vcc
	v_cndmask_b32_e32 v1, v3, v1, vcc
.LBB451_50:
	s_or_b64 exec, exec, s[2:3]
	v_and_b32_e32 v7, 0xff, v6
.LBB451_51:
	s_or_b64 exec, exec, s[0:1]
	v_cmp_eq_u32_e32 vcc, 0, v5
	s_and_saveexec_b64 s[0:1], vcc
	s_cbranch_execz .LBB451_53
; %bb.52:
	s_waitcnt lgkmcnt(1)
	v_lshrrev_b32_e32 v3, 2, v0
	v_and_b32_e32 v3, 16, v3
	ds_write_b8 v3, v6 offset:32
	ds_write_b64 v3, v[1:2] offset:40
.LBB451_53:
	s_or_b64 exec, exec, s[0:1]
	v_cmp_gt_u32_e32 vcc, 2, v0
	s_waitcnt lgkmcnt(0)
	s_barrier
	s_and_saveexec_b64 s[0:1], vcc
	s_cbranch_execz .LBB451_61
; %bb.54:
	v_lshlrev_b32_e32 v1, 4, v5
	ds_read_u8 v6, v1 offset:32
	ds_read_b64 v[1:2], v1 offset:40
	v_or_b32_e32 v4, 4, v9
	s_add_i32 s4, s4, 63
	v_and_b32_e32 v5, 1, v5
	s_waitcnt lgkmcnt(1)
	v_and_b32_e32 v7, 0xff, v6
	s_waitcnt lgkmcnt(0)
	ds_bpermute_b32 v3, v4, v1
	ds_bpermute_b32 v8, v4, v7
	;; [unrolled: 1-line block ×3, first 2 shown]
	s_lshr_b32 s2, s4, 6
	v_add_u32_e32 v5, 1, v5
	v_cmp_gt_u32_e32 vcc, s2, v5
	s_and_saveexec_b64 s[2:3], vcc
	s_cbranch_execz .LBB451_60
; %bb.55:
	s_waitcnt lgkmcnt(1)
	v_and_b32_e32 v5, v7, v8
	v_and_b32_e32 v5, 1, v5
	v_cmp_eq_u32_e32 vcc, 1, v5
	s_and_saveexec_b64 s[4:5], vcc
	s_xor_b64 s[4:5], exec, s[4:5]
	s_cbranch_execz .LBB451_57
; %bb.56:
	s_waitcnt lgkmcnt(0)
	v_cmp_lt_i64_e32 vcc, v[3:4], v[1:2]
                                        ; implicit-def: $vgpr6
                                        ; implicit-def: $vgpr8
	v_cndmask_b32_e32 v2, v2, v4, vcc
	v_cndmask_b32_e32 v1, v1, v3, vcc
                                        ; implicit-def: $vgpr3_vgpr4
.LBB451_57:
	s_or_saveexec_b64 s[4:5], s[4:5]
	v_mov_b32_e32 v7, 1
	s_xor_b64 exec, exec, s[4:5]
	s_cbranch_execz .LBB451_59
; %bb.58:
	v_and_b32_e32 v5, 1, v6
	v_cmp_eq_u32_e32 vcc, 1, v5
	s_waitcnt lgkmcnt(0)
	v_cndmask_b32_e32 v2, v4, v2, vcc
	v_cndmask_b32_e32 v1, v3, v1, vcc
	v_cndmask_b32_e64 v7, v8, 1, vcc
.LBB451_59:
	s_or_b64 exec, exec, s[4:5]
.LBB451_60:
	s_or_b64 exec, exec, s[2:3]
.LBB451_61:
	s_or_b64 exec, exec, s[0:1]
.LBB451_62:
	v_cmp_eq_u32_e32 vcc, 0, v0
	s_and_saveexec_b64 s[0:1], vcc
	s_cbranch_execnz .LBB451_64
; %bb.63:
	s_endpgm
.LBB451_64:
	s_mul_i32 s0, s22, s21
	s_mul_hi_u32 s1, s22, s20
	s_add_i32 s0, s1, s0
	s_mul_i32 s1, s23, s20
	s_add_i32 s1, s0, s1
	s_mul_i32 s0, s22, s20
	s_lshl_b64 s[0:1], s[0:1], 4
	s_add_u32 s2, s18, s0
	s_addc_u32 s3, s19, s1
	s_cmp_eq_u64 s[16:17], 0
	s_waitcnt lgkmcnt(0)
	v_mov_b32_e32 v0, s9
	s_cselect_b64 vcc, -1, 0
	v_cndmask_b32_e32 v2, v2, v0, vcc
	v_mov_b32_e32 v0, s8
	s_lshl_b64 s[0:1], s[6:7], 4
	v_cndmask_b32_e32 v1, v1, v0, vcc
	v_mov_b32_e32 v0, s10
	s_add_u32 s0, s2, s0
	v_cndmask_b32_e32 v0, v7, v0, vcc
	s_addc_u32 s1, s3, s1
	v_mov_b32_e32 v3, 0
	global_store_byte v3, v0, s[0:1]
	global_store_dwordx2 v3, v[1:2], s[0:1] offset:8
	s_endpgm
	.section	.rodata,"a",@progbits
	.p2align	6, 0x0
	.amdhsa_kernel _ZN7rocprim17ROCPRIM_400000_NS6detail17trampoline_kernelINS0_14default_configENS1_22reduce_config_selectorIN6thrust23THRUST_200600_302600_NS5tupleIblNS6_9null_typeES8_S8_S8_S8_S8_S8_S8_EEEEZNS1_11reduce_implILb1ES3_NS6_12zip_iteratorINS7_INS6_11hip_rocprim26transform_input_iterator_tIbNSD_35transform_pair_of_input_iterators_tIbNS6_6detail15normal_iteratorINS6_10device_ptrIKfEEEESL_NS6_8equal_toIfEEEENSG_9not_fun_tINSD_8identityEEEEENSD_19counting_iterator_tIlEES8_S8_S8_S8_S8_S8_S8_S8_EEEEPS9_S9_NSD_9__find_if7functorIS9_EEEE10hipError_tPvRmT1_T2_T3_mT4_P12ihipStream_tbEUlT_E0_NS1_11comp_targetILNS1_3genE2ELNS1_11target_archE906ELNS1_3gpuE6ELNS1_3repE0EEENS1_30default_config_static_selectorELNS0_4arch9wavefront6targetE1EEEvS14_
		.amdhsa_group_segment_fixed_size 64
		.amdhsa_private_segment_fixed_size 0
		.amdhsa_kernarg_size 104
		.amdhsa_user_sgpr_count 6
		.amdhsa_user_sgpr_private_segment_buffer 1
		.amdhsa_user_sgpr_dispatch_ptr 0
		.amdhsa_user_sgpr_queue_ptr 0
		.amdhsa_user_sgpr_kernarg_segment_ptr 1
		.amdhsa_user_sgpr_dispatch_id 0
		.amdhsa_user_sgpr_flat_scratch_init 0
		.amdhsa_user_sgpr_private_segment_size 0
		.amdhsa_uses_dynamic_stack 0
		.amdhsa_system_sgpr_private_segment_wavefront_offset 0
		.amdhsa_system_sgpr_workgroup_id_x 1
		.amdhsa_system_sgpr_workgroup_id_y 0
		.amdhsa_system_sgpr_workgroup_id_z 0
		.amdhsa_system_sgpr_workgroup_info 0
		.amdhsa_system_vgpr_workitem_id 0
		.amdhsa_next_free_vgpr 14
		.amdhsa_next_free_sgpr 30
		.amdhsa_reserve_vcc 1
		.amdhsa_reserve_flat_scratch 0
		.amdhsa_float_round_mode_32 0
		.amdhsa_float_round_mode_16_64 0
		.amdhsa_float_denorm_mode_32 3
		.amdhsa_float_denorm_mode_16_64 3
		.amdhsa_dx10_clamp 1
		.amdhsa_ieee_mode 1
		.amdhsa_fp16_overflow 0
		.amdhsa_exception_fp_ieee_invalid_op 0
		.amdhsa_exception_fp_denorm_src 0
		.amdhsa_exception_fp_ieee_div_zero 0
		.amdhsa_exception_fp_ieee_overflow 0
		.amdhsa_exception_fp_ieee_underflow 0
		.amdhsa_exception_fp_ieee_inexact 0
		.amdhsa_exception_int_div_zero 0
	.end_amdhsa_kernel
	.section	.text._ZN7rocprim17ROCPRIM_400000_NS6detail17trampoline_kernelINS0_14default_configENS1_22reduce_config_selectorIN6thrust23THRUST_200600_302600_NS5tupleIblNS6_9null_typeES8_S8_S8_S8_S8_S8_S8_EEEEZNS1_11reduce_implILb1ES3_NS6_12zip_iteratorINS7_INS6_11hip_rocprim26transform_input_iterator_tIbNSD_35transform_pair_of_input_iterators_tIbNS6_6detail15normal_iteratorINS6_10device_ptrIKfEEEESL_NS6_8equal_toIfEEEENSG_9not_fun_tINSD_8identityEEEEENSD_19counting_iterator_tIlEES8_S8_S8_S8_S8_S8_S8_S8_EEEEPS9_S9_NSD_9__find_if7functorIS9_EEEE10hipError_tPvRmT1_T2_T3_mT4_P12ihipStream_tbEUlT_E0_NS1_11comp_targetILNS1_3genE2ELNS1_11target_archE906ELNS1_3gpuE6ELNS1_3repE0EEENS1_30default_config_static_selectorELNS0_4arch9wavefront6targetE1EEEvS14_,"axG",@progbits,_ZN7rocprim17ROCPRIM_400000_NS6detail17trampoline_kernelINS0_14default_configENS1_22reduce_config_selectorIN6thrust23THRUST_200600_302600_NS5tupleIblNS6_9null_typeES8_S8_S8_S8_S8_S8_S8_EEEEZNS1_11reduce_implILb1ES3_NS6_12zip_iteratorINS7_INS6_11hip_rocprim26transform_input_iterator_tIbNSD_35transform_pair_of_input_iterators_tIbNS6_6detail15normal_iteratorINS6_10device_ptrIKfEEEESL_NS6_8equal_toIfEEEENSG_9not_fun_tINSD_8identityEEEEENSD_19counting_iterator_tIlEES8_S8_S8_S8_S8_S8_S8_S8_EEEEPS9_S9_NSD_9__find_if7functorIS9_EEEE10hipError_tPvRmT1_T2_T3_mT4_P12ihipStream_tbEUlT_E0_NS1_11comp_targetILNS1_3genE2ELNS1_11target_archE906ELNS1_3gpuE6ELNS1_3repE0EEENS1_30default_config_static_selectorELNS0_4arch9wavefront6targetE1EEEvS14_,comdat
.Lfunc_end451:
	.size	_ZN7rocprim17ROCPRIM_400000_NS6detail17trampoline_kernelINS0_14default_configENS1_22reduce_config_selectorIN6thrust23THRUST_200600_302600_NS5tupleIblNS6_9null_typeES8_S8_S8_S8_S8_S8_S8_EEEEZNS1_11reduce_implILb1ES3_NS6_12zip_iteratorINS7_INS6_11hip_rocprim26transform_input_iterator_tIbNSD_35transform_pair_of_input_iterators_tIbNS6_6detail15normal_iteratorINS6_10device_ptrIKfEEEESL_NS6_8equal_toIfEEEENSG_9not_fun_tINSD_8identityEEEEENSD_19counting_iterator_tIlEES8_S8_S8_S8_S8_S8_S8_S8_EEEEPS9_S9_NSD_9__find_if7functorIS9_EEEE10hipError_tPvRmT1_T2_T3_mT4_P12ihipStream_tbEUlT_E0_NS1_11comp_targetILNS1_3genE2ELNS1_11target_archE906ELNS1_3gpuE6ELNS1_3repE0EEENS1_30default_config_static_selectorELNS0_4arch9wavefront6targetE1EEEvS14_, .Lfunc_end451-_ZN7rocprim17ROCPRIM_400000_NS6detail17trampoline_kernelINS0_14default_configENS1_22reduce_config_selectorIN6thrust23THRUST_200600_302600_NS5tupleIblNS6_9null_typeES8_S8_S8_S8_S8_S8_S8_EEEEZNS1_11reduce_implILb1ES3_NS6_12zip_iteratorINS7_INS6_11hip_rocprim26transform_input_iterator_tIbNSD_35transform_pair_of_input_iterators_tIbNS6_6detail15normal_iteratorINS6_10device_ptrIKfEEEESL_NS6_8equal_toIfEEEENSG_9not_fun_tINSD_8identityEEEEENSD_19counting_iterator_tIlEES8_S8_S8_S8_S8_S8_S8_S8_EEEEPS9_S9_NSD_9__find_if7functorIS9_EEEE10hipError_tPvRmT1_T2_T3_mT4_P12ihipStream_tbEUlT_E0_NS1_11comp_targetILNS1_3genE2ELNS1_11target_archE906ELNS1_3gpuE6ELNS1_3repE0EEENS1_30default_config_static_selectorELNS0_4arch9wavefront6targetE1EEEvS14_
                                        ; -- End function
	.set _ZN7rocprim17ROCPRIM_400000_NS6detail17trampoline_kernelINS0_14default_configENS1_22reduce_config_selectorIN6thrust23THRUST_200600_302600_NS5tupleIblNS6_9null_typeES8_S8_S8_S8_S8_S8_S8_EEEEZNS1_11reduce_implILb1ES3_NS6_12zip_iteratorINS7_INS6_11hip_rocprim26transform_input_iterator_tIbNSD_35transform_pair_of_input_iterators_tIbNS6_6detail15normal_iteratorINS6_10device_ptrIKfEEEESL_NS6_8equal_toIfEEEENSG_9not_fun_tINSD_8identityEEEEENSD_19counting_iterator_tIlEES8_S8_S8_S8_S8_S8_S8_S8_EEEEPS9_S9_NSD_9__find_if7functorIS9_EEEE10hipError_tPvRmT1_T2_T3_mT4_P12ihipStream_tbEUlT_E0_NS1_11comp_targetILNS1_3genE2ELNS1_11target_archE906ELNS1_3gpuE6ELNS1_3repE0EEENS1_30default_config_static_selectorELNS0_4arch9wavefront6targetE1EEEvS14_.num_vgpr, 14
	.set _ZN7rocprim17ROCPRIM_400000_NS6detail17trampoline_kernelINS0_14default_configENS1_22reduce_config_selectorIN6thrust23THRUST_200600_302600_NS5tupleIblNS6_9null_typeES8_S8_S8_S8_S8_S8_S8_EEEEZNS1_11reduce_implILb1ES3_NS6_12zip_iteratorINS7_INS6_11hip_rocprim26transform_input_iterator_tIbNSD_35transform_pair_of_input_iterators_tIbNS6_6detail15normal_iteratorINS6_10device_ptrIKfEEEESL_NS6_8equal_toIfEEEENSG_9not_fun_tINSD_8identityEEEEENSD_19counting_iterator_tIlEES8_S8_S8_S8_S8_S8_S8_S8_EEEEPS9_S9_NSD_9__find_if7functorIS9_EEEE10hipError_tPvRmT1_T2_T3_mT4_P12ihipStream_tbEUlT_E0_NS1_11comp_targetILNS1_3genE2ELNS1_11target_archE906ELNS1_3gpuE6ELNS1_3repE0EEENS1_30default_config_static_selectorELNS0_4arch9wavefront6targetE1EEEvS14_.num_agpr, 0
	.set _ZN7rocprim17ROCPRIM_400000_NS6detail17trampoline_kernelINS0_14default_configENS1_22reduce_config_selectorIN6thrust23THRUST_200600_302600_NS5tupleIblNS6_9null_typeES8_S8_S8_S8_S8_S8_S8_EEEEZNS1_11reduce_implILb1ES3_NS6_12zip_iteratorINS7_INS6_11hip_rocprim26transform_input_iterator_tIbNSD_35transform_pair_of_input_iterators_tIbNS6_6detail15normal_iteratorINS6_10device_ptrIKfEEEESL_NS6_8equal_toIfEEEENSG_9not_fun_tINSD_8identityEEEEENSD_19counting_iterator_tIlEES8_S8_S8_S8_S8_S8_S8_S8_EEEEPS9_S9_NSD_9__find_if7functorIS9_EEEE10hipError_tPvRmT1_T2_T3_mT4_P12ihipStream_tbEUlT_E0_NS1_11comp_targetILNS1_3genE2ELNS1_11target_archE906ELNS1_3gpuE6ELNS1_3repE0EEENS1_30default_config_static_selectorELNS0_4arch9wavefront6targetE1EEEvS14_.numbered_sgpr, 30
	.set _ZN7rocprim17ROCPRIM_400000_NS6detail17trampoline_kernelINS0_14default_configENS1_22reduce_config_selectorIN6thrust23THRUST_200600_302600_NS5tupleIblNS6_9null_typeES8_S8_S8_S8_S8_S8_S8_EEEEZNS1_11reduce_implILb1ES3_NS6_12zip_iteratorINS7_INS6_11hip_rocprim26transform_input_iterator_tIbNSD_35transform_pair_of_input_iterators_tIbNS6_6detail15normal_iteratorINS6_10device_ptrIKfEEEESL_NS6_8equal_toIfEEEENSG_9not_fun_tINSD_8identityEEEEENSD_19counting_iterator_tIlEES8_S8_S8_S8_S8_S8_S8_S8_EEEEPS9_S9_NSD_9__find_if7functorIS9_EEEE10hipError_tPvRmT1_T2_T3_mT4_P12ihipStream_tbEUlT_E0_NS1_11comp_targetILNS1_3genE2ELNS1_11target_archE906ELNS1_3gpuE6ELNS1_3repE0EEENS1_30default_config_static_selectorELNS0_4arch9wavefront6targetE1EEEvS14_.num_named_barrier, 0
	.set _ZN7rocprim17ROCPRIM_400000_NS6detail17trampoline_kernelINS0_14default_configENS1_22reduce_config_selectorIN6thrust23THRUST_200600_302600_NS5tupleIblNS6_9null_typeES8_S8_S8_S8_S8_S8_S8_EEEEZNS1_11reduce_implILb1ES3_NS6_12zip_iteratorINS7_INS6_11hip_rocprim26transform_input_iterator_tIbNSD_35transform_pair_of_input_iterators_tIbNS6_6detail15normal_iteratorINS6_10device_ptrIKfEEEESL_NS6_8equal_toIfEEEENSG_9not_fun_tINSD_8identityEEEEENSD_19counting_iterator_tIlEES8_S8_S8_S8_S8_S8_S8_S8_EEEEPS9_S9_NSD_9__find_if7functorIS9_EEEE10hipError_tPvRmT1_T2_T3_mT4_P12ihipStream_tbEUlT_E0_NS1_11comp_targetILNS1_3genE2ELNS1_11target_archE906ELNS1_3gpuE6ELNS1_3repE0EEENS1_30default_config_static_selectorELNS0_4arch9wavefront6targetE1EEEvS14_.private_seg_size, 0
	.set _ZN7rocprim17ROCPRIM_400000_NS6detail17trampoline_kernelINS0_14default_configENS1_22reduce_config_selectorIN6thrust23THRUST_200600_302600_NS5tupleIblNS6_9null_typeES8_S8_S8_S8_S8_S8_S8_EEEEZNS1_11reduce_implILb1ES3_NS6_12zip_iteratorINS7_INS6_11hip_rocprim26transform_input_iterator_tIbNSD_35transform_pair_of_input_iterators_tIbNS6_6detail15normal_iteratorINS6_10device_ptrIKfEEEESL_NS6_8equal_toIfEEEENSG_9not_fun_tINSD_8identityEEEEENSD_19counting_iterator_tIlEES8_S8_S8_S8_S8_S8_S8_S8_EEEEPS9_S9_NSD_9__find_if7functorIS9_EEEE10hipError_tPvRmT1_T2_T3_mT4_P12ihipStream_tbEUlT_E0_NS1_11comp_targetILNS1_3genE2ELNS1_11target_archE906ELNS1_3gpuE6ELNS1_3repE0EEENS1_30default_config_static_selectorELNS0_4arch9wavefront6targetE1EEEvS14_.uses_vcc, 1
	.set _ZN7rocprim17ROCPRIM_400000_NS6detail17trampoline_kernelINS0_14default_configENS1_22reduce_config_selectorIN6thrust23THRUST_200600_302600_NS5tupleIblNS6_9null_typeES8_S8_S8_S8_S8_S8_S8_EEEEZNS1_11reduce_implILb1ES3_NS6_12zip_iteratorINS7_INS6_11hip_rocprim26transform_input_iterator_tIbNSD_35transform_pair_of_input_iterators_tIbNS6_6detail15normal_iteratorINS6_10device_ptrIKfEEEESL_NS6_8equal_toIfEEEENSG_9not_fun_tINSD_8identityEEEEENSD_19counting_iterator_tIlEES8_S8_S8_S8_S8_S8_S8_S8_EEEEPS9_S9_NSD_9__find_if7functorIS9_EEEE10hipError_tPvRmT1_T2_T3_mT4_P12ihipStream_tbEUlT_E0_NS1_11comp_targetILNS1_3genE2ELNS1_11target_archE906ELNS1_3gpuE6ELNS1_3repE0EEENS1_30default_config_static_selectorELNS0_4arch9wavefront6targetE1EEEvS14_.uses_flat_scratch, 0
	.set _ZN7rocprim17ROCPRIM_400000_NS6detail17trampoline_kernelINS0_14default_configENS1_22reduce_config_selectorIN6thrust23THRUST_200600_302600_NS5tupleIblNS6_9null_typeES8_S8_S8_S8_S8_S8_S8_EEEEZNS1_11reduce_implILb1ES3_NS6_12zip_iteratorINS7_INS6_11hip_rocprim26transform_input_iterator_tIbNSD_35transform_pair_of_input_iterators_tIbNS6_6detail15normal_iteratorINS6_10device_ptrIKfEEEESL_NS6_8equal_toIfEEEENSG_9not_fun_tINSD_8identityEEEEENSD_19counting_iterator_tIlEES8_S8_S8_S8_S8_S8_S8_S8_EEEEPS9_S9_NSD_9__find_if7functorIS9_EEEE10hipError_tPvRmT1_T2_T3_mT4_P12ihipStream_tbEUlT_E0_NS1_11comp_targetILNS1_3genE2ELNS1_11target_archE906ELNS1_3gpuE6ELNS1_3repE0EEENS1_30default_config_static_selectorELNS0_4arch9wavefront6targetE1EEEvS14_.has_dyn_sized_stack, 0
	.set _ZN7rocprim17ROCPRIM_400000_NS6detail17trampoline_kernelINS0_14default_configENS1_22reduce_config_selectorIN6thrust23THRUST_200600_302600_NS5tupleIblNS6_9null_typeES8_S8_S8_S8_S8_S8_S8_EEEEZNS1_11reduce_implILb1ES3_NS6_12zip_iteratorINS7_INS6_11hip_rocprim26transform_input_iterator_tIbNSD_35transform_pair_of_input_iterators_tIbNS6_6detail15normal_iteratorINS6_10device_ptrIKfEEEESL_NS6_8equal_toIfEEEENSG_9not_fun_tINSD_8identityEEEEENSD_19counting_iterator_tIlEES8_S8_S8_S8_S8_S8_S8_S8_EEEEPS9_S9_NSD_9__find_if7functorIS9_EEEE10hipError_tPvRmT1_T2_T3_mT4_P12ihipStream_tbEUlT_E0_NS1_11comp_targetILNS1_3genE2ELNS1_11target_archE906ELNS1_3gpuE6ELNS1_3repE0EEENS1_30default_config_static_selectorELNS0_4arch9wavefront6targetE1EEEvS14_.has_recursion, 0
	.set _ZN7rocprim17ROCPRIM_400000_NS6detail17trampoline_kernelINS0_14default_configENS1_22reduce_config_selectorIN6thrust23THRUST_200600_302600_NS5tupleIblNS6_9null_typeES8_S8_S8_S8_S8_S8_S8_EEEEZNS1_11reduce_implILb1ES3_NS6_12zip_iteratorINS7_INS6_11hip_rocprim26transform_input_iterator_tIbNSD_35transform_pair_of_input_iterators_tIbNS6_6detail15normal_iteratorINS6_10device_ptrIKfEEEESL_NS6_8equal_toIfEEEENSG_9not_fun_tINSD_8identityEEEEENSD_19counting_iterator_tIlEES8_S8_S8_S8_S8_S8_S8_S8_EEEEPS9_S9_NSD_9__find_if7functorIS9_EEEE10hipError_tPvRmT1_T2_T3_mT4_P12ihipStream_tbEUlT_E0_NS1_11comp_targetILNS1_3genE2ELNS1_11target_archE906ELNS1_3gpuE6ELNS1_3repE0EEENS1_30default_config_static_selectorELNS0_4arch9wavefront6targetE1EEEvS14_.has_indirect_call, 0
	.section	.AMDGPU.csdata,"",@progbits
; Kernel info:
; codeLenInByte = 2792
; TotalNumSgprs: 34
; NumVgprs: 14
; ScratchSize: 0
; MemoryBound: 0
; FloatMode: 240
; IeeeMode: 1
; LDSByteSize: 64 bytes/workgroup (compile time only)
; SGPRBlocks: 4
; VGPRBlocks: 3
; NumSGPRsForWavesPerEU: 34
; NumVGPRsForWavesPerEU: 14
; Occupancy: 10
; WaveLimiterHint : 0
; COMPUTE_PGM_RSRC2:SCRATCH_EN: 0
; COMPUTE_PGM_RSRC2:USER_SGPR: 6
; COMPUTE_PGM_RSRC2:TRAP_HANDLER: 0
; COMPUTE_PGM_RSRC2:TGID_X_EN: 1
; COMPUTE_PGM_RSRC2:TGID_Y_EN: 0
; COMPUTE_PGM_RSRC2:TGID_Z_EN: 0
; COMPUTE_PGM_RSRC2:TIDIG_COMP_CNT: 0
	.section	.text._ZN7rocprim17ROCPRIM_400000_NS6detail17trampoline_kernelINS0_14default_configENS1_22reduce_config_selectorIN6thrust23THRUST_200600_302600_NS5tupleIblNS6_9null_typeES8_S8_S8_S8_S8_S8_S8_EEEEZNS1_11reduce_implILb1ES3_NS6_12zip_iteratorINS7_INS6_11hip_rocprim26transform_input_iterator_tIbNSD_35transform_pair_of_input_iterators_tIbNS6_6detail15normal_iteratorINS6_10device_ptrIKfEEEESL_NS6_8equal_toIfEEEENSG_9not_fun_tINSD_8identityEEEEENSD_19counting_iterator_tIlEES8_S8_S8_S8_S8_S8_S8_S8_EEEEPS9_S9_NSD_9__find_if7functorIS9_EEEE10hipError_tPvRmT1_T2_T3_mT4_P12ihipStream_tbEUlT_E0_NS1_11comp_targetILNS1_3genE10ELNS1_11target_archE1201ELNS1_3gpuE5ELNS1_3repE0EEENS1_30default_config_static_selectorELNS0_4arch9wavefront6targetE1EEEvS14_,"axG",@progbits,_ZN7rocprim17ROCPRIM_400000_NS6detail17trampoline_kernelINS0_14default_configENS1_22reduce_config_selectorIN6thrust23THRUST_200600_302600_NS5tupleIblNS6_9null_typeES8_S8_S8_S8_S8_S8_S8_EEEEZNS1_11reduce_implILb1ES3_NS6_12zip_iteratorINS7_INS6_11hip_rocprim26transform_input_iterator_tIbNSD_35transform_pair_of_input_iterators_tIbNS6_6detail15normal_iteratorINS6_10device_ptrIKfEEEESL_NS6_8equal_toIfEEEENSG_9not_fun_tINSD_8identityEEEEENSD_19counting_iterator_tIlEES8_S8_S8_S8_S8_S8_S8_S8_EEEEPS9_S9_NSD_9__find_if7functorIS9_EEEE10hipError_tPvRmT1_T2_T3_mT4_P12ihipStream_tbEUlT_E0_NS1_11comp_targetILNS1_3genE10ELNS1_11target_archE1201ELNS1_3gpuE5ELNS1_3repE0EEENS1_30default_config_static_selectorELNS0_4arch9wavefront6targetE1EEEvS14_,comdat
	.protected	_ZN7rocprim17ROCPRIM_400000_NS6detail17trampoline_kernelINS0_14default_configENS1_22reduce_config_selectorIN6thrust23THRUST_200600_302600_NS5tupleIblNS6_9null_typeES8_S8_S8_S8_S8_S8_S8_EEEEZNS1_11reduce_implILb1ES3_NS6_12zip_iteratorINS7_INS6_11hip_rocprim26transform_input_iterator_tIbNSD_35transform_pair_of_input_iterators_tIbNS6_6detail15normal_iteratorINS6_10device_ptrIKfEEEESL_NS6_8equal_toIfEEEENSG_9not_fun_tINSD_8identityEEEEENSD_19counting_iterator_tIlEES8_S8_S8_S8_S8_S8_S8_S8_EEEEPS9_S9_NSD_9__find_if7functorIS9_EEEE10hipError_tPvRmT1_T2_T3_mT4_P12ihipStream_tbEUlT_E0_NS1_11comp_targetILNS1_3genE10ELNS1_11target_archE1201ELNS1_3gpuE5ELNS1_3repE0EEENS1_30default_config_static_selectorELNS0_4arch9wavefront6targetE1EEEvS14_ ; -- Begin function _ZN7rocprim17ROCPRIM_400000_NS6detail17trampoline_kernelINS0_14default_configENS1_22reduce_config_selectorIN6thrust23THRUST_200600_302600_NS5tupleIblNS6_9null_typeES8_S8_S8_S8_S8_S8_S8_EEEEZNS1_11reduce_implILb1ES3_NS6_12zip_iteratorINS7_INS6_11hip_rocprim26transform_input_iterator_tIbNSD_35transform_pair_of_input_iterators_tIbNS6_6detail15normal_iteratorINS6_10device_ptrIKfEEEESL_NS6_8equal_toIfEEEENSG_9not_fun_tINSD_8identityEEEEENSD_19counting_iterator_tIlEES8_S8_S8_S8_S8_S8_S8_S8_EEEEPS9_S9_NSD_9__find_if7functorIS9_EEEE10hipError_tPvRmT1_T2_T3_mT4_P12ihipStream_tbEUlT_E0_NS1_11comp_targetILNS1_3genE10ELNS1_11target_archE1201ELNS1_3gpuE5ELNS1_3repE0EEENS1_30default_config_static_selectorELNS0_4arch9wavefront6targetE1EEEvS14_
	.globl	_ZN7rocprim17ROCPRIM_400000_NS6detail17trampoline_kernelINS0_14default_configENS1_22reduce_config_selectorIN6thrust23THRUST_200600_302600_NS5tupleIblNS6_9null_typeES8_S8_S8_S8_S8_S8_S8_EEEEZNS1_11reduce_implILb1ES3_NS6_12zip_iteratorINS7_INS6_11hip_rocprim26transform_input_iterator_tIbNSD_35transform_pair_of_input_iterators_tIbNS6_6detail15normal_iteratorINS6_10device_ptrIKfEEEESL_NS6_8equal_toIfEEEENSG_9not_fun_tINSD_8identityEEEEENSD_19counting_iterator_tIlEES8_S8_S8_S8_S8_S8_S8_S8_EEEEPS9_S9_NSD_9__find_if7functorIS9_EEEE10hipError_tPvRmT1_T2_T3_mT4_P12ihipStream_tbEUlT_E0_NS1_11comp_targetILNS1_3genE10ELNS1_11target_archE1201ELNS1_3gpuE5ELNS1_3repE0EEENS1_30default_config_static_selectorELNS0_4arch9wavefront6targetE1EEEvS14_
	.p2align	8
	.type	_ZN7rocprim17ROCPRIM_400000_NS6detail17trampoline_kernelINS0_14default_configENS1_22reduce_config_selectorIN6thrust23THRUST_200600_302600_NS5tupleIblNS6_9null_typeES8_S8_S8_S8_S8_S8_S8_EEEEZNS1_11reduce_implILb1ES3_NS6_12zip_iteratorINS7_INS6_11hip_rocprim26transform_input_iterator_tIbNSD_35transform_pair_of_input_iterators_tIbNS6_6detail15normal_iteratorINS6_10device_ptrIKfEEEESL_NS6_8equal_toIfEEEENSG_9not_fun_tINSD_8identityEEEEENSD_19counting_iterator_tIlEES8_S8_S8_S8_S8_S8_S8_S8_EEEEPS9_S9_NSD_9__find_if7functorIS9_EEEE10hipError_tPvRmT1_T2_T3_mT4_P12ihipStream_tbEUlT_E0_NS1_11comp_targetILNS1_3genE10ELNS1_11target_archE1201ELNS1_3gpuE5ELNS1_3repE0EEENS1_30default_config_static_selectorELNS0_4arch9wavefront6targetE1EEEvS14_,@function
_ZN7rocprim17ROCPRIM_400000_NS6detail17trampoline_kernelINS0_14default_configENS1_22reduce_config_selectorIN6thrust23THRUST_200600_302600_NS5tupleIblNS6_9null_typeES8_S8_S8_S8_S8_S8_S8_EEEEZNS1_11reduce_implILb1ES3_NS6_12zip_iteratorINS7_INS6_11hip_rocprim26transform_input_iterator_tIbNSD_35transform_pair_of_input_iterators_tIbNS6_6detail15normal_iteratorINS6_10device_ptrIKfEEEESL_NS6_8equal_toIfEEEENSG_9not_fun_tINSD_8identityEEEEENSD_19counting_iterator_tIlEES8_S8_S8_S8_S8_S8_S8_S8_EEEEPS9_S9_NSD_9__find_if7functorIS9_EEEE10hipError_tPvRmT1_T2_T3_mT4_P12ihipStream_tbEUlT_E0_NS1_11comp_targetILNS1_3genE10ELNS1_11target_archE1201ELNS1_3gpuE5ELNS1_3repE0EEENS1_30default_config_static_selectorELNS0_4arch9wavefront6targetE1EEEvS14_: ; @_ZN7rocprim17ROCPRIM_400000_NS6detail17trampoline_kernelINS0_14default_configENS1_22reduce_config_selectorIN6thrust23THRUST_200600_302600_NS5tupleIblNS6_9null_typeES8_S8_S8_S8_S8_S8_S8_EEEEZNS1_11reduce_implILb1ES3_NS6_12zip_iteratorINS7_INS6_11hip_rocprim26transform_input_iterator_tIbNSD_35transform_pair_of_input_iterators_tIbNS6_6detail15normal_iteratorINS6_10device_ptrIKfEEEESL_NS6_8equal_toIfEEEENSG_9not_fun_tINSD_8identityEEEEENSD_19counting_iterator_tIlEES8_S8_S8_S8_S8_S8_S8_S8_EEEEPS9_S9_NSD_9__find_if7functorIS9_EEEE10hipError_tPvRmT1_T2_T3_mT4_P12ihipStream_tbEUlT_E0_NS1_11comp_targetILNS1_3genE10ELNS1_11target_archE1201ELNS1_3gpuE5ELNS1_3repE0EEENS1_30default_config_static_selectorELNS0_4arch9wavefront6targetE1EEEvS14_
; %bb.0:
	.section	.rodata,"a",@progbits
	.p2align	6, 0x0
	.amdhsa_kernel _ZN7rocprim17ROCPRIM_400000_NS6detail17trampoline_kernelINS0_14default_configENS1_22reduce_config_selectorIN6thrust23THRUST_200600_302600_NS5tupleIblNS6_9null_typeES8_S8_S8_S8_S8_S8_S8_EEEEZNS1_11reduce_implILb1ES3_NS6_12zip_iteratorINS7_INS6_11hip_rocprim26transform_input_iterator_tIbNSD_35transform_pair_of_input_iterators_tIbNS6_6detail15normal_iteratorINS6_10device_ptrIKfEEEESL_NS6_8equal_toIfEEEENSG_9not_fun_tINSD_8identityEEEEENSD_19counting_iterator_tIlEES8_S8_S8_S8_S8_S8_S8_S8_EEEEPS9_S9_NSD_9__find_if7functorIS9_EEEE10hipError_tPvRmT1_T2_T3_mT4_P12ihipStream_tbEUlT_E0_NS1_11comp_targetILNS1_3genE10ELNS1_11target_archE1201ELNS1_3gpuE5ELNS1_3repE0EEENS1_30default_config_static_selectorELNS0_4arch9wavefront6targetE1EEEvS14_
		.amdhsa_group_segment_fixed_size 0
		.amdhsa_private_segment_fixed_size 0
		.amdhsa_kernarg_size 104
		.amdhsa_user_sgpr_count 6
		.amdhsa_user_sgpr_private_segment_buffer 1
		.amdhsa_user_sgpr_dispatch_ptr 0
		.amdhsa_user_sgpr_queue_ptr 0
		.amdhsa_user_sgpr_kernarg_segment_ptr 1
		.amdhsa_user_sgpr_dispatch_id 0
		.amdhsa_user_sgpr_flat_scratch_init 0
		.amdhsa_user_sgpr_private_segment_size 0
		.amdhsa_uses_dynamic_stack 0
		.amdhsa_system_sgpr_private_segment_wavefront_offset 0
		.amdhsa_system_sgpr_workgroup_id_x 1
		.amdhsa_system_sgpr_workgroup_id_y 0
		.amdhsa_system_sgpr_workgroup_id_z 0
		.amdhsa_system_sgpr_workgroup_info 0
		.amdhsa_system_vgpr_workitem_id 0
		.amdhsa_next_free_vgpr 1
		.amdhsa_next_free_sgpr 0
		.amdhsa_reserve_vcc 0
		.amdhsa_reserve_flat_scratch 0
		.amdhsa_float_round_mode_32 0
		.amdhsa_float_round_mode_16_64 0
		.amdhsa_float_denorm_mode_32 3
		.amdhsa_float_denorm_mode_16_64 3
		.amdhsa_dx10_clamp 1
		.amdhsa_ieee_mode 1
		.amdhsa_fp16_overflow 0
		.amdhsa_exception_fp_ieee_invalid_op 0
		.amdhsa_exception_fp_denorm_src 0
		.amdhsa_exception_fp_ieee_div_zero 0
		.amdhsa_exception_fp_ieee_overflow 0
		.amdhsa_exception_fp_ieee_underflow 0
		.amdhsa_exception_fp_ieee_inexact 0
		.amdhsa_exception_int_div_zero 0
	.end_amdhsa_kernel
	.section	.text._ZN7rocprim17ROCPRIM_400000_NS6detail17trampoline_kernelINS0_14default_configENS1_22reduce_config_selectorIN6thrust23THRUST_200600_302600_NS5tupleIblNS6_9null_typeES8_S8_S8_S8_S8_S8_S8_EEEEZNS1_11reduce_implILb1ES3_NS6_12zip_iteratorINS7_INS6_11hip_rocprim26transform_input_iterator_tIbNSD_35transform_pair_of_input_iterators_tIbNS6_6detail15normal_iteratorINS6_10device_ptrIKfEEEESL_NS6_8equal_toIfEEEENSG_9not_fun_tINSD_8identityEEEEENSD_19counting_iterator_tIlEES8_S8_S8_S8_S8_S8_S8_S8_EEEEPS9_S9_NSD_9__find_if7functorIS9_EEEE10hipError_tPvRmT1_T2_T3_mT4_P12ihipStream_tbEUlT_E0_NS1_11comp_targetILNS1_3genE10ELNS1_11target_archE1201ELNS1_3gpuE5ELNS1_3repE0EEENS1_30default_config_static_selectorELNS0_4arch9wavefront6targetE1EEEvS14_,"axG",@progbits,_ZN7rocprim17ROCPRIM_400000_NS6detail17trampoline_kernelINS0_14default_configENS1_22reduce_config_selectorIN6thrust23THRUST_200600_302600_NS5tupleIblNS6_9null_typeES8_S8_S8_S8_S8_S8_S8_EEEEZNS1_11reduce_implILb1ES3_NS6_12zip_iteratorINS7_INS6_11hip_rocprim26transform_input_iterator_tIbNSD_35transform_pair_of_input_iterators_tIbNS6_6detail15normal_iteratorINS6_10device_ptrIKfEEEESL_NS6_8equal_toIfEEEENSG_9not_fun_tINSD_8identityEEEEENSD_19counting_iterator_tIlEES8_S8_S8_S8_S8_S8_S8_S8_EEEEPS9_S9_NSD_9__find_if7functorIS9_EEEE10hipError_tPvRmT1_T2_T3_mT4_P12ihipStream_tbEUlT_E0_NS1_11comp_targetILNS1_3genE10ELNS1_11target_archE1201ELNS1_3gpuE5ELNS1_3repE0EEENS1_30default_config_static_selectorELNS0_4arch9wavefront6targetE1EEEvS14_,comdat
.Lfunc_end452:
	.size	_ZN7rocprim17ROCPRIM_400000_NS6detail17trampoline_kernelINS0_14default_configENS1_22reduce_config_selectorIN6thrust23THRUST_200600_302600_NS5tupleIblNS6_9null_typeES8_S8_S8_S8_S8_S8_S8_EEEEZNS1_11reduce_implILb1ES3_NS6_12zip_iteratorINS7_INS6_11hip_rocprim26transform_input_iterator_tIbNSD_35transform_pair_of_input_iterators_tIbNS6_6detail15normal_iteratorINS6_10device_ptrIKfEEEESL_NS6_8equal_toIfEEEENSG_9not_fun_tINSD_8identityEEEEENSD_19counting_iterator_tIlEES8_S8_S8_S8_S8_S8_S8_S8_EEEEPS9_S9_NSD_9__find_if7functorIS9_EEEE10hipError_tPvRmT1_T2_T3_mT4_P12ihipStream_tbEUlT_E0_NS1_11comp_targetILNS1_3genE10ELNS1_11target_archE1201ELNS1_3gpuE5ELNS1_3repE0EEENS1_30default_config_static_selectorELNS0_4arch9wavefront6targetE1EEEvS14_, .Lfunc_end452-_ZN7rocprim17ROCPRIM_400000_NS6detail17trampoline_kernelINS0_14default_configENS1_22reduce_config_selectorIN6thrust23THRUST_200600_302600_NS5tupleIblNS6_9null_typeES8_S8_S8_S8_S8_S8_S8_EEEEZNS1_11reduce_implILb1ES3_NS6_12zip_iteratorINS7_INS6_11hip_rocprim26transform_input_iterator_tIbNSD_35transform_pair_of_input_iterators_tIbNS6_6detail15normal_iteratorINS6_10device_ptrIKfEEEESL_NS6_8equal_toIfEEEENSG_9not_fun_tINSD_8identityEEEEENSD_19counting_iterator_tIlEES8_S8_S8_S8_S8_S8_S8_S8_EEEEPS9_S9_NSD_9__find_if7functorIS9_EEEE10hipError_tPvRmT1_T2_T3_mT4_P12ihipStream_tbEUlT_E0_NS1_11comp_targetILNS1_3genE10ELNS1_11target_archE1201ELNS1_3gpuE5ELNS1_3repE0EEENS1_30default_config_static_selectorELNS0_4arch9wavefront6targetE1EEEvS14_
                                        ; -- End function
	.set _ZN7rocprim17ROCPRIM_400000_NS6detail17trampoline_kernelINS0_14default_configENS1_22reduce_config_selectorIN6thrust23THRUST_200600_302600_NS5tupleIblNS6_9null_typeES8_S8_S8_S8_S8_S8_S8_EEEEZNS1_11reduce_implILb1ES3_NS6_12zip_iteratorINS7_INS6_11hip_rocprim26transform_input_iterator_tIbNSD_35transform_pair_of_input_iterators_tIbNS6_6detail15normal_iteratorINS6_10device_ptrIKfEEEESL_NS6_8equal_toIfEEEENSG_9not_fun_tINSD_8identityEEEEENSD_19counting_iterator_tIlEES8_S8_S8_S8_S8_S8_S8_S8_EEEEPS9_S9_NSD_9__find_if7functorIS9_EEEE10hipError_tPvRmT1_T2_T3_mT4_P12ihipStream_tbEUlT_E0_NS1_11comp_targetILNS1_3genE10ELNS1_11target_archE1201ELNS1_3gpuE5ELNS1_3repE0EEENS1_30default_config_static_selectorELNS0_4arch9wavefront6targetE1EEEvS14_.num_vgpr, 0
	.set _ZN7rocprim17ROCPRIM_400000_NS6detail17trampoline_kernelINS0_14default_configENS1_22reduce_config_selectorIN6thrust23THRUST_200600_302600_NS5tupleIblNS6_9null_typeES8_S8_S8_S8_S8_S8_S8_EEEEZNS1_11reduce_implILb1ES3_NS6_12zip_iteratorINS7_INS6_11hip_rocprim26transform_input_iterator_tIbNSD_35transform_pair_of_input_iterators_tIbNS6_6detail15normal_iteratorINS6_10device_ptrIKfEEEESL_NS6_8equal_toIfEEEENSG_9not_fun_tINSD_8identityEEEEENSD_19counting_iterator_tIlEES8_S8_S8_S8_S8_S8_S8_S8_EEEEPS9_S9_NSD_9__find_if7functorIS9_EEEE10hipError_tPvRmT1_T2_T3_mT4_P12ihipStream_tbEUlT_E0_NS1_11comp_targetILNS1_3genE10ELNS1_11target_archE1201ELNS1_3gpuE5ELNS1_3repE0EEENS1_30default_config_static_selectorELNS0_4arch9wavefront6targetE1EEEvS14_.num_agpr, 0
	.set _ZN7rocprim17ROCPRIM_400000_NS6detail17trampoline_kernelINS0_14default_configENS1_22reduce_config_selectorIN6thrust23THRUST_200600_302600_NS5tupleIblNS6_9null_typeES8_S8_S8_S8_S8_S8_S8_EEEEZNS1_11reduce_implILb1ES3_NS6_12zip_iteratorINS7_INS6_11hip_rocprim26transform_input_iterator_tIbNSD_35transform_pair_of_input_iterators_tIbNS6_6detail15normal_iteratorINS6_10device_ptrIKfEEEESL_NS6_8equal_toIfEEEENSG_9not_fun_tINSD_8identityEEEEENSD_19counting_iterator_tIlEES8_S8_S8_S8_S8_S8_S8_S8_EEEEPS9_S9_NSD_9__find_if7functorIS9_EEEE10hipError_tPvRmT1_T2_T3_mT4_P12ihipStream_tbEUlT_E0_NS1_11comp_targetILNS1_3genE10ELNS1_11target_archE1201ELNS1_3gpuE5ELNS1_3repE0EEENS1_30default_config_static_selectorELNS0_4arch9wavefront6targetE1EEEvS14_.numbered_sgpr, 0
	.set _ZN7rocprim17ROCPRIM_400000_NS6detail17trampoline_kernelINS0_14default_configENS1_22reduce_config_selectorIN6thrust23THRUST_200600_302600_NS5tupleIblNS6_9null_typeES8_S8_S8_S8_S8_S8_S8_EEEEZNS1_11reduce_implILb1ES3_NS6_12zip_iteratorINS7_INS6_11hip_rocprim26transform_input_iterator_tIbNSD_35transform_pair_of_input_iterators_tIbNS6_6detail15normal_iteratorINS6_10device_ptrIKfEEEESL_NS6_8equal_toIfEEEENSG_9not_fun_tINSD_8identityEEEEENSD_19counting_iterator_tIlEES8_S8_S8_S8_S8_S8_S8_S8_EEEEPS9_S9_NSD_9__find_if7functorIS9_EEEE10hipError_tPvRmT1_T2_T3_mT4_P12ihipStream_tbEUlT_E0_NS1_11comp_targetILNS1_3genE10ELNS1_11target_archE1201ELNS1_3gpuE5ELNS1_3repE0EEENS1_30default_config_static_selectorELNS0_4arch9wavefront6targetE1EEEvS14_.num_named_barrier, 0
	.set _ZN7rocprim17ROCPRIM_400000_NS6detail17trampoline_kernelINS0_14default_configENS1_22reduce_config_selectorIN6thrust23THRUST_200600_302600_NS5tupleIblNS6_9null_typeES8_S8_S8_S8_S8_S8_S8_EEEEZNS1_11reduce_implILb1ES3_NS6_12zip_iteratorINS7_INS6_11hip_rocprim26transform_input_iterator_tIbNSD_35transform_pair_of_input_iterators_tIbNS6_6detail15normal_iteratorINS6_10device_ptrIKfEEEESL_NS6_8equal_toIfEEEENSG_9not_fun_tINSD_8identityEEEEENSD_19counting_iterator_tIlEES8_S8_S8_S8_S8_S8_S8_S8_EEEEPS9_S9_NSD_9__find_if7functorIS9_EEEE10hipError_tPvRmT1_T2_T3_mT4_P12ihipStream_tbEUlT_E0_NS1_11comp_targetILNS1_3genE10ELNS1_11target_archE1201ELNS1_3gpuE5ELNS1_3repE0EEENS1_30default_config_static_selectorELNS0_4arch9wavefront6targetE1EEEvS14_.private_seg_size, 0
	.set _ZN7rocprim17ROCPRIM_400000_NS6detail17trampoline_kernelINS0_14default_configENS1_22reduce_config_selectorIN6thrust23THRUST_200600_302600_NS5tupleIblNS6_9null_typeES8_S8_S8_S8_S8_S8_S8_EEEEZNS1_11reduce_implILb1ES3_NS6_12zip_iteratorINS7_INS6_11hip_rocprim26transform_input_iterator_tIbNSD_35transform_pair_of_input_iterators_tIbNS6_6detail15normal_iteratorINS6_10device_ptrIKfEEEESL_NS6_8equal_toIfEEEENSG_9not_fun_tINSD_8identityEEEEENSD_19counting_iterator_tIlEES8_S8_S8_S8_S8_S8_S8_S8_EEEEPS9_S9_NSD_9__find_if7functorIS9_EEEE10hipError_tPvRmT1_T2_T3_mT4_P12ihipStream_tbEUlT_E0_NS1_11comp_targetILNS1_3genE10ELNS1_11target_archE1201ELNS1_3gpuE5ELNS1_3repE0EEENS1_30default_config_static_selectorELNS0_4arch9wavefront6targetE1EEEvS14_.uses_vcc, 0
	.set _ZN7rocprim17ROCPRIM_400000_NS6detail17trampoline_kernelINS0_14default_configENS1_22reduce_config_selectorIN6thrust23THRUST_200600_302600_NS5tupleIblNS6_9null_typeES8_S8_S8_S8_S8_S8_S8_EEEEZNS1_11reduce_implILb1ES3_NS6_12zip_iteratorINS7_INS6_11hip_rocprim26transform_input_iterator_tIbNSD_35transform_pair_of_input_iterators_tIbNS6_6detail15normal_iteratorINS6_10device_ptrIKfEEEESL_NS6_8equal_toIfEEEENSG_9not_fun_tINSD_8identityEEEEENSD_19counting_iterator_tIlEES8_S8_S8_S8_S8_S8_S8_S8_EEEEPS9_S9_NSD_9__find_if7functorIS9_EEEE10hipError_tPvRmT1_T2_T3_mT4_P12ihipStream_tbEUlT_E0_NS1_11comp_targetILNS1_3genE10ELNS1_11target_archE1201ELNS1_3gpuE5ELNS1_3repE0EEENS1_30default_config_static_selectorELNS0_4arch9wavefront6targetE1EEEvS14_.uses_flat_scratch, 0
	.set _ZN7rocprim17ROCPRIM_400000_NS6detail17trampoline_kernelINS0_14default_configENS1_22reduce_config_selectorIN6thrust23THRUST_200600_302600_NS5tupleIblNS6_9null_typeES8_S8_S8_S8_S8_S8_S8_EEEEZNS1_11reduce_implILb1ES3_NS6_12zip_iteratorINS7_INS6_11hip_rocprim26transform_input_iterator_tIbNSD_35transform_pair_of_input_iterators_tIbNS6_6detail15normal_iteratorINS6_10device_ptrIKfEEEESL_NS6_8equal_toIfEEEENSG_9not_fun_tINSD_8identityEEEEENSD_19counting_iterator_tIlEES8_S8_S8_S8_S8_S8_S8_S8_EEEEPS9_S9_NSD_9__find_if7functorIS9_EEEE10hipError_tPvRmT1_T2_T3_mT4_P12ihipStream_tbEUlT_E0_NS1_11comp_targetILNS1_3genE10ELNS1_11target_archE1201ELNS1_3gpuE5ELNS1_3repE0EEENS1_30default_config_static_selectorELNS0_4arch9wavefront6targetE1EEEvS14_.has_dyn_sized_stack, 0
	.set _ZN7rocprim17ROCPRIM_400000_NS6detail17trampoline_kernelINS0_14default_configENS1_22reduce_config_selectorIN6thrust23THRUST_200600_302600_NS5tupleIblNS6_9null_typeES8_S8_S8_S8_S8_S8_S8_EEEEZNS1_11reduce_implILb1ES3_NS6_12zip_iteratorINS7_INS6_11hip_rocprim26transform_input_iterator_tIbNSD_35transform_pair_of_input_iterators_tIbNS6_6detail15normal_iteratorINS6_10device_ptrIKfEEEESL_NS6_8equal_toIfEEEENSG_9not_fun_tINSD_8identityEEEEENSD_19counting_iterator_tIlEES8_S8_S8_S8_S8_S8_S8_S8_EEEEPS9_S9_NSD_9__find_if7functorIS9_EEEE10hipError_tPvRmT1_T2_T3_mT4_P12ihipStream_tbEUlT_E0_NS1_11comp_targetILNS1_3genE10ELNS1_11target_archE1201ELNS1_3gpuE5ELNS1_3repE0EEENS1_30default_config_static_selectorELNS0_4arch9wavefront6targetE1EEEvS14_.has_recursion, 0
	.set _ZN7rocprim17ROCPRIM_400000_NS6detail17trampoline_kernelINS0_14default_configENS1_22reduce_config_selectorIN6thrust23THRUST_200600_302600_NS5tupleIblNS6_9null_typeES8_S8_S8_S8_S8_S8_S8_EEEEZNS1_11reduce_implILb1ES3_NS6_12zip_iteratorINS7_INS6_11hip_rocprim26transform_input_iterator_tIbNSD_35transform_pair_of_input_iterators_tIbNS6_6detail15normal_iteratorINS6_10device_ptrIKfEEEESL_NS6_8equal_toIfEEEENSG_9not_fun_tINSD_8identityEEEEENSD_19counting_iterator_tIlEES8_S8_S8_S8_S8_S8_S8_S8_EEEEPS9_S9_NSD_9__find_if7functorIS9_EEEE10hipError_tPvRmT1_T2_T3_mT4_P12ihipStream_tbEUlT_E0_NS1_11comp_targetILNS1_3genE10ELNS1_11target_archE1201ELNS1_3gpuE5ELNS1_3repE0EEENS1_30default_config_static_selectorELNS0_4arch9wavefront6targetE1EEEvS14_.has_indirect_call, 0
	.section	.AMDGPU.csdata,"",@progbits
; Kernel info:
; codeLenInByte = 0
; TotalNumSgprs: 4
; NumVgprs: 0
; ScratchSize: 0
; MemoryBound: 0
; FloatMode: 240
; IeeeMode: 1
; LDSByteSize: 0 bytes/workgroup (compile time only)
; SGPRBlocks: 0
; VGPRBlocks: 0
; NumSGPRsForWavesPerEU: 4
; NumVGPRsForWavesPerEU: 1
; Occupancy: 10
; WaveLimiterHint : 0
; COMPUTE_PGM_RSRC2:SCRATCH_EN: 0
; COMPUTE_PGM_RSRC2:USER_SGPR: 6
; COMPUTE_PGM_RSRC2:TRAP_HANDLER: 0
; COMPUTE_PGM_RSRC2:TGID_X_EN: 1
; COMPUTE_PGM_RSRC2:TGID_Y_EN: 0
; COMPUTE_PGM_RSRC2:TGID_Z_EN: 0
; COMPUTE_PGM_RSRC2:TIDIG_COMP_CNT: 0
	.section	.text._ZN7rocprim17ROCPRIM_400000_NS6detail17trampoline_kernelINS0_14default_configENS1_22reduce_config_selectorIN6thrust23THRUST_200600_302600_NS5tupleIblNS6_9null_typeES8_S8_S8_S8_S8_S8_S8_EEEEZNS1_11reduce_implILb1ES3_NS6_12zip_iteratorINS7_INS6_11hip_rocprim26transform_input_iterator_tIbNSD_35transform_pair_of_input_iterators_tIbNS6_6detail15normal_iteratorINS6_10device_ptrIKfEEEESL_NS6_8equal_toIfEEEENSG_9not_fun_tINSD_8identityEEEEENSD_19counting_iterator_tIlEES8_S8_S8_S8_S8_S8_S8_S8_EEEEPS9_S9_NSD_9__find_if7functorIS9_EEEE10hipError_tPvRmT1_T2_T3_mT4_P12ihipStream_tbEUlT_E0_NS1_11comp_targetILNS1_3genE10ELNS1_11target_archE1200ELNS1_3gpuE4ELNS1_3repE0EEENS1_30default_config_static_selectorELNS0_4arch9wavefront6targetE1EEEvS14_,"axG",@progbits,_ZN7rocprim17ROCPRIM_400000_NS6detail17trampoline_kernelINS0_14default_configENS1_22reduce_config_selectorIN6thrust23THRUST_200600_302600_NS5tupleIblNS6_9null_typeES8_S8_S8_S8_S8_S8_S8_EEEEZNS1_11reduce_implILb1ES3_NS6_12zip_iteratorINS7_INS6_11hip_rocprim26transform_input_iterator_tIbNSD_35transform_pair_of_input_iterators_tIbNS6_6detail15normal_iteratorINS6_10device_ptrIKfEEEESL_NS6_8equal_toIfEEEENSG_9not_fun_tINSD_8identityEEEEENSD_19counting_iterator_tIlEES8_S8_S8_S8_S8_S8_S8_S8_EEEEPS9_S9_NSD_9__find_if7functorIS9_EEEE10hipError_tPvRmT1_T2_T3_mT4_P12ihipStream_tbEUlT_E0_NS1_11comp_targetILNS1_3genE10ELNS1_11target_archE1200ELNS1_3gpuE4ELNS1_3repE0EEENS1_30default_config_static_selectorELNS0_4arch9wavefront6targetE1EEEvS14_,comdat
	.protected	_ZN7rocprim17ROCPRIM_400000_NS6detail17trampoline_kernelINS0_14default_configENS1_22reduce_config_selectorIN6thrust23THRUST_200600_302600_NS5tupleIblNS6_9null_typeES8_S8_S8_S8_S8_S8_S8_EEEEZNS1_11reduce_implILb1ES3_NS6_12zip_iteratorINS7_INS6_11hip_rocprim26transform_input_iterator_tIbNSD_35transform_pair_of_input_iterators_tIbNS6_6detail15normal_iteratorINS6_10device_ptrIKfEEEESL_NS6_8equal_toIfEEEENSG_9not_fun_tINSD_8identityEEEEENSD_19counting_iterator_tIlEES8_S8_S8_S8_S8_S8_S8_S8_EEEEPS9_S9_NSD_9__find_if7functorIS9_EEEE10hipError_tPvRmT1_T2_T3_mT4_P12ihipStream_tbEUlT_E0_NS1_11comp_targetILNS1_3genE10ELNS1_11target_archE1200ELNS1_3gpuE4ELNS1_3repE0EEENS1_30default_config_static_selectorELNS0_4arch9wavefront6targetE1EEEvS14_ ; -- Begin function _ZN7rocprim17ROCPRIM_400000_NS6detail17trampoline_kernelINS0_14default_configENS1_22reduce_config_selectorIN6thrust23THRUST_200600_302600_NS5tupleIblNS6_9null_typeES8_S8_S8_S8_S8_S8_S8_EEEEZNS1_11reduce_implILb1ES3_NS6_12zip_iteratorINS7_INS6_11hip_rocprim26transform_input_iterator_tIbNSD_35transform_pair_of_input_iterators_tIbNS6_6detail15normal_iteratorINS6_10device_ptrIKfEEEESL_NS6_8equal_toIfEEEENSG_9not_fun_tINSD_8identityEEEEENSD_19counting_iterator_tIlEES8_S8_S8_S8_S8_S8_S8_S8_EEEEPS9_S9_NSD_9__find_if7functorIS9_EEEE10hipError_tPvRmT1_T2_T3_mT4_P12ihipStream_tbEUlT_E0_NS1_11comp_targetILNS1_3genE10ELNS1_11target_archE1200ELNS1_3gpuE4ELNS1_3repE0EEENS1_30default_config_static_selectorELNS0_4arch9wavefront6targetE1EEEvS14_
	.globl	_ZN7rocprim17ROCPRIM_400000_NS6detail17trampoline_kernelINS0_14default_configENS1_22reduce_config_selectorIN6thrust23THRUST_200600_302600_NS5tupleIblNS6_9null_typeES8_S8_S8_S8_S8_S8_S8_EEEEZNS1_11reduce_implILb1ES3_NS6_12zip_iteratorINS7_INS6_11hip_rocprim26transform_input_iterator_tIbNSD_35transform_pair_of_input_iterators_tIbNS6_6detail15normal_iteratorINS6_10device_ptrIKfEEEESL_NS6_8equal_toIfEEEENSG_9not_fun_tINSD_8identityEEEEENSD_19counting_iterator_tIlEES8_S8_S8_S8_S8_S8_S8_S8_EEEEPS9_S9_NSD_9__find_if7functorIS9_EEEE10hipError_tPvRmT1_T2_T3_mT4_P12ihipStream_tbEUlT_E0_NS1_11comp_targetILNS1_3genE10ELNS1_11target_archE1200ELNS1_3gpuE4ELNS1_3repE0EEENS1_30default_config_static_selectorELNS0_4arch9wavefront6targetE1EEEvS14_
	.p2align	8
	.type	_ZN7rocprim17ROCPRIM_400000_NS6detail17trampoline_kernelINS0_14default_configENS1_22reduce_config_selectorIN6thrust23THRUST_200600_302600_NS5tupleIblNS6_9null_typeES8_S8_S8_S8_S8_S8_S8_EEEEZNS1_11reduce_implILb1ES3_NS6_12zip_iteratorINS7_INS6_11hip_rocprim26transform_input_iterator_tIbNSD_35transform_pair_of_input_iterators_tIbNS6_6detail15normal_iteratorINS6_10device_ptrIKfEEEESL_NS6_8equal_toIfEEEENSG_9not_fun_tINSD_8identityEEEEENSD_19counting_iterator_tIlEES8_S8_S8_S8_S8_S8_S8_S8_EEEEPS9_S9_NSD_9__find_if7functorIS9_EEEE10hipError_tPvRmT1_T2_T3_mT4_P12ihipStream_tbEUlT_E0_NS1_11comp_targetILNS1_3genE10ELNS1_11target_archE1200ELNS1_3gpuE4ELNS1_3repE0EEENS1_30default_config_static_selectorELNS0_4arch9wavefront6targetE1EEEvS14_,@function
_ZN7rocprim17ROCPRIM_400000_NS6detail17trampoline_kernelINS0_14default_configENS1_22reduce_config_selectorIN6thrust23THRUST_200600_302600_NS5tupleIblNS6_9null_typeES8_S8_S8_S8_S8_S8_S8_EEEEZNS1_11reduce_implILb1ES3_NS6_12zip_iteratorINS7_INS6_11hip_rocprim26transform_input_iterator_tIbNSD_35transform_pair_of_input_iterators_tIbNS6_6detail15normal_iteratorINS6_10device_ptrIKfEEEESL_NS6_8equal_toIfEEEENSG_9not_fun_tINSD_8identityEEEEENSD_19counting_iterator_tIlEES8_S8_S8_S8_S8_S8_S8_S8_EEEEPS9_S9_NSD_9__find_if7functorIS9_EEEE10hipError_tPvRmT1_T2_T3_mT4_P12ihipStream_tbEUlT_E0_NS1_11comp_targetILNS1_3genE10ELNS1_11target_archE1200ELNS1_3gpuE4ELNS1_3repE0EEENS1_30default_config_static_selectorELNS0_4arch9wavefront6targetE1EEEvS14_: ; @_ZN7rocprim17ROCPRIM_400000_NS6detail17trampoline_kernelINS0_14default_configENS1_22reduce_config_selectorIN6thrust23THRUST_200600_302600_NS5tupleIblNS6_9null_typeES8_S8_S8_S8_S8_S8_S8_EEEEZNS1_11reduce_implILb1ES3_NS6_12zip_iteratorINS7_INS6_11hip_rocprim26transform_input_iterator_tIbNSD_35transform_pair_of_input_iterators_tIbNS6_6detail15normal_iteratorINS6_10device_ptrIKfEEEESL_NS6_8equal_toIfEEEENSG_9not_fun_tINSD_8identityEEEEENSD_19counting_iterator_tIlEES8_S8_S8_S8_S8_S8_S8_S8_EEEEPS9_S9_NSD_9__find_if7functorIS9_EEEE10hipError_tPvRmT1_T2_T3_mT4_P12ihipStream_tbEUlT_E0_NS1_11comp_targetILNS1_3genE10ELNS1_11target_archE1200ELNS1_3gpuE4ELNS1_3repE0EEENS1_30default_config_static_selectorELNS0_4arch9wavefront6targetE1EEEvS14_
; %bb.0:
	.section	.rodata,"a",@progbits
	.p2align	6, 0x0
	.amdhsa_kernel _ZN7rocprim17ROCPRIM_400000_NS6detail17trampoline_kernelINS0_14default_configENS1_22reduce_config_selectorIN6thrust23THRUST_200600_302600_NS5tupleIblNS6_9null_typeES8_S8_S8_S8_S8_S8_S8_EEEEZNS1_11reduce_implILb1ES3_NS6_12zip_iteratorINS7_INS6_11hip_rocprim26transform_input_iterator_tIbNSD_35transform_pair_of_input_iterators_tIbNS6_6detail15normal_iteratorINS6_10device_ptrIKfEEEESL_NS6_8equal_toIfEEEENSG_9not_fun_tINSD_8identityEEEEENSD_19counting_iterator_tIlEES8_S8_S8_S8_S8_S8_S8_S8_EEEEPS9_S9_NSD_9__find_if7functorIS9_EEEE10hipError_tPvRmT1_T2_T3_mT4_P12ihipStream_tbEUlT_E0_NS1_11comp_targetILNS1_3genE10ELNS1_11target_archE1200ELNS1_3gpuE4ELNS1_3repE0EEENS1_30default_config_static_selectorELNS0_4arch9wavefront6targetE1EEEvS14_
		.amdhsa_group_segment_fixed_size 0
		.amdhsa_private_segment_fixed_size 0
		.amdhsa_kernarg_size 104
		.amdhsa_user_sgpr_count 6
		.amdhsa_user_sgpr_private_segment_buffer 1
		.amdhsa_user_sgpr_dispatch_ptr 0
		.amdhsa_user_sgpr_queue_ptr 0
		.amdhsa_user_sgpr_kernarg_segment_ptr 1
		.amdhsa_user_sgpr_dispatch_id 0
		.amdhsa_user_sgpr_flat_scratch_init 0
		.amdhsa_user_sgpr_private_segment_size 0
		.amdhsa_uses_dynamic_stack 0
		.amdhsa_system_sgpr_private_segment_wavefront_offset 0
		.amdhsa_system_sgpr_workgroup_id_x 1
		.amdhsa_system_sgpr_workgroup_id_y 0
		.amdhsa_system_sgpr_workgroup_id_z 0
		.amdhsa_system_sgpr_workgroup_info 0
		.amdhsa_system_vgpr_workitem_id 0
		.amdhsa_next_free_vgpr 1
		.amdhsa_next_free_sgpr 0
		.amdhsa_reserve_vcc 0
		.amdhsa_reserve_flat_scratch 0
		.amdhsa_float_round_mode_32 0
		.amdhsa_float_round_mode_16_64 0
		.amdhsa_float_denorm_mode_32 3
		.amdhsa_float_denorm_mode_16_64 3
		.amdhsa_dx10_clamp 1
		.amdhsa_ieee_mode 1
		.amdhsa_fp16_overflow 0
		.amdhsa_exception_fp_ieee_invalid_op 0
		.amdhsa_exception_fp_denorm_src 0
		.amdhsa_exception_fp_ieee_div_zero 0
		.amdhsa_exception_fp_ieee_overflow 0
		.amdhsa_exception_fp_ieee_underflow 0
		.amdhsa_exception_fp_ieee_inexact 0
		.amdhsa_exception_int_div_zero 0
	.end_amdhsa_kernel
	.section	.text._ZN7rocprim17ROCPRIM_400000_NS6detail17trampoline_kernelINS0_14default_configENS1_22reduce_config_selectorIN6thrust23THRUST_200600_302600_NS5tupleIblNS6_9null_typeES8_S8_S8_S8_S8_S8_S8_EEEEZNS1_11reduce_implILb1ES3_NS6_12zip_iteratorINS7_INS6_11hip_rocprim26transform_input_iterator_tIbNSD_35transform_pair_of_input_iterators_tIbNS6_6detail15normal_iteratorINS6_10device_ptrIKfEEEESL_NS6_8equal_toIfEEEENSG_9not_fun_tINSD_8identityEEEEENSD_19counting_iterator_tIlEES8_S8_S8_S8_S8_S8_S8_S8_EEEEPS9_S9_NSD_9__find_if7functorIS9_EEEE10hipError_tPvRmT1_T2_T3_mT4_P12ihipStream_tbEUlT_E0_NS1_11comp_targetILNS1_3genE10ELNS1_11target_archE1200ELNS1_3gpuE4ELNS1_3repE0EEENS1_30default_config_static_selectorELNS0_4arch9wavefront6targetE1EEEvS14_,"axG",@progbits,_ZN7rocprim17ROCPRIM_400000_NS6detail17trampoline_kernelINS0_14default_configENS1_22reduce_config_selectorIN6thrust23THRUST_200600_302600_NS5tupleIblNS6_9null_typeES8_S8_S8_S8_S8_S8_S8_EEEEZNS1_11reduce_implILb1ES3_NS6_12zip_iteratorINS7_INS6_11hip_rocprim26transform_input_iterator_tIbNSD_35transform_pair_of_input_iterators_tIbNS6_6detail15normal_iteratorINS6_10device_ptrIKfEEEESL_NS6_8equal_toIfEEEENSG_9not_fun_tINSD_8identityEEEEENSD_19counting_iterator_tIlEES8_S8_S8_S8_S8_S8_S8_S8_EEEEPS9_S9_NSD_9__find_if7functorIS9_EEEE10hipError_tPvRmT1_T2_T3_mT4_P12ihipStream_tbEUlT_E0_NS1_11comp_targetILNS1_3genE10ELNS1_11target_archE1200ELNS1_3gpuE4ELNS1_3repE0EEENS1_30default_config_static_selectorELNS0_4arch9wavefront6targetE1EEEvS14_,comdat
.Lfunc_end453:
	.size	_ZN7rocprim17ROCPRIM_400000_NS6detail17trampoline_kernelINS0_14default_configENS1_22reduce_config_selectorIN6thrust23THRUST_200600_302600_NS5tupleIblNS6_9null_typeES8_S8_S8_S8_S8_S8_S8_EEEEZNS1_11reduce_implILb1ES3_NS6_12zip_iteratorINS7_INS6_11hip_rocprim26transform_input_iterator_tIbNSD_35transform_pair_of_input_iterators_tIbNS6_6detail15normal_iteratorINS6_10device_ptrIKfEEEESL_NS6_8equal_toIfEEEENSG_9not_fun_tINSD_8identityEEEEENSD_19counting_iterator_tIlEES8_S8_S8_S8_S8_S8_S8_S8_EEEEPS9_S9_NSD_9__find_if7functorIS9_EEEE10hipError_tPvRmT1_T2_T3_mT4_P12ihipStream_tbEUlT_E0_NS1_11comp_targetILNS1_3genE10ELNS1_11target_archE1200ELNS1_3gpuE4ELNS1_3repE0EEENS1_30default_config_static_selectorELNS0_4arch9wavefront6targetE1EEEvS14_, .Lfunc_end453-_ZN7rocprim17ROCPRIM_400000_NS6detail17trampoline_kernelINS0_14default_configENS1_22reduce_config_selectorIN6thrust23THRUST_200600_302600_NS5tupleIblNS6_9null_typeES8_S8_S8_S8_S8_S8_S8_EEEEZNS1_11reduce_implILb1ES3_NS6_12zip_iteratorINS7_INS6_11hip_rocprim26transform_input_iterator_tIbNSD_35transform_pair_of_input_iterators_tIbNS6_6detail15normal_iteratorINS6_10device_ptrIKfEEEESL_NS6_8equal_toIfEEEENSG_9not_fun_tINSD_8identityEEEEENSD_19counting_iterator_tIlEES8_S8_S8_S8_S8_S8_S8_S8_EEEEPS9_S9_NSD_9__find_if7functorIS9_EEEE10hipError_tPvRmT1_T2_T3_mT4_P12ihipStream_tbEUlT_E0_NS1_11comp_targetILNS1_3genE10ELNS1_11target_archE1200ELNS1_3gpuE4ELNS1_3repE0EEENS1_30default_config_static_selectorELNS0_4arch9wavefront6targetE1EEEvS14_
                                        ; -- End function
	.set _ZN7rocprim17ROCPRIM_400000_NS6detail17trampoline_kernelINS0_14default_configENS1_22reduce_config_selectorIN6thrust23THRUST_200600_302600_NS5tupleIblNS6_9null_typeES8_S8_S8_S8_S8_S8_S8_EEEEZNS1_11reduce_implILb1ES3_NS6_12zip_iteratorINS7_INS6_11hip_rocprim26transform_input_iterator_tIbNSD_35transform_pair_of_input_iterators_tIbNS6_6detail15normal_iteratorINS6_10device_ptrIKfEEEESL_NS6_8equal_toIfEEEENSG_9not_fun_tINSD_8identityEEEEENSD_19counting_iterator_tIlEES8_S8_S8_S8_S8_S8_S8_S8_EEEEPS9_S9_NSD_9__find_if7functorIS9_EEEE10hipError_tPvRmT1_T2_T3_mT4_P12ihipStream_tbEUlT_E0_NS1_11comp_targetILNS1_3genE10ELNS1_11target_archE1200ELNS1_3gpuE4ELNS1_3repE0EEENS1_30default_config_static_selectorELNS0_4arch9wavefront6targetE1EEEvS14_.num_vgpr, 0
	.set _ZN7rocprim17ROCPRIM_400000_NS6detail17trampoline_kernelINS0_14default_configENS1_22reduce_config_selectorIN6thrust23THRUST_200600_302600_NS5tupleIblNS6_9null_typeES8_S8_S8_S8_S8_S8_S8_EEEEZNS1_11reduce_implILb1ES3_NS6_12zip_iteratorINS7_INS6_11hip_rocprim26transform_input_iterator_tIbNSD_35transform_pair_of_input_iterators_tIbNS6_6detail15normal_iteratorINS6_10device_ptrIKfEEEESL_NS6_8equal_toIfEEEENSG_9not_fun_tINSD_8identityEEEEENSD_19counting_iterator_tIlEES8_S8_S8_S8_S8_S8_S8_S8_EEEEPS9_S9_NSD_9__find_if7functorIS9_EEEE10hipError_tPvRmT1_T2_T3_mT4_P12ihipStream_tbEUlT_E0_NS1_11comp_targetILNS1_3genE10ELNS1_11target_archE1200ELNS1_3gpuE4ELNS1_3repE0EEENS1_30default_config_static_selectorELNS0_4arch9wavefront6targetE1EEEvS14_.num_agpr, 0
	.set _ZN7rocprim17ROCPRIM_400000_NS6detail17trampoline_kernelINS0_14default_configENS1_22reduce_config_selectorIN6thrust23THRUST_200600_302600_NS5tupleIblNS6_9null_typeES8_S8_S8_S8_S8_S8_S8_EEEEZNS1_11reduce_implILb1ES3_NS6_12zip_iteratorINS7_INS6_11hip_rocprim26transform_input_iterator_tIbNSD_35transform_pair_of_input_iterators_tIbNS6_6detail15normal_iteratorINS6_10device_ptrIKfEEEESL_NS6_8equal_toIfEEEENSG_9not_fun_tINSD_8identityEEEEENSD_19counting_iterator_tIlEES8_S8_S8_S8_S8_S8_S8_S8_EEEEPS9_S9_NSD_9__find_if7functorIS9_EEEE10hipError_tPvRmT1_T2_T3_mT4_P12ihipStream_tbEUlT_E0_NS1_11comp_targetILNS1_3genE10ELNS1_11target_archE1200ELNS1_3gpuE4ELNS1_3repE0EEENS1_30default_config_static_selectorELNS0_4arch9wavefront6targetE1EEEvS14_.numbered_sgpr, 0
	.set _ZN7rocprim17ROCPRIM_400000_NS6detail17trampoline_kernelINS0_14default_configENS1_22reduce_config_selectorIN6thrust23THRUST_200600_302600_NS5tupleIblNS6_9null_typeES8_S8_S8_S8_S8_S8_S8_EEEEZNS1_11reduce_implILb1ES3_NS6_12zip_iteratorINS7_INS6_11hip_rocprim26transform_input_iterator_tIbNSD_35transform_pair_of_input_iterators_tIbNS6_6detail15normal_iteratorINS6_10device_ptrIKfEEEESL_NS6_8equal_toIfEEEENSG_9not_fun_tINSD_8identityEEEEENSD_19counting_iterator_tIlEES8_S8_S8_S8_S8_S8_S8_S8_EEEEPS9_S9_NSD_9__find_if7functorIS9_EEEE10hipError_tPvRmT1_T2_T3_mT4_P12ihipStream_tbEUlT_E0_NS1_11comp_targetILNS1_3genE10ELNS1_11target_archE1200ELNS1_3gpuE4ELNS1_3repE0EEENS1_30default_config_static_selectorELNS0_4arch9wavefront6targetE1EEEvS14_.num_named_barrier, 0
	.set _ZN7rocprim17ROCPRIM_400000_NS6detail17trampoline_kernelINS0_14default_configENS1_22reduce_config_selectorIN6thrust23THRUST_200600_302600_NS5tupleIblNS6_9null_typeES8_S8_S8_S8_S8_S8_S8_EEEEZNS1_11reduce_implILb1ES3_NS6_12zip_iteratorINS7_INS6_11hip_rocprim26transform_input_iterator_tIbNSD_35transform_pair_of_input_iterators_tIbNS6_6detail15normal_iteratorINS6_10device_ptrIKfEEEESL_NS6_8equal_toIfEEEENSG_9not_fun_tINSD_8identityEEEEENSD_19counting_iterator_tIlEES8_S8_S8_S8_S8_S8_S8_S8_EEEEPS9_S9_NSD_9__find_if7functorIS9_EEEE10hipError_tPvRmT1_T2_T3_mT4_P12ihipStream_tbEUlT_E0_NS1_11comp_targetILNS1_3genE10ELNS1_11target_archE1200ELNS1_3gpuE4ELNS1_3repE0EEENS1_30default_config_static_selectorELNS0_4arch9wavefront6targetE1EEEvS14_.private_seg_size, 0
	.set _ZN7rocprim17ROCPRIM_400000_NS6detail17trampoline_kernelINS0_14default_configENS1_22reduce_config_selectorIN6thrust23THRUST_200600_302600_NS5tupleIblNS6_9null_typeES8_S8_S8_S8_S8_S8_S8_EEEEZNS1_11reduce_implILb1ES3_NS6_12zip_iteratorINS7_INS6_11hip_rocprim26transform_input_iterator_tIbNSD_35transform_pair_of_input_iterators_tIbNS6_6detail15normal_iteratorINS6_10device_ptrIKfEEEESL_NS6_8equal_toIfEEEENSG_9not_fun_tINSD_8identityEEEEENSD_19counting_iterator_tIlEES8_S8_S8_S8_S8_S8_S8_S8_EEEEPS9_S9_NSD_9__find_if7functorIS9_EEEE10hipError_tPvRmT1_T2_T3_mT4_P12ihipStream_tbEUlT_E0_NS1_11comp_targetILNS1_3genE10ELNS1_11target_archE1200ELNS1_3gpuE4ELNS1_3repE0EEENS1_30default_config_static_selectorELNS0_4arch9wavefront6targetE1EEEvS14_.uses_vcc, 0
	.set _ZN7rocprim17ROCPRIM_400000_NS6detail17trampoline_kernelINS0_14default_configENS1_22reduce_config_selectorIN6thrust23THRUST_200600_302600_NS5tupleIblNS6_9null_typeES8_S8_S8_S8_S8_S8_S8_EEEEZNS1_11reduce_implILb1ES3_NS6_12zip_iteratorINS7_INS6_11hip_rocprim26transform_input_iterator_tIbNSD_35transform_pair_of_input_iterators_tIbNS6_6detail15normal_iteratorINS6_10device_ptrIKfEEEESL_NS6_8equal_toIfEEEENSG_9not_fun_tINSD_8identityEEEEENSD_19counting_iterator_tIlEES8_S8_S8_S8_S8_S8_S8_S8_EEEEPS9_S9_NSD_9__find_if7functorIS9_EEEE10hipError_tPvRmT1_T2_T3_mT4_P12ihipStream_tbEUlT_E0_NS1_11comp_targetILNS1_3genE10ELNS1_11target_archE1200ELNS1_3gpuE4ELNS1_3repE0EEENS1_30default_config_static_selectorELNS0_4arch9wavefront6targetE1EEEvS14_.uses_flat_scratch, 0
	.set _ZN7rocprim17ROCPRIM_400000_NS6detail17trampoline_kernelINS0_14default_configENS1_22reduce_config_selectorIN6thrust23THRUST_200600_302600_NS5tupleIblNS6_9null_typeES8_S8_S8_S8_S8_S8_S8_EEEEZNS1_11reduce_implILb1ES3_NS6_12zip_iteratorINS7_INS6_11hip_rocprim26transform_input_iterator_tIbNSD_35transform_pair_of_input_iterators_tIbNS6_6detail15normal_iteratorINS6_10device_ptrIKfEEEESL_NS6_8equal_toIfEEEENSG_9not_fun_tINSD_8identityEEEEENSD_19counting_iterator_tIlEES8_S8_S8_S8_S8_S8_S8_S8_EEEEPS9_S9_NSD_9__find_if7functorIS9_EEEE10hipError_tPvRmT1_T2_T3_mT4_P12ihipStream_tbEUlT_E0_NS1_11comp_targetILNS1_3genE10ELNS1_11target_archE1200ELNS1_3gpuE4ELNS1_3repE0EEENS1_30default_config_static_selectorELNS0_4arch9wavefront6targetE1EEEvS14_.has_dyn_sized_stack, 0
	.set _ZN7rocprim17ROCPRIM_400000_NS6detail17trampoline_kernelINS0_14default_configENS1_22reduce_config_selectorIN6thrust23THRUST_200600_302600_NS5tupleIblNS6_9null_typeES8_S8_S8_S8_S8_S8_S8_EEEEZNS1_11reduce_implILb1ES3_NS6_12zip_iteratorINS7_INS6_11hip_rocprim26transform_input_iterator_tIbNSD_35transform_pair_of_input_iterators_tIbNS6_6detail15normal_iteratorINS6_10device_ptrIKfEEEESL_NS6_8equal_toIfEEEENSG_9not_fun_tINSD_8identityEEEEENSD_19counting_iterator_tIlEES8_S8_S8_S8_S8_S8_S8_S8_EEEEPS9_S9_NSD_9__find_if7functorIS9_EEEE10hipError_tPvRmT1_T2_T3_mT4_P12ihipStream_tbEUlT_E0_NS1_11comp_targetILNS1_3genE10ELNS1_11target_archE1200ELNS1_3gpuE4ELNS1_3repE0EEENS1_30default_config_static_selectorELNS0_4arch9wavefront6targetE1EEEvS14_.has_recursion, 0
	.set _ZN7rocprim17ROCPRIM_400000_NS6detail17trampoline_kernelINS0_14default_configENS1_22reduce_config_selectorIN6thrust23THRUST_200600_302600_NS5tupleIblNS6_9null_typeES8_S8_S8_S8_S8_S8_S8_EEEEZNS1_11reduce_implILb1ES3_NS6_12zip_iteratorINS7_INS6_11hip_rocprim26transform_input_iterator_tIbNSD_35transform_pair_of_input_iterators_tIbNS6_6detail15normal_iteratorINS6_10device_ptrIKfEEEESL_NS6_8equal_toIfEEEENSG_9not_fun_tINSD_8identityEEEEENSD_19counting_iterator_tIlEES8_S8_S8_S8_S8_S8_S8_S8_EEEEPS9_S9_NSD_9__find_if7functorIS9_EEEE10hipError_tPvRmT1_T2_T3_mT4_P12ihipStream_tbEUlT_E0_NS1_11comp_targetILNS1_3genE10ELNS1_11target_archE1200ELNS1_3gpuE4ELNS1_3repE0EEENS1_30default_config_static_selectorELNS0_4arch9wavefront6targetE1EEEvS14_.has_indirect_call, 0
	.section	.AMDGPU.csdata,"",@progbits
; Kernel info:
; codeLenInByte = 0
; TotalNumSgprs: 4
; NumVgprs: 0
; ScratchSize: 0
; MemoryBound: 0
; FloatMode: 240
; IeeeMode: 1
; LDSByteSize: 0 bytes/workgroup (compile time only)
; SGPRBlocks: 0
; VGPRBlocks: 0
; NumSGPRsForWavesPerEU: 4
; NumVGPRsForWavesPerEU: 1
; Occupancy: 10
; WaveLimiterHint : 0
; COMPUTE_PGM_RSRC2:SCRATCH_EN: 0
; COMPUTE_PGM_RSRC2:USER_SGPR: 6
; COMPUTE_PGM_RSRC2:TRAP_HANDLER: 0
; COMPUTE_PGM_RSRC2:TGID_X_EN: 1
; COMPUTE_PGM_RSRC2:TGID_Y_EN: 0
; COMPUTE_PGM_RSRC2:TGID_Z_EN: 0
; COMPUTE_PGM_RSRC2:TIDIG_COMP_CNT: 0
	.section	.text._ZN7rocprim17ROCPRIM_400000_NS6detail17trampoline_kernelINS0_14default_configENS1_22reduce_config_selectorIN6thrust23THRUST_200600_302600_NS5tupleIblNS6_9null_typeES8_S8_S8_S8_S8_S8_S8_EEEEZNS1_11reduce_implILb1ES3_NS6_12zip_iteratorINS7_INS6_11hip_rocprim26transform_input_iterator_tIbNSD_35transform_pair_of_input_iterators_tIbNS6_6detail15normal_iteratorINS6_10device_ptrIKfEEEESL_NS6_8equal_toIfEEEENSG_9not_fun_tINSD_8identityEEEEENSD_19counting_iterator_tIlEES8_S8_S8_S8_S8_S8_S8_S8_EEEEPS9_S9_NSD_9__find_if7functorIS9_EEEE10hipError_tPvRmT1_T2_T3_mT4_P12ihipStream_tbEUlT_E0_NS1_11comp_targetILNS1_3genE9ELNS1_11target_archE1100ELNS1_3gpuE3ELNS1_3repE0EEENS1_30default_config_static_selectorELNS0_4arch9wavefront6targetE1EEEvS14_,"axG",@progbits,_ZN7rocprim17ROCPRIM_400000_NS6detail17trampoline_kernelINS0_14default_configENS1_22reduce_config_selectorIN6thrust23THRUST_200600_302600_NS5tupleIblNS6_9null_typeES8_S8_S8_S8_S8_S8_S8_EEEEZNS1_11reduce_implILb1ES3_NS6_12zip_iteratorINS7_INS6_11hip_rocprim26transform_input_iterator_tIbNSD_35transform_pair_of_input_iterators_tIbNS6_6detail15normal_iteratorINS6_10device_ptrIKfEEEESL_NS6_8equal_toIfEEEENSG_9not_fun_tINSD_8identityEEEEENSD_19counting_iterator_tIlEES8_S8_S8_S8_S8_S8_S8_S8_EEEEPS9_S9_NSD_9__find_if7functorIS9_EEEE10hipError_tPvRmT1_T2_T3_mT4_P12ihipStream_tbEUlT_E0_NS1_11comp_targetILNS1_3genE9ELNS1_11target_archE1100ELNS1_3gpuE3ELNS1_3repE0EEENS1_30default_config_static_selectorELNS0_4arch9wavefront6targetE1EEEvS14_,comdat
	.protected	_ZN7rocprim17ROCPRIM_400000_NS6detail17trampoline_kernelINS0_14default_configENS1_22reduce_config_selectorIN6thrust23THRUST_200600_302600_NS5tupleIblNS6_9null_typeES8_S8_S8_S8_S8_S8_S8_EEEEZNS1_11reduce_implILb1ES3_NS6_12zip_iteratorINS7_INS6_11hip_rocprim26transform_input_iterator_tIbNSD_35transform_pair_of_input_iterators_tIbNS6_6detail15normal_iteratorINS6_10device_ptrIKfEEEESL_NS6_8equal_toIfEEEENSG_9not_fun_tINSD_8identityEEEEENSD_19counting_iterator_tIlEES8_S8_S8_S8_S8_S8_S8_S8_EEEEPS9_S9_NSD_9__find_if7functorIS9_EEEE10hipError_tPvRmT1_T2_T3_mT4_P12ihipStream_tbEUlT_E0_NS1_11comp_targetILNS1_3genE9ELNS1_11target_archE1100ELNS1_3gpuE3ELNS1_3repE0EEENS1_30default_config_static_selectorELNS0_4arch9wavefront6targetE1EEEvS14_ ; -- Begin function _ZN7rocprim17ROCPRIM_400000_NS6detail17trampoline_kernelINS0_14default_configENS1_22reduce_config_selectorIN6thrust23THRUST_200600_302600_NS5tupleIblNS6_9null_typeES8_S8_S8_S8_S8_S8_S8_EEEEZNS1_11reduce_implILb1ES3_NS6_12zip_iteratorINS7_INS6_11hip_rocprim26transform_input_iterator_tIbNSD_35transform_pair_of_input_iterators_tIbNS6_6detail15normal_iteratorINS6_10device_ptrIKfEEEESL_NS6_8equal_toIfEEEENSG_9not_fun_tINSD_8identityEEEEENSD_19counting_iterator_tIlEES8_S8_S8_S8_S8_S8_S8_S8_EEEEPS9_S9_NSD_9__find_if7functorIS9_EEEE10hipError_tPvRmT1_T2_T3_mT4_P12ihipStream_tbEUlT_E0_NS1_11comp_targetILNS1_3genE9ELNS1_11target_archE1100ELNS1_3gpuE3ELNS1_3repE0EEENS1_30default_config_static_selectorELNS0_4arch9wavefront6targetE1EEEvS14_
	.globl	_ZN7rocprim17ROCPRIM_400000_NS6detail17trampoline_kernelINS0_14default_configENS1_22reduce_config_selectorIN6thrust23THRUST_200600_302600_NS5tupleIblNS6_9null_typeES8_S8_S8_S8_S8_S8_S8_EEEEZNS1_11reduce_implILb1ES3_NS6_12zip_iteratorINS7_INS6_11hip_rocprim26transform_input_iterator_tIbNSD_35transform_pair_of_input_iterators_tIbNS6_6detail15normal_iteratorINS6_10device_ptrIKfEEEESL_NS6_8equal_toIfEEEENSG_9not_fun_tINSD_8identityEEEEENSD_19counting_iterator_tIlEES8_S8_S8_S8_S8_S8_S8_S8_EEEEPS9_S9_NSD_9__find_if7functorIS9_EEEE10hipError_tPvRmT1_T2_T3_mT4_P12ihipStream_tbEUlT_E0_NS1_11comp_targetILNS1_3genE9ELNS1_11target_archE1100ELNS1_3gpuE3ELNS1_3repE0EEENS1_30default_config_static_selectorELNS0_4arch9wavefront6targetE1EEEvS14_
	.p2align	8
	.type	_ZN7rocprim17ROCPRIM_400000_NS6detail17trampoline_kernelINS0_14default_configENS1_22reduce_config_selectorIN6thrust23THRUST_200600_302600_NS5tupleIblNS6_9null_typeES8_S8_S8_S8_S8_S8_S8_EEEEZNS1_11reduce_implILb1ES3_NS6_12zip_iteratorINS7_INS6_11hip_rocprim26transform_input_iterator_tIbNSD_35transform_pair_of_input_iterators_tIbNS6_6detail15normal_iteratorINS6_10device_ptrIKfEEEESL_NS6_8equal_toIfEEEENSG_9not_fun_tINSD_8identityEEEEENSD_19counting_iterator_tIlEES8_S8_S8_S8_S8_S8_S8_S8_EEEEPS9_S9_NSD_9__find_if7functorIS9_EEEE10hipError_tPvRmT1_T2_T3_mT4_P12ihipStream_tbEUlT_E0_NS1_11comp_targetILNS1_3genE9ELNS1_11target_archE1100ELNS1_3gpuE3ELNS1_3repE0EEENS1_30default_config_static_selectorELNS0_4arch9wavefront6targetE1EEEvS14_,@function
_ZN7rocprim17ROCPRIM_400000_NS6detail17trampoline_kernelINS0_14default_configENS1_22reduce_config_selectorIN6thrust23THRUST_200600_302600_NS5tupleIblNS6_9null_typeES8_S8_S8_S8_S8_S8_S8_EEEEZNS1_11reduce_implILb1ES3_NS6_12zip_iteratorINS7_INS6_11hip_rocprim26transform_input_iterator_tIbNSD_35transform_pair_of_input_iterators_tIbNS6_6detail15normal_iteratorINS6_10device_ptrIKfEEEESL_NS6_8equal_toIfEEEENSG_9not_fun_tINSD_8identityEEEEENSD_19counting_iterator_tIlEES8_S8_S8_S8_S8_S8_S8_S8_EEEEPS9_S9_NSD_9__find_if7functorIS9_EEEE10hipError_tPvRmT1_T2_T3_mT4_P12ihipStream_tbEUlT_E0_NS1_11comp_targetILNS1_3genE9ELNS1_11target_archE1100ELNS1_3gpuE3ELNS1_3repE0EEENS1_30default_config_static_selectorELNS0_4arch9wavefront6targetE1EEEvS14_: ; @_ZN7rocprim17ROCPRIM_400000_NS6detail17trampoline_kernelINS0_14default_configENS1_22reduce_config_selectorIN6thrust23THRUST_200600_302600_NS5tupleIblNS6_9null_typeES8_S8_S8_S8_S8_S8_S8_EEEEZNS1_11reduce_implILb1ES3_NS6_12zip_iteratorINS7_INS6_11hip_rocprim26transform_input_iterator_tIbNSD_35transform_pair_of_input_iterators_tIbNS6_6detail15normal_iteratorINS6_10device_ptrIKfEEEESL_NS6_8equal_toIfEEEENSG_9not_fun_tINSD_8identityEEEEENSD_19counting_iterator_tIlEES8_S8_S8_S8_S8_S8_S8_S8_EEEEPS9_S9_NSD_9__find_if7functorIS9_EEEE10hipError_tPvRmT1_T2_T3_mT4_P12ihipStream_tbEUlT_E0_NS1_11comp_targetILNS1_3genE9ELNS1_11target_archE1100ELNS1_3gpuE3ELNS1_3repE0EEENS1_30default_config_static_selectorELNS0_4arch9wavefront6targetE1EEEvS14_
; %bb.0:
	.section	.rodata,"a",@progbits
	.p2align	6, 0x0
	.amdhsa_kernel _ZN7rocprim17ROCPRIM_400000_NS6detail17trampoline_kernelINS0_14default_configENS1_22reduce_config_selectorIN6thrust23THRUST_200600_302600_NS5tupleIblNS6_9null_typeES8_S8_S8_S8_S8_S8_S8_EEEEZNS1_11reduce_implILb1ES3_NS6_12zip_iteratorINS7_INS6_11hip_rocprim26transform_input_iterator_tIbNSD_35transform_pair_of_input_iterators_tIbNS6_6detail15normal_iteratorINS6_10device_ptrIKfEEEESL_NS6_8equal_toIfEEEENSG_9not_fun_tINSD_8identityEEEEENSD_19counting_iterator_tIlEES8_S8_S8_S8_S8_S8_S8_S8_EEEEPS9_S9_NSD_9__find_if7functorIS9_EEEE10hipError_tPvRmT1_T2_T3_mT4_P12ihipStream_tbEUlT_E0_NS1_11comp_targetILNS1_3genE9ELNS1_11target_archE1100ELNS1_3gpuE3ELNS1_3repE0EEENS1_30default_config_static_selectorELNS0_4arch9wavefront6targetE1EEEvS14_
		.amdhsa_group_segment_fixed_size 0
		.amdhsa_private_segment_fixed_size 0
		.amdhsa_kernarg_size 104
		.amdhsa_user_sgpr_count 6
		.amdhsa_user_sgpr_private_segment_buffer 1
		.amdhsa_user_sgpr_dispatch_ptr 0
		.amdhsa_user_sgpr_queue_ptr 0
		.amdhsa_user_sgpr_kernarg_segment_ptr 1
		.amdhsa_user_sgpr_dispatch_id 0
		.amdhsa_user_sgpr_flat_scratch_init 0
		.amdhsa_user_sgpr_private_segment_size 0
		.amdhsa_uses_dynamic_stack 0
		.amdhsa_system_sgpr_private_segment_wavefront_offset 0
		.amdhsa_system_sgpr_workgroup_id_x 1
		.amdhsa_system_sgpr_workgroup_id_y 0
		.amdhsa_system_sgpr_workgroup_id_z 0
		.amdhsa_system_sgpr_workgroup_info 0
		.amdhsa_system_vgpr_workitem_id 0
		.amdhsa_next_free_vgpr 1
		.amdhsa_next_free_sgpr 0
		.amdhsa_reserve_vcc 0
		.amdhsa_reserve_flat_scratch 0
		.amdhsa_float_round_mode_32 0
		.amdhsa_float_round_mode_16_64 0
		.amdhsa_float_denorm_mode_32 3
		.amdhsa_float_denorm_mode_16_64 3
		.amdhsa_dx10_clamp 1
		.amdhsa_ieee_mode 1
		.amdhsa_fp16_overflow 0
		.amdhsa_exception_fp_ieee_invalid_op 0
		.amdhsa_exception_fp_denorm_src 0
		.amdhsa_exception_fp_ieee_div_zero 0
		.amdhsa_exception_fp_ieee_overflow 0
		.amdhsa_exception_fp_ieee_underflow 0
		.amdhsa_exception_fp_ieee_inexact 0
		.amdhsa_exception_int_div_zero 0
	.end_amdhsa_kernel
	.section	.text._ZN7rocprim17ROCPRIM_400000_NS6detail17trampoline_kernelINS0_14default_configENS1_22reduce_config_selectorIN6thrust23THRUST_200600_302600_NS5tupleIblNS6_9null_typeES8_S8_S8_S8_S8_S8_S8_EEEEZNS1_11reduce_implILb1ES3_NS6_12zip_iteratorINS7_INS6_11hip_rocprim26transform_input_iterator_tIbNSD_35transform_pair_of_input_iterators_tIbNS6_6detail15normal_iteratorINS6_10device_ptrIKfEEEESL_NS6_8equal_toIfEEEENSG_9not_fun_tINSD_8identityEEEEENSD_19counting_iterator_tIlEES8_S8_S8_S8_S8_S8_S8_S8_EEEEPS9_S9_NSD_9__find_if7functorIS9_EEEE10hipError_tPvRmT1_T2_T3_mT4_P12ihipStream_tbEUlT_E0_NS1_11comp_targetILNS1_3genE9ELNS1_11target_archE1100ELNS1_3gpuE3ELNS1_3repE0EEENS1_30default_config_static_selectorELNS0_4arch9wavefront6targetE1EEEvS14_,"axG",@progbits,_ZN7rocprim17ROCPRIM_400000_NS6detail17trampoline_kernelINS0_14default_configENS1_22reduce_config_selectorIN6thrust23THRUST_200600_302600_NS5tupleIblNS6_9null_typeES8_S8_S8_S8_S8_S8_S8_EEEEZNS1_11reduce_implILb1ES3_NS6_12zip_iteratorINS7_INS6_11hip_rocprim26transform_input_iterator_tIbNSD_35transform_pair_of_input_iterators_tIbNS6_6detail15normal_iteratorINS6_10device_ptrIKfEEEESL_NS6_8equal_toIfEEEENSG_9not_fun_tINSD_8identityEEEEENSD_19counting_iterator_tIlEES8_S8_S8_S8_S8_S8_S8_S8_EEEEPS9_S9_NSD_9__find_if7functorIS9_EEEE10hipError_tPvRmT1_T2_T3_mT4_P12ihipStream_tbEUlT_E0_NS1_11comp_targetILNS1_3genE9ELNS1_11target_archE1100ELNS1_3gpuE3ELNS1_3repE0EEENS1_30default_config_static_selectorELNS0_4arch9wavefront6targetE1EEEvS14_,comdat
.Lfunc_end454:
	.size	_ZN7rocprim17ROCPRIM_400000_NS6detail17trampoline_kernelINS0_14default_configENS1_22reduce_config_selectorIN6thrust23THRUST_200600_302600_NS5tupleIblNS6_9null_typeES8_S8_S8_S8_S8_S8_S8_EEEEZNS1_11reduce_implILb1ES3_NS6_12zip_iteratorINS7_INS6_11hip_rocprim26transform_input_iterator_tIbNSD_35transform_pair_of_input_iterators_tIbNS6_6detail15normal_iteratorINS6_10device_ptrIKfEEEESL_NS6_8equal_toIfEEEENSG_9not_fun_tINSD_8identityEEEEENSD_19counting_iterator_tIlEES8_S8_S8_S8_S8_S8_S8_S8_EEEEPS9_S9_NSD_9__find_if7functorIS9_EEEE10hipError_tPvRmT1_T2_T3_mT4_P12ihipStream_tbEUlT_E0_NS1_11comp_targetILNS1_3genE9ELNS1_11target_archE1100ELNS1_3gpuE3ELNS1_3repE0EEENS1_30default_config_static_selectorELNS0_4arch9wavefront6targetE1EEEvS14_, .Lfunc_end454-_ZN7rocprim17ROCPRIM_400000_NS6detail17trampoline_kernelINS0_14default_configENS1_22reduce_config_selectorIN6thrust23THRUST_200600_302600_NS5tupleIblNS6_9null_typeES8_S8_S8_S8_S8_S8_S8_EEEEZNS1_11reduce_implILb1ES3_NS6_12zip_iteratorINS7_INS6_11hip_rocprim26transform_input_iterator_tIbNSD_35transform_pair_of_input_iterators_tIbNS6_6detail15normal_iteratorINS6_10device_ptrIKfEEEESL_NS6_8equal_toIfEEEENSG_9not_fun_tINSD_8identityEEEEENSD_19counting_iterator_tIlEES8_S8_S8_S8_S8_S8_S8_S8_EEEEPS9_S9_NSD_9__find_if7functorIS9_EEEE10hipError_tPvRmT1_T2_T3_mT4_P12ihipStream_tbEUlT_E0_NS1_11comp_targetILNS1_3genE9ELNS1_11target_archE1100ELNS1_3gpuE3ELNS1_3repE0EEENS1_30default_config_static_selectorELNS0_4arch9wavefront6targetE1EEEvS14_
                                        ; -- End function
	.set _ZN7rocprim17ROCPRIM_400000_NS6detail17trampoline_kernelINS0_14default_configENS1_22reduce_config_selectorIN6thrust23THRUST_200600_302600_NS5tupleIblNS6_9null_typeES8_S8_S8_S8_S8_S8_S8_EEEEZNS1_11reduce_implILb1ES3_NS6_12zip_iteratorINS7_INS6_11hip_rocprim26transform_input_iterator_tIbNSD_35transform_pair_of_input_iterators_tIbNS6_6detail15normal_iteratorINS6_10device_ptrIKfEEEESL_NS6_8equal_toIfEEEENSG_9not_fun_tINSD_8identityEEEEENSD_19counting_iterator_tIlEES8_S8_S8_S8_S8_S8_S8_S8_EEEEPS9_S9_NSD_9__find_if7functorIS9_EEEE10hipError_tPvRmT1_T2_T3_mT4_P12ihipStream_tbEUlT_E0_NS1_11comp_targetILNS1_3genE9ELNS1_11target_archE1100ELNS1_3gpuE3ELNS1_3repE0EEENS1_30default_config_static_selectorELNS0_4arch9wavefront6targetE1EEEvS14_.num_vgpr, 0
	.set _ZN7rocprim17ROCPRIM_400000_NS6detail17trampoline_kernelINS0_14default_configENS1_22reduce_config_selectorIN6thrust23THRUST_200600_302600_NS5tupleIblNS6_9null_typeES8_S8_S8_S8_S8_S8_S8_EEEEZNS1_11reduce_implILb1ES3_NS6_12zip_iteratorINS7_INS6_11hip_rocprim26transform_input_iterator_tIbNSD_35transform_pair_of_input_iterators_tIbNS6_6detail15normal_iteratorINS6_10device_ptrIKfEEEESL_NS6_8equal_toIfEEEENSG_9not_fun_tINSD_8identityEEEEENSD_19counting_iterator_tIlEES8_S8_S8_S8_S8_S8_S8_S8_EEEEPS9_S9_NSD_9__find_if7functorIS9_EEEE10hipError_tPvRmT1_T2_T3_mT4_P12ihipStream_tbEUlT_E0_NS1_11comp_targetILNS1_3genE9ELNS1_11target_archE1100ELNS1_3gpuE3ELNS1_3repE0EEENS1_30default_config_static_selectorELNS0_4arch9wavefront6targetE1EEEvS14_.num_agpr, 0
	.set _ZN7rocprim17ROCPRIM_400000_NS6detail17trampoline_kernelINS0_14default_configENS1_22reduce_config_selectorIN6thrust23THRUST_200600_302600_NS5tupleIblNS6_9null_typeES8_S8_S8_S8_S8_S8_S8_EEEEZNS1_11reduce_implILb1ES3_NS6_12zip_iteratorINS7_INS6_11hip_rocprim26transform_input_iterator_tIbNSD_35transform_pair_of_input_iterators_tIbNS6_6detail15normal_iteratorINS6_10device_ptrIKfEEEESL_NS6_8equal_toIfEEEENSG_9not_fun_tINSD_8identityEEEEENSD_19counting_iterator_tIlEES8_S8_S8_S8_S8_S8_S8_S8_EEEEPS9_S9_NSD_9__find_if7functorIS9_EEEE10hipError_tPvRmT1_T2_T3_mT4_P12ihipStream_tbEUlT_E0_NS1_11comp_targetILNS1_3genE9ELNS1_11target_archE1100ELNS1_3gpuE3ELNS1_3repE0EEENS1_30default_config_static_selectorELNS0_4arch9wavefront6targetE1EEEvS14_.numbered_sgpr, 0
	.set _ZN7rocprim17ROCPRIM_400000_NS6detail17trampoline_kernelINS0_14default_configENS1_22reduce_config_selectorIN6thrust23THRUST_200600_302600_NS5tupleIblNS6_9null_typeES8_S8_S8_S8_S8_S8_S8_EEEEZNS1_11reduce_implILb1ES3_NS6_12zip_iteratorINS7_INS6_11hip_rocprim26transform_input_iterator_tIbNSD_35transform_pair_of_input_iterators_tIbNS6_6detail15normal_iteratorINS6_10device_ptrIKfEEEESL_NS6_8equal_toIfEEEENSG_9not_fun_tINSD_8identityEEEEENSD_19counting_iterator_tIlEES8_S8_S8_S8_S8_S8_S8_S8_EEEEPS9_S9_NSD_9__find_if7functorIS9_EEEE10hipError_tPvRmT1_T2_T3_mT4_P12ihipStream_tbEUlT_E0_NS1_11comp_targetILNS1_3genE9ELNS1_11target_archE1100ELNS1_3gpuE3ELNS1_3repE0EEENS1_30default_config_static_selectorELNS0_4arch9wavefront6targetE1EEEvS14_.num_named_barrier, 0
	.set _ZN7rocprim17ROCPRIM_400000_NS6detail17trampoline_kernelINS0_14default_configENS1_22reduce_config_selectorIN6thrust23THRUST_200600_302600_NS5tupleIblNS6_9null_typeES8_S8_S8_S8_S8_S8_S8_EEEEZNS1_11reduce_implILb1ES3_NS6_12zip_iteratorINS7_INS6_11hip_rocprim26transform_input_iterator_tIbNSD_35transform_pair_of_input_iterators_tIbNS6_6detail15normal_iteratorINS6_10device_ptrIKfEEEESL_NS6_8equal_toIfEEEENSG_9not_fun_tINSD_8identityEEEEENSD_19counting_iterator_tIlEES8_S8_S8_S8_S8_S8_S8_S8_EEEEPS9_S9_NSD_9__find_if7functorIS9_EEEE10hipError_tPvRmT1_T2_T3_mT4_P12ihipStream_tbEUlT_E0_NS1_11comp_targetILNS1_3genE9ELNS1_11target_archE1100ELNS1_3gpuE3ELNS1_3repE0EEENS1_30default_config_static_selectorELNS0_4arch9wavefront6targetE1EEEvS14_.private_seg_size, 0
	.set _ZN7rocprim17ROCPRIM_400000_NS6detail17trampoline_kernelINS0_14default_configENS1_22reduce_config_selectorIN6thrust23THRUST_200600_302600_NS5tupleIblNS6_9null_typeES8_S8_S8_S8_S8_S8_S8_EEEEZNS1_11reduce_implILb1ES3_NS6_12zip_iteratorINS7_INS6_11hip_rocprim26transform_input_iterator_tIbNSD_35transform_pair_of_input_iterators_tIbNS6_6detail15normal_iteratorINS6_10device_ptrIKfEEEESL_NS6_8equal_toIfEEEENSG_9not_fun_tINSD_8identityEEEEENSD_19counting_iterator_tIlEES8_S8_S8_S8_S8_S8_S8_S8_EEEEPS9_S9_NSD_9__find_if7functorIS9_EEEE10hipError_tPvRmT1_T2_T3_mT4_P12ihipStream_tbEUlT_E0_NS1_11comp_targetILNS1_3genE9ELNS1_11target_archE1100ELNS1_3gpuE3ELNS1_3repE0EEENS1_30default_config_static_selectorELNS0_4arch9wavefront6targetE1EEEvS14_.uses_vcc, 0
	.set _ZN7rocprim17ROCPRIM_400000_NS6detail17trampoline_kernelINS0_14default_configENS1_22reduce_config_selectorIN6thrust23THRUST_200600_302600_NS5tupleIblNS6_9null_typeES8_S8_S8_S8_S8_S8_S8_EEEEZNS1_11reduce_implILb1ES3_NS6_12zip_iteratorINS7_INS6_11hip_rocprim26transform_input_iterator_tIbNSD_35transform_pair_of_input_iterators_tIbNS6_6detail15normal_iteratorINS6_10device_ptrIKfEEEESL_NS6_8equal_toIfEEEENSG_9not_fun_tINSD_8identityEEEEENSD_19counting_iterator_tIlEES8_S8_S8_S8_S8_S8_S8_S8_EEEEPS9_S9_NSD_9__find_if7functorIS9_EEEE10hipError_tPvRmT1_T2_T3_mT4_P12ihipStream_tbEUlT_E0_NS1_11comp_targetILNS1_3genE9ELNS1_11target_archE1100ELNS1_3gpuE3ELNS1_3repE0EEENS1_30default_config_static_selectorELNS0_4arch9wavefront6targetE1EEEvS14_.uses_flat_scratch, 0
	.set _ZN7rocprim17ROCPRIM_400000_NS6detail17trampoline_kernelINS0_14default_configENS1_22reduce_config_selectorIN6thrust23THRUST_200600_302600_NS5tupleIblNS6_9null_typeES8_S8_S8_S8_S8_S8_S8_EEEEZNS1_11reduce_implILb1ES3_NS6_12zip_iteratorINS7_INS6_11hip_rocprim26transform_input_iterator_tIbNSD_35transform_pair_of_input_iterators_tIbNS6_6detail15normal_iteratorINS6_10device_ptrIKfEEEESL_NS6_8equal_toIfEEEENSG_9not_fun_tINSD_8identityEEEEENSD_19counting_iterator_tIlEES8_S8_S8_S8_S8_S8_S8_S8_EEEEPS9_S9_NSD_9__find_if7functorIS9_EEEE10hipError_tPvRmT1_T2_T3_mT4_P12ihipStream_tbEUlT_E0_NS1_11comp_targetILNS1_3genE9ELNS1_11target_archE1100ELNS1_3gpuE3ELNS1_3repE0EEENS1_30default_config_static_selectorELNS0_4arch9wavefront6targetE1EEEvS14_.has_dyn_sized_stack, 0
	.set _ZN7rocprim17ROCPRIM_400000_NS6detail17trampoline_kernelINS0_14default_configENS1_22reduce_config_selectorIN6thrust23THRUST_200600_302600_NS5tupleIblNS6_9null_typeES8_S8_S8_S8_S8_S8_S8_EEEEZNS1_11reduce_implILb1ES3_NS6_12zip_iteratorINS7_INS6_11hip_rocprim26transform_input_iterator_tIbNSD_35transform_pair_of_input_iterators_tIbNS6_6detail15normal_iteratorINS6_10device_ptrIKfEEEESL_NS6_8equal_toIfEEEENSG_9not_fun_tINSD_8identityEEEEENSD_19counting_iterator_tIlEES8_S8_S8_S8_S8_S8_S8_S8_EEEEPS9_S9_NSD_9__find_if7functorIS9_EEEE10hipError_tPvRmT1_T2_T3_mT4_P12ihipStream_tbEUlT_E0_NS1_11comp_targetILNS1_3genE9ELNS1_11target_archE1100ELNS1_3gpuE3ELNS1_3repE0EEENS1_30default_config_static_selectorELNS0_4arch9wavefront6targetE1EEEvS14_.has_recursion, 0
	.set _ZN7rocprim17ROCPRIM_400000_NS6detail17trampoline_kernelINS0_14default_configENS1_22reduce_config_selectorIN6thrust23THRUST_200600_302600_NS5tupleIblNS6_9null_typeES8_S8_S8_S8_S8_S8_S8_EEEEZNS1_11reduce_implILb1ES3_NS6_12zip_iteratorINS7_INS6_11hip_rocprim26transform_input_iterator_tIbNSD_35transform_pair_of_input_iterators_tIbNS6_6detail15normal_iteratorINS6_10device_ptrIKfEEEESL_NS6_8equal_toIfEEEENSG_9not_fun_tINSD_8identityEEEEENSD_19counting_iterator_tIlEES8_S8_S8_S8_S8_S8_S8_S8_EEEEPS9_S9_NSD_9__find_if7functorIS9_EEEE10hipError_tPvRmT1_T2_T3_mT4_P12ihipStream_tbEUlT_E0_NS1_11comp_targetILNS1_3genE9ELNS1_11target_archE1100ELNS1_3gpuE3ELNS1_3repE0EEENS1_30default_config_static_selectorELNS0_4arch9wavefront6targetE1EEEvS14_.has_indirect_call, 0
	.section	.AMDGPU.csdata,"",@progbits
; Kernel info:
; codeLenInByte = 0
; TotalNumSgprs: 4
; NumVgprs: 0
; ScratchSize: 0
; MemoryBound: 0
; FloatMode: 240
; IeeeMode: 1
; LDSByteSize: 0 bytes/workgroup (compile time only)
; SGPRBlocks: 0
; VGPRBlocks: 0
; NumSGPRsForWavesPerEU: 4
; NumVGPRsForWavesPerEU: 1
; Occupancy: 10
; WaveLimiterHint : 0
; COMPUTE_PGM_RSRC2:SCRATCH_EN: 0
; COMPUTE_PGM_RSRC2:USER_SGPR: 6
; COMPUTE_PGM_RSRC2:TRAP_HANDLER: 0
; COMPUTE_PGM_RSRC2:TGID_X_EN: 1
; COMPUTE_PGM_RSRC2:TGID_Y_EN: 0
; COMPUTE_PGM_RSRC2:TGID_Z_EN: 0
; COMPUTE_PGM_RSRC2:TIDIG_COMP_CNT: 0
	.section	.text._ZN7rocprim17ROCPRIM_400000_NS6detail17trampoline_kernelINS0_14default_configENS1_22reduce_config_selectorIN6thrust23THRUST_200600_302600_NS5tupleIblNS6_9null_typeES8_S8_S8_S8_S8_S8_S8_EEEEZNS1_11reduce_implILb1ES3_NS6_12zip_iteratorINS7_INS6_11hip_rocprim26transform_input_iterator_tIbNSD_35transform_pair_of_input_iterators_tIbNS6_6detail15normal_iteratorINS6_10device_ptrIKfEEEESL_NS6_8equal_toIfEEEENSG_9not_fun_tINSD_8identityEEEEENSD_19counting_iterator_tIlEES8_S8_S8_S8_S8_S8_S8_S8_EEEEPS9_S9_NSD_9__find_if7functorIS9_EEEE10hipError_tPvRmT1_T2_T3_mT4_P12ihipStream_tbEUlT_E0_NS1_11comp_targetILNS1_3genE8ELNS1_11target_archE1030ELNS1_3gpuE2ELNS1_3repE0EEENS1_30default_config_static_selectorELNS0_4arch9wavefront6targetE1EEEvS14_,"axG",@progbits,_ZN7rocprim17ROCPRIM_400000_NS6detail17trampoline_kernelINS0_14default_configENS1_22reduce_config_selectorIN6thrust23THRUST_200600_302600_NS5tupleIblNS6_9null_typeES8_S8_S8_S8_S8_S8_S8_EEEEZNS1_11reduce_implILb1ES3_NS6_12zip_iteratorINS7_INS6_11hip_rocprim26transform_input_iterator_tIbNSD_35transform_pair_of_input_iterators_tIbNS6_6detail15normal_iteratorINS6_10device_ptrIKfEEEESL_NS6_8equal_toIfEEEENSG_9not_fun_tINSD_8identityEEEEENSD_19counting_iterator_tIlEES8_S8_S8_S8_S8_S8_S8_S8_EEEEPS9_S9_NSD_9__find_if7functorIS9_EEEE10hipError_tPvRmT1_T2_T3_mT4_P12ihipStream_tbEUlT_E0_NS1_11comp_targetILNS1_3genE8ELNS1_11target_archE1030ELNS1_3gpuE2ELNS1_3repE0EEENS1_30default_config_static_selectorELNS0_4arch9wavefront6targetE1EEEvS14_,comdat
	.protected	_ZN7rocprim17ROCPRIM_400000_NS6detail17trampoline_kernelINS0_14default_configENS1_22reduce_config_selectorIN6thrust23THRUST_200600_302600_NS5tupleIblNS6_9null_typeES8_S8_S8_S8_S8_S8_S8_EEEEZNS1_11reduce_implILb1ES3_NS6_12zip_iteratorINS7_INS6_11hip_rocprim26transform_input_iterator_tIbNSD_35transform_pair_of_input_iterators_tIbNS6_6detail15normal_iteratorINS6_10device_ptrIKfEEEESL_NS6_8equal_toIfEEEENSG_9not_fun_tINSD_8identityEEEEENSD_19counting_iterator_tIlEES8_S8_S8_S8_S8_S8_S8_S8_EEEEPS9_S9_NSD_9__find_if7functorIS9_EEEE10hipError_tPvRmT1_T2_T3_mT4_P12ihipStream_tbEUlT_E0_NS1_11comp_targetILNS1_3genE8ELNS1_11target_archE1030ELNS1_3gpuE2ELNS1_3repE0EEENS1_30default_config_static_selectorELNS0_4arch9wavefront6targetE1EEEvS14_ ; -- Begin function _ZN7rocprim17ROCPRIM_400000_NS6detail17trampoline_kernelINS0_14default_configENS1_22reduce_config_selectorIN6thrust23THRUST_200600_302600_NS5tupleIblNS6_9null_typeES8_S8_S8_S8_S8_S8_S8_EEEEZNS1_11reduce_implILb1ES3_NS6_12zip_iteratorINS7_INS6_11hip_rocprim26transform_input_iterator_tIbNSD_35transform_pair_of_input_iterators_tIbNS6_6detail15normal_iteratorINS6_10device_ptrIKfEEEESL_NS6_8equal_toIfEEEENSG_9not_fun_tINSD_8identityEEEEENSD_19counting_iterator_tIlEES8_S8_S8_S8_S8_S8_S8_S8_EEEEPS9_S9_NSD_9__find_if7functorIS9_EEEE10hipError_tPvRmT1_T2_T3_mT4_P12ihipStream_tbEUlT_E0_NS1_11comp_targetILNS1_3genE8ELNS1_11target_archE1030ELNS1_3gpuE2ELNS1_3repE0EEENS1_30default_config_static_selectorELNS0_4arch9wavefront6targetE1EEEvS14_
	.globl	_ZN7rocprim17ROCPRIM_400000_NS6detail17trampoline_kernelINS0_14default_configENS1_22reduce_config_selectorIN6thrust23THRUST_200600_302600_NS5tupleIblNS6_9null_typeES8_S8_S8_S8_S8_S8_S8_EEEEZNS1_11reduce_implILb1ES3_NS6_12zip_iteratorINS7_INS6_11hip_rocprim26transform_input_iterator_tIbNSD_35transform_pair_of_input_iterators_tIbNS6_6detail15normal_iteratorINS6_10device_ptrIKfEEEESL_NS6_8equal_toIfEEEENSG_9not_fun_tINSD_8identityEEEEENSD_19counting_iterator_tIlEES8_S8_S8_S8_S8_S8_S8_S8_EEEEPS9_S9_NSD_9__find_if7functorIS9_EEEE10hipError_tPvRmT1_T2_T3_mT4_P12ihipStream_tbEUlT_E0_NS1_11comp_targetILNS1_3genE8ELNS1_11target_archE1030ELNS1_3gpuE2ELNS1_3repE0EEENS1_30default_config_static_selectorELNS0_4arch9wavefront6targetE1EEEvS14_
	.p2align	8
	.type	_ZN7rocprim17ROCPRIM_400000_NS6detail17trampoline_kernelINS0_14default_configENS1_22reduce_config_selectorIN6thrust23THRUST_200600_302600_NS5tupleIblNS6_9null_typeES8_S8_S8_S8_S8_S8_S8_EEEEZNS1_11reduce_implILb1ES3_NS6_12zip_iteratorINS7_INS6_11hip_rocprim26transform_input_iterator_tIbNSD_35transform_pair_of_input_iterators_tIbNS6_6detail15normal_iteratorINS6_10device_ptrIKfEEEESL_NS6_8equal_toIfEEEENSG_9not_fun_tINSD_8identityEEEEENSD_19counting_iterator_tIlEES8_S8_S8_S8_S8_S8_S8_S8_EEEEPS9_S9_NSD_9__find_if7functorIS9_EEEE10hipError_tPvRmT1_T2_T3_mT4_P12ihipStream_tbEUlT_E0_NS1_11comp_targetILNS1_3genE8ELNS1_11target_archE1030ELNS1_3gpuE2ELNS1_3repE0EEENS1_30default_config_static_selectorELNS0_4arch9wavefront6targetE1EEEvS14_,@function
_ZN7rocprim17ROCPRIM_400000_NS6detail17trampoline_kernelINS0_14default_configENS1_22reduce_config_selectorIN6thrust23THRUST_200600_302600_NS5tupleIblNS6_9null_typeES8_S8_S8_S8_S8_S8_S8_EEEEZNS1_11reduce_implILb1ES3_NS6_12zip_iteratorINS7_INS6_11hip_rocprim26transform_input_iterator_tIbNSD_35transform_pair_of_input_iterators_tIbNS6_6detail15normal_iteratorINS6_10device_ptrIKfEEEESL_NS6_8equal_toIfEEEENSG_9not_fun_tINSD_8identityEEEEENSD_19counting_iterator_tIlEES8_S8_S8_S8_S8_S8_S8_S8_EEEEPS9_S9_NSD_9__find_if7functorIS9_EEEE10hipError_tPvRmT1_T2_T3_mT4_P12ihipStream_tbEUlT_E0_NS1_11comp_targetILNS1_3genE8ELNS1_11target_archE1030ELNS1_3gpuE2ELNS1_3repE0EEENS1_30default_config_static_selectorELNS0_4arch9wavefront6targetE1EEEvS14_: ; @_ZN7rocprim17ROCPRIM_400000_NS6detail17trampoline_kernelINS0_14default_configENS1_22reduce_config_selectorIN6thrust23THRUST_200600_302600_NS5tupleIblNS6_9null_typeES8_S8_S8_S8_S8_S8_S8_EEEEZNS1_11reduce_implILb1ES3_NS6_12zip_iteratorINS7_INS6_11hip_rocprim26transform_input_iterator_tIbNSD_35transform_pair_of_input_iterators_tIbNS6_6detail15normal_iteratorINS6_10device_ptrIKfEEEESL_NS6_8equal_toIfEEEENSG_9not_fun_tINSD_8identityEEEEENSD_19counting_iterator_tIlEES8_S8_S8_S8_S8_S8_S8_S8_EEEEPS9_S9_NSD_9__find_if7functorIS9_EEEE10hipError_tPvRmT1_T2_T3_mT4_P12ihipStream_tbEUlT_E0_NS1_11comp_targetILNS1_3genE8ELNS1_11target_archE1030ELNS1_3gpuE2ELNS1_3repE0EEENS1_30default_config_static_selectorELNS0_4arch9wavefront6targetE1EEEvS14_
; %bb.0:
	.section	.rodata,"a",@progbits
	.p2align	6, 0x0
	.amdhsa_kernel _ZN7rocprim17ROCPRIM_400000_NS6detail17trampoline_kernelINS0_14default_configENS1_22reduce_config_selectorIN6thrust23THRUST_200600_302600_NS5tupleIblNS6_9null_typeES8_S8_S8_S8_S8_S8_S8_EEEEZNS1_11reduce_implILb1ES3_NS6_12zip_iteratorINS7_INS6_11hip_rocprim26transform_input_iterator_tIbNSD_35transform_pair_of_input_iterators_tIbNS6_6detail15normal_iteratorINS6_10device_ptrIKfEEEESL_NS6_8equal_toIfEEEENSG_9not_fun_tINSD_8identityEEEEENSD_19counting_iterator_tIlEES8_S8_S8_S8_S8_S8_S8_S8_EEEEPS9_S9_NSD_9__find_if7functorIS9_EEEE10hipError_tPvRmT1_T2_T3_mT4_P12ihipStream_tbEUlT_E0_NS1_11comp_targetILNS1_3genE8ELNS1_11target_archE1030ELNS1_3gpuE2ELNS1_3repE0EEENS1_30default_config_static_selectorELNS0_4arch9wavefront6targetE1EEEvS14_
		.amdhsa_group_segment_fixed_size 0
		.amdhsa_private_segment_fixed_size 0
		.amdhsa_kernarg_size 104
		.amdhsa_user_sgpr_count 6
		.amdhsa_user_sgpr_private_segment_buffer 1
		.amdhsa_user_sgpr_dispatch_ptr 0
		.amdhsa_user_sgpr_queue_ptr 0
		.amdhsa_user_sgpr_kernarg_segment_ptr 1
		.amdhsa_user_sgpr_dispatch_id 0
		.amdhsa_user_sgpr_flat_scratch_init 0
		.amdhsa_user_sgpr_private_segment_size 0
		.amdhsa_uses_dynamic_stack 0
		.amdhsa_system_sgpr_private_segment_wavefront_offset 0
		.amdhsa_system_sgpr_workgroup_id_x 1
		.amdhsa_system_sgpr_workgroup_id_y 0
		.amdhsa_system_sgpr_workgroup_id_z 0
		.amdhsa_system_sgpr_workgroup_info 0
		.amdhsa_system_vgpr_workitem_id 0
		.amdhsa_next_free_vgpr 1
		.amdhsa_next_free_sgpr 0
		.amdhsa_reserve_vcc 0
		.amdhsa_reserve_flat_scratch 0
		.amdhsa_float_round_mode_32 0
		.amdhsa_float_round_mode_16_64 0
		.amdhsa_float_denorm_mode_32 3
		.amdhsa_float_denorm_mode_16_64 3
		.amdhsa_dx10_clamp 1
		.amdhsa_ieee_mode 1
		.amdhsa_fp16_overflow 0
		.amdhsa_exception_fp_ieee_invalid_op 0
		.amdhsa_exception_fp_denorm_src 0
		.amdhsa_exception_fp_ieee_div_zero 0
		.amdhsa_exception_fp_ieee_overflow 0
		.amdhsa_exception_fp_ieee_underflow 0
		.amdhsa_exception_fp_ieee_inexact 0
		.amdhsa_exception_int_div_zero 0
	.end_amdhsa_kernel
	.section	.text._ZN7rocprim17ROCPRIM_400000_NS6detail17trampoline_kernelINS0_14default_configENS1_22reduce_config_selectorIN6thrust23THRUST_200600_302600_NS5tupleIblNS6_9null_typeES8_S8_S8_S8_S8_S8_S8_EEEEZNS1_11reduce_implILb1ES3_NS6_12zip_iteratorINS7_INS6_11hip_rocprim26transform_input_iterator_tIbNSD_35transform_pair_of_input_iterators_tIbNS6_6detail15normal_iteratorINS6_10device_ptrIKfEEEESL_NS6_8equal_toIfEEEENSG_9not_fun_tINSD_8identityEEEEENSD_19counting_iterator_tIlEES8_S8_S8_S8_S8_S8_S8_S8_EEEEPS9_S9_NSD_9__find_if7functorIS9_EEEE10hipError_tPvRmT1_T2_T3_mT4_P12ihipStream_tbEUlT_E0_NS1_11comp_targetILNS1_3genE8ELNS1_11target_archE1030ELNS1_3gpuE2ELNS1_3repE0EEENS1_30default_config_static_selectorELNS0_4arch9wavefront6targetE1EEEvS14_,"axG",@progbits,_ZN7rocprim17ROCPRIM_400000_NS6detail17trampoline_kernelINS0_14default_configENS1_22reduce_config_selectorIN6thrust23THRUST_200600_302600_NS5tupleIblNS6_9null_typeES8_S8_S8_S8_S8_S8_S8_EEEEZNS1_11reduce_implILb1ES3_NS6_12zip_iteratorINS7_INS6_11hip_rocprim26transform_input_iterator_tIbNSD_35transform_pair_of_input_iterators_tIbNS6_6detail15normal_iteratorINS6_10device_ptrIKfEEEESL_NS6_8equal_toIfEEEENSG_9not_fun_tINSD_8identityEEEEENSD_19counting_iterator_tIlEES8_S8_S8_S8_S8_S8_S8_S8_EEEEPS9_S9_NSD_9__find_if7functorIS9_EEEE10hipError_tPvRmT1_T2_T3_mT4_P12ihipStream_tbEUlT_E0_NS1_11comp_targetILNS1_3genE8ELNS1_11target_archE1030ELNS1_3gpuE2ELNS1_3repE0EEENS1_30default_config_static_selectorELNS0_4arch9wavefront6targetE1EEEvS14_,comdat
.Lfunc_end455:
	.size	_ZN7rocprim17ROCPRIM_400000_NS6detail17trampoline_kernelINS0_14default_configENS1_22reduce_config_selectorIN6thrust23THRUST_200600_302600_NS5tupleIblNS6_9null_typeES8_S8_S8_S8_S8_S8_S8_EEEEZNS1_11reduce_implILb1ES3_NS6_12zip_iteratorINS7_INS6_11hip_rocprim26transform_input_iterator_tIbNSD_35transform_pair_of_input_iterators_tIbNS6_6detail15normal_iteratorINS6_10device_ptrIKfEEEESL_NS6_8equal_toIfEEEENSG_9not_fun_tINSD_8identityEEEEENSD_19counting_iterator_tIlEES8_S8_S8_S8_S8_S8_S8_S8_EEEEPS9_S9_NSD_9__find_if7functorIS9_EEEE10hipError_tPvRmT1_T2_T3_mT4_P12ihipStream_tbEUlT_E0_NS1_11comp_targetILNS1_3genE8ELNS1_11target_archE1030ELNS1_3gpuE2ELNS1_3repE0EEENS1_30default_config_static_selectorELNS0_4arch9wavefront6targetE1EEEvS14_, .Lfunc_end455-_ZN7rocprim17ROCPRIM_400000_NS6detail17trampoline_kernelINS0_14default_configENS1_22reduce_config_selectorIN6thrust23THRUST_200600_302600_NS5tupleIblNS6_9null_typeES8_S8_S8_S8_S8_S8_S8_EEEEZNS1_11reduce_implILb1ES3_NS6_12zip_iteratorINS7_INS6_11hip_rocprim26transform_input_iterator_tIbNSD_35transform_pair_of_input_iterators_tIbNS6_6detail15normal_iteratorINS6_10device_ptrIKfEEEESL_NS6_8equal_toIfEEEENSG_9not_fun_tINSD_8identityEEEEENSD_19counting_iterator_tIlEES8_S8_S8_S8_S8_S8_S8_S8_EEEEPS9_S9_NSD_9__find_if7functorIS9_EEEE10hipError_tPvRmT1_T2_T3_mT4_P12ihipStream_tbEUlT_E0_NS1_11comp_targetILNS1_3genE8ELNS1_11target_archE1030ELNS1_3gpuE2ELNS1_3repE0EEENS1_30default_config_static_selectorELNS0_4arch9wavefront6targetE1EEEvS14_
                                        ; -- End function
	.set _ZN7rocprim17ROCPRIM_400000_NS6detail17trampoline_kernelINS0_14default_configENS1_22reduce_config_selectorIN6thrust23THRUST_200600_302600_NS5tupleIblNS6_9null_typeES8_S8_S8_S8_S8_S8_S8_EEEEZNS1_11reduce_implILb1ES3_NS6_12zip_iteratorINS7_INS6_11hip_rocprim26transform_input_iterator_tIbNSD_35transform_pair_of_input_iterators_tIbNS6_6detail15normal_iteratorINS6_10device_ptrIKfEEEESL_NS6_8equal_toIfEEEENSG_9not_fun_tINSD_8identityEEEEENSD_19counting_iterator_tIlEES8_S8_S8_S8_S8_S8_S8_S8_EEEEPS9_S9_NSD_9__find_if7functorIS9_EEEE10hipError_tPvRmT1_T2_T3_mT4_P12ihipStream_tbEUlT_E0_NS1_11comp_targetILNS1_3genE8ELNS1_11target_archE1030ELNS1_3gpuE2ELNS1_3repE0EEENS1_30default_config_static_selectorELNS0_4arch9wavefront6targetE1EEEvS14_.num_vgpr, 0
	.set _ZN7rocprim17ROCPRIM_400000_NS6detail17trampoline_kernelINS0_14default_configENS1_22reduce_config_selectorIN6thrust23THRUST_200600_302600_NS5tupleIblNS6_9null_typeES8_S8_S8_S8_S8_S8_S8_EEEEZNS1_11reduce_implILb1ES3_NS6_12zip_iteratorINS7_INS6_11hip_rocprim26transform_input_iterator_tIbNSD_35transform_pair_of_input_iterators_tIbNS6_6detail15normal_iteratorINS6_10device_ptrIKfEEEESL_NS6_8equal_toIfEEEENSG_9not_fun_tINSD_8identityEEEEENSD_19counting_iterator_tIlEES8_S8_S8_S8_S8_S8_S8_S8_EEEEPS9_S9_NSD_9__find_if7functorIS9_EEEE10hipError_tPvRmT1_T2_T3_mT4_P12ihipStream_tbEUlT_E0_NS1_11comp_targetILNS1_3genE8ELNS1_11target_archE1030ELNS1_3gpuE2ELNS1_3repE0EEENS1_30default_config_static_selectorELNS0_4arch9wavefront6targetE1EEEvS14_.num_agpr, 0
	.set _ZN7rocprim17ROCPRIM_400000_NS6detail17trampoline_kernelINS0_14default_configENS1_22reduce_config_selectorIN6thrust23THRUST_200600_302600_NS5tupleIblNS6_9null_typeES8_S8_S8_S8_S8_S8_S8_EEEEZNS1_11reduce_implILb1ES3_NS6_12zip_iteratorINS7_INS6_11hip_rocprim26transform_input_iterator_tIbNSD_35transform_pair_of_input_iterators_tIbNS6_6detail15normal_iteratorINS6_10device_ptrIKfEEEESL_NS6_8equal_toIfEEEENSG_9not_fun_tINSD_8identityEEEEENSD_19counting_iterator_tIlEES8_S8_S8_S8_S8_S8_S8_S8_EEEEPS9_S9_NSD_9__find_if7functorIS9_EEEE10hipError_tPvRmT1_T2_T3_mT4_P12ihipStream_tbEUlT_E0_NS1_11comp_targetILNS1_3genE8ELNS1_11target_archE1030ELNS1_3gpuE2ELNS1_3repE0EEENS1_30default_config_static_selectorELNS0_4arch9wavefront6targetE1EEEvS14_.numbered_sgpr, 0
	.set _ZN7rocprim17ROCPRIM_400000_NS6detail17trampoline_kernelINS0_14default_configENS1_22reduce_config_selectorIN6thrust23THRUST_200600_302600_NS5tupleIblNS6_9null_typeES8_S8_S8_S8_S8_S8_S8_EEEEZNS1_11reduce_implILb1ES3_NS6_12zip_iteratorINS7_INS6_11hip_rocprim26transform_input_iterator_tIbNSD_35transform_pair_of_input_iterators_tIbNS6_6detail15normal_iteratorINS6_10device_ptrIKfEEEESL_NS6_8equal_toIfEEEENSG_9not_fun_tINSD_8identityEEEEENSD_19counting_iterator_tIlEES8_S8_S8_S8_S8_S8_S8_S8_EEEEPS9_S9_NSD_9__find_if7functorIS9_EEEE10hipError_tPvRmT1_T2_T3_mT4_P12ihipStream_tbEUlT_E0_NS1_11comp_targetILNS1_3genE8ELNS1_11target_archE1030ELNS1_3gpuE2ELNS1_3repE0EEENS1_30default_config_static_selectorELNS0_4arch9wavefront6targetE1EEEvS14_.num_named_barrier, 0
	.set _ZN7rocprim17ROCPRIM_400000_NS6detail17trampoline_kernelINS0_14default_configENS1_22reduce_config_selectorIN6thrust23THRUST_200600_302600_NS5tupleIblNS6_9null_typeES8_S8_S8_S8_S8_S8_S8_EEEEZNS1_11reduce_implILb1ES3_NS6_12zip_iteratorINS7_INS6_11hip_rocprim26transform_input_iterator_tIbNSD_35transform_pair_of_input_iterators_tIbNS6_6detail15normal_iteratorINS6_10device_ptrIKfEEEESL_NS6_8equal_toIfEEEENSG_9not_fun_tINSD_8identityEEEEENSD_19counting_iterator_tIlEES8_S8_S8_S8_S8_S8_S8_S8_EEEEPS9_S9_NSD_9__find_if7functorIS9_EEEE10hipError_tPvRmT1_T2_T3_mT4_P12ihipStream_tbEUlT_E0_NS1_11comp_targetILNS1_3genE8ELNS1_11target_archE1030ELNS1_3gpuE2ELNS1_3repE0EEENS1_30default_config_static_selectorELNS0_4arch9wavefront6targetE1EEEvS14_.private_seg_size, 0
	.set _ZN7rocprim17ROCPRIM_400000_NS6detail17trampoline_kernelINS0_14default_configENS1_22reduce_config_selectorIN6thrust23THRUST_200600_302600_NS5tupleIblNS6_9null_typeES8_S8_S8_S8_S8_S8_S8_EEEEZNS1_11reduce_implILb1ES3_NS6_12zip_iteratorINS7_INS6_11hip_rocprim26transform_input_iterator_tIbNSD_35transform_pair_of_input_iterators_tIbNS6_6detail15normal_iteratorINS6_10device_ptrIKfEEEESL_NS6_8equal_toIfEEEENSG_9not_fun_tINSD_8identityEEEEENSD_19counting_iterator_tIlEES8_S8_S8_S8_S8_S8_S8_S8_EEEEPS9_S9_NSD_9__find_if7functorIS9_EEEE10hipError_tPvRmT1_T2_T3_mT4_P12ihipStream_tbEUlT_E0_NS1_11comp_targetILNS1_3genE8ELNS1_11target_archE1030ELNS1_3gpuE2ELNS1_3repE0EEENS1_30default_config_static_selectorELNS0_4arch9wavefront6targetE1EEEvS14_.uses_vcc, 0
	.set _ZN7rocprim17ROCPRIM_400000_NS6detail17trampoline_kernelINS0_14default_configENS1_22reduce_config_selectorIN6thrust23THRUST_200600_302600_NS5tupleIblNS6_9null_typeES8_S8_S8_S8_S8_S8_S8_EEEEZNS1_11reduce_implILb1ES3_NS6_12zip_iteratorINS7_INS6_11hip_rocprim26transform_input_iterator_tIbNSD_35transform_pair_of_input_iterators_tIbNS6_6detail15normal_iteratorINS6_10device_ptrIKfEEEESL_NS6_8equal_toIfEEEENSG_9not_fun_tINSD_8identityEEEEENSD_19counting_iterator_tIlEES8_S8_S8_S8_S8_S8_S8_S8_EEEEPS9_S9_NSD_9__find_if7functorIS9_EEEE10hipError_tPvRmT1_T2_T3_mT4_P12ihipStream_tbEUlT_E0_NS1_11comp_targetILNS1_3genE8ELNS1_11target_archE1030ELNS1_3gpuE2ELNS1_3repE0EEENS1_30default_config_static_selectorELNS0_4arch9wavefront6targetE1EEEvS14_.uses_flat_scratch, 0
	.set _ZN7rocprim17ROCPRIM_400000_NS6detail17trampoline_kernelINS0_14default_configENS1_22reduce_config_selectorIN6thrust23THRUST_200600_302600_NS5tupleIblNS6_9null_typeES8_S8_S8_S8_S8_S8_S8_EEEEZNS1_11reduce_implILb1ES3_NS6_12zip_iteratorINS7_INS6_11hip_rocprim26transform_input_iterator_tIbNSD_35transform_pair_of_input_iterators_tIbNS6_6detail15normal_iteratorINS6_10device_ptrIKfEEEESL_NS6_8equal_toIfEEEENSG_9not_fun_tINSD_8identityEEEEENSD_19counting_iterator_tIlEES8_S8_S8_S8_S8_S8_S8_S8_EEEEPS9_S9_NSD_9__find_if7functorIS9_EEEE10hipError_tPvRmT1_T2_T3_mT4_P12ihipStream_tbEUlT_E0_NS1_11comp_targetILNS1_3genE8ELNS1_11target_archE1030ELNS1_3gpuE2ELNS1_3repE0EEENS1_30default_config_static_selectorELNS0_4arch9wavefront6targetE1EEEvS14_.has_dyn_sized_stack, 0
	.set _ZN7rocprim17ROCPRIM_400000_NS6detail17trampoline_kernelINS0_14default_configENS1_22reduce_config_selectorIN6thrust23THRUST_200600_302600_NS5tupleIblNS6_9null_typeES8_S8_S8_S8_S8_S8_S8_EEEEZNS1_11reduce_implILb1ES3_NS6_12zip_iteratorINS7_INS6_11hip_rocprim26transform_input_iterator_tIbNSD_35transform_pair_of_input_iterators_tIbNS6_6detail15normal_iteratorINS6_10device_ptrIKfEEEESL_NS6_8equal_toIfEEEENSG_9not_fun_tINSD_8identityEEEEENSD_19counting_iterator_tIlEES8_S8_S8_S8_S8_S8_S8_S8_EEEEPS9_S9_NSD_9__find_if7functorIS9_EEEE10hipError_tPvRmT1_T2_T3_mT4_P12ihipStream_tbEUlT_E0_NS1_11comp_targetILNS1_3genE8ELNS1_11target_archE1030ELNS1_3gpuE2ELNS1_3repE0EEENS1_30default_config_static_selectorELNS0_4arch9wavefront6targetE1EEEvS14_.has_recursion, 0
	.set _ZN7rocprim17ROCPRIM_400000_NS6detail17trampoline_kernelINS0_14default_configENS1_22reduce_config_selectorIN6thrust23THRUST_200600_302600_NS5tupleIblNS6_9null_typeES8_S8_S8_S8_S8_S8_S8_EEEEZNS1_11reduce_implILb1ES3_NS6_12zip_iteratorINS7_INS6_11hip_rocprim26transform_input_iterator_tIbNSD_35transform_pair_of_input_iterators_tIbNS6_6detail15normal_iteratorINS6_10device_ptrIKfEEEESL_NS6_8equal_toIfEEEENSG_9not_fun_tINSD_8identityEEEEENSD_19counting_iterator_tIlEES8_S8_S8_S8_S8_S8_S8_S8_EEEEPS9_S9_NSD_9__find_if7functorIS9_EEEE10hipError_tPvRmT1_T2_T3_mT4_P12ihipStream_tbEUlT_E0_NS1_11comp_targetILNS1_3genE8ELNS1_11target_archE1030ELNS1_3gpuE2ELNS1_3repE0EEENS1_30default_config_static_selectorELNS0_4arch9wavefront6targetE1EEEvS14_.has_indirect_call, 0
	.section	.AMDGPU.csdata,"",@progbits
; Kernel info:
; codeLenInByte = 0
; TotalNumSgprs: 4
; NumVgprs: 0
; ScratchSize: 0
; MemoryBound: 0
; FloatMode: 240
; IeeeMode: 1
; LDSByteSize: 0 bytes/workgroup (compile time only)
; SGPRBlocks: 0
; VGPRBlocks: 0
; NumSGPRsForWavesPerEU: 4
; NumVGPRsForWavesPerEU: 1
; Occupancy: 10
; WaveLimiterHint : 0
; COMPUTE_PGM_RSRC2:SCRATCH_EN: 0
; COMPUTE_PGM_RSRC2:USER_SGPR: 6
; COMPUTE_PGM_RSRC2:TRAP_HANDLER: 0
; COMPUTE_PGM_RSRC2:TGID_X_EN: 1
; COMPUTE_PGM_RSRC2:TGID_Y_EN: 0
; COMPUTE_PGM_RSRC2:TGID_Z_EN: 0
; COMPUTE_PGM_RSRC2:TIDIG_COMP_CNT: 0
	.section	.text._ZN7rocprim17ROCPRIM_400000_NS6detail17trampoline_kernelINS0_14default_configENS1_22reduce_config_selectorIN6thrust23THRUST_200600_302600_NS5tupleIblNS6_9null_typeES8_S8_S8_S8_S8_S8_S8_EEEEZNS1_11reduce_implILb1ES3_NS6_12zip_iteratorINS7_INS6_11hip_rocprim26transform_input_iterator_tIbNSD_35transform_pair_of_input_iterators_tIbNS6_6detail15normal_iteratorINS6_10device_ptrIKfEEEESL_NS6_8equal_toIfEEEENSG_9not_fun_tINSD_8identityEEEEENSD_19counting_iterator_tIlEES8_S8_S8_S8_S8_S8_S8_S8_EEEEPS9_S9_NSD_9__find_if7functorIS9_EEEE10hipError_tPvRmT1_T2_T3_mT4_P12ihipStream_tbEUlT_E1_NS1_11comp_targetILNS1_3genE0ELNS1_11target_archE4294967295ELNS1_3gpuE0ELNS1_3repE0EEENS1_30default_config_static_selectorELNS0_4arch9wavefront6targetE1EEEvS14_,"axG",@progbits,_ZN7rocprim17ROCPRIM_400000_NS6detail17trampoline_kernelINS0_14default_configENS1_22reduce_config_selectorIN6thrust23THRUST_200600_302600_NS5tupleIblNS6_9null_typeES8_S8_S8_S8_S8_S8_S8_EEEEZNS1_11reduce_implILb1ES3_NS6_12zip_iteratorINS7_INS6_11hip_rocprim26transform_input_iterator_tIbNSD_35transform_pair_of_input_iterators_tIbNS6_6detail15normal_iteratorINS6_10device_ptrIKfEEEESL_NS6_8equal_toIfEEEENSG_9not_fun_tINSD_8identityEEEEENSD_19counting_iterator_tIlEES8_S8_S8_S8_S8_S8_S8_S8_EEEEPS9_S9_NSD_9__find_if7functorIS9_EEEE10hipError_tPvRmT1_T2_T3_mT4_P12ihipStream_tbEUlT_E1_NS1_11comp_targetILNS1_3genE0ELNS1_11target_archE4294967295ELNS1_3gpuE0ELNS1_3repE0EEENS1_30default_config_static_selectorELNS0_4arch9wavefront6targetE1EEEvS14_,comdat
	.protected	_ZN7rocprim17ROCPRIM_400000_NS6detail17trampoline_kernelINS0_14default_configENS1_22reduce_config_selectorIN6thrust23THRUST_200600_302600_NS5tupleIblNS6_9null_typeES8_S8_S8_S8_S8_S8_S8_EEEEZNS1_11reduce_implILb1ES3_NS6_12zip_iteratorINS7_INS6_11hip_rocprim26transform_input_iterator_tIbNSD_35transform_pair_of_input_iterators_tIbNS6_6detail15normal_iteratorINS6_10device_ptrIKfEEEESL_NS6_8equal_toIfEEEENSG_9not_fun_tINSD_8identityEEEEENSD_19counting_iterator_tIlEES8_S8_S8_S8_S8_S8_S8_S8_EEEEPS9_S9_NSD_9__find_if7functorIS9_EEEE10hipError_tPvRmT1_T2_T3_mT4_P12ihipStream_tbEUlT_E1_NS1_11comp_targetILNS1_3genE0ELNS1_11target_archE4294967295ELNS1_3gpuE0ELNS1_3repE0EEENS1_30default_config_static_selectorELNS0_4arch9wavefront6targetE1EEEvS14_ ; -- Begin function _ZN7rocprim17ROCPRIM_400000_NS6detail17trampoline_kernelINS0_14default_configENS1_22reduce_config_selectorIN6thrust23THRUST_200600_302600_NS5tupleIblNS6_9null_typeES8_S8_S8_S8_S8_S8_S8_EEEEZNS1_11reduce_implILb1ES3_NS6_12zip_iteratorINS7_INS6_11hip_rocprim26transform_input_iterator_tIbNSD_35transform_pair_of_input_iterators_tIbNS6_6detail15normal_iteratorINS6_10device_ptrIKfEEEESL_NS6_8equal_toIfEEEENSG_9not_fun_tINSD_8identityEEEEENSD_19counting_iterator_tIlEES8_S8_S8_S8_S8_S8_S8_S8_EEEEPS9_S9_NSD_9__find_if7functorIS9_EEEE10hipError_tPvRmT1_T2_T3_mT4_P12ihipStream_tbEUlT_E1_NS1_11comp_targetILNS1_3genE0ELNS1_11target_archE4294967295ELNS1_3gpuE0ELNS1_3repE0EEENS1_30default_config_static_selectorELNS0_4arch9wavefront6targetE1EEEvS14_
	.globl	_ZN7rocprim17ROCPRIM_400000_NS6detail17trampoline_kernelINS0_14default_configENS1_22reduce_config_selectorIN6thrust23THRUST_200600_302600_NS5tupleIblNS6_9null_typeES8_S8_S8_S8_S8_S8_S8_EEEEZNS1_11reduce_implILb1ES3_NS6_12zip_iteratorINS7_INS6_11hip_rocprim26transform_input_iterator_tIbNSD_35transform_pair_of_input_iterators_tIbNS6_6detail15normal_iteratorINS6_10device_ptrIKfEEEESL_NS6_8equal_toIfEEEENSG_9not_fun_tINSD_8identityEEEEENSD_19counting_iterator_tIlEES8_S8_S8_S8_S8_S8_S8_S8_EEEEPS9_S9_NSD_9__find_if7functorIS9_EEEE10hipError_tPvRmT1_T2_T3_mT4_P12ihipStream_tbEUlT_E1_NS1_11comp_targetILNS1_3genE0ELNS1_11target_archE4294967295ELNS1_3gpuE0ELNS1_3repE0EEENS1_30default_config_static_selectorELNS0_4arch9wavefront6targetE1EEEvS14_
	.p2align	8
	.type	_ZN7rocprim17ROCPRIM_400000_NS6detail17trampoline_kernelINS0_14default_configENS1_22reduce_config_selectorIN6thrust23THRUST_200600_302600_NS5tupleIblNS6_9null_typeES8_S8_S8_S8_S8_S8_S8_EEEEZNS1_11reduce_implILb1ES3_NS6_12zip_iteratorINS7_INS6_11hip_rocprim26transform_input_iterator_tIbNSD_35transform_pair_of_input_iterators_tIbNS6_6detail15normal_iteratorINS6_10device_ptrIKfEEEESL_NS6_8equal_toIfEEEENSG_9not_fun_tINSD_8identityEEEEENSD_19counting_iterator_tIlEES8_S8_S8_S8_S8_S8_S8_S8_EEEEPS9_S9_NSD_9__find_if7functorIS9_EEEE10hipError_tPvRmT1_T2_T3_mT4_P12ihipStream_tbEUlT_E1_NS1_11comp_targetILNS1_3genE0ELNS1_11target_archE4294967295ELNS1_3gpuE0ELNS1_3repE0EEENS1_30default_config_static_selectorELNS0_4arch9wavefront6targetE1EEEvS14_,@function
_ZN7rocprim17ROCPRIM_400000_NS6detail17trampoline_kernelINS0_14default_configENS1_22reduce_config_selectorIN6thrust23THRUST_200600_302600_NS5tupleIblNS6_9null_typeES8_S8_S8_S8_S8_S8_S8_EEEEZNS1_11reduce_implILb1ES3_NS6_12zip_iteratorINS7_INS6_11hip_rocprim26transform_input_iterator_tIbNSD_35transform_pair_of_input_iterators_tIbNS6_6detail15normal_iteratorINS6_10device_ptrIKfEEEESL_NS6_8equal_toIfEEEENSG_9not_fun_tINSD_8identityEEEEENSD_19counting_iterator_tIlEES8_S8_S8_S8_S8_S8_S8_S8_EEEEPS9_S9_NSD_9__find_if7functorIS9_EEEE10hipError_tPvRmT1_T2_T3_mT4_P12ihipStream_tbEUlT_E1_NS1_11comp_targetILNS1_3genE0ELNS1_11target_archE4294967295ELNS1_3gpuE0ELNS1_3repE0EEENS1_30default_config_static_selectorELNS0_4arch9wavefront6targetE1EEEvS14_: ; @_ZN7rocprim17ROCPRIM_400000_NS6detail17trampoline_kernelINS0_14default_configENS1_22reduce_config_selectorIN6thrust23THRUST_200600_302600_NS5tupleIblNS6_9null_typeES8_S8_S8_S8_S8_S8_S8_EEEEZNS1_11reduce_implILb1ES3_NS6_12zip_iteratorINS7_INS6_11hip_rocprim26transform_input_iterator_tIbNSD_35transform_pair_of_input_iterators_tIbNS6_6detail15normal_iteratorINS6_10device_ptrIKfEEEESL_NS6_8equal_toIfEEEENSG_9not_fun_tINSD_8identityEEEEENSD_19counting_iterator_tIlEES8_S8_S8_S8_S8_S8_S8_S8_EEEEPS9_S9_NSD_9__find_if7functorIS9_EEEE10hipError_tPvRmT1_T2_T3_mT4_P12ihipStream_tbEUlT_E1_NS1_11comp_targetILNS1_3genE0ELNS1_11target_archE4294967295ELNS1_3gpuE0ELNS1_3repE0EEENS1_30default_config_static_selectorELNS0_4arch9wavefront6targetE1EEEvS14_
; %bb.0:
	.section	.rodata,"a",@progbits
	.p2align	6, 0x0
	.amdhsa_kernel _ZN7rocprim17ROCPRIM_400000_NS6detail17trampoline_kernelINS0_14default_configENS1_22reduce_config_selectorIN6thrust23THRUST_200600_302600_NS5tupleIblNS6_9null_typeES8_S8_S8_S8_S8_S8_S8_EEEEZNS1_11reduce_implILb1ES3_NS6_12zip_iteratorINS7_INS6_11hip_rocprim26transform_input_iterator_tIbNSD_35transform_pair_of_input_iterators_tIbNS6_6detail15normal_iteratorINS6_10device_ptrIKfEEEESL_NS6_8equal_toIfEEEENSG_9not_fun_tINSD_8identityEEEEENSD_19counting_iterator_tIlEES8_S8_S8_S8_S8_S8_S8_S8_EEEEPS9_S9_NSD_9__find_if7functorIS9_EEEE10hipError_tPvRmT1_T2_T3_mT4_P12ihipStream_tbEUlT_E1_NS1_11comp_targetILNS1_3genE0ELNS1_11target_archE4294967295ELNS1_3gpuE0ELNS1_3repE0EEENS1_30default_config_static_selectorELNS0_4arch9wavefront6targetE1EEEvS14_
		.amdhsa_group_segment_fixed_size 0
		.amdhsa_private_segment_fixed_size 0
		.amdhsa_kernarg_size 88
		.amdhsa_user_sgpr_count 6
		.amdhsa_user_sgpr_private_segment_buffer 1
		.amdhsa_user_sgpr_dispatch_ptr 0
		.amdhsa_user_sgpr_queue_ptr 0
		.amdhsa_user_sgpr_kernarg_segment_ptr 1
		.amdhsa_user_sgpr_dispatch_id 0
		.amdhsa_user_sgpr_flat_scratch_init 0
		.amdhsa_user_sgpr_private_segment_size 0
		.amdhsa_uses_dynamic_stack 0
		.amdhsa_system_sgpr_private_segment_wavefront_offset 0
		.amdhsa_system_sgpr_workgroup_id_x 1
		.amdhsa_system_sgpr_workgroup_id_y 0
		.amdhsa_system_sgpr_workgroup_id_z 0
		.amdhsa_system_sgpr_workgroup_info 0
		.amdhsa_system_vgpr_workitem_id 0
		.amdhsa_next_free_vgpr 1
		.amdhsa_next_free_sgpr 0
		.amdhsa_reserve_vcc 0
		.amdhsa_reserve_flat_scratch 0
		.amdhsa_float_round_mode_32 0
		.amdhsa_float_round_mode_16_64 0
		.amdhsa_float_denorm_mode_32 3
		.amdhsa_float_denorm_mode_16_64 3
		.amdhsa_dx10_clamp 1
		.amdhsa_ieee_mode 1
		.amdhsa_fp16_overflow 0
		.amdhsa_exception_fp_ieee_invalid_op 0
		.amdhsa_exception_fp_denorm_src 0
		.amdhsa_exception_fp_ieee_div_zero 0
		.amdhsa_exception_fp_ieee_overflow 0
		.amdhsa_exception_fp_ieee_underflow 0
		.amdhsa_exception_fp_ieee_inexact 0
		.amdhsa_exception_int_div_zero 0
	.end_amdhsa_kernel
	.section	.text._ZN7rocprim17ROCPRIM_400000_NS6detail17trampoline_kernelINS0_14default_configENS1_22reduce_config_selectorIN6thrust23THRUST_200600_302600_NS5tupleIblNS6_9null_typeES8_S8_S8_S8_S8_S8_S8_EEEEZNS1_11reduce_implILb1ES3_NS6_12zip_iteratorINS7_INS6_11hip_rocprim26transform_input_iterator_tIbNSD_35transform_pair_of_input_iterators_tIbNS6_6detail15normal_iteratorINS6_10device_ptrIKfEEEESL_NS6_8equal_toIfEEEENSG_9not_fun_tINSD_8identityEEEEENSD_19counting_iterator_tIlEES8_S8_S8_S8_S8_S8_S8_S8_EEEEPS9_S9_NSD_9__find_if7functorIS9_EEEE10hipError_tPvRmT1_T2_T3_mT4_P12ihipStream_tbEUlT_E1_NS1_11comp_targetILNS1_3genE0ELNS1_11target_archE4294967295ELNS1_3gpuE0ELNS1_3repE0EEENS1_30default_config_static_selectorELNS0_4arch9wavefront6targetE1EEEvS14_,"axG",@progbits,_ZN7rocprim17ROCPRIM_400000_NS6detail17trampoline_kernelINS0_14default_configENS1_22reduce_config_selectorIN6thrust23THRUST_200600_302600_NS5tupleIblNS6_9null_typeES8_S8_S8_S8_S8_S8_S8_EEEEZNS1_11reduce_implILb1ES3_NS6_12zip_iteratorINS7_INS6_11hip_rocprim26transform_input_iterator_tIbNSD_35transform_pair_of_input_iterators_tIbNS6_6detail15normal_iteratorINS6_10device_ptrIKfEEEESL_NS6_8equal_toIfEEEENSG_9not_fun_tINSD_8identityEEEEENSD_19counting_iterator_tIlEES8_S8_S8_S8_S8_S8_S8_S8_EEEEPS9_S9_NSD_9__find_if7functorIS9_EEEE10hipError_tPvRmT1_T2_T3_mT4_P12ihipStream_tbEUlT_E1_NS1_11comp_targetILNS1_3genE0ELNS1_11target_archE4294967295ELNS1_3gpuE0ELNS1_3repE0EEENS1_30default_config_static_selectorELNS0_4arch9wavefront6targetE1EEEvS14_,comdat
.Lfunc_end456:
	.size	_ZN7rocprim17ROCPRIM_400000_NS6detail17trampoline_kernelINS0_14default_configENS1_22reduce_config_selectorIN6thrust23THRUST_200600_302600_NS5tupleIblNS6_9null_typeES8_S8_S8_S8_S8_S8_S8_EEEEZNS1_11reduce_implILb1ES3_NS6_12zip_iteratorINS7_INS6_11hip_rocprim26transform_input_iterator_tIbNSD_35transform_pair_of_input_iterators_tIbNS6_6detail15normal_iteratorINS6_10device_ptrIKfEEEESL_NS6_8equal_toIfEEEENSG_9not_fun_tINSD_8identityEEEEENSD_19counting_iterator_tIlEES8_S8_S8_S8_S8_S8_S8_S8_EEEEPS9_S9_NSD_9__find_if7functorIS9_EEEE10hipError_tPvRmT1_T2_T3_mT4_P12ihipStream_tbEUlT_E1_NS1_11comp_targetILNS1_3genE0ELNS1_11target_archE4294967295ELNS1_3gpuE0ELNS1_3repE0EEENS1_30default_config_static_selectorELNS0_4arch9wavefront6targetE1EEEvS14_, .Lfunc_end456-_ZN7rocprim17ROCPRIM_400000_NS6detail17trampoline_kernelINS0_14default_configENS1_22reduce_config_selectorIN6thrust23THRUST_200600_302600_NS5tupleIblNS6_9null_typeES8_S8_S8_S8_S8_S8_S8_EEEEZNS1_11reduce_implILb1ES3_NS6_12zip_iteratorINS7_INS6_11hip_rocprim26transform_input_iterator_tIbNSD_35transform_pair_of_input_iterators_tIbNS6_6detail15normal_iteratorINS6_10device_ptrIKfEEEESL_NS6_8equal_toIfEEEENSG_9not_fun_tINSD_8identityEEEEENSD_19counting_iterator_tIlEES8_S8_S8_S8_S8_S8_S8_S8_EEEEPS9_S9_NSD_9__find_if7functorIS9_EEEE10hipError_tPvRmT1_T2_T3_mT4_P12ihipStream_tbEUlT_E1_NS1_11comp_targetILNS1_3genE0ELNS1_11target_archE4294967295ELNS1_3gpuE0ELNS1_3repE0EEENS1_30default_config_static_selectorELNS0_4arch9wavefront6targetE1EEEvS14_
                                        ; -- End function
	.set _ZN7rocprim17ROCPRIM_400000_NS6detail17trampoline_kernelINS0_14default_configENS1_22reduce_config_selectorIN6thrust23THRUST_200600_302600_NS5tupleIblNS6_9null_typeES8_S8_S8_S8_S8_S8_S8_EEEEZNS1_11reduce_implILb1ES3_NS6_12zip_iteratorINS7_INS6_11hip_rocprim26transform_input_iterator_tIbNSD_35transform_pair_of_input_iterators_tIbNS6_6detail15normal_iteratorINS6_10device_ptrIKfEEEESL_NS6_8equal_toIfEEEENSG_9not_fun_tINSD_8identityEEEEENSD_19counting_iterator_tIlEES8_S8_S8_S8_S8_S8_S8_S8_EEEEPS9_S9_NSD_9__find_if7functorIS9_EEEE10hipError_tPvRmT1_T2_T3_mT4_P12ihipStream_tbEUlT_E1_NS1_11comp_targetILNS1_3genE0ELNS1_11target_archE4294967295ELNS1_3gpuE0ELNS1_3repE0EEENS1_30default_config_static_selectorELNS0_4arch9wavefront6targetE1EEEvS14_.num_vgpr, 0
	.set _ZN7rocprim17ROCPRIM_400000_NS6detail17trampoline_kernelINS0_14default_configENS1_22reduce_config_selectorIN6thrust23THRUST_200600_302600_NS5tupleIblNS6_9null_typeES8_S8_S8_S8_S8_S8_S8_EEEEZNS1_11reduce_implILb1ES3_NS6_12zip_iteratorINS7_INS6_11hip_rocprim26transform_input_iterator_tIbNSD_35transform_pair_of_input_iterators_tIbNS6_6detail15normal_iteratorINS6_10device_ptrIKfEEEESL_NS6_8equal_toIfEEEENSG_9not_fun_tINSD_8identityEEEEENSD_19counting_iterator_tIlEES8_S8_S8_S8_S8_S8_S8_S8_EEEEPS9_S9_NSD_9__find_if7functorIS9_EEEE10hipError_tPvRmT1_T2_T3_mT4_P12ihipStream_tbEUlT_E1_NS1_11comp_targetILNS1_3genE0ELNS1_11target_archE4294967295ELNS1_3gpuE0ELNS1_3repE0EEENS1_30default_config_static_selectorELNS0_4arch9wavefront6targetE1EEEvS14_.num_agpr, 0
	.set _ZN7rocprim17ROCPRIM_400000_NS6detail17trampoline_kernelINS0_14default_configENS1_22reduce_config_selectorIN6thrust23THRUST_200600_302600_NS5tupleIblNS6_9null_typeES8_S8_S8_S8_S8_S8_S8_EEEEZNS1_11reduce_implILb1ES3_NS6_12zip_iteratorINS7_INS6_11hip_rocprim26transform_input_iterator_tIbNSD_35transform_pair_of_input_iterators_tIbNS6_6detail15normal_iteratorINS6_10device_ptrIKfEEEESL_NS6_8equal_toIfEEEENSG_9not_fun_tINSD_8identityEEEEENSD_19counting_iterator_tIlEES8_S8_S8_S8_S8_S8_S8_S8_EEEEPS9_S9_NSD_9__find_if7functorIS9_EEEE10hipError_tPvRmT1_T2_T3_mT4_P12ihipStream_tbEUlT_E1_NS1_11comp_targetILNS1_3genE0ELNS1_11target_archE4294967295ELNS1_3gpuE0ELNS1_3repE0EEENS1_30default_config_static_selectorELNS0_4arch9wavefront6targetE1EEEvS14_.numbered_sgpr, 0
	.set _ZN7rocprim17ROCPRIM_400000_NS6detail17trampoline_kernelINS0_14default_configENS1_22reduce_config_selectorIN6thrust23THRUST_200600_302600_NS5tupleIblNS6_9null_typeES8_S8_S8_S8_S8_S8_S8_EEEEZNS1_11reduce_implILb1ES3_NS6_12zip_iteratorINS7_INS6_11hip_rocprim26transform_input_iterator_tIbNSD_35transform_pair_of_input_iterators_tIbNS6_6detail15normal_iteratorINS6_10device_ptrIKfEEEESL_NS6_8equal_toIfEEEENSG_9not_fun_tINSD_8identityEEEEENSD_19counting_iterator_tIlEES8_S8_S8_S8_S8_S8_S8_S8_EEEEPS9_S9_NSD_9__find_if7functorIS9_EEEE10hipError_tPvRmT1_T2_T3_mT4_P12ihipStream_tbEUlT_E1_NS1_11comp_targetILNS1_3genE0ELNS1_11target_archE4294967295ELNS1_3gpuE0ELNS1_3repE0EEENS1_30default_config_static_selectorELNS0_4arch9wavefront6targetE1EEEvS14_.num_named_barrier, 0
	.set _ZN7rocprim17ROCPRIM_400000_NS6detail17trampoline_kernelINS0_14default_configENS1_22reduce_config_selectorIN6thrust23THRUST_200600_302600_NS5tupleIblNS6_9null_typeES8_S8_S8_S8_S8_S8_S8_EEEEZNS1_11reduce_implILb1ES3_NS6_12zip_iteratorINS7_INS6_11hip_rocprim26transform_input_iterator_tIbNSD_35transform_pair_of_input_iterators_tIbNS6_6detail15normal_iteratorINS6_10device_ptrIKfEEEESL_NS6_8equal_toIfEEEENSG_9not_fun_tINSD_8identityEEEEENSD_19counting_iterator_tIlEES8_S8_S8_S8_S8_S8_S8_S8_EEEEPS9_S9_NSD_9__find_if7functorIS9_EEEE10hipError_tPvRmT1_T2_T3_mT4_P12ihipStream_tbEUlT_E1_NS1_11comp_targetILNS1_3genE0ELNS1_11target_archE4294967295ELNS1_3gpuE0ELNS1_3repE0EEENS1_30default_config_static_selectorELNS0_4arch9wavefront6targetE1EEEvS14_.private_seg_size, 0
	.set _ZN7rocprim17ROCPRIM_400000_NS6detail17trampoline_kernelINS0_14default_configENS1_22reduce_config_selectorIN6thrust23THRUST_200600_302600_NS5tupleIblNS6_9null_typeES8_S8_S8_S8_S8_S8_S8_EEEEZNS1_11reduce_implILb1ES3_NS6_12zip_iteratorINS7_INS6_11hip_rocprim26transform_input_iterator_tIbNSD_35transform_pair_of_input_iterators_tIbNS6_6detail15normal_iteratorINS6_10device_ptrIKfEEEESL_NS6_8equal_toIfEEEENSG_9not_fun_tINSD_8identityEEEEENSD_19counting_iterator_tIlEES8_S8_S8_S8_S8_S8_S8_S8_EEEEPS9_S9_NSD_9__find_if7functorIS9_EEEE10hipError_tPvRmT1_T2_T3_mT4_P12ihipStream_tbEUlT_E1_NS1_11comp_targetILNS1_3genE0ELNS1_11target_archE4294967295ELNS1_3gpuE0ELNS1_3repE0EEENS1_30default_config_static_selectorELNS0_4arch9wavefront6targetE1EEEvS14_.uses_vcc, 0
	.set _ZN7rocprim17ROCPRIM_400000_NS6detail17trampoline_kernelINS0_14default_configENS1_22reduce_config_selectorIN6thrust23THRUST_200600_302600_NS5tupleIblNS6_9null_typeES8_S8_S8_S8_S8_S8_S8_EEEEZNS1_11reduce_implILb1ES3_NS6_12zip_iteratorINS7_INS6_11hip_rocprim26transform_input_iterator_tIbNSD_35transform_pair_of_input_iterators_tIbNS6_6detail15normal_iteratorINS6_10device_ptrIKfEEEESL_NS6_8equal_toIfEEEENSG_9not_fun_tINSD_8identityEEEEENSD_19counting_iterator_tIlEES8_S8_S8_S8_S8_S8_S8_S8_EEEEPS9_S9_NSD_9__find_if7functorIS9_EEEE10hipError_tPvRmT1_T2_T3_mT4_P12ihipStream_tbEUlT_E1_NS1_11comp_targetILNS1_3genE0ELNS1_11target_archE4294967295ELNS1_3gpuE0ELNS1_3repE0EEENS1_30default_config_static_selectorELNS0_4arch9wavefront6targetE1EEEvS14_.uses_flat_scratch, 0
	.set _ZN7rocprim17ROCPRIM_400000_NS6detail17trampoline_kernelINS0_14default_configENS1_22reduce_config_selectorIN6thrust23THRUST_200600_302600_NS5tupleIblNS6_9null_typeES8_S8_S8_S8_S8_S8_S8_EEEEZNS1_11reduce_implILb1ES3_NS6_12zip_iteratorINS7_INS6_11hip_rocprim26transform_input_iterator_tIbNSD_35transform_pair_of_input_iterators_tIbNS6_6detail15normal_iteratorINS6_10device_ptrIKfEEEESL_NS6_8equal_toIfEEEENSG_9not_fun_tINSD_8identityEEEEENSD_19counting_iterator_tIlEES8_S8_S8_S8_S8_S8_S8_S8_EEEEPS9_S9_NSD_9__find_if7functorIS9_EEEE10hipError_tPvRmT1_T2_T3_mT4_P12ihipStream_tbEUlT_E1_NS1_11comp_targetILNS1_3genE0ELNS1_11target_archE4294967295ELNS1_3gpuE0ELNS1_3repE0EEENS1_30default_config_static_selectorELNS0_4arch9wavefront6targetE1EEEvS14_.has_dyn_sized_stack, 0
	.set _ZN7rocprim17ROCPRIM_400000_NS6detail17trampoline_kernelINS0_14default_configENS1_22reduce_config_selectorIN6thrust23THRUST_200600_302600_NS5tupleIblNS6_9null_typeES8_S8_S8_S8_S8_S8_S8_EEEEZNS1_11reduce_implILb1ES3_NS6_12zip_iteratorINS7_INS6_11hip_rocprim26transform_input_iterator_tIbNSD_35transform_pair_of_input_iterators_tIbNS6_6detail15normal_iteratorINS6_10device_ptrIKfEEEESL_NS6_8equal_toIfEEEENSG_9not_fun_tINSD_8identityEEEEENSD_19counting_iterator_tIlEES8_S8_S8_S8_S8_S8_S8_S8_EEEEPS9_S9_NSD_9__find_if7functorIS9_EEEE10hipError_tPvRmT1_T2_T3_mT4_P12ihipStream_tbEUlT_E1_NS1_11comp_targetILNS1_3genE0ELNS1_11target_archE4294967295ELNS1_3gpuE0ELNS1_3repE0EEENS1_30default_config_static_selectorELNS0_4arch9wavefront6targetE1EEEvS14_.has_recursion, 0
	.set _ZN7rocprim17ROCPRIM_400000_NS6detail17trampoline_kernelINS0_14default_configENS1_22reduce_config_selectorIN6thrust23THRUST_200600_302600_NS5tupleIblNS6_9null_typeES8_S8_S8_S8_S8_S8_S8_EEEEZNS1_11reduce_implILb1ES3_NS6_12zip_iteratorINS7_INS6_11hip_rocprim26transform_input_iterator_tIbNSD_35transform_pair_of_input_iterators_tIbNS6_6detail15normal_iteratorINS6_10device_ptrIKfEEEESL_NS6_8equal_toIfEEEENSG_9not_fun_tINSD_8identityEEEEENSD_19counting_iterator_tIlEES8_S8_S8_S8_S8_S8_S8_S8_EEEEPS9_S9_NSD_9__find_if7functorIS9_EEEE10hipError_tPvRmT1_T2_T3_mT4_P12ihipStream_tbEUlT_E1_NS1_11comp_targetILNS1_3genE0ELNS1_11target_archE4294967295ELNS1_3gpuE0ELNS1_3repE0EEENS1_30default_config_static_selectorELNS0_4arch9wavefront6targetE1EEEvS14_.has_indirect_call, 0
	.section	.AMDGPU.csdata,"",@progbits
; Kernel info:
; codeLenInByte = 0
; TotalNumSgprs: 4
; NumVgprs: 0
; ScratchSize: 0
; MemoryBound: 0
; FloatMode: 240
; IeeeMode: 1
; LDSByteSize: 0 bytes/workgroup (compile time only)
; SGPRBlocks: 0
; VGPRBlocks: 0
; NumSGPRsForWavesPerEU: 4
; NumVGPRsForWavesPerEU: 1
; Occupancy: 10
; WaveLimiterHint : 0
; COMPUTE_PGM_RSRC2:SCRATCH_EN: 0
; COMPUTE_PGM_RSRC2:USER_SGPR: 6
; COMPUTE_PGM_RSRC2:TRAP_HANDLER: 0
; COMPUTE_PGM_RSRC2:TGID_X_EN: 1
; COMPUTE_PGM_RSRC2:TGID_Y_EN: 0
; COMPUTE_PGM_RSRC2:TGID_Z_EN: 0
; COMPUTE_PGM_RSRC2:TIDIG_COMP_CNT: 0
	.section	.text._ZN7rocprim17ROCPRIM_400000_NS6detail17trampoline_kernelINS0_14default_configENS1_22reduce_config_selectorIN6thrust23THRUST_200600_302600_NS5tupleIblNS6_9null_typeES8_S8_S8_S8_S8_S8_S8_EEEEZNS1_11reduce_implILb1ES3_NS6_12zip_iteratorINS7_INS6_11hip_rocprim26transform_input_iterator_tIbNSD_35transform_pair_of_input_iterators_tIbNS6_6detail15normal_iteratorINS6_10device_ptrIKfEEEESL_NS6_8equal_toIfEEEENSG_9not_fun_tINSD_8identityEEEEENSD_19counting_iterator_tIlEES8_S8_S8_S8_S8_S8_S8_S8_EEEEPS9_S9_NSD_9__find_if7functorIS9_EEEE10hipError_tPvRmT1_T2_T3_mT4_P12ihipStream_tbEUlT_E1_NS1_11comp_targetILNS1_3genE5ELNS1_11target_archE942ELNS1_3gpuE9ELNS1_3repE0EEENS1_30default_config_static_selectorELNS0_4arch9wavefront6targetE1EEEvS14_,"axG",@progbits,_ZN7rocprim17ROCPRIM_400000_NS6detail17trampoline_kernelINS0_14default_configENS1_22reduce_config_selectorIN6thrust23THRUST_200600_302600_NS5tupleIblNS6_9null_typeES8_S8_S8_S8_S8_S8_S8_EEEEZNS1_11reduce_implILb1ES3_NS6_12zip_iteratorINS7_INS6_11hip_rocprim26transform_input_iterator_tIbNSD_35transform_pair_of_input_iterators_tIbNS6_6detail15normal_iteratorINS6_10device_ptrIKfEEEESL_NS6_8equal_toIfEEEENSG_9not_fun_tINSD_8identityEEEEENSD_19counting_iterator_tIlEES8_S8_S8_S8_S8_S8_S8_S8_EEEEPS9_S9_NSD_9__find_if7functorIS9_EEEE10hipError_tPvRmT1_T2_T3_mT4_P12ihipStream_tbEUlT_E1_NS1_11comp_targetILNS1_3genE5ELNS1_11target_archE942ELNS1_3gpuE9ELNS1_3repE0EEENS1_30default_config_static_selectorELNS0_4arch9wavefront6targetE1EEEvS14_,comdat
	.protected	_ZN7rocprim17ROCPRIM_400000_NS6detail17trampoline_kernelINS0_14default_configENS1_22reduce_config_selectorIN6thrust23THRUST_200600_302600_NS5tupleIblNS6_9null_typeES8_S8_S8_S8_S8_S8_S8_EEEEZNS1_11reduce_implILb1ES3_NS6_12zip_iteratorINS7_INS6_11hip_rocprim26transform_input_iterator_tIbNSD_35transform_pair_of_input_iterators_tIbNS6_6detail15normal_iteratorINS6_10device_ptrIKfEEEESL_NS6_8equal_toIfEEEENSG_9not_fun_tINSD_8identityEEEEENSD_19counting_iterator_tIlEES8_S8_S8_S8_S8_S8_S8_S8_EEEEPS9_S9_NSD_9__find_if7functorIS9_EEEE10hipError_tPvRmT1_T2_T3_mT4_P12ihipStream_tbEUlT_E1_NS1_11comp_targetILNS1_3genE5ELNS1_11target_archE942ELNS1_3gpuE9ELNS1_3repE0EEENS1_30default_config_static_selectorELNS0_4arch9wavefront6targetE1EEEvS14_ ; -- Begin function _ZN7rocprim17ROCPRIM_400000_NS6detail17trampoline_kernelINS0_14default_configENS1_22reduce_config_selectorIN6thrust23THRUST_200600_302600_NS5tupleIblNS6_9null_typeES8_S8_S8_S8_S8_S8_S8_EEEEZNS1_11reduce_implILb1ES3_NS6_12zip_iteratorINS7_INS6_11hip_rocprim26transform_input_iterator_tIbNSD_35transform_pair_of_input_iterators_tIbNS6_6detail15normal_iteratorINS6_10device_ptrIKfEEEESL_NS6_8equal_toIfEEEENSG_9not_fun_tINSD_8identityEEEEENSD_19counting_iterator_tIlEES8_S8_S8_S8_S8_S8_S8_S8_EEEEPS9_S9_NSD_9__find_if7functorIS9_EEEE10hipError_tPvRmT1_T2_T3_mT4_P12ihipStream_tbEUlT_E1_NS1_11comp_targetILNS1_3genE5ELNS1_11target_archE942ELNS1_3gpuE9ELNS1_3repE0EEENS1_30default_config_static_selectorELNS0_4arch9wavefront6targetE1EEEvS14_
	.globl	_ZN7rocprim17ROCPRIM_400000_NS6detail17trampoline_kernelINS0_14default_configENS1_22reduce_config_selectorIN6thrust23THRUST_200600_302600_NS5tupleIblNS6_9null_typeES8_S8_S8_S8_S8_S8_S8_EEEEZNS1_11reduce_implILb1ES3_NS6_12zip_iteratorINS7_INS6_11hip_rocprim26transform_input_iterator_tIbNSD_35transform_pair_of_input_iterators_tIbNS6_6detail15normal_iteratorINS6_10device_ptrIKfEEEESL_NS6_8equal_toIfEEEENSG_9not_fun_tINSD_8identityEEEEENSD_19counting_iterator_tIlEES8_S8_S8_S8_S8_S8_S8_S8_EEEEPS9_S9_NSD_9__find_if7functorIS9_EEEE10hipError_tPvRmT1_T2_T3_mT4_P12ihipStream_tbEUlT_E1_NS1_11comp_targetILNS1_3genE5ELNS1_11target_archE942ELNS1_3gpuE9ELNS1_3repE0EEENS1_30default_config_static_selectorELNS0_4arch9wavefront6targetE1EEEvS14_
	.p2align	8
	.type	_ZN7rocprim17ROCPRIM_400000_NS6detail17trampoline_kernelINS0_14default_configENS1_22reduce_config_selectorIN6thrust23THRUST_200600_302600_NS5tupleIblNS6_9null_typeES8_S8_S8_S8_S8_S8_S8_EEEEZNS1_11reduce_implILb1ES3_NS6_12zip_iteratorINS7_INS6_11hip_rocprim26transform_input_iterator_tIbNSD_35transform_pair_of_input_iterators_tIbNS6_6detail15normal_iteratorINS6_10device_ptrIKfEEEESL_NS6_8equal_toIfEEEENSG_9not_fun_tINSD_8identityEEEEENSD_19counting_iterator_tIlEES8_S8_S8_S8_S8_S8_S8_S8_EEEEPS9_S9_NSD_9__find_if7functorIS9_EEEE10hipError_tPvRmT1_T2_T3_mT4_P12ihipStream_tbEUlT_E1_NS1_11comp_targetILNS1_3genE5ELNS1_11target_archE942ELNS1_3gpuE9ELNS1_3repE0EEENS1_30default_config_static_selectorELNS0_4arch9wavefront6targetE1EEEvS14_,@function
_ZN7rocprim17ROCPRIM_400000_NS6detail17trampoline_kernelINS0_14default_configENS1_22reduce_config_selectorIN6thrust23THRUST_200600_302600_NS5tupleIblNS6_9null_typeES8_S8_S8_S8_S8_S8_S8_EEEEZNS1_11reduce_implILb1ES3_NS6_12zip_iteratorINS7_INS6_11hip_rocprim26transform_input_iterator_tIbNSD_35transform_pair_of_input_iterators_tIbNS6_6detail15normal_iteratorINS6_10device_ptrIKfEEEESL_NS6_8equal_toIfEEEENSG_9not_fun_tINSD_8identityEEEEENSD_19counting_iterator_tIlEES8_S8_S8_S8_S8_S8_S8_S8_EEEEPS9_S9_NSD_9__find_if7functorIS9_EEEE10hipError_tPvRmT1_T2_T3_mT4_P12ihipStream_tbEUlT_E1_NS1_11comp_targetILNS1_3genE5ELNS1_11target_archE942ELNS1_3gpuE9ELNS1_3repE0EEENS1_30default_config_static_selectorELNS0_4arch9wavefront6targetE1EEEvS14_: ; @_ZN7rocprim17ROCPRIM_400000_NS6detail17trampoline_kernelINS0_14default_configENS1_22reduce_config_selectorIN6thrust23THRUST_200600_302600_NS5tupleIblNS6_9null_typeES8_S8_S8_S8_S8_S8_S8_EEEEZNS1_11reduce_implILb1ES3_NS6_12zip_iteratorINS7_INS6_11hip_rocprim26transform_input_iterator_tIbNSD_35transform_pair_of_input_iterators_tIbNS6_6detail15normal_iteratorINS6_10device_ptrIKfEEEESL_NS6_8equal_toIfEEEENSG_9not_fun_tINSD_8identityEEEEENSD_19counting_iterator_tIlEES8_S8_S8_S8_S8_S8_S8_S8_EEEEPS9_S9_NSD_9__find_if7functorIS9_EEEE10hipError_tPvRmT1_T2_T3_mT4_P12ihipStream_tbEUlT_E1_NS1_11comp_targetILNS1_3genE5ELNS1_11target_archE942ELNS1_3gpuE9ELNS1_3repE0EEENS1_30default_config_static_selectorELNS0_4arch9wavefront6targetE1EEEvS14_
; %bb.0:
	.section	.rodata,"a",@progbits
	.p2align	6, 0x0
	.amdhsa_kernel _ZN7rocprim17ROCPRIM_400000_NS6detail17trampoline_kernelINS0_14default_configENS1_22reduce_config_selectorIN6thrust23THRUST_200600_302600_NS5tupleIblNS6_9null_typeES8_S8_S8_S8_S8_S8_S8_EEEEZNS1_11reduce_implILb1ES3_NS6_12zip_iteratorINS7_INS6_11hip_rocprim26transform_input_iterator_tIbNSD_35transform_pair_of_input_iterators_tIbNS6_6detail15normal_iteratorINS6_10device_ptrIKfEEEESL_NS6_8equal_toIfEEEENSG_9not_fun_tINSD_8identityEEEEENSD_19counting_iterator_tIlEES8_S8_S8_S8_S8_S8_S8_S8_EEEEPS9_S9_NSD_9__find_if7functorIS9_EEEE10hipError_tPvRmT1_T2_T3_mT4_P12ihipStream_tbEUlT_E1_NS1_11comp_targetILNS1_3genE5ELNS1_11target_archE942ELNS1_3gpuE9ELNS1_3repE0EEENS1_30default_config_static_selectorELNS0_4arch9wavefront6targetE1EEEvS14_
		.amdhsa_group_segment_fixed_size 0
		.amdhsa_private_segment_fixed_size 0
		.amdhsa_kernarg_size 88
		.amdhsa_user_sgpr_count 6
		.amdhsa_user_sgpr_private_segment_buffer 1
		.amdhsa_user_sgpr_dispatch_ptr 0
		.amdhsa_user_sgpr_queue_ptr 0
		.amdhsa_user_sgpr_kernarg_segment_ptr 1
		.amdhsa_user_sgpr_dispatch_id 0
		.amdhsa_user_sgpr_flat_scratch_init 0
		.amdhsa_user_sgpr_private_segment_size 0
		.amdhsa_uses_dynamic_stack 0
		.amdhsa_system_sgpr_private_segment_wavefront_offset 0
		.amdhsa_system_sgpr_workgroup_id_x 1
		.amdhsa_system_sgpr_workgroup_id_y 0
		.amdhsa_system_sgpr_workgroup_id_z 0
		.amdhsa_system_sgpr_workgroup_info 0
		.amdhsa_system_vgpr_workitem_id 0
		.amdhsa_next_free_vgpr 1
		.amdhsa_next_free_sgpr 0
		.amdhsa_reserve_vcc 0
		.amdhsa_reserve_flat_scratch 0
		.amdhsa_float_round_mode_32 0
		.amdhsa_float_round_mode_16_64 0
		.amdhsa_float_denorm_mode_32 3
		.amdhsa_float_denorm_mode_16_64 3
		.amdhsa_dx10_clamp 1
		.amdhsa_ieee_mode 1
		.amdhsa_fp16_overflow 0
		.amdhsa_exception_fp_ieee_invalid_op 0
		.amdhsa_exception_fp_denorm_src 0
		.amdhsa_exception_fp_ieee_div_zero 0
		.amdhsa_exception_fp_ieee_overflow 0
		.amdhsa_exception_fp_ieee_underflow 0
		.amdhsa_exception_fp_ieee_inexact 0
		.amdhsa_exception_int_div_zero 0
	.end_amdhsa_kernel
	.section	.text._ZN7rocprim17ROCPRIM_400000_NS6detail17trampoline_kernelINS0_14default_configENS1_22reduce_config_selectorIN6thrust23THRUST_200600_302600_NS5tupleIblNS6_9null_typeES8_S8_S8_S8_S8_S8_S8_EEEEZNS1_11reduce_implILb1ES3_NS6_12zip_iteratorINS7_INS6_11hip_rocprim26transform_input_iterator_tIbNSD_35transform_pair_of_input_iterators_tIbNS6_6detail15normal_iteratorINS6_10device_ptrIKfEEEESL_NS6_8equal_toIfEEEENSG_9not_fun_tINSD_8identityEEEEENSD_19counting_iterator_tIlEES8_S8_S8_S8_S8_S8_S8_S8_EEEEPS9_S9_NSD_9__find_if7functorIS9_EEEE10hipError_tPvRmT1_T2_T3_mT4_P12ihipStream_tbEUlT_E1_NS1_11comp_targetILNS1_3genE5ELNS1_11target_archE942ELNS1_3gpuE9ELNS1_3repE0EEENS1_30default_config_static_selectorELNS0_4arch9wavefront6targetE1EEEvS14_,"axG",@progbits,_ZN7rocprim17ROCPRIM_400000_NS6detail17trampoline_kernelINS0_14default_configENS1_22reduce_config_selectorIN6thrust23THRUST_200600_302600_NS5tupleIblNS6_9null_typeES8_S8_S8_S8_S8_S8_S8_EEEEZNS1_11reduce_implILb1ES3_NS6_12zip_iteratorINS7_INS6_11hip_rocprim26transform_input_iterator_tIbNSD_35transform_pair_of_input_iterators_tIbNS6_6detail15normal_iteratorINS6_10device_ptrIKfEEEESL_NS6_8equal_toIfEEEENSG_9not_fun_tINSD_8identityEEEEENSD_19counting_iterator_tIlEES8_S8_S8_S8_S8_S8_S8_S8_EEEEPS9_S9_NSD_9__find_if7functorIS9_EEEE10hipError_tPvRmT1_T2_T3_mT4_P12ihipStream_tbEUlT_E1_NS1_11comp_targetILNS1_3genE5ELNS1_11target_archE942ELNS1_3gpuE9ELNS1_3repE0EEENS1_30default_config_static_selectorELNS0_4arch9wavefront6targetE1EEEvS14_,comdat
.Lfunc_end457:
	.size	_ZN7rocprim17ROCPRIM_400000_NS6detail17trampoline_kernelINS0_14default_configENS1_22reduce_config_selectorIN6thrust23THRUST_200600_302600_NS5tupleIblNS6_9null_typeES8_S8_S8_S8_S8_S8_S8_EEEEZNS1_11reduce_implILb1ES3_NS6_12zip_iteratorINS7_INS6_11hip_rocprim26transform_input_iterator_tIbNSD_35transform_pair_of_input_iterators_tIbNS6_6detail15normal_iteratorINS6_10device_ptrIKfEEEESL_NS6_8equal_toIfEEEENSG_9not_fun_tINSD_8identityEEEEENSD_19counting_iterator_tIlEES8_S8_S8_S8_S8_S8_S8_S8_EEEEPS9_S9_NSD_9__find_if7functorIS9_EEEE10hipError_tPvRmT1_T2_T3_mT4_P12ihipStream_tbEUlT_E1_NS1_11comp_targetILNS1_3genE5ELNS1_11target_archE942ELNS1_3gpuE9ELNS1_3repE0EEENS1_30default_config_static_selectorELNS0_4arch9wavefront6targetE1EEEvS14_, .Lfunc_end457-_ZN7rocprim17ROCPRIM_400000_NS6detail17trampoline_kernelINS0_14default_configENS1_22reduce_config_selectorIN6thrust23THRUST_200600_302600_NS5tupleIblNS6_9null_typeES8_S8_S8_S8_S8_S8_S8_EEEEZNS1_11reduce_implILb1ES3_NS6_12zip_iteratorINS7_INS6_11hip_rocprim26transform_input_iterator_tIbNSD_35transform_pair_of_input_iterators_tIbNS6_6detail15normal_iteratorINS6_10device_ptrIKfEEEESL_NS6_8equal_toIfEEEENSG_9not_fun_tINSD_8identityEEEEENSD_19counting_iterator_tIlEES8_S8_S8_S8_S8_S8_S8_S8_EEEEPS9_S9_NSD_9__find_if7functorIS9_EEEE10hipError_tPvRmT1_T2_T3_mT4_P12ihipStream_tbEUlT_E1_NS1_11comp_targetILNS1_3genE5ELNS1_11target_archE942ELNS1_3gpuE9ELNS1_3repE0EEENS1_30default_config_static_selectorELNS0_4arch9wavefront6targetE1EEEvS14_
                                        ; -- End function
	.set _ZN7rocprim17ROCPRIM_400000_NS6detail17trampoline_kernelINS0_14default_configENS1_22reduce_config_selectorIN6thrust23THRUST_200600_302600_NS5tupleIblNS6_9null_typeES8_S8_S8_S8_S8_S8_S8_EEEEZNS1_11reduce_implILb1ES3_NS6_12zip_iteratorINS7_INS6_11hip_rocprim26transform_input_iterator_tIbNSD_35transform_pair_of_input_iterators_tIbNS6_6detail15normal_iteratorINS6_10device_ptrIKfEEEESL_NS6_8equal_toIfEEEENSG_9not_fun_tINSD_8identityEEEEENSD_19counting_iterator_tIlEES8_S8_S8_S8_S8_S8_S8_S8_EEEEPS9_S9_NSD_9__find_if7functorIS9_EEEE10hipError_tPvRmT1_T2_T3_mT4_P12ihipStream_tbEUlT_E1_NS1_11comp_targetILNS1_3genE5ELNS1_11target_archE942ELNS1_3gpuE9ELNS1_3repE0EEENS1_30default_config_static_selectorELNS0_4arch9wavefront6targetE1EEEvS14_.num_vgpr, 0
	.set _ZN7rocprim17ROCPRIM_400000_NS6detail17trampoline_kernelINS0_14default_configENS1_22reduce_config_selectorIN6thrust23THRUST_200600_302600_NS5tupleIblNS6_9null_typeES8_S8_S8_S8_S8_S8_S8_EEEEZNS1_11reduce_implILb1ES3_NS6_12zip_iteratorINS7_INS6_11hip_rocprim26transform_input_iterator_tIbNSD_35transform_pair_of_input_iterators_tIbNS6_6detail15normal_iteratorINS6_10device_ptrIKfEEEESL_NS6_8equal_toIfEEEENSG_9not_fun_tINSD_8identityEEEEENSD_19counting_iterator_tIlEES8_S8_S8_S8_S8_S8_S8_S8_EEEEPS9_S9_NSD_9__find_if7functorIS9_EEEE10hipError_tPvRmT1_T2_T3_mT4_P12ihipStream_tbEUlT_E1_NS1_11comp_targetILNS1_3genE5ELNS1_11target_archE942ELNS1_3gpuE9ELNS1_3repE0EEENS1_30default_config_static_selectorELNS0_4arch9wavefront6targetE1EEEvS14_.num_agpr, 0
	.set _ZN7rocprim17ROCPRIM_400000_NS6detail17trampoline_kernelINS0_14default_configENS1_22reduce_config_selectorIN6thrust23THRUST_200600_302600_NS5tupleIblNS6_9null_typeES8_S8_S8_S8_S8_S8_S8_EEEEZNS1_11reduce_implILb1ES3_NS6_12zip_iteratorINS7_INS6_11hip_rocprim26transform_input_iterator_tIbNSD_35transform_pair_of_input_iterators_tIbNS6_6detail15normal_iteratorINS6_10device_ptrIKfEEEESL_NS6_8equal_toIfEEEENSG_9not_fun_tINSD_8identityEEEEENSD_19counting_iterator_tIlEES8_S8_S8_S8_S8_S8_S8_S8_EEEEPS9_S9_NSD_9__find_if7functorIS9_EEEE10hipError_tPvRmT1_T2_T3_mT4_P12ihipStream_tbEUlT_E1_NS1_11comp_targetILNS1_3genE5ELNS1_11target_archE942ELNS1_3gpuE9ELNS1_3repE0EEENS1_30default_config_static_selectorELNS0_4arch9wavefront6targetE1EEEvS14_.numbered_sgpr, 0
	.set _ZN7rocprim17ROCPRIM_400000_NS6detail17trampoline_kernelINS0_14default_configENS1_22reduce_config_selectorIN6thrust23THRUST_200600_302600_NS5tupleIblNS6_9null_typeES8_S8_S8_S8_S8_S8_S8_EEEEZNS1_11reduce_implILb1ES3_NS6_12zip_iteratorINS7_INS6_11hip_rocprim26transform_input_iterator_tIbNSD_35transform_pair_of_input_iterators_tIbNS6_6detail15normal_iteratorINS6_10device_ptrIKfEEEESL_NS6_8equal_toIfEEEENSG_9not_fun_tINSD_8identityEEEEENSD_19counting_iterator_tIlEES8_S8_S8_S8_S8_S8_S8_S8_EEEEPS9_S9_NSD_9__find_if7functorIS9_EEEE10hipError_tPvRmT1_T2_T3_mT4_P12ihipStream_tbEUlT_E1_NS1_11comp_targetILNS1_3genE5ELNS1_11target_archE942ELNS1_3gpuE9ELNS1_3repE0EEENS1_30default_config_static_selectorELNS0_4arch9wavefront6targetE1EEEvS14_.num_named_barrier, 0
	.set _ZN7rocprim17ROCPRIM_400000_NS6detail17trampoline_kernelINS0_14default_configENS1_22reduce_config_selectorIN6thrust23THRUST_200600_302600_NS5tupleIblNS6_9null_typeES8_S8_S8_S8_S8_S8_S8_EEEEZNS1_11reduce_implILb1ES3_NS6_12zip_iteratorINS7_INS6_11hip_rocprim26transform_input_iterator_tIbNSD_35transform_pair_of_input_iterators_tIbNS6_6detail15normal_iteratorINS6_10device_ptrIKfEEEESL_NS6_8equal_toIfEEEENSG_9not_fun_tINSD_8identityEEEEENSD_19counting_iterator_tIlEES8_S8_S8_S8_S8_S8_S8_S8_EEEEPS9_S9_NSD_9__find_if7functorIS9_EEEE10hipError_tPvRmT1_T2_T3_mT4_P12ihipStream_tbEUlT_E1_NS1_11comp_targetILNS1_3genE5ELNS1_11target_archE942ELNS1_3gpuE9ELNS1_3repE0EEENS1_30default_config_static_selectorELNS0_4arch9wavefront6targetE1EEEvS14_.private_seg_size, 0
	.set _ZN7rocprim17ROCPRIM_400000_NS6detail17trampoline_kernelINS0_14default_configENS1_22reduce_config_selectorIN6thrust23THRUST_200600_302600_NS5tupleIblNS6_9null_typeES8_S8_S8_S8_S8_S8_S8_EEEEZNS1_11reduce_implILb1ES3_NS6_12zip_iteratorINS7_INS6_11hip_rocprim26transform_input_iterator_tIbNSD_35transform_pair_of_input_iterators_tIbNS6_6detail15normal_iteratorINS6_10device_ptrIKfEEEESL_NS6_8equal_toIfEEEENSG_9not_fun_tINSD_8identityEEEEENSD_19counting_iterator_tIlEES8_S8_S8_S8_S8_S8_S8_S8_EEEEPS9_S9_NSD_9__find_if7functorIS9_EEEE10hipError_tPvRmT1_T2_T3_mT4_P12ihipStream_tbEUlT_E1_NS1_11comp_targetILNS1_3genE5ELNS1_11target_archE942ELNS1_3gpuE9ELNS1_3repE0EEENS1_30default_config_static_selectorELNS0_4arch9wavefront6targetE1EEEvS14_.uses_vcc, 0
	.set _ZN7rocprim17ROCPRIM_400000_NS6detail17trampoline_kernelINS0_14default_configENS1_22reduce_config_selectorIN6thrust23THRUST_200600_302600_NS5tupleIblNS6_9null_typeES8_S8_S8_S8_S8_S8_S8_EEEEZNS1_11reduce_implILb1ES3_NS6_12zip_iteratorINS7_INS6_11hip_rocprim26transform_input_iterator_tIbNSD_35transform_pair_of_input_iterators_tIbNS6_6detail15normal_iteratorINS6_10device_ptrIKfEEEESL_NS6_8equal_toIfEEEENSG_9not_fun_tINSD_8identityEEEEENSD_19counting_iterator_tIlEES8_S8_S8_S8_S8_S8_S8_S8_EEEEPS9_S9_NSD_9__find_if7functorIS9_EEEE10hipError_tPvRmT1_T2_T3_mT4_P12ihipStream_tbEUlT_E1_NS1_11comp_targetILNS1_3genE5ELNS1_11target_archE942ELNS1_3gpuE9ELNS1_3repE0EEENS1_30default_config_static_selectorELNS0_4arch9wavefront6targetE1EEEvS14_.uses_flat_scratch, 0
	.set _ZN7rocprim17ROCPRIM_400000_NS6detail17trampoline_kernelINS0_14default_configENS1_22reduce_config_selectorIN6thrust23THRUST_200600_302600_NS5tupleIblNS6_9null_typeES8_S8_S8_S8_S8_S8_S8_EEEEZNS1_11reduce_implILb1ES3_NS6_12zip_iteratorINS7_INS6_11hip_rocprim26transform_input_iterator_tIbNSD_35transform_pair_of_input_iterators_tIbNS6_6detail15normal_iteratorINS6_10device_ptrIKfEEEESL_NS6_8equal_toIfEEEENSG_9not_fun_tINSD_8identityEEEEENSD_19counting_iterator_tIlEES8_S8_S8_S8_S8_S8_S8_S8_EEEEPS9_S9_NSD_9__find_if7functorIS9_EEEE10hipError_tPvRmT1_T2_T3_mT4_P12ihipStream_tbEUlT_E1_NS1_11comp_targetILNS1_3genE5ELNS1_11target_archE942ELNS1_3gpuE9ELNS1_3repE0EEENS1_30default_config_static_selectorELNS0_4arch9wavefront6targetE1EEEvS14_.has_dyn_sized_stack, 0
	.set _ZN7rocprim17ROCPRIM_400000_NS6detail17trampoline_kernelINS0_14default_configENS1_22reduce_config_selectorIN6thrust23THRUST_200600_302600_NS5tupleIblNS6_9null_typeES8_S8_S8_S8_S8_S8_S8_EEEEZNS1_11reduce_implILb1ES3_NS6_12zip_iteratorINS7_INS6_11hip_rocprim26transform_input_iterator_tIbNSD_35transform_pair_of_input_iterators_tIbNS6_6detail15normal_iteratorINS6_10device_ptrIKfEEEESL_NS6_8equal_toIfEEEENSG_9not_fun_tINSD_8identityEEEEENSD_19counting_iterator_tIlEES8_S8_S8_S8_S8_S8_S8_S8_EEEEPS9_S9_NSD_9__find_if7functorIS9_EEEE10hipError_tPvRmT1_T2_T3_mT4_P12ihipStream_tbEUlT_E1_NS1_11comp_targetILNS1_3genE5ELNS1_11target_archE942ELNS1_3gpuE9ELNS1_3repE0EEENS1_30default_config_static_selectorELNS0_4arch9wavefront6targetE1EEEvS14_.has_recursion, 0
	.set _ZN7rocprim17ROCPRIM_400000_NS6detail17trampoline_kernelINS0_14default_configENS1_22reduce_config_selectorIN6thrust23THRUST_200600_302600_NS5tupleIblNS6_9null_typeES8_S8_S8_S8_S8_S8_S8_EEEEZNS1_11reduce_implILb1ES3_NS6_12zip_iteratorINS7_INS6_11hip_rocprim26transform_input_iterator_tIbNSD_35transform_pair_of_input_iterators_tIbNS6_6detail15normal_iteratorINS6_10device_ptrIKfEEEESL_NS6_8equal_toIfEEEENSG_9not_fun_tINSD_8identityEEEEENSD_19counting_iterator_tIlEES8_S8_S8_S8_S8_S8_S8_S8_EEEEPS9_S9_NSD_9__find_if7functorIS9_EEEE10hipError_tPvRmT1_T2_T3_mT4_P12ihipStream_tbEUlT_E1_NS1_11comp_targetILNS1_3genE5ELNS1_11target_archE942ELNS1_3gpuE9ELNS1_3repE0EEENS1_30default_config_static_selectorELNS0_4arch9wavefront6targetE1EEEvS14_.has_indirect_call, 0
	.section	.AMDGPU.csdata,"",@progbits
; Kernel info:
; codeLenInByte = 0
; TotalNumSgprs: 4
; NumVgprs: 0
; ScratchSize: 0
; MemoryBound: 0
; FloatMode: 240
; IeeeMode: 1
; LDSByteSize: 0 bytes/workgroup (compile time only)
; SGPRBlocks: 0
; VGPRBlocks: 0
; NumSGPRsForWavesPerEU: 4
; NumVGPRsForWavesPerEU: 1
; Occupancy: 10
; WaveLimiterHint : 0
; COMPUTE_PGM_RSRC2:SCRATCH_EN: 0
; COMPUTE_PGM_RSRC2:USER_SGPR: 6
; COMPUTE_PGM_RSRC2:TRAP_HANDLER: 0
; COMPUTE_PGM_RSRC2:TGID_X_EN: 1
; COMPUTE_PGM_RSRC2:TGID_Y_EN: 0
; COMPUTE_PGM_RSRC2:TGID_Z_EN: 0
; COMPUTE_PGM_RSRC2:TIDIG_COMP_CNT: 0
	.section	.text._ZN7rocprim17ROCPRIM_400000_NS6detail17trampoline_kernelINS0_14default_configENS1_22reduce_config_selectorIN6thrust23THRUST_200600_302600_NS5tupleIblNS6_9null_typeES8_S8_S8_S8_S8_S8_S8_EEEEZNS1_11reduce_implILb1ES3_NS6_12zip_iteratorINS7_INS6_11hip_rocprim26transform_input_iterator_tIbNSD_35transform_pair_of_input_iterators_tIbNS6_6detail15normal_iteratorINS6_10device_ptrIKfEEEESL_NS6_8equal_toIfEEEENSG_9not_fun_tINSD_8identityEEEEENSD_19counting_iterator_tIlEES8_S8_S8_S8_S8_S8_S8_S8_EEEEPS9_S9_NSD_9__find_if7functorIS9_EEEE10hipError_tPvRmT1_T2_T3_mT4_P12ihipStream_tbEUlT_E1_NS1_11comp_targetILNS1_3genE4ELNS1_11target_archE910ELNS1_3gpuE8ELNS1_3repE0EEENS1_30default_config_static_selectorELNS0_4arch9wavefront6targetE1EEEvS14_,"axG",@progbits,_ZN7rocprim17ROCPRIM_400000_NS6detail17trampoline_kernelINS0_14default_configENS1_22reduce_config_selectorIN6thrust23THRUST_200600_302600_NS5tupleIblNS6_9null_typeES8_S8_S8_S8_S8_S8_S8_EEEEZNS1_11reduce_implILb1ES3_NS6_12zip_iteratorINS7_INS6_11hip_rocprim26transform_input_iterator_tIbNSD_35transform_pair_of_input_iterators_tIbNS6_6detail15normal_iteratorINS6_10device_ptrIKfEEEESL_NS6_8equal_toIfEEEENSG_9not_fun_tINSD_8identityEEEEENSD_19counting_iterator_tIlEES8_S8_S8_S8_S8_S8_S8_S8_EEEEPS9_S9_NSD_9__find_if7functorIS9_EEEE10hipError_tPvRmT1_T2_T3_mT4_P12ihipStream_tbEUlT_E1_NS1_11comp_targetILNS1_3genE4ELNS1_11target_archE910ELNS1_3gpuE8ELNS1_3repE0EEENS1_30default_config_static_selectorELNS0_4arch9wavefront6targetE1EEEvS14_,comdat
	.protected	_ZN7rocprim17ROCPRIM_400000_NS6detail17trampoline_kernelINS0_14default_configENS1_22reduce_config_selectorIN6thrust23THRUST_200600_302600_NS5tupleIblNS6_9null_typeES8_S8_S8_S8_S8_S8_S8_EEEEZNS1_11reduce_implILb1ES3_NS6_12zip_iteratorINS7_INS6_11hip_rocprim26transform_input_iterator_tIbNSD_35transform_pair_of_input_iterators_tIbNS6_6detail15normal_iteratorINS6_10device_ptrIKfEEEESL_NS6_8equal_toIfEEEENSG_9not_fun_tINSD_8identityEEEEENSD_19counting_iterator_tIlEES8_S8_S8_S8_S8_S8_S8_S8_EEEEPS9_S9_NSD_9__find_if7functorIS9_EEEE10hipError_tPvRmT1_T2_T3_mT4_P12ihipStream_tbEUlT_E1_NS1_11comp_targetILNS1_3genE4ELNS1_11target_archE910ELNS1_3gpuE8ELNS1_3repE0EEENS1_30default_config_static_selectorELNS0_4arch9wavefront6targetE1EEEvS14_ ; -- Begin function _ZN7rocprim17ROCPRIM_400000_NS6detail17trampoline_kernelINS0_14default_configENS1_22reduce_config_selectorIN6thrust23THRUST_200600_302600_NS5tupleIblNS6_9null_typeES8_S8_S8_S8_S8_S8_S8_EEEEZNS1_11reduce_implILb1ES3_NS6_12zip_iteratorINS7_INS6_11hip_rocprim26transform_input_iterator_tIbNSD_35transform_pair_of_input_iterators_tIbNS6_6detail15normal_iteratorINS6_10device_ptrIKfEEEESL_NS6_8equal_toIfEEEENSG_9not_fun_tINSD_8identityEEEEENSD_19counting_iterator_tIlEES8_S8_S8_S8_S8_S8_S8_S8_EEEEPS9_S9_NSD_9__find_if7functorIS9_EEEE10hipError_tPvRmT1_T2_T3_mT4_P12ihipStream_tbEUlT_E1_NS1_11comp_targetILNS1_3genE4ELNS1_11target_archE910ELNS1_3gpuE8ELNS1_3repE0EEENS1_30default_config_static_selectorELNS0_4arch9wavefront6targetE1EEEvS14_
	.globl	_ZN7rocprim17ROCPRIM_400000_NS6detail17trampoline_kernelINS0_14default_configENS1_22reduce_config_selectorIN6thrust23THRUST_200600_302600_NS5tupleIblNS6_9null_typeES8_S8_S8_S8_S8_S8_S8_EEEEZNS1_11reduce_implILb1ES3_NS6_12zip_iteratorINS7_INS6_11hip_rocprim26transform_input_iterator_tIbNSD_35transform_pair_of_input_iterators_tIbNS6_6detail15normal_iteratorINS6_10device_ptrIKfEEEESL_NS6_8equal_toIfEEEENSG_9not_fun_tINSD_8identityEEEEENSD_19counting_iterator_tIlEES8_S8_S8_S8_S8_S8_S8_S8_EEEEPS9_S9_NSD_9__find_if7functorIS9_EEEE10hipError_tPvRmT1_T2_T3_mT4_P12ihipStream_tbEUlT_E1_NS1_11comp_targetILNS1_3genE4ELNS1_11target_archE910ELNS1_3gpuE8ELNS1_3repE0EEENS1_30default_config_static_selectorELNS0_4arch9wavefront6targetE1EEEvS14_
	.p2align	8
	.type	_ZN7rocprim17ROCPRIM_400000_NS6detail17trampoline_kernelINS0_14default_configENS1_22reduce_config_selectorIN6thrust23THRUST_200600_302600_NS5tupleIblNS6_9null_typeES8_S8_S8_S8_S8_S8_S8_EEEEZNS1_11reduce_implILb1ES3_NS6_12zip_iteratorINS7_INS6_11hip_rocprim26transform_input_iterator_tIbNSD_35transform_pair_of_input_iterators_tIbNS6_6detail15normal_iteratorINS6_10device_ptrIKfEEEESL_NS6_8equal_toIfEEEENSG_9not_fun_tINSD_8identityEEEEENSD_19counting_iterator_tIlEES8_S8_S8_S8_S8_S8_S8_S8_EEEEPS9_S9_NSD_9__find_if7functorIS9_EEEE10hipError_tPvRmT1_T2_T3_mT4_P12ihipStream_tbEUlT_E1_NS1_11comp_targetILNS1_3genE4ELNS1_11target_archE910ELNS1_3gpuE8ELNS1_3repE0EEENS1_30default_config_static_selectorELNS0_4arch9wavefront6targetE1EEEvS14_,@function
_ZN7rocprim17ROCPRIM_400000_NS6detail17trampoline_kernelINS0_14default_configENS1_22reduce_config_selectorIN6thrust23THRUST_200600_302600_NS5tupleIblNS6_9null_typeES8_S8_S8_S8_S8_S8_S8_EEEEZNS1_11reduce_implILb1ES3_NS6_12zip_iteratorINS7_INS6_11hip_rocprim26transform_input_iterator_tIbNSD_35transform_pair_of_input_iterators_tIbNS6_6detail15normal_iteratorINS6_10device_ptrIKfEEEESL_NS6_8equal_toIfEEEENSG_9not_fun_tINSD_8identityEEEEENSD_19counting_iterator_tIlEES8_S8_S8_S8_S8_S8_S8_S8_EEEEPS9_S9_NSD_9__find_if7functorIS9_EEEE10hipError_tPvRmT1_T2_T3_mT4_P12ihipStream_tbEUlT_E1_NS1_11comp_targetILNS1_3genE4ELNS1_11target_archE910ELNS1_3gpuE8ELNS1_3repE0EEENS1_30default_config_static_selectorELNS0_4arch9wavefront6targetE1EEEvS14_: ; @_ZN7rocprim17ROCPRIM_400000_NS6detail17trampoline_kernelINS0_14default_configENS1_22reduce_config_selectorIN6thrust23THRUST_200600_302600_NS5tupleIblNS6_9null_typeES8_S8_S8_S8_S8_S8_S8_EEEEZNS1_11reduce_implILb1ES3_NS6_12zip_iteratorINS7_INS6_11hip_rocprim26transform_input_iterator_tIbNSD_35transform_pair_of_input_iterators_tIbNS6_6detail15normal_iteratorINS6_10device_ptrIKfEEEESL_NS6_8equal_toIfEEEENSG_9not_fun_tINSD_8identityEEEEENSD_19counting_iterator_tIlEES8_S8_S8_S8_S8_S8_S8_S8_EEEEPS9_S9_NSD_9__find_if7functorIS9_EEEE10hipError_tPvRmT1_T2_T3_mT4_P12ihipStream_tbEUlT_E1_NS1_11comp_targetILNS1_3genE4ELNS1_11target_archE910ELNS1_3gpuE8ELNS1_3repE0EEENS1_30default_config_static_selectorELNS0_4arch9wavefront6targetE1EEEvS14_
; %bb.0:
	.section	.rodata,"a",@progbits
	.p2align	6, 0x0
	.amdhsa_kernel _ZN7rocprim17ROCPRIM_400000_NS6detail17trampoline_kernelINS0_14default_configENS1_22reduce_config_selectorIN6thrust23THRUST_200600_302600_NS5tupleIblNS6_9null_typeES8_S8_S8_S8_S8_S8_S8_EEEEZNS1_11reduce_implILb1ES3_NS6_12zip_iteratorINS7_INS6_11hip_rocprim26transform_input_iterator_tIbNSD_35transform_pair_of_input_iterators_tIbNS6_6detail15normal_iteratorINS6_10device_ptrIKfEEEESL_NS6_8equal_toIfEEEENSG_9not_fun_tINSD_8identityEEEEENSD_19counting_iterator_tIlEES8_S8_S8_S8_S8_S8_S8_S8_EEEEPS9_S9_NSD_9__find_if7functorIS9_EEEE10hipError_tPvRmT1_T2_T3_mT4_P12ihipStream_tbEUlT_E1_NS1_11comp_targetILNS1_3genE4ELNS1_11target_archE910ELNS1_3gpuE8ELNS1_3repE0EEENS1_30default_config_static_selectorELNS0_4arch9wavefront6targetE1EEEvS14_
		.amdhsa_group_segment_fixed_size 0
		.amdhsa_private_segment_fixed_size 0
		.amdhsa_kernarg_size 88
		.amdhsa_user_sgpr_count 6
		.amdhsa_user_sgpr_private_segment_buffer 1
		.amdhsa_user_sgpr_dispatch_ptr 0
		.amdhsa_user_sgpr_queue_ptr 0
		.amdhsa_user_sgpr_kernarg_segment_ptr 1
		.amdhsa_user_sgpr_dispatch_id 0
		.amdhsa_user_sgpr_flat_scratch_init 0
		.amdhsa_user_sgpr_private_segment_size 0
		.amdhsa_uses_dynamic_stack 0
		.amdhsa_system_sgpr_private_segment_wavefront_offset 0
		.amdhsa_system_sgpr_workgroup_id_x 1
		.amdhsa_system_sgpr_workgroup_id_y 0
		.amdhsa_system_sgpr_workgroup_id_z 0
		.amdhsa_system_sgpr_workgroup_info 0
		.amdhsa_system_vgpr_workitem_id 0
		.amdhsa_next_free_vgpr 1
		.amdhsa_next_free_sgpr 0
		.amdhsa_reserve_vcc 0
		.amdhsa_reserve_flat_scratch 0
		.amdhsa_float_round_mode_32 0
		.amdhsa_float_round_mode_16_64 0
		.amdhsa_float_denorm_mode_32 3
		.amdhsa_float_denorm_mode_16_64 3
		.amdhsa_dx10_clamp 1
		.amdhsa_ieee_mode 1
		.amdhsa_fp16_overflow 0
		.amdhsa_exception_fp_ieee_invalid_op 0
		.amdhsa_exception_fp_denorm_src 0
		.amdhsa_exception_fp_ieee_div_zero 0
		.amdhsa_exception_fp_ieee_overflow 0
		.amdhsa_exception_fp_ieee_underflow 0
		.amdhsa_exception_fp_ieee_inexact 0
		.amdhsa_exception_int_div_zero 0
	.end_amdhsa_kernel
	.section	.text._ZN7rocprim17ROCPRIM_400000_NS6detail17trampoline_kernelINS0_14default_configENS1_22reduce_config_selectorIN6thrust23THRUST_200600_302600_NS5tupleIblNS6_9null_typeES8_S8_S8_S8_S8_S8_S8_EEEEZNS1_11reduce_implILb1ES3_NS6_12zip_iteratorINS7_INS6_11hip_rocprim26transform_input_iterator_tIbNSD_35transform_pair_of_input_iterators_tIbNS6_6detail15normal_iteratorINS6_10device_ptrIKfEEEESL_NS6_8equal_toIfEEEENSG_9not_fun_tINSD_8identityEEEEENSD_19counting_iterator_tIlEES8_S8_S8_S8_S8_S8_S8_S8_EEEEPS9_S9_NSD_9__find_if7functorIS9_EEEE10hipError_tPvRmT1_T2_T3_mT4_P12ihipStream_tbEUlT_E1_NS1_11comp_targetILNS1_3genE4ELNS1_11target_archE910ELNS1_3gpuE8ELNS1_3repE0EEENS1_30default_config_static_selectorELNS0_4arch9wavefront6targetE1EEEvS14_,"axG",@progbits,_ZN7rocprim17ROCPRIM_400000_NS6detail17trampoline_kernelINS0_14default_configENS1_22reduce_config_selectorIN6thrust23THRUST_200600_302600_NS5tupleIblNS6_9null_typeES8_S8_S8_S8_S8_S8_S8_EEEEZNS1_11reduce_implILb1ES3_NS6_12zip_iteratorINS7_INS6_11hip_rocprim26transform_input_iterator_tIbNSD_35transform_pair_of_input_iterators_tIbNS6_6detail15normal_iteratorINS6_10device_ptrIKfEEEESL_NS6_8equal_toIfEEEENSG_9not_fun_tINSD_8identityEEEEENSD_19counting_iterator_tIlEES8_S8_S8_S8_S8_S8_S8_S8_EEEEPS9_S9_NSD_9__find_if7functorIS9_EEEE10hipError_tPvRmT1_T2_T3_mT4_P12ihipStream_tbEUlT_E1_NS1_11comp_targetILNS1_3genE4ELNS1_11target_archE910ELNS1_3gpuE8ELNS1_3repE0EEENS1_30default_config_static_selectorELNS0_4arch9wavefront6targetE1EEEvS14_,comdat
.Lfunc_end458:
	.size	_ZN7rocprim17ROCPRIM_400000_NS6detail17trampoline_kernelINS0_14default_configENS1_22reduce_config_selectorIN6thrust23THRUST_200600_302600_NS5tupleIblNS6_9null_typeES8_S8_S8_S8_S8_S8_S8_EEEEZNS1_11reduce_implILb1ES3_NS6_12zip_iteratorINS7_INS6_11hip_rocprim26transform_input_iterator_tIbNSD_35transform_pair_of_input_iterators_tIbNS6_6detail15normal_iteratorINS6_10device_ptrIKfEEEESL_NS6_8equal_toIfEEEENSG_9not_fun_tINSD_8identityEEEEENSD_19counting_iterator_tIlEES8_S8_S8_S8_S8_S8_S8_S8_EEEEPS9_S9_NSD_9__find_if7functorIS9_EEEE10hipError_tPvRmT1_T2_T3_mT4_P12ihipStream_tbEUlT_E1_NS1_11comp_targetILNS1_3genE4ELNS1_11target_archE910ELNS1_3gpuE8ELNS1_3repE0EEENS1_30default_config_static_selectorELNS0_4arch9wavefront6targetE1EEEvS14_, .Lfunc_end458-_ZN7rocprim17ROCPRIM_400000_NS6detail17trampoline_kernelINS0_14default_configENS1_22reduce_config_selectorIN6thrust23THRUST_200600_302600_NS5tupleIblNS6_9null_typeES8_S8_S8_S8_S8_S8_S8_EEEEZNS1_11reduce_implILb1ES3_NS6_12zip_iteratorINS7_INS6_11hip_rocprim26transform_input_iterator_tIbNSD_35transform_pair_of_input_iterators_tIbNS6_6detail15normal_iteratorINS6_10device_ptrIKfEEEESL_NS6_8equal_toIfEEEENSG_9not_fun_tINSD_8identityEEEEENSD_19counting_iterator_tIlEES8_S8_S8_S8_S8_S8_S8_S8_EEEEPS9_S9_NSD_9__find_if7functorIS9_EEEE10hipError_tPvRmT1_T2_T3_mT4_P12ihipStream_tbEUlT_E1_NS1_11comp_targetILNS1_3genE4ELNS1_11target_archE910ELNS1_3gpuE8ELNS1_3repE0EEENS1_30default_config_static_selectorELNS0_4arch9wavefront6targetE1EEEvS14_
                                        ; -- End function
	.set _ZN7rocprim17ROCPRIM_400000_NS6detail17trampoline_kernelINS0_14default_configENS1_22reduce_config_selectorIN6thrust23THRUST_200600_302600_NS5tupleIblNS6_9null_typeES8_S8_S8_S8_S8_S8_S8_EEEEZNS1_11reduce_implILb1ES3_NS6_12zip_iteratorINS7_INS6_11hip_rocprim26transform_input_iterator_tIbNSD_35transform_pair_of_input_iterators_tIbNS6_6detail15normal_iteratorINS6_10device_ptrIKfEEEESL_NS6_8equal_toIfEEEENSG_9not_fun_tINSD_8identityEEEEENSD_19counting_iterator_tIlEES8_S8_S8_S8_S8_S8_S8_S8_EEEEPS9_S9_NSD_9__find_if7functorIS9_EEEE10hipError_tPvRmT1_T2_T3_mT4_P12ihipStream_tbEUlT_E1_NS1_11comp_targetILNS1_3genE4ELNS1_11target_archE910ELNS1_3gpuE8ELNS1_3repE0EEENS1_30default_config_static_selectorELNS0_4arch9wavefront6targetE1EEEvS14_.num_vgpr, 0
	.set _ZN7rocprim17ROCPRIM_400000_NS6detail17trampoline_kernelINS0_14default_configENS1_22reduce_config_selectorIN6thrust23THRUST_200600_302600_NS5tupleIblNS6_9null_typeES8_S8_S8_S8_S8_S8_S8_EEEEZNS1_11reduce_implILb1ES3_NS6_12zip_iteratorINS7_INS6_11hip_rocprim26transform_input_iterator_tIbNSD_35transform_pair_of_input_iterators_tIbNS6_6detail15normal_iteratorINS6_10device_ptrIKfEEEESL_NS6_8equal_toIfEEEENSG_9not_fun_tINSD_8identityEEEEENSD_19counting_iterator_tIlEES8_S8_S8_S8_S8_S8_S8_S8_EEEEPS9_S9_NSD_9__find_if7functorIS9_EEEE10hipError_tPvRmT1_T2_T3_mT4_P12ihipStream_tbEUlT_E1_NS1_11comp_targetILNS1_3genE4ELNS1_11target_archE910ELNS1_3gpuE8ELNS1_3repE0EEENS1_30default_config_static_selectorELNS0_4arch9wavefront6targetE1EEEvS14_.num_agpr, 0
	.set _ZN7rocprim17ROCPRIM_400000_NS6detail17trampoline_kernelINS0_14default_configENS1_22reduce_config_selectorIN6thrust23THRUST_200600_302600_NS5tupleIblNS6_9null_typeES8_S8_S8_S8_S8_S8_S8_EEEEZNS1_11reduce_implILb1ES3_NS6_12zip_iteratorINS7_INS6_11hip_rocprim26transform_input_iterator_tIbNSD_35transform_pair_of_input_iterators_tIbNS6_6detail15normal_iteratorINS6_10device_ptrIKfEEEESL_NS6_8equal_toIfEEEENSG_9not_fun_tINSD_8identityEEEEENSD_19counting_iterator_tIlEES8_S8_S8_S8_S8_S8_S8_S8_EEEEPS9_S9_NSD_9__find_if7functorIS9_EEEE10hipError_tPvRmT1_T2_T3_mT4_P12ihipStream_tbEUlT_E1_NS1_11comp_targetILNS1_3genE4ELNS1_11target_archE910ELNS1_3gpuE8ELNS1_3repE0EEENS1_30default_config_static_selectorELNS0_4arch9wavefront6targetE1EEEvS14_.numbered_sgpr, 0
	.set _ZN7rocprim17ROCPRIM_400000_NS6detail17trampoline_kernelINS0_14default_configENS1_22reduce_config_selectorIN6thrust23THRUST_200600_302600_NS5tupleIblNS6_9null_typeES8_S8_S8_S8_S8_S8_S8_EEEEZNS1_11reduce_implILb1ES3_NS6_12zip_iteratorINS7_INS6_11hip_rocprim26transform_input_iterator_tIbNSD_35transform_pair_of_input_iterators_tIbNS6_6detail15normal_iteratorINS6_10device_ptrIKfEEEESL_NS6_8equal_toIfEEEENSG_9not_fun_tINSD_8identityEEEEENSD_19counting_iterator_tIlEES8_S8_S8_S8_S8_S8_S8_S8_EEEEPS9_S9_NSD_9__find_if7functorIS9_EEEE10hipError_tPvRmT1_T2_T3_mT4_P12ihipStream_tbEUlT_E1_NS1_11comp_targetILNS1_3genE4ELNS1_11target_archE910ELNS1_3gpuE8ELNS1_3repE0EEENS1_30default_config_static_selectorELNS0_4arch9wavefront6targetE1EEEvS14_.num_named_barrier, 0
	.set _ZN7rocprim17ROCPRIM_400000_NS6detail17trampoline_kernelINS0_14default_configENS1_22reduce_config_selectorIN6thrust23THRUST_200600_302600_NS5tupleIblNS6_9null_typeES8_S8_S8_S8_S8_S8_S8_EEEEZNS1_11reduce_implILb1ES3_NS6_12zip_iteratorINS7_INS6_11hip_rocprim26transform_input_iterator_tIbNSD_35transform_pair_of_input_iterators_tIbNS6_6detail15normal_iteratorINS6_10device_ptrIKfEEEESL_NS6_8equal_toIfEEEENSG_9not_fun_tINSD_8identityEEEEENSD_19counting_iterator_tIlEES8_S8_S8_S8_S8_S8_S8_S8_EEEEPS9_S9_NSD_9__find_if7functorIS9_EEEE10hipError_tPvRmT1_T2_T3_mT4_P12ihipStream_tbEUlT_E1_NS1_11comp_targetILNS1_3genE4ELNS1_11target_archE910ELNS1_3gpuE8ELNS1_3repE0EEENS1_30default_config_static_selectorELNS0_4arch9wavefront6targetE1EEEvS14_.private_seg_size, 0
	.set _ZN7rocprim17ROCPRIM_400000_NS6detail17trampoline_kernelINS0_14default_configENS1_22reduce_config_selectorIN6thrust23THRUST_200600_302600_NS5tupleIblNS6_9null_typeES8_S8_S8_S8_S8_S8_S8_EEEEZNS1_11reduce_implILb1ES3_NS6_12zip_iteratorINS7_INS6_11hip_rocprim26transform_input_iterator_tIbNSD_35transform_pair_of_input_iterators_tIbNS6_6detail15normal_iteratorINS6_10device_ptrIKfEEEESL_NS6_8equal_toIfEEEENSG_9not_fun_tINSD_8identityEEEEENSD_19counting_iterator_tIlEES8_S8_S8_S8_S8_S8_S8_S8_EEEEPS9_S9_NSD_9__find_if7functorIS9_EEEE10hipError_tPvRmT1_T2_T3_mT4_P12ihipStream_tbEUlT_E1_NS1_11comp_targetILNS1_3genE4ELNS1_11target_archE910ELNS1_3gpuE8ELNS1_3repE0EEENS1_30default_config_static_selectorELNS0_4arch9wavefront6targetE1EEEvS14_.uses_vcc, 0
	.set _ZN7rocprim17ROCPRIM_400000_NS6detail17trampoline_kernelINS0_14default_configENS1_22reduce_config_selectorIN6thrust23THRUST_200600_302600_NS5tupleIblNS6_9null_typeES8_S8_S8_S8_S8_S8_S8_EEEEZNS1_11reduce_implILb1ES3_NS6_12zip_iteratorINS7_INS6_11hip_rocprim26transform_input_iterator_tIbNSD_35transform_pair_of_input_iterators_tIbNS6_6detail15normal_iteratorINS6_10device_ptrIKfEEEESL_NS6_8equal_toIfEEEENSG_9not_fun_tINSD_8identityEEEEENSD_19counting_iterator_tIlEES8_S8_S8_S8_S8_S8_S8_S8_EEEEPS9_S9_NSD_9__find_if7functorIS9_EEEE10hipError_tPvRmT1_T2_T3_mT4_P12ihipStream_tbEUlT_E1_NS1_11comp_targetILNS1_3genE4ELNS1_11target_archE910ELNS1_3gpuE8ELNS1_3repE0EEENS1_30default_config_static_selectorELNS0_4arch9wavefront6targetE1EEEvS14_.uses_flat_scratch, 0
	.set _ZN7rocprim17ROCPRIM_400000_NS6detail17trampoline_kernelINS0_14default_configENS1_22reduce_config_selectorIN6thrust23THRUST_200600_302600_NS5tupleIblNS6_9null_typeES8_S8_S8_S8_S8_S8_S8_EEEEZNS1_11reduce_implILb1ES3_NS6_12zip_iteratorINS7_INS6_11hip_rocprim26transform_input_iterator_tIbNSD_35transform_pair_of_input_iterators_tIbNS6_6detail15normal_iteratorINS6_10device_ptrIKfEEEESL_NS6_8equal_toIfEEEENSG_9not_fun_tINSD_8identityEEEEENSD_19counting_iterator_tIlEES8_S8_S8_S8_S8_S8_S8_S8_EEEEPS9_S9_NSD_9__find_if7functorIS9_EEEE10hipError_tPvRmT1_T2_T3_mT4_P12ihipStream_tbEUlT_E1_NS1_11comp_targetILNS1_3genE4ELNS1_11target_archE910ELNS1_3gpuE8ELNS1_3repE0EEENS1_30default_config_static_selectorELNS0_4arch9wavefront6targetE1EEEvS14_.has_dyn_sized_stack, 0
	.set _ZN7rocprim17ROCPRIM_400000_NS6detail17trampoline_kernelINS0_14default_configENS1_22reduce_config_selectorIN6thrust23THRUST_200600_302600_NS5tupleIblNS6_9null_typeES8_S8_S8_S8_S8_S8_S8_EEEEZNS1_11reduce_implILb1ES3_NS6_12zip_iteratorINS7_INS6_11hip_rocprim26transform_input_iterator_tIbNSD_35transform_pair_of_input_iterators_tIbNS6_6detail15normal_iteratorINS6_10device_ptrIKfEEEESL_NS6_8equal_toIfEEEENSG_9not_fun_tINSD_8identityEEEEENSD_19counting_iterator_tIlEES8_S8_S8_S8_S8_S8_S8_S8_EEEEPS9_S9_NSD_9__find_if7functorIS9_EEEE10hipError_tPvRmT1_T2_T3_mT4_P12ihipStream_tbEUlT_E1_NS1_11comp_targetILNS1_3genE4ELNS1_11target_archE910ELNS1_3gpuE8ELNS1_3repE0EEENS1_30default_config_static_selectorELNS0_4arch9wavefront6targetE1EEEvS14_.has_recursion, 0
	.set _ZN7rocprim17ROCPRIM_400000_NS6detail17trampoline_kernelINS0_14default_configENS1_22reduce_config_selectorIN6thrust23THRUST_200600_302600_NS5tupleIblNS6_9null_typeES8_S8_S8_S8_S8_S8_S8_EEEEZNS1_11reduce_implILb1ES3_NS6_12zip_iteratorINS7_INS6_11hip_rocprim26transform_input_iterator_tIbNSD_35transform_pair_of_input_iterators_tIbNS6_6detail15normal_iteratorINS6_10device_ptrIKfEEEESL_NS6_8equal_toIfEEEENSG_9not_fun_tINSD_8identityEEEEENSD_19counting_iterator_tIlEES8_S8_S8_S8_S8_S8_S8_S8_EEEEPS9_S9_NSD_9__find_if7functorIS9_EEEE10hipError_tPvRmT1_T2_T3_mT4_P12ihipStream_tbEUlT_E1_NS1_11comp_targetILNS1_3genE4ELNS1_11target_archE910ELNS1_3gpuE8ELNS1_3repE0EEENS1_30default_config_static_selectorELNS0_4arch9wavefront6targetE1EEEvS14_.has_indirect_call, 0
	.section	.AMDGPU.csdata,"",@progbits
; Kernel info:
; codeLenInByte = 0
; TotalNumSgprs: 4
; NumVgprs: 0
; ScratchSize: 0
; MemoryBound: 0
; FloatMode: 240
; IeeeMode: 1
; LDSByteSize: 0 bytes/workgroup (compile time only)
; SGPRBlocks: 0
; VGPRBlocks: 0
; NumSGPRsForWavesPerEU: 4
; NumVGPRsForWavesPerEU: 1
; Occupancy: 10
; WaveLimiterHint : 0
; COMPUTE_PGM_RSRC2:SCRATCH_EN: 0
; COMPUTE_PGM_RSRC2:USER_SGPR: 6
; COMPUTE_PGM_RSRC2:TRAP_HANDLER: 0
; COMPUTE_PGM_RSRC2:TGID_X_EN: 1
; COMPUTE_PGM_RSRC2:TGID_Y_EN: 0
; COMPUTE_PGM_RSRC2:TGID_Z_EN: 0
; COMPUTE_PGM_RSRC2:TIDIG_COMP_CNT: 0
	.section	.text._ZN7rocprim17ROCPRIM_400000_NS6detail17trampoline_kernelINS0_14default_configENS1_22reduce_config_selectorIN6thrust23THRUST_200600_302600_NS5tupleIblNS6_9null_typeES8_S8_S8_S8_S8_S8_S8_EEEEZNS1_11reduce_implILb1ES3_NS6_12zip_iteratorINS7_INS6_11hip_rocprim26transform_input_iterator_tIbNSD_35transform_pair_of_input_iterators_tIbNS6_6detail15normal_iteratorINS6_10device_ptrIKfEEEESL_NS6_8equal_toIfEEEENSG_9not_fun_tINSD_8identityEEEEENSD_19counting_iterator_tIlEES8_S8_S8_S8_S8_S8_S8_S8_EEEEPS9_S9_NSD_9__find_if7functorIS9_EEEE10hipError_tPvRmT1_T2_T3_mT4_P12ihipStream_tbEUlT_E1_NS1_11comp_targetILNS1_3genE3ELNS1_11target_archE908ELNS1_3gpuE7ELNS1_3repE0EEENS1_30default_config_static_selectorELNS0_4arch9wavefront6targetE1EEEvS14_,"axG",@progbits,_ZN7rocprim17ROCPRIM_400000_NS6detail17trampoline_kernelINS0_14default_configENS1_22reduce_config_selectorIN6thrust23THRUST_200600_302600_NS5tupleIblNS6_9null_typeES8_S8_S8_S8_S8_S8_S8_EEEEZNS1_11reduce_implILb1ES3_NS6_12zip_iteratorINS7_INS6_11hip_rocprim26transform_input_iterator_tIbNSD_35transform_pair_of_input_iterators_tIbNS6_6detail15normal_iteratorINS6_10device_ptrIKfEEEESL_NS6_8equal_toIfEEEENSG_9not_fun_tINSD_8identityEEEEENSD_19counting_iterator_tIlEES8_S8_S8_S8_S8_S8_S8_S8_EEEEPS9_S9_NSD_9__find_if7functorIS9_EEEE10hipError_tPvRmT1_T2_T3_mT4_P12ihipStream_tbEUlT_E1_NS1_11comp_targetILNS1_3genE3ELNS1_11target_archE908ELNS1_3gpuE7ELNS1_3repE0EEENS1_30default_config_static_selectorELNS0_4arch9wavefront6targetE1EEEvS14_,comdat
	.protected	_ZN7rocprim17ROCPRIM_400000_NS6detail17trampoline_kernelINS0_14default_configENS1_22reduce_config_selectorIN6thrust23THRUST_200600_302600_NS5tupleIblNS6_9null_typeES8_S8_S8_S8_S8_S8_S8_EEEEZNS1_11reduce_implILb1ES3_NS6_12zip_iteratorINS7_INS6_11hip_rocprim26transform_input_iterator_tIbNSD_35transform_pair_of_input_iterators_tIbNS6_6detail15normal_iteratorINS6_10device_ptrIKfEEEESL_NS6_8equal_toIfEEEENSG_9not_fun_tINSD_8identityEEEEENSD_19counting_iterator_tIlEES8_S8_S8_S8_S8_S8_S8_S8_EEEEPS9_S9_NSD_9__find_if7functorIS9_EEEE10hipError_tPvRmT1_T2_T3_mT4_P12ihipStream_tbEUlT_E1_NS1_11comp_targetILNS1_3genE3ELNS1_11target_archE908ELNS1_3gpuE7ELNS1_3repE0EEENS1_30default_config_static_selectorELNS0_4arch9wavefront6targetE1EEEvS14_ ; -- Begin function _ZN7rocprim17ROCPRIM_400000_NS6detail17trampoline_kernelINS0_14default_configENS1_22reduce_config_selectorIN6thrust23THRUST_200600_302600_NS5tupleIblNS6_9null_typeES8_S8_S8_S8_S8_S8_S8_EEEEZNS1_11reduce_implILb1ES3_NS6_12zip_iteratorINS7_INS6_11hip_rocprim26transform_input_iterator_tIbNSD_35transform_pair_of_input_iterators_tIbNS6_6detail15normal_iteratorINS6_10device_ptrIKfEEEESL_NS6_8equal_toIfEEEENSG_9not_fun_tINSD_8identityEEEEENSD_19counting_iterator_tIlEES8_S8_S8_S8_S8_S8_S8_S8_EEEEPS9_S9_NSD_9__find_if7functorIS9_EEEE10hipError_tPvRmT1_T2_T3_mT4_P12ihipStream_tbEUlT_E1_NS1_11comp_targetILNS1_3genE3ELNS1_11target_archE908ELNS1_3gpuE7ELNS1_3repE0EEENS1_30default_config_static_selectorELNS0_4arch9wavefront6targetE1EEEvS14_
	.globl	_ZN7rocprim17ROCPRIM_400000_NS6detail17trampoline_kernelINS0_14default_configENS1_22reduce_config_selectorIN6thrust23THRUST_200600_302600_NS5tupleIblNS6_9null_typeES8_S8_S8_S8_S8_S8_S8_EEEEZNS1_11reduce_implILb1ES3_NS6_12zip_iteratorINS7_INS6_11hip_rocprim26transform_input_iterator_tIbNSD_35transform_pair_of_input_iterators_tIbNS6_6detail15normal_iteratorINS6_10device_ptrIKfEEEESL_NS6_8equal_toIfEEEENSG_9not_fun_tINSD_8identityEEEEENSD_19counting_iterator_tIlEES8_S8_S8_S8_S8_S8_S8_S8_EEEEPS9_S9_NSD_9__find_if7functorIS9_EEEE10hipError_tPvRmT1_T2_T3_mT4_P12ihipStream_tbEUlT_E1_NS1_11comp_targetILNS1_3genE3ELNS1_11target_archE908ELNS1_3gpuE7ELNS1_3repE0EEENS1_30default_config_static_selectorELNS0_4arch9wavefront6targetE1EEEvS14_
	.p2align	8
	.type	_ZN7rocprim17ROCPRIM_400000_NS6detail17trampoline_kernelINS0_14default_configENS1_22reduce_config_selectorIN6thrust23THRUST_200600_302600_NS5tupleIblNS6_9null_typeES8_S8_S8_S8_S8_S8_S8_EEEEZNS1_11reduce_implILb1ES3_NS6_12zip_iteratorINS7_INS6_11hip_rocprim26transform_input_iterator_tIbNSD_35transform_pair_of_input_iterators_tIbNS6_6detail15normal_iteratorINS6_10device_ptrIKfEEEESL_NS6_8equal_toIfEEEENSG_9not_fun_tINSD_8identityEEEEENSD_19counting_iterator_tIlEES8_S8_S8_S8_S8_S8_S8_S8_EEEEPS9_S9_NSD_9__find_if7functorIS9_EEEE10hipError_tPvRmT1_T2_T3_mT4_P12ihipStream_tbEUlT_E1_NS1_11comp_targetILNS1_3genE3ELNS1_11target_archE908ELNS1_3gpuE7ELNS1_3repE0EEENS1_30default_config_static_selectorELNS0_4arch9wavefront6targetE1EEEvS14_,@function
_ZN7rocprim17ROCPRIM_400000_NS6detail17trampoline_kernelINS0_14default_configENS1_22reduce_config_selectorIN6thrust23THRUST_200600_302600_NS5tupleIblNS6_9null_typeES8_S8_S8_S8_S8_S8_S8_EEEEZNS1_11reduce_implILb1ES3_NS6_12zip_iteratorINS7_INS6_11hip_rocprim26transform_input_iterator_tIbNSD_35transform_pair_of_input_iterators_tIbNS6_6detail15normal_iteratorINS6_10device_ptrIKfEEEESL_NS6_8equal_toIfEEEENSG_9not_fun_tINSD_8identityEEEEENSD_19counting_iterator_tIlEES8_S8_S8_S8_S8_S8_S8_S8_EEEEPS9_S9_NSD_9__find_if7functorIS9_EEEE10hipError_tPvRmT1_T2_T3_mT4_P12ihipStream_tbEUlT_E1_NS1_11comp_targetILNS1_3genE3ELNS1_11target_archE908ELNS1_3gpuE7ELNS1_3repE0EEENS1_30default_config_static_selectorELNS0_4arch9wavefront6targetE1EEEvS14_: ; @_ZN7rocprim17ROCPRIM_400000_NS6detail17trampoline_kernelINS0_14default_configENS1_22reduce_config_selectorIN6thrust23THRUST_200600_302600_NS5tupleIblNS6_9null_typeES8_S8_S8_S8_S8_S8_S8_EEEEZNS1_11reduce_implILb1ES3_NS6_12zip_iteratorINS7_INS6_11hip_rocprim26transform_input_iterator_tIbNSD_35transform_pair_of_input_iterators_tIbNS6_6detail15normal_iteratorINS6_10device_ptrIKfEEEESL_NS6_8equal_toIfEEEENSG_9not_fun_tINSD_8identityEEEEENSD_19counting_iterator_tIlEES8_S8_S8_S8_S8_S8_S8_S8_EEEEPS9_S9_NSD_9__find_if7functorIS9_EEEE10hipError_tPvRmT1_T2_T3_mT4_P12ihipStream_tbEUlT_E1_NS1_11comp_targetILNS1_3genE3ELNS1_11target_archE908ELNS1_3gpuE7ELNS1_3repE0EEENS1_30default_config_static_selectorELNS0_4arch9wavefront6targetE1EEEvS14_
; %bb.0:
	.section	.rodata,"a",@progbits
	.p2align	6, 0x0
	.amdhsa_kernel _ZN7rocprim17ROCPRIM_400000_NS6detail17trampoline_kernelINS0_14default_configENS1_22reduce_config_selectorIN6thrust23THRUST_200600_302600_NS5tupleIblNS6_9null_typeES8_S8_S8_S8_S8_S8_S8_EEEEZNS1_11reduce_implILb1ES3_NS6_12zip_iteratorINS7_INS6_11hip_rocprim26transform_input_iterator_tIbNSD_35transform_pair_of_input_iterators_tIbNS6_6detail15normal_iteratorINS6_10device_ptrIKfEEEESL_NS6_8equal_toIfEEEENSG_9not_fun_tINSD_8identityEEEEENSD_19counting_iterator_tIlEES8_S8_S8_S8_S8_S8_S8_S8_EEEEPS9_S9_NSD_9__find_if7functorIS9_EEEE10hipError_tPvRmT1_T2_T3_mT4_P12ihipStream_tbEUlT_E1_NS1_11comp_targetILNS1_3genE3ELNS1_11target_archE908ELNS1_3gpuE7ELNS1_3repE0EEENS1_30default_config_static_selectorELNS0_4arch9wavefront6targetE1EEEvS14_
		.amdhsa_group_segment_fixed_size 0
		.amdhsa_private_segment_fixed_size 0
		.amdhsa_kernarg_size 88
		.amdhsa_user_sgpr_count 6
		.amdhsa_user_sgpr_private_segment_buffer 1
		.amdhsa_user_sgpr_dispatch_ptr 0
		.amdhsa_user_sgpr_queue_ptr 0
		.amdhsa_user_sgpr_kernarg_segment_ptr 1
		.amdhsa_user_sgpr_dispatch_id 0
		.amdhsa_user_sgpr_flat_scratch_init 0
		.amdhsa_user_sgpr_private_segment_size 0
		.amdhsa_uses_dynamic_stack 0
		.amdhsa_system_sgpr_private_segment_wavefront_offset 0
		.amdhsa_system_sgpr_workgroup_id_x 1
		.amdhsa_system_sgpr_workgroup_id_y 0
		.amdhsa_system_sgpr_workgroup_id_z 0
		.amdhsa_system_sgpr_workgroup_info 0
		.amdhsa_system_vgpr_workitem_id 0
		.amdhsa_next_free_vgpr 1
		.amdhsa_next_free_sgpr 0
		.amdhsa_reserve_vcc 0
		.amdhsa_reserve_flat_scratch 0
		.amdhsa_float_round_mode_32 0
		.amdhsa_float_round_mode_16_64 0
		.amdhsa_float_denorm_mode_32 3
		.amdhsa_float_denorm_mode_16_64 3
		.amdhsa_dx10_clamp 1
		.amdhsa_ieee_mode 1
		.amdhsa_fp16_overflow 0
		.amdhsa_exception_fp_ieee_invalid_op 0
		.amdhsa_exception_fp_denorm_src 0
		.amdhsa_exception_fp_ieee_div_zero 0
		.amdhsa_exception_fp_ieee_overflow 0
		.amdhsa_exception_fp_ieee_underflow 0
		.amdhsa_exception_fp_ieee_inexact 0
		.amdhsa_exception_int_div_zero 0
	.end_amdhsa_kernel
	.section	.text._ZN7rocprim17ROCPRIM_400000_NS6detail17trampoline_kernelINS0_14default_configENS1_22reduce_config_selectorIN6thrust23THRUST_200600_302600_NS5tupleIblNS6_9null_typeES8_S8_S8_S8_S8_S8_S8_EEEEZNS1_11reduce_implILb1ES3_NS6_12zip_iteratorINS7_INS6_11hip_rocprim26transform_input_iterator_tIbNSD_35transform_pair_of_input_iterators_tIbNS6_6detail15normal_iteratorINS6_10device_ptrIKfEEEESL_NS6_8equal_toIfEEEENSG_9not_fun_tINSD_8identityEEEEENSD_19counting_iterator_tIlEES8_S8_S8_S8_S8_S8_S8_S8_EEEEPS9_S9_NSD_9__find_if7functorIS9_EEEE10hipError_tPvRmT1_T2_T3_mT4_P12ihipStream_tbEUlT_E1_NS1_11comp_targetILNS1_3genE3ELNS1_11target_archE908ELNS1_3gpuE7ELNS1_3repE0EEENS1_30default_config_static_selectorELNS0_4arch9wavefront6targetE1EEEvS14_,"axG",@progbits,_ZN7rocprim17ROCPRIM_400000_NS6detail17trampoline_kernelINS0_14default_configENS1_22reduce_config_selectorIN6thrust23THRUST_200600_302600_NS5tupleIblNS6_9null_typeES8_S8_S8_S8_S8_S8_S8_EEEEZNS1_11reduce_implILb1ES3_NS6_12zip_iteratorINS7_INS6_11hip_rocprim26transform_input_iterator_tIbNSD_35transform_pair_of_input_iterators_tIbNS6_6detail15normal_iteratorINS6_10device_ptrIKfEEEESL_NS6_8equal_toIfEEEENSG_9not_fun_tINSD_8identityEEEEENSD_19counting_iterator_tIlEES8_S8_S8_S8_S8_S8_S8_S8_EEEEPS9_S9_NSD_9__find_if7functorIS9_EEEE10hipError_tPvRmT1_T2_T3_mT4_P12ihipStream_tbEUlT_E1_NS1_11comp_targetILNS1_3genE3ELNS1_11target_archE908ELNS1_3gpuE7ELNS1_3repE0EEENS1_30default_config_static_selectorELNS0_4arch9wavefront6targetE1EEEvS14_,comdat
.Lfunc_end459:
	.size	_ZN7rocprim17ROCPRIM_400000_NS6detail17trampoline_kernelINS0_14default_configENS1_22reduce_config_selectorIN6thrust23THRUST_200600_302600_NS5tupleIblNS6_9null_typeES8_S8_S8_S8_S8_S8_S8_EEEEZNS1_11reduce_implILb1ES3_NS6_12zip_iteratorINS7_INS6_11hip_rocprim26transform_input_iterator_tIbNSD_35transform_pair_of_input_iterators_tIbNS6_6detail15normal_iteratorINS6_10device_ptrIKfEEEESL_NS6_8equal_toIfEEEENSG_9not_fun_tINSD_8identityEEEEENSD_19counting_iterator_tIlEES8_S8_S8_S8_S8_S8_S8_S8_EEEEPS9_S9_NSD_9__find_if7functorIS9_EEEE10hipError_tPvRmT1_T2_T3_mT4_P12ihipStream_tbEUlT_E1_NS1_11comp_targetILNS1_3genE3ELNS1_11target_archE908ELNS1_3gpuE7ELNS1_3repE0EEENS1_30default_config_static_selectorELNS0_4arch9wavefront6targetE1EEEvS14_, .Lfunc_end459-_ZN7rocprim17ROCPRIM_400000_NS6detail17trampoline_kernelINS0_14default_configENS1_22reduce_config_selectorIN6thrust23THRUST_200600_302600_NS5tupleIblNS6_9null_typeES8_S8_S8_S8_S8_S8_S8_EEEEZNS1_11reduce_implILb1ES3_NS6_12zip_iteratorINS7_INS6_11hip_rocprim26transform_input_iterator_tIbNSD_35transform_pair_of_input_iterators_tIbNS6_6detail15normal_iteratorINS6_10device_ptrIKfEEEESL_NS6_8equal_toIfEEEENSG_9not_fun_tINSD_8identityEEEEENSD_19counting_iterator_tIlEES8_S8_S8_S8_S8_S8_S8_S8_EEEEPS9_S9_NSD_9__find_if7functorIS9_EEEE10hipError_tPvRmT1_T2_T3_mT4_P12ihipStream_tbEUlT_E1_NS1_11comp_targetILNS1_3genE3ELNS1_11target_archE908ELNS1_3gpuE7ELNS1_3repE0EEENS1_30default_config_static_selectorELNS0_4arch9wavefront6targetE1EEEvS14_
                                        ; -- End function
	.set _ZN7rocprim17ROCPRIM_400000_NS6detail17trampoline_kernelINS0_14default_configENS1_22reduce_config_selectorIN6thrust23THRUST_200600_302600_NS5tupleIblNS6_9null_typeES8_S8_S8_S8_S8_S8_S8_EEEEZNS1_11reduce_implILb1ES3_NS6_12zip_iteratorINS7_INS6_11hip_rocprim26transform_input_iterator_tIbNSD_35transform_pair_of_input_iterators_tIbNS6_6detail15normal_iteratorINS6_10device_ptrIKfEEEESL_NS6_8equal_toIfEEEENSG_9not_fun_tINSD_8identityEEEEENSD_19counting_iterator_tIlEES8_S8_S8_S8_S8_S8_S8_S8_EEEEPS9_S9_NSD_9__find_if7functorIS9_EEEE10hipError_tPvRmT1_T2_T3_mT4_P12ihipStream_tbEUlT_E1_NS1_11comp_targetILNS1_3genE3ELNS1_11target_archE908ELNS1_3gpuE7ELNS1_3repE0EEENS1_30default_config_static_selectorELNS0_4arch9wavefront6targetE1EEEvS14_.num_vgpr, 0
	.set _ZN7rocprim17ROCPRIM_400000_NS6detail17trampoline_kernelINS0_14default_configENS1_22reduce_config_selectorIN6thrust23THRUST_200600_302600_NS5tupleIblNS6_9null_typeES8_S8_S8_S8_S8_S8_S8_EEEEZNS1_11reduce_implILb1ES3_NS6_12zip_iteratorINS7_INS6_11hip_rocprim26transform_input_iterator_tIbNSD_35transform_pair_of_input_iterators_tIbNS6_6detail15normal_iteratorINS6_10device_ptrIKfEEEESL_NS6_8equal_toIfEEEENSG_9not_fun_tINSD_8identityEEEEENSD_19counting_iterator_tIlEES8_S8_S8_S8_S8_S8_S8_S8_EEEEPS9_S9_NSD_9__find_if7functorIS9_EEEE10hipError_tPvRmT1_T2_T3_mT4_P12ihipStream_tbEUlT_E1_NS1_11comp_targetILNS1_3genE3ELNS1_11target_archE908ELNS1_3gpuE7ELNS1_3repE0EEENS1_30default_config_static_selectorELNS0_4arch9wavefront6targetE1EEEvS14_.num_agpr, 0
	.set _ZN7rocprim17ROCPRIM_400000_NS6detail17trampoline_kernelINS0_14default_configENS1_22reduce_config_selectorIN6thrust23THRUST_200600_302600_NS5tupleIblNS6_9null_typeES8_S8_S8_S8_S8_S8_S8_EEEEZNS1_11reduce_implILb1ES3_NS6_12zip_iteratorINS7_INS6_11hip_rocprim26transform_input_iterator_tIbNSD_35transform_pair_of_input_iterators_tIbNS6_6detail15normal_iteratorINS6_10device_ptrIKfEEEESL_NS6_8equal_toIfEEEENSG_9not_fun_tINSD_8identityEEEEENSD_19counting_iterator_tIlEES8_S8_S8_S8_S8_S8_S8_S8_EEEEPS9_S9_NSD_9__find_if7functorIS9_EEEE10hipError_tPvRmT1_T2_T3_mT4_P12ihipStream_tbEUlT_E1_NS1_11comp_targetILNS1_3genE3ELNS1_11target_archE908ELNS1_3gpuE7ELNS1_3repE0EEENS1_30default_config_static_selectorELNS0_4arch9wavefront6targetE1EEEvS14_.numbered_sgpr, 0
	.set _ZN7rocprim17ROCPRIM_400000_NS6detail17trampoline_kernelINS0_14default_configENS1_22reduce_config_selectorIN6thrust23THRUST_200600_302600_NS5tupleIblNS6_9null_typeES8_S8_S8_S8_S8_S8_S8_EEEEZNS1_11reduce_implILb1ES3_NS6_12zip_iteratorINS7_INS6_11hip_rocprim26transform_input_iterator_tIbNSD_35transform_pair_of_input_iterators_tIbNS6_6detail15normal_iteratorINS6_10device_ptrIKfEEEESL_NS6_8equal_toIfEEEENSG_9not_fun_tINSD_8identityEEEEENSD_19counting_iterator_tIlEES8_S8_S8_S8_S8_S8_S8_S8_EEEEPS9_S9_NSD_9__find_if7functorIS9_EEEE10hipError_tPvRmT1_T2_T3_mT4_P12ihipStream_tbEUlT_E1_NS1_11comp_targetILNS1_3genE3ELNS1_11target_archE908ELNS1_3gpuE7ELNS1_3repE0EEENS1_30default_config_static_selectorELNS0_4arch9wavefront6targetE1EEEvS14_.num_named_barrier, 0
	.set _ZN7rocprim17ROCPRIM_400000_NS6detail17trampoline_kernelINS0_14default_configENS1_22reduce_config_selectorIN6thrust23THRUST_200600_302600_NS5tupleIblNS6_9null_typeES8_S8_S8_S8_S8_S8_S8_EEEEZNS1_11reduce_implILb1ES3_NS6_12zip_iteratorINS7_INS6_11hip_rocprim26transform_input_iterator_tIbNSD_35transform_pair_of_input_iterators_tIbNS6_6detail15normal_iteratorINS6_10device_ptrIKfEEEESL_NS6_8equal_toIfEEEENSG_9not_fun_tINSD_8identityEEEEENSD_19counting_iterator_tIlEES8_S8_S8_S8_S8_S8_S8_S8_EEEEPS9_S9_NSD_9__find_if7functorIS9_EEEE10hipError_tPvRmT1_T2_T3_mT4_P12ihipStream_tbEUlT_E1_NS1_11comp_targetILNS1_3genE3ELNS1_11target_archE908ELNS1_3gpuE7ELNS1_3repE0EEENS1_30default_config_static_selectorELNS0_4arch9wavefront6targetE1EEEvS14_.private_seg_size, 0
	.set _ZN7rocprim17ROCPRIM_400000_NS6detail17trampoline_kernelINS0_14default_configENS1_22reduce_config_selectorIN6thrust23THRUST_200600_302600_NS5tupleIblNS6_9null_typeES8_S8_S8_S8_S8_S8_S8_EEEEZNS1_11reduce_implILb1ES3_NS6_12zip_iteratorINS7_INS6_11hip_rocprim26transform_input_iterator_tIbNSD_35transform_pair_of_input_iterators_tIbNS6_6detail15normal_iteratorINS6_10device_ptrIKfEEEESL_NS6_8equal_toIfEEEENSG_9not_fun_tINSD_8identityEEEEENSD_19counting_iterator_tIlEES8_S8_S8_S8_S8_S8_S8_S8_EEEEPS9_S9_NSD_9__find_if7functorIS9_EEEE10hipError_tPvRmT1_T2_T3_mT4_P12ihipStream_tbEUlT_E1_NS1_11comp_targetILNS1_3genE3ELNS1_11target_archE908ELNS1_3gpuE7ELNS1_3repE0EEENS1_30default_config_static_selectorELNS0_4arch9wavefront6targetE1EEEvS14_.uses_vcc, 0
	.set _ZN7rocprim17ROCPRIM_400000_NS6detail17trampoline_kernelINS0_14default_configENS1_22reduce_config_selectorIN6thrust23THRUST_200600_302600_NS5tupleIblNS6_9null_typeES8_S8_S8_S8_S8_S8_S8_EEEEZNS1_11reduce_implILb1ES3_NS6_12zip_iteratorINS7_INS6_11hip_rocprim26transform_input_iterator_tIbNSD_35transform_pair_of_input_iterators_tIbNS6_6detail15normal_iteratorINS6_10device_ptrIKfEEEESL_NS6_8equal_toIfEEEENSG_9not_fun_tINSD_8identityEEEEENSD_19counting_iterator_tIlEES8_S8_S8_S8_S8_S8_S8_S8_EEEEPS9_S9_NSD_9__find_if7functorIS9_EEEE10hipError_tPvRmT1_T2_T3_mT4_P12ihipStream_tbEUlT_E1_NS1_11comp_targetILNS1_3genE3ELNS1_11target_archE908ELNS1_3gpuE7ELNS1_3repE0EEENS1_30default_config_static_selectorELNS0_4arch9wavefront6targetE1EEEvS14_.uses_flat_scratch, 0
	.set _ZN7rocprim17ROCPRIM_400000_NS6detail17trampoline_kernelINS0_14default_configENS1_22reduce_config_selectorIN6thrust23THRUST_200600_302600_NS5tupleIblNS6_9null_typeES8_S8_S8_S8_S8_S8_S8_EEEEZNS1_11reduce_implILb1ES3_NS6_12zip_iteratorINS7_INS6_11hip_rocprim26transform_input_iterator_tIbNSD_35transform_pair_of_input_iterators_tIbNS6_6detail15normal_iteratorINS6_10device_ptrIKfEEEESL_NS6_8equal_toIfEEEENSG_9not_fun_tINSD_8identityEEEEENSD_19counting_iterator_tIlEES8_S8_S8_S8_S8_S8_S8_S8_EEEEPS9_S9_NSD_9__find_if7functorIS9_EEEE10hipError_tPvRmT1_T2_T3_mT4_P12ihipStream_tbEUlT_E1_NS1_11comp_targetILNS1_3genE3ELNS1_11target_archE908ELNS1_3gpuE7ELNS1_3repE0EEENS1_30default_config_static_selectorELNS0_4arch9wavefront6targetE1EEEvS14_.has_dyn_sized_stack, 0
	.set _ZN7rocprim17ROCPRIM_400000_NS6detail17trampoline_kernelINS0_14default_configENS1_22reduce_config_selectorIN6thrust23THRUST_200600_302600_NS5tupleIblNS6_9null_typeES8_S8_S8_S8_S8_S8_S8_EEEEZNS1_11reduce_implILb1ES3_NS6_12zip_iteratorINS7_INS6_11hip_rocprim26transform_input_iterator_tIbNSD_35transform_pair_of_input_iterators_tIbNS6_6detail15normal_iteratorINS6_10device_ptrIKfEEEESL_NS6_8equal_toIfEEEENSG_9not_fun_tINSD_8identityEEEEENSD_19counting_iterator_tIlEES8_S8_S8_S8_S8_S8_S8_S8_EEEEPS9_S9_NSD_9__find_if7functorIS9_EEEE10hipError_tPvRmT1_T2_T3_mT4_P12ihipStream_tbEUlT_E1_NS1_11comp_targetILNS1_3genE3ELNS1_11target_archE908ELNS1_3gpuE7ELNS1_3repE0EEENS1_30default_config_static_selectorELNS0_4arch9wavefront6targetE1EEEvS14_.has_recursion, 0
	.set _ZN7rocprim17ROCPRIM_400000_NS6detail17trampoline_kernelINS0_14default_configENS1_22reduce_config_selectorIN6thrust23THRUST_200600_302600_NS5tupleIblNS6_9null_typeES8_S8_S8_S8_S8_S8_S8_EEEEZNS1_11reduce_implILb1ES3_NS6_12zip_iteratorINS7_INS6_11hip_rocprim26transform_input_iterator_tIbNSD_35transform_pair_of_input_iterators_tIbNS6_6detail15normal_iteratorINS6_10device_ptrIKfEEEESL_NS6_8equal_toIfEEEENSG_9not_fun_tINSD_8identityEEEEENSD_19counting_iterator_tIlEES8_S8_S8_S8_S8_S8_S8_S8_EEEEPS9_S9_NSD_9__find_if7functorIS9_EEEE10hipError_tPvRmT1_T2_T3_mT4_P12ihipStream_tbEUlT_E1_NS1_11comp_targetILNS1_3genE3ELNS1_11target_archE908ELNS1_3gpuE7ELNS1_3repE0EEENS1_30default_config_static_selectorELNS0_4arch9wavefront6targetE1EEEvS14_.has_indirect_call, 0
	.section	.AMDGPU.csdata,"",@progbits
; Kernel info:
; codeLenInByte = 0
; TotalNumSgprs: 4
; NumVgprs: 0
; ScratchSize: 0
; MemoryBound: 0
; FloatMode: 240
; IeeeMode: 1
; LDSByteSize: 0 bytes/workgroup (compile time only)
; SGPRBlocks: 0
; VGPRBlocks: 0
; NumSGPRsForWavesPerEU: 4
; NumVGPRsForWavesPerEU: 1
; Occupancy: 10
; WaveLimiterHint : 0
; COMPUTE_PGM_RSRC2:SCRATCH_EN: 0
; COMPUTE_PGM_RSRC2:USER_SGPR: 6
; COMPUTE_PGM_RSRC2:TRAP_HANDLER: 0
; COMPUTE_PGM_RSRC2:TGID_X_EN: 1
; COMPUTE_PGM_RSRC2:TGID_Y_EN: 0
; COMPUTE_PGM_RSRC2:TGID_Z_EN: 0
; COMPUTE_PGM_RSRC2:TIDIG_COMP_CNT: 0
	.section	.text._ZN7rocprim17ROCPRIM_400000_NS6detail17trampoline_kernelINS0_14default_configENS1_22reduce_config_selectorIN6thrust23THRUST_200600_302600_NS5tupleIblNS6_9null_typeES8_S8_S8_S8_S8_S8_S8_EEEEZNS1_11reduce_implILb1ES3_NS6_12zip_iteratorINS7_INS6_11hip_rocprim26transform_input_iterator_tIbNSD_35transform_pair_of_input_iterators_tIbNS6_6detail15normal_iteratorINS6_10device_ptrIKfEEEESL_NS6_8equal_toIfEEEENSG_9not_fun_tINSD_8identityEEEEENSD_19counting_iterator_tIlEES8_S8_S8_S8_S8_S8_S8_S8_EEEEPS9_S9_NSD_9__find_if7functorIS9_EEEE10hipError_tPvRmT1_T2_T3_mT4_P12ihipStream_tbEUlT_E1_NS1_11comp_targetILNS1_3genE2ELNS1_11target_archE906ELNS1_3gpuE6ELNS1_3repE0EEENS1_30default_config_static_selectorELNS0_4arch9wavefront6targetE1EEEvS14_,"axG",@progbits,_ZN7rocprim17ROCPRIM_400000_NS6detail17trampoline_kernelINS0_14default_configENS1_22reduce_config_selectorIN6thrust23THRUST_200600_302600_NS5tupleIblNS6_9null_typeES8_S8_S8_S8_S8_S8_S8_EEEEZNS1_11reduce_implILb1ES3_NS6_12zip_iteratorINS7_INS6_11hip_rocprim26transform_input_iterator_tIbNSD_35transform_pair_of_input_iterators_tIbNS6_6detail15normal_iteratorINS6_10device_ptrIKfEEEESL_NS6_8equal_toIfEEEENSG_9not_fun_tINSD_8identityEEEEENSD_19counting_iterator_tIlEES8_S8_S8_S8_S8_S8_S8_S8_EEEEPS9_S9_NSD_9__find_if7functorIS9_EEEE10hipError_tPvRmT1_T2_T3_mT4_P12ihipStream_tbEUlT_E1_NS1_11comp_targetILNS1_3genE2ELNS1_11target_archE906ELNS1_3gpuE6ELNS1_3repE0EEENS1_30default_config_static_selectorELNS0_4arch9wavefront6targetE1EEEvS14_,comdat
	.protected	_ZN7rocprim17ROCPRIM_400000_NS6detail17trampoline_kernelINS0_14default_configENS1_22reduce_config_selectorIN6thrust23THRUST_200600_302600_NS5tupleIblNS6_9null_typeES8_S8_S8_S8_S8_S8_S8_EEEEZNS1_11reduce_implILb1ES3_NS6_12zip_iteratorINS7_INS6_11hip_rocprim26transform_input_iterator_tIbNSD_35transform_pair_of_input_iterators_tIbNS6_6detail15normal_iteratorINS6_10device_ptrIKfEEEESL_NS6_8equal_toIfEEEENSG_9not_fun_tINSD_8identityEEEEENSD_19counting_iterator_tIlEES8_S8_S8_S8_S8_S8_S8_S8_EEEEPS9_S9_NSD_9__find_if7functorIS9_EEEE10hipError_tPvRmT1_T2_T3_mT4_P12ihipStream_tbEUlT_E1_NS1_11comp_targetILNS1_3genE2ELNS1_11target_archE906ELNS1_3gpuE6ELNS1_3repE0EEENS1_30default_config_static_selectorELNS0_4arch9wavefront6targetE1EEEvS14_ ; -- Begin function _ZN7rocprim17ROCPRIM_400000_NS6detail17trampoline_kernelINS0_14default_configENS1_22reduce_config_selectorIN6thrust23THRUST_200600_302600_NS5tupleIblNS6_9null_typeES8_S8_S8_S8_S8_S8_S8_EEEEZNS1_11reduce_implILb1ES3_NS6_12zip_iteratorINS7_INS6_11hip_rocprim26transform_input_iterator_tIbNSD_35transform_pair_of_input_iterators_tIbNS6_6detail15normal_iteratorINS6_10device_ptrIKfEEEESL_NS6_8equal_toIfEEEENSG_9not_fun_tINSD_8identityEEEEENSD_19counting_iterator_tIlEES8_S8_S8_S8_S8_S8_S8_S8_EEEEPS9_S9_NSD_9__find_if7functorIS9_EEEE10hipError_tPvRmT1_T2_T3_mT4_P12ihipStream_tbEUlT_E1_NS1_11comp_targetILNS1_3genE2ELNS1_11target_archE906ELNS1_3gpuE6ELNS1_3repE0EEENS1_30default_config_static_selectorELNS0_4arch9wavefront6targetE1EEEvS14_
	.globl	_ZN7rocprim17ROCPRIM_400000_NS6detail17trampoline_kernelINS0_14default_configENS1_22reduce_config_selectorIN6thrust23THRUST_200600_302600_NS5tupleIblNS6_9null_typeES8_S8_S8_S8_S8_S8_S8_EEEEZNS1_11reduce_implILb1ES3_NS6_12zip_iteratorINS7_INS6_11hip_rocprim26transform_input_iterator_tIbNSD_35transform_pair_of_input_iterators_tIbNS6_6detail15normal_iteratorINS6_10device_ptrIKfEEEESL_NS6_8equal_toIfEEEENSG_9not_fun_tINSD_8identityEEEEENSD_19counting_iterator_tIlEES8_S8_S8_S8_S8_S8_S8_S8_EEEEPS9_S9_NSD_9__find_if7functorIS9_EEEE10hipError_tPvRmT1_T2_T3_mT4_P12ihipStream_tbEUlT_E1_NS1_11comp_targetILNS1_3genE2ELNS1_11target_archE906ELNS1_3gpuE6ELNS1_3repE0EEENS1_30default_config_static_selectorELNS0_4arch9wavefront6targetE1EEEvS14_
	.p2align	8
	.type	_ZN7rocprim17ROCPRIM_400000_NS6detail17trampoline_kernelINS0_14default_configENS1_22reduce_config_selectorIN6thrust23THRUST_200600_302600_NS5tupleIblNS6_9null_typeES8_S8_S8_S8_S8_S8_S8_EEEEZNS1_11reduce_implILb1ES3_NS6_12zip_iteratorINS7_INS6_11hip_rocprim26transform_input_iterator_tIbNSD_35transform_pair_of_input_iterators_tIbNS6_6detail15normal_iteratorINS6_10device_ptrIKfEEEESL_NS6_8equal_toIfEEEENSG_9not_fun_tINSD_8identityEEEEENSD_19counting_iterator_tIlEES8_S8_S8_S8_S8_S8_S8_S8_EEEEPS9_S9_NSD_9__find_if7functorIS9_EEEE10hipError_tPvRmT1_T2_T3_mT4_P12ihipStream_tbEUlT_E1_NS1_11comp_targetILNS1_3genE2ELNS1_11target_archE906ELNS1_3gpuE6ELNS1_3repE0EEENS1_30default_config_static_selectorELNS0_4arch9wavefront6targetE1EEEvS14_,@function
_ZN7rocprim17ROCPRIM_400000_NS6detail17trampoline_kernelINS0_14default_configENS1_22reduce_config_selectorIN6thrust23THRUST_200600_302600_NS5tupleIblNS6_9null_typeES8_S8_S8_S8_S8_S8_S8_EEEEZNS1_11reduce_implILb1ES3_NS6_12zip_iteratorINS7_INS6_11hip_rocprim26transform_input_iterator_tIbNSD_35transform_pair_of_input_iterators_tIbNS6_6detail15normal_iteratorINS6_10device_ptrIKfEEEESL_NS6_8equal_toIfEEEENSG_9not_fun_tINSD_8identityEEEEENSD_19counting_iterator_tIlEES8_S8_S8_S8_S8_S8_S8_S8_EEEEPS9_S9_NSD_9__find_if7functorIS9_EEEE10hipError_tPvRmT1_T2_T3_mT4_P12ihipStream_tbEUlT_E1_NS1_11comp_targetILNS1_3genE2ELNS1_11target_archE906ELNS1_3gpuE6ELNS1_3repE0EEENS1_30default_config_static_selectorELNS0_4arch9wavefront6targetE1EEEvS14_: ; @_ZN7rocprim17ROCPRIM_400000_NS6detail17trampoline_kernelINS0_14default_configENS1_22reduce_config_selectorIN6thrust23THRUST_200600_302600_NS5tupleIblNS6_9null_typeES8_S8_S8_S8_S8_S8_S8_EEEEZNS1_11reduce_implILb1ES3_NS6_12zip_iteratorINS7_INS6_11hip_rocprim26transform_input_iterator_tIbNSD_35transform_pair_of_input_iterators_tIbNS6_6detail15normal_iteratorINS6_10device_ptrIKfEEEESL_NS6_8equal_toIfEEEENSG_9not_fun_tINSD_8identityEEEEENSD_19counting_iterator_tIlEES8_S8_S8_S8_S8_S8_S8_S8_EEEEPS9_S9_NSD_9__find_if7functorIS9_EEEE10hipError_tPvRmT1_T2_T3_mT4_P12ihipStream_tbEUlT_E1_NS1_11comp_targetILNS1_3genE2ELNS1_11target_archE906ELNS1_3gpuE6ELNS1_3repE0EEENS1_30default_config_static_selectorELNS0_4arch9wavefront6targetE1EEEvS14_
; %bb.0:
	s_load_dword s38, s[4:5], 0x4
	s_load_dwordx4 s[24:27], s[4:5], 0x8
	s_load_dwordx4 s[20:23], s[4:5], 0x28
	s_load_dword s33, s[4:5], 0x40
	s_load_dwordx2 s[18:19], s[4:5], 0x48
	s_waitcnt lgkmcnt(0)
	s_cmp_lt_i32 s38, 4
	s_cbranch_scc1 .LBB460_13
; %bb.1:
	s_cmp_gt_i32 s38, 7
	s_cbranch_scc0 .LBB460_14
; %bb.2:
	s_cmp_eq_u32 s38, 8
	s_mov_b64 s[28:29], 0
	s_cbranch_scc0 .LBB460_15
; %bb.3:
	s_mov_b32 s7, 0
	s_lshl_b32 s36, s6, 10
	s_mov_b32 s37, s7
	s_lshr_b64 s[0:1], s[22:23], 10
	s_lshl_b64 s[2:3], s[36:37], 2
	s_add_u32 s30, s24, s2
	s_addc_u32 s31, s25, s3
	s_add_u32 s34, s26, s2
	s_addc_u32 s35, s27, s3
	;; [unrolled: 2-line block ×3, first 2 shown]
	s_cmp_lg_u64 s[0:1], s[6:7]
	s_cbranch_scc0 .LBB460_28
; %bb.4:
	v_lshlrev_b32_e32 v1, 2, v0
	global_load_dword v2, v1, s[30:31] offset:1024
	global_load_dword v3, v1, s[30:31] offset:2048
	;; [unrolled: 1-line block ×14, first 2 shown]
	global_load_dword v16, v1, s[30:31]
	s_nop 0
	global_load_dword v1, v1, s[34:35]
	v_mov_b32_e32 v18, 0x100
	v_mov_b32_e32 v19, 0x80
	;; [unrolled: 1-line block ×7, first 2 shown]
	s_waitcnt vmcnt(13)
	v_cmp_neq_f32_e32 vcc, v2, v4
	v_mbcnt_lo_u32_b32 v4, -1, 0
	s_waitcnt vmcnt(12)
	v_cmp_neq_f32_e64 s[0:1], v3, v5
	v_add_co_u32_e64 v5, s[2:3], s40, v0
	v_mbcnt_hi_u32_b32 v3, -1, v4
	v_addc_co_u32_e64 v17, s[2:3], 0, v17, s[2:3]
	s_waitcnt vmcnt(6)
	v_cmp_neq_f32_e64 s[2:3], v11, v6
	s_waitcnt vmcnt(4)
	v_cmp_neq_f32_e64 s[14:15], v13, v8
	;; [unrolled: 2-line block ×4, first 2 shown]
	v_cndmask_b32_e64 v4, v18, v19, s[10:11]
	s_waitcnt vmcnt(0)
	v_cmp_neq_f32_e64 s[16:17], v16, v1
	s_or_b64 s[10:11], s[16:17], s[10:11]
	s_or_b64 vcc, s[10:11], vcc
	v_cndmask_b32_e64 v6, v20, v21, s[12:13]
	v_cndmask_b32_e64 v1, v4, 0, s[16:17]
	s_or_b64 s[10:11], vcc, s[12:13]
	v_cndmask_b32_e32 v1, v6, v1, vcc
	s_or_b64 vcc, s[10:11], s[0:1]
	v_cmp_neq_f32_e64 s[8:9], v12, v7
	v_cndmask_b32_e64 v7, v22, v23, s[14:15]
	s_or_b64 s[0:1], vcc, s[14:15]
	v_mov_b32_e32 v2, 0x380
	v_cndmask_b32_e32 v1, v7, v1, vcc
	s_or_b64 vcc, s[0:1], s[2:3]
	v_cndmask_b32_e32 v1, v2, v1, vcc
	v_add_co_u32_e64 v1, s[0:1], v5, v1
	v_addc_co_u32_e64 v2, s[0:1], 0, v17, s[0:1]
	s_or_b64 s[0:1], vcc, s[8:9]
	v_mov_b32_dpp v4, v1 quad_perm:[1,0,3,2] row_mask:0xf bank_mask:0xf bound_ctrl:1
	v_mov_b32_dpp v5, v2 quad_perm:[1,0,3,2] row_mask:0xf bank_mask:0xf bound_ctrl:1
	v_cndmask_b32_e64 v6, 0, 1, s[0:1]
	v_cmp_lt_i64_e32 vcc, v[1:2], v[4:5]
	s_and_b64 vcc, s[0:1], vcc
	v_mov_b32_dpp v7, v6 quad_perm:[1,0,3,2] row_mask:0xf bank_mask:0xf bound_ctrl:1
	v_and_b32_e32 v7, 1, v7
	v_cndmask_b32_e32 v4, v4, v1, vcc
	v_cndmask_b32_e32 v5, v5, v2, vcc
	v_cmp_eq_u32_e32 vcc, 1, v7
	v_cndmask_b32_e32 v2, v2, v5, vcc
	v_cndmask_b32_e32 v1, v1, v4, vcc
	v_cndmask_b32_e64 v6, v6, 1, vcc
	v_mov_b32_dpp v5, v2 quad_perm:[2,3,0,1] row_mask:0xf bank_mask:0xf bound_ctrl:1
	v_mov_b32_dpp v4, v1 quad_perm:[2,3,0,1] row_mask:0xf bank_mask:0xf bound_ctrl:1
	v_and_b32_e32 v8, 1, v6
	v_cmp_lt_i64_e64 s[0:1], v[1:2], v[4:5]
	v_mov_b32_dpp v7, v6 quad_perm:[2,3,0,1] row_mask:0xf bank_mask:0xf bound_ctrl:1
	v_cmp_eq_u32_e32 vcc, 1, v8
	v_and_b32_e32 v7, 1, v7
	s_and_b64 vcc, vcc, s[0:1]
	v_cmp_eq_u32_e64 s[2:3], 1, v7
	v_cndmask_b32_e32 v4, v4, v1, vcc
	v_cndmask_b32_e32 v5, v5, v2, vcc
	v_cndmask_b32_e64 v1, v1, v4, s[2:3]
	v_cndmask_b32_e64 v2, v2, v5, s[2:3]
	;; [unrolled: 1-line block ×3, first 2 shown]
	v_mov_b32_dpp v4, v1 row_ror:4 row_mask:0xf bank_mask:0xf bound_ctrl:1
	v_mov_b32_dpp v5, v2 row_ror:4 row_mask:0xf bank_mask:0xf bound_ctrl:1
	v_and_b32_e32 v8, 1, v6
	v_cmp_lt_i64_e64 s[2:3], v[1:2], v[4:5]
	v_mov_b32_dpp v7, v6 row_ror:4 row_mask:0xf bank_mask:0xf bound_ctrl:1
	v_cmp_eq_u32_e32 vcc, 1, v8
	v_and_b32_e32 v7, 1, v7
	s_and_b64 vcc, vcc, s[2:3]
	v_cmp_eq_u32_e64 s[0:1], 1, v7
	v_cndmask_b32_e32 v4, v4, v1, vcc
	v_cndmask_b32_e32 v5, v5, v2, vcc
	v_cndmask_b32_e64 v1, v1, v4, s[0:1]
	v_cndmask_b32_e64 v2, v2, v5, s[0:1]
	;; [unrolled: 1-line block ×3, first 2 shown]
	v_mov_b32_dpp v4, v1 row_ror:8 row_mask:0xf bank_mask:0xf bound_ctrl:1
	v_mov_b32_dpp v5, v2 row_ror:8 row_mask:0xf bank_mask:0xf bound_ctrl:1
	v_and_b32_e32 v8, 1, v6
	v_cmp_lt_i64_e32 vcc, v[1:2], v[4:5]
	v_mov_b32_dpp v7, v6 row_ror:8 row_mask:0xf bank_mask:0xf bound_ctrl:1
	v_cmp_eq_u32_e64 s[8:9], 1, v8
	v_and_b32_e32 v7, 1, v7
	s_and_b64 vcc, s[8:9], vcc
	v_cmp_eq_u32_e64 s[10:11], 1, v7
	v_cndmask_b32_e32 v4, v4, v1, vcc
	v_cndmask_b32_e32 v5, v5, v2, vcc
	v_cndmask_b32_e64 v1, v1, v4, s[10:11]
	v_cndmask_b32_e64 v2, v2, v5, s[10:11]
	;; [unrolled: 1-line block ×3, first 2 shown]
	v_mov_b32_dpp v4, v1 row_bcast:15 row_mask:0xf bank_mask:0xf bound_ctrl:1
	v_mov_b32_dpp v5, v2 row_bcast:15 row_mask:0xf bank_mask:0xf bound_ctrl:1
	v_and_b32_e32 v8, 1, v6
	v_cmp_lt_i64_e64 s[0:1], v[1:2], v[4:5]
	v_mov_b32_dpp v7, v6 row_bcast:15 row_mask:0xf bank_mask:0xf bound_ctrl:1
	v_cmp_eq_u32_e32 vcc, 1, v8
	v_and_b32_e32 v7, 1, v7
	s_and_b64 vcc, vcc, s[0:1]
	v_cmp_eq_u32_e64 s[2:3], 1, v7
	v_cndmask_b32_e32 v4, v4, v1, vcc
	v_cndmask_b32_e32 v5, v5, v2, vcc
	v_cndmask_b32_e64 v2, v2, v5, s[2:3]
	v_cndmask_b32_e64 v1, v1, v4, s[2:3]
	;; [unrolled: 1-line block ×3, first 2 shown]
	v_mov_b32_dpp v5, v2 row_bcast:31 row_mask:0xf bank_mask:0xf bound_ctrl:1
	v_mov_b32_dpp v4, v1 row_bcast:31 row_mask:0xf bank_mask:0xf bound_ctrl:1
	v_and_b32_e32 v8, 1, v6
	v_cmp_lt_i64_e64 s[0:1], v[1:2], v[4:5]
	v_mov_b32_dpp v7, v6 row_bcast:31 row_mask:0xf bank_mask:0xf bound_ctrl:1
	v_cmp_eq_u32_e32 vcc, 1, v8
	v_and_b32_e32 v7, 1, v7
	s_and_b64 vcc, vcc, s[0:1]
	v_cmp_eq_u32_e64 s[2:3], 1, v7
	v_cndmask_b32_e32 v5, v5, v2, vcc
	v_cndmask_b32_e32 v4, v4, v1, vcc
	v_cndmask_b32_e64 v2, v2, v5, s[2:3]
	v_lshlrev_b32_e32 v5, 2, v3
	v_cndmask_b32_e64 v6, v6, 1, s[2:3]
	v_cndmask_b32_e64 v1, v1, v4, s[2:3]
	v_or_b32_e32 v4, 0xfc, v5
	ds_bpermute_b32 v17, v4, v6
	ds_bpermute_b32 v1, v4, v1
	;; [unrolled: 1-line block ×3, first 2 shown]
	v_cmp_eq_u32_e32 vcc, 0, v3
	s_and_saveexec_b64 s[0:1], vcc
	s_cbranch_execz .LBB460_6
; %bb.5:
	v_lshrrev_b32_e32 v4, 2, v0
	v_and_b32_e32 v4, 16, v4
	s_waitcnt lgkmcnt(2)
	ds_write_b8 v4, v17 offset:96
	s_waitcnt lgkmcnt(1)
	ds_write_b64 v4, v[1:2] offset:104
.LBB460_6:
	s_or_b64 exec, exec, s[0:1]
	v_cmp_gt_u32_e32 vcc, 64, v0
	s_waitcnt lgkmcnt(0)
	s_barrier
	s_and_saveexec_b64 s[0:1], vcc
	s_cbranch_execz .LBB460_12
; %bb.7:
	v_and_b32_e32 v1, 1, v3
	v_lshlrev_b32_e32 v1, 4, v1
	ds_read_u8 v7, v1 offset:96
	ds_read_b64 v[3:4], v1 offset:104
	v_or_b32_e32 v2, 4, v5
	s_waitcnt lgkmcnt(1)
	v_and_b32_e32 v1, 0xff, v7
	ds_bpermute_b32 v8, v2, v1
	s_waitcnt lgkmcnt(1)
	ds_bpermute_b32 v5, v2, v3
	ds_bpermute_b32 v6, v2, v4
	s_waitcnt lgkmcnt(2)
	v_and_b32_e32 v1, v7, v8
	v_and_b32_e32 v1, 1, v1
	v_cmp_eq_u32_e32 vcc, 1, v1
                                        ; implicit-def: $vgpr1_vgpr2
	s_and_saveexec_b64 s[2:3], vcc
	s_xor_b64 s[2:3], exec, s[2:3]
	s_cbranch_execz .LBB460_9
; %bb.8:
	s_waitcnt lgkmcnt(0)
	v_cmp_lt_i64_e32 vcc, v[5:6], v[3:4]
                                        ; implicit-def: $vgpr7
                                        ; implicit-def: $vgpr8
	v_cndmask_b32_e32 v2, v4, v6, vcc
	v_cndmask_b32_e32 v1, v3, v5, vcc
                                        ; implicit-def: $vgpr5_vgpr6
                                        ; implicit-def: $vgpr3_vgpr4
.LBB460_9:
	s_or_saveexec_b64 s[2:3], s[2:3]
	v_mov_b32_e32 v17, 1
	s_xor_b64 exec, exec, s[2:3]
	s_cbranch_execz .LBB460_11
; %bb.10:
	v_and_b32_e32 v1, 1, v7
	v_cmp_eq_u32_e32 vcc, 1, v1
	s_waitcnt lgkmcnt(0)
	v_cndmask_b32_e32 v2, v6, v4, vcc
	v_cndmask_b32_e32 v1, v5, v3, vcc
	v_cndmask_b32_e64 v17, v8, 1, vcc
.LBB460_11:
	s_or_b64 exec, exec, s[2:3]
.LBB460_12:
	s_or_b64 exec, exec, s[0:1]
	s_branch .LBB460_145
.LBB460_13:
	s_mov_b64 s[14:15], 0
                                        ; implicit-def: $vgpr3_vgpr4
                                        ; implicit-def: $vgpr5
                                        ; implicit-def: $vgpr1_vgpr2
	s_cbranch_execnz .LBB460_219
	s_branch .LBB460_306
.LBB460_14:
	s_mov_b64 s[28:29], -1
.LBB460_15:
	s_mov_b64 s[14:15], 0
                                        ; implicit-def: $vgpr3_vgpr4
                                        ; implicit-def: $vgpr5
                                        ; implicit-def: $vgpr1_vgpr2
	s_and_b64 vcc, exec, s[28:29]
	s_cbranch_vccz .LBB460_150
.LBB460_16:
	s_cmp_eq_u32 s38, 4
	s_cbranch_scc0 .LBB460_27
; %bb.17:
	s_mov_b32 s7, 0
	s_lshl_b32 s30, s6, 9
	s_mov_b32 s31, s7
	s_lshr_b64 s[0:1], s[22:23], 9
	s_lshl_b64 s[2:3], s[30:31], 2
	s_add_u32 s16, s24, s2
	s_addc_u32 s17, s25, s3
	s_add_u32 s28, s26, s2
	s_addc_u32 s29, s27, s3
	;; [unrolled: 2-line block ×3, first 2 shown]
	s_cmp_lg_u64 s[0:1], s[6:7]
	s_cbranch_scc0 .LBB460_51
; %bb.18:
	v_lshlrev_b32_e32 v1, 2, v0
	global_load_dword v2, v1, s[28:29] offset:512
	s_waitcnt lgkmcnt(0)
	global_load_dword v4, v1, s[16:17] offset:1024
	global_load_dword v6, v1, s[28:29] offset:1024
	;; [unrolled: 1-line block ×5, first 2 shown]
	global_load_dword v10, v1, s[28:29]
	global_load_dword v11, v1, s[16:17]
	v_mov_b32_e32 v1, s34
	v_add_co_u32_e32 v15, vcc, s31, v0
	v_mov_b32_e32 v12, 0x100
	v_mov_b32_e32 v13, 0x80
	v_addc_co_u32_e32 v16, vcc, 0, v1, vcc
	v_mov_b32_e32 v14, 0x180
	v_mbcnt_lo_u32_b32 v3, -1, 0
	v_mbcnt_hi_u32_b32 v3, -1, v3
	v_lshlrev_b32_e32 v5, 2, v3
	v_or_b32_e32 v17, 0xfc, v5
	s_waitcnt vmcnt(5)
	v_cmp_neq_f32_e32 vcc, v4, v6
	s_waitcnt vmcnt(3)
	v_cmp_neq_f32_e64 s[0:1], v8, v7
	s_waitcnt vmcnt(2)
	v_cmp_neq_f32_e64 s[2:3], v9, v2
	v_cndmask_b32_e64 v1, v12, v13, s[2:3]
	s_waitcnt vmcnt(0)
	v_cmp_neq_f32_e64 s[8:9], v11, v10
	s_or_b64 s[2:3], s[8:9], s[2:3]
	v_cndmask_b32_e64 v1, v1, 0, s[8:9]
	s_or_b64 vcc, s[2:3], vcc
	v_cndmask_b32_e32 v1, v14, v1, vcc
	v_add_co_u32_e64 v1, s[2:3], v15, v1
	v_addc_co_u32_e64 v2, s[2:3], 0, v16, s[2:3]
	s_or_b64 s[0:1], vcc, s[0:1]
	v_mov_b32_dpp v6, v1 quad_perm:[1,0,3,2] row_mask:0xf bank_mask:0xf bound_ctrl:1
	v_mov_b32_dpp v7, v2 quad_perm:[1,0,3,2] row_mask:0xf bank_mask:0xf bound_ctrl:1
	v_cndmask_b32_e64 v4, 0, 1, s[0:1]
	v_cmp_lt_i64_e32 vcc, v[1:2], v[6:7]
	s_and_b64 vcc, s[0:1], vcc
	v_mov_b32_dpp v8, v4 quad_perm:[1,0,3,2] row_mask:0xf bank_mask:0xf bound_ctrl:1
	v_and_b32_e32 v8, 1, v8
	v_cndmask_b32_e32 v6, v6, v1, vcc
	v_cndmask_b32_e32 v7, v7, v2, vcc
	v_cmp_eq_u32_e32 vcc, 1, v8
	v_cndmask_b32_e32 v2, v2, v7, vcc
	v_cndmask_b32_e32 v1, v1, v6, vcc
	v_cndmask_b32_e64 v4, v4, 1, vcc
	v_mov_b32_dpp v7, v2 quad_perm:[2,3,0,1] row_mask:0xf bank_mask:0xf bound_ctrl:1
	v_mov_b32_dpp v6, v1 quad_perm:[2,3,0,1] row_mask:0xf bank_mask:0xf bound_ctrl:1
	v_and_b32_e32 v9, 1, v4
	v_cmp_lt_i64_e64 s[0:1], v[1:2], v[6:7]
	v_mov_b32_dpp v8, v4 quad_perm:[2,3,0,1] row_mask:0xf bank_mask:0xf bound_ctrl:1
	v_cmp_eq_u32_e32 vcc, 1, v9
	v_and_b32_e32 v8, 1, v8
	s_and_b64 vcc, vcc, s[0:1]
	v_cmp_eq_u32_e64 s[2:3], 1, v8
	v_cndmask_b32_e32 v6, v6, v1, vcc
	v_cndmask_b32_e32 v7, v7, v2, vcc
	v_cndmask_b32_e64 v1, v1, v6, s[2:3]
	v_cndmask_b32_e64 v2, v2, v7, s[2:3]
	;; [unrolled: 1-line block ×3, first 2 shown]
	v_mov_b32_dpp v6, v1 row_ror:4 row_mask:0xf bank_mask:0xf bound_ctrl:1
	v_mov_b32_dpp v7, v2 row_ror:4 row_mask:0xf bank_mask:0xf bound_ctrl:1
	v_and_b32_e32 v9, 1, v4
	v_cmp_lt_i64_e64 s[2:3], v[1:2], v[6:7]
	v_mov_b32_dpp v8, v4 row_ror:4 row_mask:0xf bank_mask:0xf bound_ctrl:1
	v_cmp_eq_u32_e32 vcc, 1, v9
	v_and_b32_e32 v8, 1, v8
	s_and_b64 vcc, vcc, s[2:3]
	v_cmp_eq_u32_e64 s[0:1], 1, v8
	v_cndmask_b32_e32 v6, v6, v1, vcc
	v_cndmask_b32_e32 v7, v7, v2, vcc
	v_cndmask_b32_e64 v1, v1, v6, s[0:1]
	v_cndmask_b32_e64 v2, v2, v7, s[0:1]
	;; [unrolled: 1-line block ×3, first 2 shown]
	v_mov_b32_dpp v6, v1 row_ror:8 row_mask:0xf bank_mask:0xf bound_ctrl:1
	v_mov_b32_dpp v7, v2 row_ror:8 row_mask:0xf bank_mask:0xf bound_ctrl:1
	v_and_b32_e32 v9, 1, v4
	v_cmp_lt_i64_e64 s[2:3], v[1:2], v[6:7]
	v_mov_b32_dpp v8, v4 row_ror:8 row_mask:0xf bank_mask:0xf bound_ctrl:1
	v_cmp_eq_u32_e64 s[8:9], 1, v9
	v_and_b32_e32 v8, 1, v8
	s_and_b64 s[2:3], s[8:9], s[2:3]
	v_cmp_eq_u32_e64 s[10:11], 1, v8
	v_cndmask_b32_e64 v6, v6, v1, s[2:3]
	v_cndmask_b32_e64 v7, v7, v2, s[2:3]
	v_cndmask_b32_e64 v1, v1, v6, s[10:11]
	v_cndmask_b32_e64 v2, v2, v7, s[10:11]
	v_cndmask_b32_e64 v4, v4, 1, s[10:11]
	v_mov_b32_dpp v6, v1 row_bcast:15 row_mask:0xf bank_mask:0xf bound_ctrl:1
	v_mov_b32_dpp v7, v2 row_bcast:15 row_mask:0xf bank_mask:0xf bound_ctrl:1
	v_and_b32_e32 v9, 1, v4
	v_cmp_lt_i64_e64 s[2:3], v[1:2], v[6:7]
	v_mov_b32_dpp v8, v4 row_bcast:15 row_mask:0xf bank_mask:0xf bound_ctrl:1
	v_cmp_eq_u32_e32 vcc, 1, v9
	v_and_b32_e32 v8, 1, v8
	s_and_b64 vcc, vcc, s[2:3]
	v_cmp_eq_u32_e64 s[0:1], 1, v8
	v_cndmask_b32_e32 v6, v6, v1, vcc
	v_cndmask_b32_e32 v7, v7, v2, vcc
	v_cndmask_b32_e64 v4, v4, 1, s[0:1]
	v_cndmask_b32_e64 v1, v1, v6, s[0:1]
	;; [unrolled: 1-line block ×3, first 2 shown]
	v_mov_b32_dpp v8, v4 row_bcast:31 row_mask:0xf bank_mask:0xf bound_ctrl:1
	v_mov_b32_dpp v6, v1 row_bcast:31 row_mask:0xf bank_mask:0xf bound_ctrl:1
	;; [unrolled: 1-line block ×3, first 2 shown]
	v_and_b32_e32 v9, 1, v4
	v_and_b32_e32 v8, 1, v8
	v_cmp_lt_i64_e32 vcc, v[1:2], v[6:7]
	v_cmp_eq_u32_e64 s[12:13], 1, v9
	v_cmp_eq_u32_e64 s[8:9], 1, v8
	v_cndmask_b32_e64 v4, v4, 1, s[8:9]
	s_and_b64 vcc, s[12:13], vcc
	ds_bpermute_b32 v9, v17, v4
	v_cndmask_b32_e32 v4, v6, v1, vcc
	v_cndmask_b32_e32 v6, v7, v2, vcc
	v_cndmask_b32_e64 v1, v1, v4, s[8:9]
	v_cndmask_b32_e64 v2, v2, v6, s[8:9]
	ds_bpermute_b32 v1, v17, v1
	ds_bpermute_b32 v2, v17, v2
	v_cmp_eq_u32_e32 vcc, 0, v3
	s_and_saveexec_b64 s[0:1], vcc
	s_cbranch_execz .LBB460_20
; %bb.19:
	v_lshrrev_b32_e32 v4, 2, v0
	v_and_b32_e32 v4, 16, v4
	s_waitcnt lgkmcnt(2)
	ds_write_b8 v4, v9 offset:64
	s_waitcnt lgkmcnt(1)
	ds_write_b64 v4, v[1:2] offset:72
.LBB460_20:
	s_or_b64 exec, exec, s[0:1]
	v_cmp_gt_u32_e32 vcc, 64, v0
	s_waitcnt lgkmcnt(0)
	s_barrier
	s_and_saveexec_b64 s[0:1], vcc
	s_cbranch_execz .LBB460_26
; %bb.21:
	v_and_b32_e32 v1, 1, v3
	v_lshlrev_b32_e32 v1, 4, v1
	ds_read_u8 v7, v1 offset:64
	ds_read_b64 v[3:4], v1 offset:72
	v_or_b32_e32 v2, 4, v5
	s_waitcnt lgkmcnt(1)
	v_and_b32_e32 v1, 0xff, v7
	ds_bpermute_b32 v8, v2, v1
	s_waitcnt lgkmcnt(1)
	ds_bpermute_b32 v5, v2, v3
	ds_bpermute_b32 v6, v2, v4
	s_waitcnt lgkmcnt(2)
	v_and_b32_e32 v1, v7, v8
	v_and_b32_e32 v1, 1, v1
	v_cmp_eq_u32_e32 vcc, 1, v1
                                        ; implicit-def: $vgpr1_vgpr2
	s_and_saveexec_b64 s[2:3], vcc
	s_xor_b64 s[2:3], exec, s[2:3]
	s_cbranch_execz .LBB460_23
; %bb.22:
	s_waitcnt lgkmcnt(0)
	v_cmp_lt_i64_e32 vcc, v[5:6], v[3:4]
                                        ; implicit-def: $vgpr7
                                        ; implicit-def: $vgpr8
	v_cndmask_b32_e32 v2, v4, v6, vcc
	v_cndmask_b32_e32 v1, v3, v5, vcc
                                        ; implicit-def: $vgpr5_vgpr6
                                        ; implicit-def: $vgpr3_vgpr4
.LBB460_23:
	s_or_saveexec_b64 s[2:3], s[2:3]
	v_mov_b32_e32 v9, 1
	s_xor_b64 exec, exec, s[2:3]
	s_cbranch_execz .LBB460_25
; %bb.24:
	v_and_b32_e32 v1, 1, v7
	v_cmp_eq_u32_e32 vcc, 1, v1
	s_waitcnt lgkmcnt(0)
	v_cndmask_b32_e32 v2, v6, v4, vcc
	v_cndmask_b32_e32 v1, v5, v3, vcc
	v_cndmask_b32_e64 v9, v8, 1, vcc
.LBB460_25:
	s_or_b64 exec, exec, s[2:3]
.LBB460_26:
	s_or_b64 exec, exec, s[0:1]
	s_branch .LBB460_214
.LBB460_27:
                                        ; implicit-def: $vgpr3_vgpr4
                                        ; implicit-def: $vgpr5
                                        ; implicit-def: $vgpr1_vgpr2
	s_branch .LBB460_306
.LBB460_28:
                                        ; implicit-def: $vgpr1_vgpr2
                                        ; implicit-def: $vgpr17
	s_cbranch_execz .LBB460_145
; %bb.29:
	s_sub_i32 s39, s22, s36
	v_mov_b32_e32 v15, 0
	v_mov_b32_e32 v1, 0
	v_cmp_gt_u32_e32 vcc, s39, v0
	v_mov_b32_e32 v24, 0
	v_mov_b32_e32 v16, 0
	;; [unrolled: 1-line block ×4, first 2 shown]
	s_and_saveexec_b64 s[0:1], vcc
	s_cbranch_execz .LBB460_31
; %bb.30:
	v_lshlrev_b32_e32 v1, 2, v0
	global_load_dword v3, v1, s[30:31]
	global_load_dword v4, v1, s[34:35]
	v_mov_b32_e32 v2, s41
	v_add_co_u32_e32 v1, vcc, s40, v0
	v_addc_co_u32_e32 v2, vcc, 0, v2, vcc
	s_waitcnt vmcnt(0)
	v_cmp_neq_f32_e32 vcc, v3, v4
	v_cndmask_b32_e64 v17, 0, 1, vcc
.LBB460_31:
	s_or_b64 exec, exec, s[0:1]
	v_or_b32_e32 v3, 0x80, v0
	v_cmp_gt_u32_e64 s[14:15], s39, v3
	s_and_saveexec_b64 s[0:1], s[14:15]
	s_cbranch_execz .LBB460_33
; %bb.32:
	v_lshlrev_b32_e32 v4, 2, v0
	s_waitcnt lgkmcnt(1)
	global_load_dword v5, v4, s[30:31] offset:512
	s_waitcnt lgkmcnt(0)
	global_load_dword v6, v4, s[34:35] offset:512
	v_mov_b32_e32 v4, s41
	v_add_co_u32_e32 v15, vcc, s40, v3
	v_addc_co_u32_e32 v16, vcc, 0, v4, vcc
	s_waitcnt vmcnt(0)
	v_cmp_neq_f32_e32 vcc, v5, v6
	v_cndmask_b32_e64 v24, 0, 1, vcc
.LBB460_33:
	s_or_b64 exec, exec, s[0:1]
	v_or_b32_e32 v3, 0x100, v0
	v_mov_b32_e32 v11, 0
	v_mov_b32_e32 v13, 0
	v_cmp_gt_u32_e64 s[12:13], s39, v3
	v_mov_b32_e32 v22, 0
	v_mov_b32_e32 v12, 0
	;; [unrolled: 1-line block ×4, first 2 shown]
	s_and_saveexec_b64 s[0:1], s[12:13]
	s_cbranch_execz .LBB460_35
; %bb.34:
	v_lshlrev_b32_e32 v4, 2, v0
	s_waitcnt lgkmcnt(1)
	global_load_dword v5, v4, s[30:31] offset:1024
	s_waitcnt lgkmcnt(0)
	global_load_dword v6, v4, s[34:35] offset:1024
	v_mov_b32_e32 v4, s41
	v_add_co_u32_e32 v13, vcc, s40, v3
	v_addc_co_u32_e32 v14, vcc, 0, v4, vcc
	s_waitcnt vmcnt(0)
	v_cmp_neq_f32_e32 vcc, v5, v6
	v_cndmask_b32_e64 v23, 0, 1, vcc
.LBB460_35:
	s_or_b64 exec, exec, s[0:1]
	v_or_b32_e32 v3, 0x180, v0
	v_cmp_gt_u32_e64 s[10:11], s39, v3
	s_and_saveexec_b64 s[0:1], s[10:11]
	s_cbranch_execz .LBB460_37
; %bb.36:
	v_lshlrev_b32_e32 v4, 2, v0
	s_waitcnt lgkmcnt(1)
	global_load_dword v5, v4, s[30:31] offset:1536
	s_waitcnt lgkmcnt(0)
	global_load_dword v6, v4, s[34:35] offset:1536
	v_mov_b32_e32 v4, s41
	v_add_co_u32_e32 v11, vcc, s40, v3
	v_addc_co_u32_e32 v12, vcc, 0, v4, vcc
	s_waitcnt vmcnt(0)
	v_cmp_neq_f32_e32 vcc, v5, v6
	v_cndmask_b32_e64 v22, 0, 1, vcc
.LBB460_37:
	s_or_b64 exec, exec, s[0:1]
	v_or_b32_e32 v3, 0x200, v0
	v_mov_b32_e32 v7, 0
	v_mov_b32_e32 v9, 0
	v_cmp_gt_u32_e64 s[8:9], s39, v3
	v_mov_b32_e32 v20, 0
	v_mov_b32_e32 v8, 0
	;; [unrolled: 1-line block ×4, first 2 shown]
	s_and_saveexec_b64 s[0:1], s[8:9]
	s_cbranch_execz .LBB460_39
; %bb.38:
	v_lshlrev_b32_e32 v4, 2, v0
	s_waitcnt lgkmcnt(1)
	global_load_dword v5, v4, s[30:31] offset:2048
	s_waitcnt lgkmcnt(0)
	global_load_dword v6, v4, s[34:35] offset:2048
	v_mov_b32_e32 v4, s41
	v_add_co_u32_e32 v9, vcc, s40, v3
	v_addc_co_u32_e32 v10, vcc, 0, v4, vcc
	s_waitcnt vmcnt(0)
	v_cmp_neq_f32_e32 vcc, v5, v6
	v_cndmask_b32_e64 v21, 0, 1, vcc
.LBB460_39:
	s_or_b64 exec, exec, s[0:1]
	v_or_b32_e32 v3, 0x280, v0
	v_cmp_gt_u32_e64 s[2:3], s39, v3
	s_and_saveexec_b64 s[0:1], s[2:3]
	s_cbranch_execz .LBB460_41
; %bb.40:
	v_lshlrev_b32_e32 v4, 2, v0
	s_waitcnt lgkmcnt(1)
	global_load_dword v5, v4, s[30:31] offset:2560
	s_waitcnt lgkmcnt(0)
	global_load_dword v6, v4, s[34:35] offset:2560
	v_mov_b32_e32 v4, s41
	v_add_co_u32_e32 v7, vcc, s40, v3
	v_addc_co_u32_e32 v8, vcc, 0, v4, vcc
	s_waitcnt vmcnt(0)
	v_cmp_neq_f32_e32 vcc, v5, v6
	v_cndmask_b32_e64 v20, 0, 1, vcc
.LBB460_41:
	s_or_b64 exec, exec, s[0:1]
	v_or_b32_e32 v25, 0x300, v0
	v_mov_b32_e32 v3, 0
	s_waitcnt lgkmcnt(0)
	v_mov_b32_e32 v5, 0
	v_cmp_gt_u32_e64 s[0:1], s39, v25
	v_mov_b32_e32 v4, 0
	v_mov_b32_e32 v18, 0
	;; [unrolled: 1-line block ×4, first 2 shown]
	s_and_saveexec_b64 s[16:17], s[0:1]
	s_cbranch_execz .LBB460_43
; %bb.42:
	v_lshlrev_b32_e32 v5, 2, v0
	global_load_dword v19, v5, s[30:31] offset:3072
	global_load_dword v26, v5, s[34:35] offset:3072
	v_mov_b32_e32 v6, s41
	v_add_co_u32_e32 v5, vcc, s40, v25
	v_addc_co_u32_e32 v6, vcc, 0, v6, vcc
	s_waitcnt vmcnt(0)
	v_cmp_neq_f32_e32 vcc, v19, v26
	v_cndmask_b32_e64 v19, 0, 1, vcc
.LBB460_43:
	s_or_b64 exec, exec, s[16:17]
	v_or_b32_e32 v25, 0x380, v0
	v_cmp_gt_u32_e32 vcc, s39, v25
	s_and_saveexec_b64 s[36:37], vcc
	s_cbranch_execnz .LBB460_62
; %bb.44:
	s_or_b64 exec, exec, s[36:37]
	s_and_saveexec_b64 s[30:31], s[14:15]
	s_cbranch_execnz .LBB460_63
.LBB460_45:
	s_or_b64 exec, exec, s[30:31]
	s_and_saveexec_b64 s[16:17], s[12:13]
	s_cbranch_execnz .LBB460_68
.LBB460_46:
	s_or_b64 exec, exec, s[16:17]
	s_and_saveexec_b64 s[14:15], s[10:11]
	s_cbranch_execnz .LBB460_73
.LBB460_47:
	s_or_b64 exec, exec, s[14:15]
	s_and_saveexec_b64 s[12:13], s[8:9]
	s_cbranch_execnz .LBB460_78
.LBB460_48:
	s_or_b64 exec, exec, s[12:13]
	s_and_saveexec_b64 s[10:11], s[2:3]
	s_cbranch_execnz .LBB460_83
.LBB460_49:
	s_or_b64 exec, exec, s[10:11]
	s_and_saveexec_b64 s[8:9], s[0:1]
	s_cbranch_execnz .LBB460_88
.LBB460_50:
	s_or_b64 exec, exec, s[8:9]
	s_and_saveexec_b64 s[2:3], vcc
	s_cbranch_execnz .LBB460_93
	s_branch .LBB460_98
.LBB460_51:
                                        ; implicit-def: $vgpr1_vgpr2
                                        ; implicit-def: $vgpr9
	s_cbranch_execz .LBB460_214
; %bb.52:
	s_sub_i32 s12, s22, s30
	s_waitcnt lgkmcnt(1)
	v_mov_b32_e32 v7, 0
	v_mov_b32_e32 v1, 0
	v_cmp_gt_u32_e32 vcc, s12, v0
	v_mov_b32_e32 v12, 0
	v_mov_b32_e32 v8, 0
	;; [unrolled: 1-line block ×4, first 2 shown]
	s_and_saveexec_b64 s[0:1], vcc
	s_cbranch_execz .LBB460_54
; %bb.53:
	v_lshlrev_b32_e32 v1, 2, v0
	global_load_dword v3, v1, s[16:17]
	s_waitcnt lgkmcnt(0)
	global_load_dword v4, v1, s[28:29]
	v_mov_b32_e32 v2, s34
	v_add_co_u32_e32 v1, vcc, s31, v0
	v_addc_co_u32_e32 v2, vcc, 0, v2, vcc
	s_waitcnt vmcnt(0)
	v_cmp_neq_f32_e32 vcc, v3, v4
	v_cndmask_b32_e64 v9, 0, 1, vcc
.LBB460_54:
	s_or_b64 exec, exec, s[0:1]
	v_or_b32_e32 v3, 0x80, v0
	v_cmp_gt_u32_e64 s[2:3], s12, v3
	s_and_saveexec_b64 s[0:1], s[2:3]
	s_cbranch_execz .LBB460_56
; %bb.55:
	s_waitcnt lgkmcnt(0)
	v_lshlrev_b32_e32 v4, 2, v0
	global_load_dword v5, v4, s[16:17] offset:512
	global_load_dword v6, v4, s[28:29] offset:512
	v_mov_b32_e32 v4, s34
	v_add_co_u32_e32 v7, vcc, s31, v3
	v_addc_co_u32_e32 v8, vcc, 0, v4, vcc
	s_waitcnt vmcnt(0)
	v_cmp_neq_f32_e32 vcc, v5, v6
	v_cndmask_b32_e64 v12, 0, 1, vcc
.LBB460_56:
	s_or_b64 exec, exec, s[0:1]
	v_or_b32_e32 v13, 0x100, v0
	s_waitcnt lgkmcnt(0)
	v_mov_b32_e32 v3, 0
	v_mov_b32_e32 v5, 0
	v_cmp_gt_u32_e64 s[0:1], s12, v13
	v_mov_b32_e32 v10, 0
	v_mov_b32_e32 v4, 0
	;; [unrolled: 1-line block ×4, first 2 shown]
	s_and_saveexec_b64 s[8:9], s[0:1]
	s_cbranch_execz .LBB460_58
; %bb.57:
	v_lshlrev_b32_e32 v5, 2, v0
	global_load_dword v11, v5, s[16:17] offset:1024
	global_load_dword v14, v5, s[28:29] offset:1024
	v_mov_b32_e32 v6, s34
	v_add_co_u32_e32 v5, vcc, s31, v13
	v_addc_co_u32_e32 v6, vcc, 0, v6, vcc
	s_waitcnt vmcnt(0)
	v_cmp_neq_f32_e32 vcc, v11, v14
	v_cndmask_b32_e64 v11, 0, 1, vcc
.LBB460_58:
	s_or_b64 exec, exec, s[8:9]
	v_or_b32_e32 v13, 0x180, v0
	v_cmp_gt_u32_e32 vcc, s12, v13
	s_and_saveexec_b64 s[10:11], vcc
	s_cbranch_execnz .LBB460_151
; %bb.59:
	s_or_b64 exec, exec, s[10:11]
	s_and_saveexec_b64 s[10:11], s[2:3]
	s_cbranch_execnz .LBB460_152
.LBB460_60:
	s_or_b64 exec, exec, s[10:11]
	s_and_saveexec_b64 s[8:9], s[0:1]
	s_cbranch_execnz .LBB460_157
.LBB460_61:
	s_or_b64 exec, exec, s[8:9]
	s_and_saveexec_b64 s[2:3], vcc
	s_cbranch_execnz .LBB460_162
	s_branch .LBB460_167
.LBB460_62:
	v_lshlrev_b32_e32 v3, 2, v0
	global_load_dword v18, v3, s[30:31] offset:3584
	global_load_dword v26, v3, s[34:35] offset:3584
	v_mov_b32_e32 v4, s41
	v_add_co_u32_e64 v3, s[16:17], s40, v25
	v_addc_co_u32_e64 v4, s[16:17], 0, v4, s[16:17]
	s_waitcnt vmcnt(0)
	v_cmp_neq_f32_e64 s[16:17], v18, v26
	v_cndmask_b32_e64 v18, 0, 1, s[16:17]
	s_or_b64 exec, exec, s[36:37]
	s_and_saveexec_b64 s[30:31], s[14:15]
	s_cbranch_execz .LBB460_45
.LBB460_63:
	v_and_b32_e32 v17, 1, v17
	v_cmp_eq_u32_e64 s[14:15], 1, v17
	v_and_b32_e32 v17, 1, v24
	v_cmp_eq_u32_e64 s[16:17], 1, v17
	s_and_b64 s[16:17], s[14:15], s[16:17]
	s_xor_b64 s[16:17], s[16:17], -1
                                        ; implicit-def: $vgpr17
	s_and_saveexec_b64 s[34:35], s[16:17]
	s_xor_b64 s[16:17], exec, s[34:35]
; %bb.64:
	v_and_b32_e32 v17, 0xffff, v24
	v_cndmask_b32_e64 v17, v17, 1, s[14:15]
	v_cndmask_b32_e64 v2, v16, v2, s[14:15]
	;; [unrolled: 1-line block ×3, first 2 shown]
                                        ; implicit-def: $vgpr15_vgpr16
; %bb.65:
	s_andn2_saveexec_b64 s[16:17], s[16:17]
; %bb.66:
	v_cmp_lt_i64_e64 s[14:15], v[15:16], v[1:2]
	v_mov_b32_e32 v17, 1
	v_cndmask_b32_e64 v2, v2, v16, s[14:15]
	v_cndmask_b32_e64 v1, v1, v15, s[14:15]
; %bb.67:
	s_or_b64 exec, exec, s[16:17]
	s_or_b64 exec, exec, s[30:31]
	s_and_saveexec_b64 s[16:17], s[12:13]
	s_cbranch_execz .LBB460_46
.LBB460_68:
	v_and_b32_e32 v15, 1, v17
	v_cmp_eq_u32_e64 s[12:13], 1, v15
	v_and_b32_e32 v15, 1, v23
	v_cmp_eq_u32_e64 s[14:15], 1, v15
	s_and_b64 s[14:15], s[12:13], s[14:15]
	s_xor_b64 s[14:15], s[14:15], -1
                                        ; implicit-def: $vgpr17
	s_and_saveexec_b64 s[30:31], s[14:15]
	s_xor_b64 s[14:15], exec, s[30:31]
; %bb.69:
	v_and_b32_e32 v15, 0xffff, v23
	v_cndmask_b32_e64 v17, v15, 1, s[12:13]
	v_cndmask_b32_e64 v2, v14, v2, s[12:13]
	;; [unrolled: 1-line block ×3, first 2 shown]
                                        ; implicit-def: $vgpr13_vgpr14
; %bb.70:
	s_andn2_saveexec_b64 s[14:15], s[14:15]
; %bb.71:
	v_cmp_lt_i64_e64 s[12:13], v[13:14], v[1:2]
	v_mov_b32_e32 v17, 1
	v_cndmask_b32_e64 v2, v2, v14, s[12:13]
	v_cndmask_b32_e64 v1, v1, v13, s[12:13]
; %bb.72:
	s_or_b64 exec, exec, s[14:15]
	s_or_b64 exec, exec, s[16:17]
	s_and_saveexec_b64 s[14:15], s[10:11]
	s_cbranch_execz .LBB460_47
.LBB460_73:
	v_and_b32_e32 v13, 1, v17
	v_cmp_eq_u32_e64 s[10:11], 1, v13
	v_and_b32_e32 v13, 1, v22
	v_cmp_eq_u32_e64 s[12:13], 1, v13
	s_and_b64 s[12:13], s[10:11], s[12:13]
	s_xor_b64 s[12:13], s[12:13], -1
                                        ; implicit-def: $vgpr17
	s_and_saveexec_b64 s[16:17], s[12:13]
	s_xor_b64 s[12:13], exec, s[16:17]
; %bb.74:
	v_and_b32_e32 v13, 0xffff, v22
	v_cndmask_b32_e64 v17, v13, 1, s[10:11]
	v_cndmask_b32_e64 v2, v12, v2, s[10:11]
	;; [unrolled: 1-line block ×3, first 2 shown]
                                        ; implicit-def: $vgpr11_vgpr12
; %bb.75:
	s_andn2_saveexec_b64 s[12:13], s[12:13]
; %bb.76:
	v_cmp_lt_i64_e64 s[10:11], v[11:12], v[1:2]
	v_mov_b32_e32 v17, 1
	v_cndmask_b32_e64 v2, v2, v12, s[10:11]
	v_cndmask_b32_e64 v1, v1, v11, s[10:11]
; %bb.77:
	s_or_b64 exec, exec, s[12:13]
	s_or_b64 exec, exec, s[14:15]
	s_and_saveexec_b64 s[12:13], s[8:9]
	s_cbranch_execz .LBB460_48
.LBB460_78:
	v_and_b32_e32 v11, 1, v17
	v_cmp_eq_u32_e64 s[8:9], 1, v11
	v_and_b32_e32 v11, 1, v21
	v_cmp_eq_u32_e64 s[10:11], 1, v11
	s_and_b64 s[10:11], s[8:9], s[10:11]
	s_xor_b64 s[10:11], s[10:11], -1
                                        ; implicit-def: $vgpr17
	s_and_saveexec_b64 s[14:15], s[10:11]
	s_xor_b64 s[10:11], exec, s[14:15]
; %bb.79:
	v_and_b32_e32 v11, 0xffff, v21
	v_cndmask_b32_e64 v17, v11, 1, s[8:9]
	v_cndmask_b32_e64 v2, v10, v2, s[8:9]
	;; [unrolled: 1-line block ×3, first 2 shown]
                                        ; implicit-def: $vgpr9_vgpr10
; %bb.80:
	s_andn2_saveexec_b64 s[10:11], s[10:11]
; %bb.81:
	v_cmp_lt_i64_e64 s[8:9], v[9:10], v[1:2]
	v_mov_b32_e32 v17, 1
	v_cndmask_b32_e64 v2, v2, v10, s[8:9]
	v_cndmask_b32_e64 v1, v1, v9, s[8:9]
; %bb.82:
	s_or_b64 exec, exec, s[10:11]
	s_or_b64 exec, exec, s[12:13]
	s_and_saveexec_b64 s[10:11], s[2:3]
	s_cbranch_execz .LBB460_49
.LBB460_83:
	v_and_b32_e32 v9, 1, v17
	v_cmp_eq_u32_e64 s[2:3], 1, v9
	v_and_b32_e32 v9, 1, v20
	v_cmp_eq_u32_e64 s[8:9], 1, v9
	s_and_b64 s[8:9], s[2:3], s[8:9]
	s_xor_b64 s[8:9], s[8:9], -1
                                        ; implicit-def: $vgpr17
	s_and_saveexec_b64 s[12:13], s[8:9]
	s_xor_b64 s[8:9], exec, s[12:13]
; %bb.84:
	v_and_b32_e32 v9, 0xffff, v20
	v_cndmask_b32_e64 v17, v9, 1, s[2:3]
	v_cndmask_b32_e64 v2, v8, v2, s[2:3]
	;; [unrolled: 1-line block ×3, first 2 shown]
                                        ; implicit-def: $vgpr7_vgpr8
; %bb.85:
	s_andn2_saveexec_b64 s[8:9], s[8:9]
; %bb.86:
	v_cmp_lt_i64_e64 s[2:3], v[7:8], v[1:2]
	v_mov_b32_e32 v17, 1
	v_cndmask_b32_e64 v2, v2, v8, s[2:3]
	v_cndmask_b32_e64 v1, v1, v7, s[2:3]
; %bb.87:
	s_or_b64 exec, exec, s[8:9]
	s_or_b64 exec, exec, s[10:11]
	s_and_saveexec_b64 s[8:9], s[0:1]
	s_cbranch_execz .LBB460_50
.LBB460_88:
	v_and_b32_e32 v7, 1, v17
	v_cmp_eq_u32_e64 s[0:1], 1, v7
	v_and_b32_e32 v7, 1, v19
	v_cmp_eq_u32_e64 s[2:3], 1, v7
	s_and_b64 s[2:3], s[0:1], s[2:3]
	s_xor_b64 s[2:3], s[2:3], -1
                                        ; implicit-def: $vgpr17
	s_and_saveexec_b64 s[10:11], s[2:3]
	s_xor_b64 s[2:3], exec, s[10:11]
; %bb.89:
	v_and_b32_e32 v7, 0xffff, v19
	v_cndmask_b32_e64 v17, v7, 1, s[0:1]
	v_cndmask_b32_e64 v2, v6, v2, s[0:1]
	;; [unrolled: 1-line block ×3, first 2 shown]
                                        ; implicit-def: $vgpr5_vgpr6
; %bb.90:
	s_andn2_saveexec_b64 s[2:3], s[2:3]
; %bb.91:
	v_cmp_lt_i64_e64 s[0:1], v[5:6], v[1:2]
	v_mov_b32_e32 v17, 1
	v_cndmask_b32_e64 v2, v2, v6, s[0:1]
	v_cndmask_b32_e64 v1, v1, v5, s[0:1]
; %bb.92:
	s_or_b64 exec, exec, s[2:3]
	s_or_b64 exec, exec, s[8:9]
	s_and_saveexec_b64 s[2:3], vcc
	s_cbranch_execz .LBB460_98
.LBB460_93:
	v_and_b32_e32 v5, 1, v17
	v_cmp_eq_u32_e32 vcc, 1, v5
	v_and_b32_e32 v5, 1, v18
	v_cmp_eq_u32_e64 s[0:1], 1, v5
	s_and_b64 s[0:1], vcc, s[0:1]
	s_xor_b64 s[0:1], s[0:1], -1
                                        ; implicit-def: $vgpr17
	s_and_saveexec_b64 s[8:9], s[0:1]
	s_xor_b64 s[0:1], exec, s[8:9]
; %bb.94:
	v_and_b32_e32 v5, 0xffff, v18
	v_cndmask_b32_e64 v17, v5, 1, vcc
	v_cndmask_b32_e32 v2, v4, v2, vcc
	v_cndmask_b32_e32 v1, v3, v1, vcc
                                        ; implicit-def: $vgpr3_vgpr4
; %bb.95:
	s_andn2_saveexec_b64 s[0:1], s[0:1]
; %bb.96:
	v_cmp_lt_i64_e32 vcc, v[3:4], v[1:2]
	v_mov_b32_e32 v17, 1
	v_cndmask_b32_e32 v2, v2, v4, vcc
	v_cndmask_b32_e32 v1, v1, v3, vcc
; %bb.97:
	s_or_b64 exec, exec, s[0:1]
.LBB460_98:
	s_or_b64 exec, exec, s[2:3]
	v_mbcnt_lo_u32_b32 v3, -1, 0
	v_mbcnt_hi_u32_b32 v5, -1, v3
	v_and_b32_e32 v6, 63, v5
	v_cmp_ne_u32_e32 vcc, 63, v6
	v_addc_co_u32_e32 v3, vcc, 0, v5, vcc
	v_lshlrev_b32_e32 v4, 2, v3
	ds_bpermute_b32 v8, v4, v17
	ds_bpermute_b32 v3, v4, v1
	ds_bpermute_b32 v4, v4, v2
	s_min_u32 s8, s39, 0x80
	v_and_b32_e32 v7, 64, v0
	v_sub_u32_e64 v7, s8, v7 clamp
	v_add_u32_e32 v9, 1, v6
	v_cmp_lt_u32_e32 vcc, v9, v7
	s_and_saveexec_b64 s[0:1], vcc
	s_xor_b64 s[0:1], exec, s[0:1]
	s_cbranch_execz .LBB460_104
; %bb.99:
	s_waitcnt lgkmcnt(2)
	v_and_b32_e32 v9, v8, v17
	v_cmp_ne_u32_e32 vcc, 0, v9
	s_and_saveexec_b64 s[2:3], vcc
	s_xor_b64 s[2:3], exec, s[2:3]
	s_cbranch_execz .LBB460_101
; %bb.100:
	s_waitcnt lgkmcnt(0)
	v_cmp_lt_i64_e32 vcc, v[3:4], v[1:2]
                                        ; implicit-def: $vgpr17
                                        ; implicit-def: $vgpr8
	v_cndmask_b32_e32 v2, v2, v4, vcc
	v_cndmask_b32_e32 v1, v1, v3, vcc
                                        ; implicit-def: $vgpr3_vgpr4
.LBB460_101:
	s_or_saveexec_b64 s[2:3], s[2:3]
	v_mov_b32_e32 v9, 1
	s_xor_b64 exec, exec, s[2:3]
	s_cbranch_execz .LBB460_103
; %bb.102:
	v_and_b32_e32 v9, 1, v17
	v_cmp_eq_u32_e32 vcc, 1, v9
	s_waitcnt lgkmcnt(1)
	v_cndmask_b32_e32 v1, v3, v1, vcc
	v_and_b32_e32 v3, 0xff, v8
	s_waitcnt lgkmcnt(0)
	v_cndmask_b32_e32 v2, v4, v2, vcc
	v_cndmask_b32_e64 v9, v3, 1, vcc
.LBB460_103:
	s_or_b64 exec, exec, s[2:3]
	v_mov_b32_e32 v17, v9
.LBB460_104:
	s_or_b64 exec, exec, s[0:1]
	v_cmp_gt_u32_e32 vcc, 62, v6
	s_waitcnt lgkmcnt(1)
	v_cndmask_b32_e64 v3, 0, 2, vcc
	s_waitcnt lgkmcnt(0)
	v_add_lshl_u32 v4, v3, v5, 2
	ds_bpermute_b32 v8, v4, v17
	ds_bpermute_b32 v3, v4, v1
	ds_bpermute_b32 v4, v4, v2
	v_add_u32_e32 v9, 2, v6
	v_cmp_lt_u32_e32 vcc, v9, v7
	s_and_saveexec_b64 s[0:1], vcc
	s_cbranch_execz .LBB460_110
; %bb.105:
	s_waitcnt lgkmcnt(2)
	v_and_b32_e32 v9, v17, v8
	v_and_b32_e32 v9, 1, v9
	v_cmp_eq_u32_e32 vcc, 1, v9
	s_and_saveexec_b64 s[2:3], vcc
	s_xor_b64 s[2:3], exec, s[2:3]
	s_cbranch_execz .LBB460_107
; %bb.106:
	s_waitcnt lgkmcnt(0)
	v_cmp_lt_i64_e32 vcc, v[3:4], v[1:2]
                                        ; implicit-def: $vgpr17
                                        ; implicit-def: $vgpr8
	v_cndmask_b32_e32 v2, v2, v4, vcc
	v_cndmask_b32_e32 v1, v1, v3, vcc
                                        ; implicit-def: $vgpr3_vgpr4
.LBB460_107:
	s_or_saveexec_b64 s[2:3], s[2:3]
	v_mov_b32_e32 v9, 1
	s_xor_b64 exec, exec, s[2:3]
	s_cbranch_execz .LBB460_109
; %bb.108:
	v_and_b32_e32 v9, 1, v17
	v_cmp_eq_u32_e32 vcc, 1, v9
	s_waitcnt lgkmcnt(1)
	v_cndmask_b32_e32 v1, v3, v1, vcc
	v_and_b32_e32 v3, 0xff, v8
	s_waitcnt lgkmcnt(0)
	v_cndmask_b32_e32 v2, v4, v2, vcc
	v_cndmask_b32_e64 v9, v3, 1, vcc
.LBB460_109:
	s_or_b64 exec, exec, s[2:3]
	v_mov_b32_e32 v17, v9
.LBB460_110:
	s_or_b64 exec, exec, s[0:1]
	v_cmp_gt_u32_e32 vcc, 60, v6
	s_waitcnt lgkmcnt(1)
	v_cndmask_b32_e64 v3, 0, 4, vcc
	s_waitcnt lgkmcnt(0)
	v_add_lshl_u32 v4, v3, v5, 2
	ds_bpermute_b32 v8, v4, v17
	ds_bpermute_b32 v3, v4, v1
	ds_bpermute_b32 v4, v4, v2
	v_add_u32_e32 v9, 4, v6
	v_cmp_lt_u32_e32 vcc, v9, v7
	s_and_saveexec_b64 s[0:1], vcc
	s_cbranch_execz .LBB460_116
; %bb.111:
	s_waitcnt lgkmcnt(2)
	v_and_b32_e32 v9, v17, v8
	v_and_b32_e32 v9, 1, v9
	v_cmp_eq_u32_e32 vcc, 1, v9
	s_and_saveexec_b64 s[2:3], vcc
	s_xor_b64 s[2:3], exec, s[2:3]
	s_cbranch_execz .LBB460_113
; %bb.112:
	s_waitcnt lgkmcnt(0)
	v_cmp_lt_i64_e32 vcc, v[3:4], v[1:2]
                                        ; implicit-def: $vgpr17
                                        ; implicit-def: $vgpr8
	v_cndmask_b32_e32 v2, v2, v4, vcc
	v_cndmask_b32_e32 v1, v1, v3, vcc
                                        ; implicit-def: $vgpr3_vgpr4
.LBB460_113:
	s_or_saveexec_b64 s[2:3], s[2:3]
	v_mov_b32_e32 v9, 1
	s_xor_b64 exec, exec, s[2:3]
	s_cbranch_execz .LBB460_115
; %bb.114:
	v_and_b32_e32 v9, 1, v17
	v_cmp_eq_u32_e32 vcc, 1, v9
	s_waitcnt lgkmcnt(1)
	v_cndmask_b32_e32 v1, v3, v1, vcc
	v_and_b32_e32 v3, 0xff, v8
	s_waitcnt lgkmcnt(0)
	v_cndmask_b32_e32 v2, v4, v2, vcc
	v_cndmask_b32_e64 v9, v3, 1, vcc
.LBB460_115:
	s_or_b64 exec, exec, s[2:3]
	v_mov_b32_e32 v17, v9
.LBB460_116:
	;; [unrolled: 47-line block ×4, first 2 shown]
	s_or_b64 exec, exec, s[0:1]
	s_waitcnt lgkmcnt(2)
	v_lshlrev_b32_e32 v8, 2, v5
	s_waitcnt lgkmcnt(0)
	v_or_b32_e32 v4, 0x80, v8
	ds_bpermute_b32 v9, v4, v17
	ds_bpermute_b32 v3, v4, v1
	;; [unrolled: 1-line block ×3, first 2 shown]
	v_add_u32_e32 v6, 32, v6
	v_cmp_lt_u32_e32 vcc, v6, v7
	v_mov_b32_e32 v6, v17
	s_and_saveexec_b64 s[0:1], vcc
	s_cbranch_execz .LBB460_134
; %bb.129:
	s_waitcnt lgkmcnt(2)
	v_and_b32_e32 v6, v17, v9
	v_and_b32_e32 v6, 1, v6
	v_cmp_eq_u32_e32 vcc, 1, v6
	s_and_saveexec_b64 s[2:3], vcc
	s_xor_b64 s[2:3], exec, s[2:3]
	s_cbranch_execz .LBB460_131
; %bb.130:
	s_waitcnt lgkmcnt(0)
	v_cmp_lt_i64_e32 vcc, v[3:4], v[1:2]
                                        ; implicit-def: $vgpr17
                                        ; implicit-def: $vgpr9
	v_cndmask_b32_e32 v2, v2, v4, vcc
	v_cndmask_b32_e32 v1, v1, v3, vcc
                                        ; implicit-def: $vgpr3_vgpr4
.LBB460_131:
	s_or_saveexec_b64 s[2:3], s[2:3]
	v_mov_b32_e32 v6, 1
	s_xor_b64 exec, exec, s[2:3]
	s_cbranch_execz .LBB460_133
; %bb.132:
	v_and_b32_e32 v6, 1, v17
	v_cmp_eq_u32_e32 vcc, 1, v6
	v_cndmask_b32_e64 v6, v9, 1, vcc
	s_waitcnt lgkmcnt(0)
	v_cndmask_b32_e32 v2, v4, v2, vcc
	v_cndmask_b32_e32 v1, v3, v1, vcc
.LBB460_133:
	s_or_b64 exec, exec, s[2:3]
	v_and_b32_e32 v17, 0xff, v6
.LBB460_134:
	s_or_b64 exec, exec, s[0:1]
	v_cmp_eq_u32_e32 vcc, 0, v5
	s_and_saveexec_b64 s[0:1], vcc
	s_cbranch_execz .LBB460_136
; %bb.135:
	s_waitcnt lgkmcnt(1)
	v_lshrrev_b32_e32 v3, 2, v0
	v_and_b32_e32 v3, 16, v3
	ds_write_b8 v3, v6 offset:128
	ds_write_b64 v3, v[1:2] offset:136
.LBB460_136:
	s_or_b64 exec, exec, s[0:1]
	v_cmp_gt_u32_e32 vcc, 2, v0
	s_waitcnt lgkmcnt(0)
	s_barrier
	s_and_saveexec_b64 s[0:1], vcc
	s_cbranch_execz .LBB460_144
; %bb.137:
	v_lshlrev_b32_e32 v1, 4, v5
	ds_read_u8 v6, v1 offset:128
	ds_read_b64 v[1:2], v1 offset:136
	v_or_b32_e32 v4, 4, v8
	s_add_i32 s8, s8, 63
	v_and_b32_e32 v5, 1, v5
	s_waitcnt lgkmcnt(1)
	v_and_b32_e32 v17, 0xff, v6
	s_waitcnt lgkmcnt(0)
	ds_bpermute_b32 v3, v4, v1
	ds_bpermute_b32 v7, v4, v17
	;; [unrolled: 1-line block ×3, first 2 shown]
	s_lshr_b32 s2, s8, 6
	v_add_u32_e32 v5, 1, v5
	v_cmp_gt_u32_e32 vcc, s2, v5
	s_and_saveexec_b64 s[2:3], vcc
	s_cbranch_execz .LBB460_143
; %bb.138:
	s_waitcnt lgkmcnt(1)
	v_and_b32_e32 v5, v17, v7
	v_and_b32_e32 v5, 1, v5
	v_cmp_eq_u32_e32 vcc, 1, v5
	s_and_saveexec_b64 s[8:9], vcc
	s_xor_b64 s[8:9], exec, s[8:9]
	s_cbranch_execz .LBB460_140
; %bb.139:
	s_waitcnt lgkmcnt(0)
	v_cmp_lt_i64_e32 vcc, v[3:4], v[1:2]
                                        ; implicit-def: $vgpr6
                                        ; implicit-def: $vgpr7
	v_cndmask_b32_e32 v2, v2, v4, vcc
	v_cndmask_b32_e32 v1, v1, v3, vcc
                                        ; implicit-def: $vgpr3_vgpr4
.LBB460_140:
	s_or_saveexec_b64 s[8:9], s[8:9]
	v_mov_b32_e32 v17, 1
	s_xor_b64 exec, exec, s[8:9]
	s_cbranch_execz .LBB460_142
; %bb.141:
	v_and_b32_e32 v5, 1, v6
	v_cmp_eq_u32_e32 vcc, 1, v5
	s_waitcnt lgkmcnt(0)
	v_cndmask_b32_e32 v2, v4, v2, vcc
	v_cndmask_b32_e32 v1, v3, v1, vcc
	v_cndmask_b32_e64 v17, v7, 1, vcc
.LBB460_142:
	s_or_b64 exec, exec, s[8:9]
.LBB460_143:
	s_or_b64 exec, exec, s[2:3]
.LBB460_144:
	s_or_b64 exec, exec, s[0:1]
.LBB460_145:
	v_cmp_eq_u32_e32 vcc, 0, v0
	s_mov_b64 s[14:15], 0
                                        ; implicit-def: $vgpr3_vgpr4
                                        ; implicit-def: $vgpr5
	s_and_saveexec_b64 s[0:1], vcc
	s_xor_b64 s[8:9], exec, s[0:1]
	s_cbranch_execz .LBB460_149
; %bb.146:
	s_waitcnt lgkmcnt(0)
	v_mov_b32_e32 v3, s18
	s_cmp_eq_u64 s[22:23], 0
	v_mov_b32_e32 v4, s19
	v_mov_b32_e32 v5, s33
	s_cbranch_scc1 .LBB460_148
; %bb.147:
	v_and_b32_e32 v3, 1, v17
	v_cmp_gt_i64_e64 s[0:1], s[18:19], v[1:2]
	s_bitcmp1_b32 s33, 0
	v_cmp_eq_u32_e32 vcc, 1, v3
	s_cselect_b64 s[2:3], -1, 0
	v_mov_b32_e32 v3, s18
	s_and_b64 vcc, vcc, s[0:1]
	v_mov_b32_e32 v4, s19
	v_cndmask_b32_e32 v3, v3, v1, vcc
	v_cndmask_b32_e32 v4, v4, v2, vcc
	v_cndmask_b32_e64 v5, v17, 1, s[2:3]
	v_cndmask_b32_e64 v4, v2, v4, s[2:3]
	;; [unrolled: 1-line block ×3, first 2 shown]
.LBB460_148:
	s_mov_b64 s[14:15], exec
.LBB460_149:
	s_or_b64 exec, exec, s[8:9]
	v_mov_b32_e32 v1, s6
	v_mov_b32_e32 v2, s7
	s_and_b64 vcc, exec, s[28:29]
	s_cbranch_vccnz .LBB460_16
.LBB460_150:
	s_branch .LBB460_306
.LBB460_151:
	v_lshlrev_b32_e32 v3, 2, v0
	global_load_dword v10, v3, s[16:17] offset:1536
	global_load_dword v14, v3, s[28:29] offset:1536
	v_mov_b32_e32 v4, s34
	v_add_co_u32_e64 v3, s[8:9], s31, v13
	v_addc_co_u32_e64 v4, s[8:9], 0, v4, s[8:9]
	s_waitcnt vmcnt(0)
	v_cmp_neq_f32_e64 s[8:9], v10, v14
	v_cndmask_b32_e64 v10, 0, 1, s[8:9]
	s_or_b64 exec, exec, s[10:11]
	s_and_saveexec_b64 s[10:11], s[2:3]
	s_cbranch_execz .LBB460_60
.LBB460_152:
	v_and_b32_e32 v9, 1, v9
	v_cmp_eq_u32_e64 s[2:3], 1, v9
	v_and_b32_e32 v9, 1, v12
	v_cmp_eq_u32_e64 s[8:9], 1, v9
	s_and_b64 s[8:9], s[2:3], s[8:9]
	s_xor_b64 s[8:9], s[8:9], -1
                                        ; implicit-def: $vgpr9
	s_and_saveexec_b64 s[16:17], s[8:9]
	s_xor_b64 s[8:9], exec, s[16:17]
; %bb.153:
	v_and_b32_e32 v9, 0xffff, v12
	v_cndmask_b32_e64 v9, v9, 1, s[2:3]
	v_cndmask_b32_e64 v2, v8, v2, s[2:3]
	v_cndmask_b32_e64 v1, v7, v1, s[2:3]
                                        ; implicit-def: $vgpr7_vgpr8
; %bb.154:
	s_andn2_saveexec_b64 s[8:9], s[8:9]
; %bb.155:
	v_cmp_lt_i64_e64 s[2:3], v[7:8], v[1:2]
	v_mov_b32_e32 v9, 1
	v_cndmask_b32_e64 v2, v2, v8, s[2:3]
	v_cndmask_b32_e64 v1, v1, v7, s[2:3]
; %bb.156:
	s_or_b64 exec, exec, s[8:9]
	s_or_b64 exec, exec, s[10:11]
	s_and_saveexec_b64 s[8:9], s[0:1]
	s_cbranch_execz .LBB460_61
.LBB460_157:
	v_and_b32_e32 v7, 1, v9
	v_cmp_eq_u32_e64 s[0:1], 1, v7
	v_and_b32_e32 v7, 1, v11
	v_cmp_eq_u32_e64 s[2:3], 1, v7
	s_and_b64 s[2:3], s[0:1], s[2:3]
	s_xor_b64 s[2:3], s[2:3], -1
                                        ; implicit-def: $vgpr9
	s_and_saveexec_b64 s[10:11], s[2:3]
	s_xor_b64 s[2:3], exec, s[10:11]
; %bb.158:
	v_and_b32_e32 v7, 0xffff, v11
	v_cndmask_b32_e64 v9, v7, 1, s[0:1]
	v_cndmask_b32_e64 v2, v6, v2, s[0:1]
	;; [unrolled: 1-line block ×3, first 2 shown]
                                        ; implicit-def: $vgpr5_vgpr6
; %bb.159:
	s_andn2_saveexec_b64 s[2:3], s[2:3]
; %bb.160:
	v_cmp_lt_i64_e64 s[0:1], v[5:6], v[1:2]
	v_mov_b32_e32 v9, 1
	v_cndmask_b32_e64 v2, v2, v6, s[0:1]
	v_cndmask_b32_e64 v1, v1, v5, s[0:1]
; %bb.161:
	s_or_b64 exec, exec, s[2:3]
	s_or_b64 exec, exec, s[8:9]
	s_and_saveexec_b64 s[2:3], vcc
	s_cbranch_execz .LBB460_167
.LBB460_162:
	v_and_b32_e32 v5, 1, v9
	v_cmp_eq_u32_e32 vcc, 1, v5
	v_and_b32_e32 v5, 1, v10
	v_cmp_eq_u32_e64 s[0:1], 1, v5
	s_and_b64 s[0:1], vcc, s[0:1]
	s_xor_b64 s[0:1], s[0:1], -1
                                        ; implicit-def: $vgpr9
	s_and_saveexec_b64 s[8:9], s[0:1]
	s_xor_b64 s[0:1], exec, s[8:9]
; %bb.163:
	v_and_b32_e32 v5, 0xffff, v10
	v_cndmask_b32_e64 v9, v5, 1, vcc
	v_cndmask_b32_e32 v2, v4, v2, vcc
	v_cndmask_b32_e32 v1, v3, v1, vcc
                                        ; implicit-def: $vgpr3_vgpr4
; %bb.164:
	s_andn2_saveexec_b64 s[0:1], s[0:1]
; %bb.165:
	v_cmp_lt_i64_e32 vcc, v[3:4], v[1:2]
	v_mov_b32_e32 v9, 1
	v_cndmask_b32_e32 v2, v2, v4, vcc
	v_cndmask_b32_e32 v1, v1, v3, vcc
; %bb.166:
	s_or_b64 exec, exec, s[0:1]
.LBB460_167:
	s_or_b64 exec, exec, s[2:3]
	v_mbcnt_lo_u32_b32 v3, -1, 0
	v_mbcnt_hi_u32_b32 v5, -1, v3
	v_and_b32_e32 v6, 63, v5
	v_cmp_ne_u32_e32 vcc, 63, v6
	v_addc_co_u32_e32 v3, vcc, 0, v5, vcc
	v_lshlrev_b32_e32 v4, 2, v3
	ds_bpermute_b32 v8, v4, v9
	ds_bpermute_b32 v3, v4, v1
	;; [unrolled: 1-line block ×3, first 2 shown]
	s_min_u32 s8, s12, 0x80
	v_and_b32_e32 v7, 64, v0
	v_sub_u32_e64 v7, s8, v7 clamp
	v_add_u32_e32 v10, 1, v6
	v_cmp_lt_u32_e32 vcc, v10, v7
	s_and_saveexec_b64 s[0:1], vcc
	s_xor_b64 s[0:1], exec, s[0:1]
	s_cbranch_execz .LBB460_173
; %bb.168:
	s_waitcnt lgkmcnt(2)
	v_and_b32_e32 v10, v8, v9
	v_cmp_ne_u32_e32 vcc, 0, v10
	s_and_saveexec_b64 s[2:3], vcc
	s_xor_b64 s[2:3], exec, s[2:3]
	s_cbranch_execz .LBB460_170
; %bb.169:
	s_waitcnt lgkmcnt(0)
	v_cmp_lt_i64_e32 vcc, v[3:4], v[1:2]
                                        ; implicit-def: $vgpr9
                                        ; implicit-def: $vgpr8
	v_cndmask_b32_e32 v2, v2, v4, vcc
	v_cndmask_b32_e32 v1, v1, v3, vcc
                                        ; implicit-def: $vgpr3_vgpr4
.LBB460_170:
	s_or_saveexec_b64 s[2:3], s[2:3]
	v_mov_b32_e32 v10, 1
	s_xor_b64 exec, exec, s[2:3]
	s_cbranch_execz .LBB460_172
; %bb.171:
	v_and_b32_e32 v9, 1, v9
	v_cmp_eq_u32_e32 vcc, 1, v9
	s_waitcnt lgkmcnt(1)
	v_cndmask_b32_e32 v1, v3, v1, vcc
	v_and_b32_e32 v3, 0xff, v8
	s_waitcnt lgkmcnt(0)
	v_cndmask_b32_e32 v2, v4, v2, vcc
	v_cndmask_b32_e64 v10, v3, 1, vcc
.LBB460_172:
	s_or_b64 exec, exec, s[2:3]
	v_mov_b32_e32 v9, v10
.LBB460_173:
	s_or_b64 exec, exec, s[0:1]
	v_cmp_gt_u32_e32 vcc, 62, v6
	s_waitcnt lgkmcnt(1)
	v_cndmask_b32_e64 v3, 0, 2, vcc
	s_waitcnt lgkmcnt(0)
	v_add_lshl_u32 v4, v3, v5, 2
	ds_bpermute_b32 v8, v4, v9
	ds_bpermute_b32 v3, v4, v1
	ds_bpermute_b32 v4, v4, v2
	v_add_u32_e32 v10, 2, v6
	v_cmp_lt_u32_e32 vcc, v10, v7
	s_and_saveexec_b64 s[0:1], vcc
	s_cbranch_execz .LBB460_179
; %bb.174:
	s_waitcnt lgkmcnt(2)
	v_and_b32_e32 v10, v9, v8
	v_and_b32_e32 v10, 1, v10
	v_cmp_eq_u32_e32 vcc, 1, v10
	s_and_saveexec_b64 s[2:3], vcc
	s_xor_b64 s[2:3], exec, s[2:3]
	s_cbranch_execz .LBB460_176
; %bb.175:
	s_waitcnt lgkmcnt(0)
	v_cmp_lt_i64_e32 vcc, v[3:4], v[1:2]
                                        ; implicit-def: $vgpr9
                                        ; implicit-def: $vgpr8
	v_cndmask_b32_e32 v2, v2, v4, vcc
	v_cndmask_b32_e32 v1, v1, v3, vcc
                                        ; implicit-def: $vgpr3_vgpr4
.LBB460_176:
	s_or_saveexec_b64 s[2:3], s[2:3]
	v_mov_b32_e32 v10, 1
	s_xor_b64 exec, exec, s[2:3]
	s_cbranch_execz .LBB460_178
; %bb.177:
	v_and_b32_e32 v9, 1, v9
	v_cmp_eq_u32_e32 vcc, 1, v9
	s_waitcnt lgkmcnt(1)
	v_cndmask_b32_e32 v1, v3, v1, vcc
	v_and_b32_e32 v3, 0xff, v8
	s_waitcnt lgkmcnt(0)
	v_cndmask_b32_e32 v2, v4, v2, vcc
	v_cndmask_b32_e64 v10, v3, 1, vcc
.LBB460_178:
	s_or_b64 exec, exec, s[2:3]
	v_mov_b32_e32 v9, v10
.LBB460_179:
	s_or_b64 exec, exec, s[0:1]
	v_cmp_gt_u32_e32 vcc, 60, v6
	s_waitcnt lgkmcnt(1)
	v_cndmask_b32_e64 v3, 0, 4, vcc
	s_waitcnt lgkmcnt(0)
	v_add_lshl_u32 v4, v3, v5, 2
	ds_bpermute_b32 v8, v4, v9
	ds_bpermute_b32 v3, v4, v1
	ds_bpermute_b32 v4, v4, v2
	v_add_u32_e32 v10, 4, v6
	v_cmp_lt_u32_e32 vcc, v10, v7
	s_and_saveexec_b64 s[0:1], vcc
	s_cbranch_execz .LBB460_185
; %bb.180:
	s_waitcnt lgkmcnt(2)
	v_and_b32_e32 v10, v9, v8
	v_and_b32_e32 v10, 1, v10
	v_cmp_eq_u32_e32 vcc, 1, v10
	s_and_saveexec_b64 s[2:3], vcc
	s_xor_b64 s[2:3], exec, s[2:3]
	s_cbranch_execz .LBB460_182
; %bb.181:
	s_waitcnt lgkmcnt(0)
	v_cmp_lt_i64_e32 vcc, v[3:4], v[1:2]
                                        ; implicit-def: $vgpr9
                                        ; implicit-def: $vgpr8
	v_cndmask_b32_e32 v2, v2, v4, vcc
	v_cndmask_b32_e32 v1, v1, v3, vcc
                                        ; implicit-def: $vgpr3_vgpr4
.LBB460_182:
	s_or_saveexec_b64 s[2:3], s[2:3]
	v_mov_b32_e32 v10, 1
	s_xor_b64 exec, exec, s[2:3]
	s_cbranch_execz .LBB460_184
; %bb.183:
	v_and_b32_e32 v9, 1, v9
	v_cmp_eq_u32_e32 vcc, 1, v9
	s_waitcnt lgkmcnt(1)
	v_cndmask_b32_e32 v1, v3, v1, vcc
	v_and_b32_e32 v3, 0xff, v8
	s_waitcnt lgkmcnt(0)
	v_cndmask_b32_e32 v2, v4, v2, vcc
	v_cndmask_b32_e64 v10, v3, 1, vcc
.LBB460_184:
	s_or_b64 exec, exec, s[2:3]
	v_mov_b32_e32 v9, v10
.LBB460_185:
	;; [unrolled: 47-line block ×4, first 2 shown]
	s_or_b64 exec, exec, s[0:1]
	s_waitcnt lgkmcnt(2)
	v_lshlrev_b32_e32 v8, 2, v5
	s_waitcnt lgkmcnt(0)
	v_or_b32_e32 v4, 0x80, v8
	ds_bpermute_b32 v10, v4, v9
	ds_bpermute_b32 v3, v4, v1
	;; [unrolled: 1-line block ×3, first 2 shown]
	v_add_u32_e32 v6, 32, v6
	v_cmp_lt_u32_e32 vcc, v6, v7
	v_mov_b32_e32 v6, v9
	s_and_saveexec_b64 s[0:1], vcc
	s_cbranch_execz .LBB460_203
; %bb.198:
	s_waitcnt lgkmcnt(2)
	v_and_b32_e32 v6, v9, v10
	v_and_b32_e32 v6, 1, v6
	v_cmp_eq_u32_e32 vcc, 1, v6
	s_and_saveexec_b64 s[2:3], vcc
	s_xor_b64 s[2:3], exec, s[2:3]
	s_cbranch_execz .LBB460_200
; %bb.199:
	s_waitcnt lgkmcnt(0)
	v_cmp_lt_i64_e32 vcc, v[3:4], v[1:2]
                                        ; implicit-def: $vgpr9
                                        ; implicit-def: $vgpr10
	v_cndmask_b32_e32 v2, v2, v4, vcc
	v_cndmask_b32_e32 v1, v1, v3, vcc
                                        ; implicit-def: $vgpr3_vgpr4
.LBB460_200:
	s_or_saveexec_b64 s[2:3], s[2:3]
	v_mov_b32_e32 v6, 1
	s_xor_b64 exec, exec, s[2:3]
	s_cbranch_execz .LBB460_202
; %bb.201:
	v_and_b32_e32 v6, 1, v9
	v_cmp_eq_u32_e32 vcc, 1, v6
	v_cndmask_b32_e64 v6, v10, 1, vcc
	s_waitcnt lgkmcnt(0)
	v_cndmask_b32_e32 v2, v4, v2, vcc
	v_cndmask_b32_e32 v1, v3, v1, vcc
.LBB460_202:
	s_or_b64 exec, exec, s[2:3]
	v_and_b32_e32 v9, 0xff, v6
.LBB460_203:
	s_or_b64 exec, exec, s[0:1]
	v_cmp_eq_u32_e32 vcc, 0, v5
	s_and_saveexec_b64 s[0:1], vcc
	s_cbranch_execz .LBB460_205
; %bb.204:
	s_waitcnt lgkmcnt(1)
	v_lshrrev_b32_e32 v3, 2, v0
	v_and_b32_e32 v3, 16, v3
	ds_write_b8 v3, v6 offset:128
	ds_write_b64 v3, v[1:2] offset:136
.LBB460_205:
	s_or_b64 exec, exec, s[0:1]
	v_cmp_gt_u32_e32 vcc, 2, v0
	s_waitcnt lgkmcnt(0)
	s_barrier
	s_and_saveexec_b64 s[0:1], vcc
	s_cbranch_execz .LBB460_213
; %bb.206:
	v_lshlrev_b32_e32 v1, 4, v5
	ds_read_u8 v6, v1 offset:128
	ds_read_b64 v[1:2], v1 offset:136
	v_or_b32_e32 v4, 4, v8
	s_add_i32 s8, s8, 63
	v_and_b32_e32 v5, 1, v5
	s_waitcnt lgkmcnt(1)
	v_and_b32_e32 v9, 0xff, v6
	s_waitcnt lgkmcnt(0)
	ds_bpermute_b32 v3, v4, v1
	ds_bpermute_b32 v7, v4, v9
	;; [unrolled: 1-line block ×3, first 2 shown]
	s_lshr_b32 s2, s8, 6
	v_add_u32_e32 v5, 1, v5
	v_cmp_gt_u32_e32 vcc, s2, v5
	s_and_saveexec_b64 s[2:3], vcc
	s_cbranch_execz .LBB460_212
; %bb.207:
	s_waitcnt lgkmcnt(1)
	v_and_b32_e32 v5, v9, v7
	v_and_b32_e32 v5, 1, v5
	v_cmp_eq_u32_e32 vcc, 1, v5
	s_and_saveexec_b64 s[8:9], vcc
	s_xor_b64 s[8:9], exec, s[8:9]
	s_cbranch_execz .LBB460_209
; %bb.208:
	s_waitcnt lgkmcnt(0)
	v_cmp_lt_i64_e32 vcc, v[3:4], v[1:2]
                                        ; implicit-def: $vgpr6
                                        ; implicit-def: $vgpr7
	v_cndmask_b32_e32 v2, v2, v4, vcc
	v_cndmask_b32_e32 v1, v1, v3, vcc
                                        ; implicit-def: $vgpr3_vgpr4
.LBB460_209:
	s_or_saveexec_b64 s[8:9], s[8:9]
	v_mov_b32_e32 v9, 1
	s_xor_b64 exec, exec, s[8:9]
	s_cbranch_execz .LBB460_211
; %bb.210:
	v_and_b32_e32 v5, 1, v6
	v_cmp_eq_u32_e32 vcc, 1, v5
	s_waitcnt lgkmcnt(0)
	v_cndmask_b32_e32 v2, v4, v2, vcc
	v_cndmask_b32_e32 v1, v3, v1, vcc
	v_cndmask_b32_e64 v9, v7, 1, vcc
.LBB460_211:
	s_or_b64 exec, exec, s[8:9]
.LBB460_212:
	s_or_b64 exec, exec, s[2:3]
.LBB460_213:
	s_or_b64 exec, exec, s[0:1]
.LBB460_214:
	v_cmp_eq_u32_e32 vcc, 0, v0
                                        ; implicit-def: $vgpr3_vgpr4
                                        ; implicit-def: $vgpr5
	s_and_saveexec_b64 s[0:1], vcc
	s_xor_b64 s[8:9], exec, s[0:1]
	s_cbranch_execz .LBB460_218
; %bb.215:
	s_waitcnt lgkmcnt(0)
	v_mov_b32_e32 v3, s18
	s_cmp_eq_u64 s[22:23], 0
	v_mov_b32_e32 v4, s19
	v_mov_b32_e32 v5, s33
	s_cbranch_scc1 .LBB460_217
; %bb.216:
	v_and_b32_e32 v3, 1, v9
	v_cmp_gt_i64_e64 s[0:1], s[18:19], v[1:2]
	s_bitcmp1_b32 s33, 0
	v_cmp_eq_u32_e32 vcc, 1, v3
	s_cselect_b64 s[2:3], -1, 0
	v_mov_b32_e32 v3, s18
	s_and_b64 vcc, vcc, s[0:1]
	v_mov_b32_e32 v4, s19
	v_cndmask_b32_e32 v3, v3, v1, vcc
	v_cndmask_b32_e32 v4, v4, v2, vcc
	v_cndmask_b32_e64 v5, v9, 1, s[2:3]
	v_cndmask_b32_e64 v4, v2, v4, s[2:3]
	;; [unrolled: 1-line block ×3, first 2 shown]
.LBB460_217:
	s_or_b64 s[14:15], s[14:15], exec
.LBB460_218:
	s_or_b64 exec, exec, s[8:9]
	v_mov_b32_e32 v1, s6
	v_mov_b32_e32 v2, s7
	s_branch .LBB460_306
.LBB460_219:
	s_cmp_gt_i32 s38, 1
	s_cbranch_scc0 .LBB460_231
; %bb.220:
	s_cmp_eq_u32 s38, 2
	s_cbranch_scc0 .LBB460_232
; %bb.221:
	s_mov_b32 s7, 0
	s_lshl_b32 s30, s6, 8
	s_mov_b32 s31, s7
	s_lshr_b64 s[0:1], s[22:23], 8
	s_lshl_b64 s[2:3], s[30:31], 2
	s_add_u32 s16, s24, s2
	s_addc_u32 s17, s25, s3
	s_add_u32 s28, s26, s2
	s_addc_u32 s29, s27, s3
	;; [unrolled: 2-line block ×3, first 2 shown]
	s_cmp_lg_u64 s[0:1], s[6:7]
	s_cbranch_scc0 .LBB460_233
; %bb.222:
	v_lshlrev_b32_e32 v1, 2, v0
	global_load_dword v2, v1, s[28:29]
	s_waitcnt lgkmcnt(0)
	global_load_dword v4, v1, s[28:29] offset:512
	global_load_dword v6, v1, s[16:17] offset:512
	global_load_dword v7, v1, s[16:17]
	v_mov_b32_e32 v1, s34
	v_add_co_u32_e32 v8, vcc, s31, v0
	v_addc_co_u32_e32 v1, vcc, 0, v1, vcc
	v_add_co_u32_e32 v9, vcc, 0x80, v8
	v_addc_co_u32_e32 v10, vcc, 0, v1, vcc
	v_mbcnt_lo_u32_b32 v3, -1, 0
	v_mbcnt_hi_u32_b32 v3, -1, v3
	v_lshlrev_b32_e32 v5, 2, v3
	v_or_b32_e32 v11, 0xfc, v5
	s_waitcnt vmcnt(1)
	v_cmp_neq_f32_e32 vcc, v6, v4
	s_waitcnt vmcnt(0)
	v_cmp_neq_f32_e64 s[0:1], v7, v2
	v_cndmask_b32_e64 v2, v10, v1, s[0:1]
	v_cndmask_b32_e64 v1, v9, v8, s[0:1]
	s_or_b64 s[0:1], s[0:1], vcc
	v_mov_b32_dpp v7, v2 quad_perm:[1,0,3,2] row_mask:0xf bank_mask:0xf bound_ctrl:1
	v_mov_b32_dpp v6, v1 quad_perm:[1,0,3,2] row_mask:0xf bank_mask:0xf bound_ctrl:1
	v_cndmask_b32_e64 v4, 0, 1, s[0:1]
	v_cmp_lt_i64_e32 vcc, v[1:2], v[6:7]
	s_and_b64 vcc, s[0:1], vcc
	v_mov_b32_dpp v8, v4 quad_perm:[1,0,3,2] row_mask:0xf bank_mask:0xf bound_ctrl:1
	v_and_b32_e32 v8, 1, v8
	v_cndmask_b32_e32 v6, v6, v1, vcc
	v_cndmask_b32_e32 v7, v7, v2, vcc
	v_cmp_eq_u32_e32 vcc, 1, v8
	v_cndmask_b32_e32 v2, v2, v7, vcc
	v_cndmask_b32_e32 v1, v1, v6, vcc
	v_cndmask_b32_e64 v4, v4, 1, vcc
	v_mov_b32_dpp v7, v2 quad_perm:[2,3,0,1] row_mask:0xf bank_mask:0xf bound_ctrl:1
	v_mov_b32_dpp v6, v1 quad_perm:[2,3,0,1] row_mask:0xf bank_mask:0xf bound_ctrl:1
	v_and_b32_e32 v9, 1, v4
	v_cmp_lt_i64_e64 s[0:1], v[1:2], v[6:7]
	v_mov_b32_dpp v8, v4 quad_perm:[2,3,0,1] row_mask:0xf bank_mask:0xf bound_ctrl:1
	v_cmp_eq_u32_e32 vcc, 1, v9
	v_and_b32_e32 v8, 1, v8
	s_and_b64 vcc, vcc, s[0:1]
	v_cmp_eq_u32_e64 s[2:3], 1, v8
	v_cndmask_b32_e32 v6, v6, v1, vcc
	v_cndmask_b32_e32 v7, v7, v2, vcc
	v_cndmask_b32_e64 v1, v1, v6, s[2:3]
	v_cndmask_b32_e64 v2, v2, v7, s[2:3]
	;; [unrolled: 1-line block ×3, first 2 shown]
	v_mov_b32_dpp v6, v1 row_ror:4 row_mask:0xf bank_mask:0xf bound_ctrl:1
	v_mov_b32_dpp v7, v2 row_ror:4 row_mask:0xf bank_mask:0xf bound_ctrl:1
	v_and_b32_e32 v9, 1, v4
	v_cmp_lt_i64_e64 s[2:3], v[1:2], v[6:7]
	v_mov_b32_dpp v8, v4 row_ror:4 row_mask:0xf bank_mask:0xf bound_ctrl:1
	v_cmp_eq_u32_e32 vcc, 1, v9
	v_and_b32_e32 v8, 1, v8
	s_and_b64 vcc, vcc, s[2:3]
	v_cmp_eq_u32_e64 s[0:1], 1, v8
	v_cndmask_b32_e32 v6, v6, v1, vcc
	v_cndmask_b32_e32 v7, v7, v2, vcc
	v_cndmask_b32_e64 v1, v1, v6, s[0:1]
	v_cndmask_b32_e64 v2, v2, v7, s[0:1]
	;; [unrolled: 1-line block ×3, first 2 shown]
	v_mov_b32_dpp v6, v1 row_ror:8 row_mask:0xf bank_mask:0xf bound_ctrl:1
	v_mov_b32_dpp v7, v2 row_ror:8 row_mask:0xf bank_mask:0xf bound_ctrl:1
	v_and_b32_e32 v9, 1, v4
	v_cmp_lt_i64_e64 s[2:3], v[1:2], v[6:7]
	v_mov_b32_dpp v8, v4 row_ror:8 row_mask:0xf bank_mask:0xf bound_ctrl:1
	v_cmp_eq_u32_e64 s[8:9], 1, v9
	v_and_b32_e32 v8, 1, v8
	s_and_b64 s[2:3], s[8:9], s[2:3]
	v_cmp_eq_u32_e64 s[10:11], 1, v8
	v_cndmask_b32_e64 v6, v6, v1, s[2:3]
	v_cndmask_b32_e64 v7, v7, v2, s[2:3]
	;; [unrolled: 1-line block ×5, first 2 shown]
	v_mov_b32_dpp v8, v4 row_bcast:15 row_mask:0xf bank_mask:0xf bound_ctrl:1
	v_mov_b32_dpp v6, v1 row_bcast:15 row_mask:0xf bank_mask:0xf bound_ctrl:1
	v_mov_b32_dpp v7, v2 row_bcast:15 row_mask:0xf bank_mask:0xf bound_ctrl:1
	v_and_b32_e32 v9, 1, v4
	v_and_b32_e32 v8, 1, v8
	v_cmp_lt_i64_e64 s[2:3], v[1:2], v[6:7]
	v_cmp_eq_u32_e32 vcc, 1, v9
	v_cmp_eq_u32_e64 s[0:1], 1, v8
	v_cndmask_b32_e64 v4, v4, 1, s[0:1]
	s_and_b64 vcc, vcc, s[2:3]
	v_cndmask_b32_e32 v6, v6, v1, vcc
	v_mov_b32_dpp v8, v4 row_bcast:31 row_mask:0xf bank_mask:0xf bound_ctrl:1
	v_cndmask_b32_e32 v7, v7, v2, vcc
	v_and_b32_e32 v9, 1, v4
	v_and_b32_e32 v8, 1, v8
	v_cndmask_b32_e64 v1, v1, v6, s[0:1]
	v_cndmask_b32_e64 v2, v2, v7, s[0:1]
	v_cmp_eq_u32_e64 s[12:13], 1, v9
	v_cmp_eq_u32_e64 s[8:9], 1, v8
	v_mov_b32_dpp v8, v1 row_bcast:31 row_mask:0xf bank_mask:0xf bound_ctrl:1
	v_mov_b32_dpp v9, v2 row_bcast:31 row_mask:0xf bank_mask:0xf bound_ctrl:1
	v_cmp_lt_i64_e32 vcc, v[1:2], v[8:9]
	v_cndmask_b32_e64 v4, v4, 1, s[8:9]
	s_and_b64 vcc, s[12:13], vcc
	ds_bpermute_b32 v7, v11, v4
	v_cndmask_b32_e32 v4, v8, v1, vcc
	v_cndmask_b32_e32 v6, v9, v2, vcc
	v_cndmask_b32_e64 v1, v1, v4, s[8:9]
	v_cndmask_b32_e64 v2, v2, v6, s[8:9]
	ds_bpermute_b32 v1, v11, v1
	ds_bpermute_b32 v2, v11, v2
	v_cmp_eq_u32_e32 vcc, 0, v3
	s_and_saveexec_b64 s[0:1], vcc
	s_cbranch_execz .LBB460_224
; %bb.223:
	v_lshrrev_b32_e32 v4, 2, v0
	v_and_b32_e32 v4, 16, v4
	s_waitcnt lgkmcnt(2)
	ds_write_b8 v4, v7 offset:32
	s_waitcnt lgkmcnt(1)
	ds_write_b64 v4, v[1:2] offset:40
.LBB460_224:
	s_or_b64 exec, exec, s[0:1]
	v_cmp_gt_u32_e32 vcc, 64, v0
	s_waitcnt lgkmcnt(0)
	s_barrier
	s_and_saveexec_b64 s[0:1], vcc
	s_cbranch_execz .LBB460_230
; %bb.225:
	v_and_b32_e32 v1, 1, v3
	v_lshlrev_b32_e32 v1, 4, v1
	ds_read_u8 v8, v1 offset:32
	ds_read_b64 v[3:4], v1 offset:40
	v_or_b32_e32 v2, 4, v5
	s_waitcnt lgkmcnt(1)
	v_and_b32_e32 v1, 0xff, v8
	ds_bpermute_b32 v9, v2, v1
	s_waitcnt lgkmcnt(1)
	ds_bpermute_b32 v5, v2, v3
	ds_bpermute_b32 v6, v2, v4
	s_waitcnt lgkmcnt(2)
	v_and_b32_e32 v1, v8, v9
	v_and_b32_e32 v1, 1, v1
	v_cmp_eq_u32_e32 vcc, 1, v1
                                        ; implicit-def: $vgpr1_vgpr2
	s_and_saveexec_b64 s[2:3], vcc
	s_xor_b64 s[2:3], exec, s[2:3]
	s_cbranch_execz .LBB460_227
; %bb.226:
	s_waitcnt lgkmcnt(0)
	v_cmp_lt_i64_e32 vcc, v[5:6], v[3:4]
                                        ; implicit-def: $vgpr8
                                        ; implicit-def: $vgpr9
	v_cndmask_b32_e32 v2, v4, v6, vcc
	v_cndmask_b32_e32 v1, v3, v5, vcc
                                        ; implicit-def: $vgpr5_vgpr6
                                        ; implicit-def: $vgpr3_vgpr4
.LBB460_227:
	s_or_saveexec_b64 s[2:3], s[2:3]
	v_mov_b32_e32 v7, 1
	s_xor_b64 exec, exec, s[2:3]
	s_cbranch_execz .LBB460_229
; %bb.228:
	v_and_b32_e32 v1, 1, v8
	v_cmp_eq_u32_e32 vcc, 1, v1
	s_waitcnt lgkmcnt(0)
	v_cndmask_b32_e32 v2, v6, v4, vcc
	v_cndmask_b32_e32 v1, v5, v3, vcc
	v_cndmask_b32_e64 v7, v9, 1, vcc
.LBB460_229:
	s_or_b64 exec, exec, s[2:3]
.LBB460_230:
	s_or_b64 exec, exec, s[0:1]
	s_branch .LBB460_285
.LBB460_231:
                                        ; implicit-def: $vgpr3_vgpr4
                                        ; implicit-def: $vgpr5
                                        ; implicit-def: $vgpr1_vgpr2
	s_cbranch_execnz .LBB460_290
	s_branch .LBB460_306
.LBB460_232:
                                        ; implicit-def: $vgpr3_vgpr4
                                        ; implicit-def: $vgpr5
                                        ; implicit-def: $vgpr1_vgpr2
	s_branch .LBB460_306
.LBB460_233:
                                        ; implicit-def: $vgpr1_vgpr2
                                        ; implicit-def: $vgpr7
	s_cbranch_execz .LBB460_285
; %bb.234:
	s_sub_i32 s10, s22, s30
	s_waitcnt lgkmcnt(0)
	v_mov_b32_e32 v3, 0
	v_mov_b32_e32 v1, 0
	v_cmp_gt_u32_e32 vcc, s10, v0
	v_mov_b32_e32 v6, 0
	v_mov_b32_e32 v4, 0
	;; [unrolled: 1-line block ×4, first 2 shown]
	s_and_saveexec_b64 s[0:1], vcc
	s_cbranch_execz .LBB460_236
; %bb.235:
	v_lshlrev_b32_e32 v1, 2, v0
	global_load_dword v5, v1, s[16:17]
	global_load_dword v7, v1, s[28:29]
	v_mov_b32_e32 v2, s34
	v_add_co_u32_e32 v1, vcc, s31, v0
	v_addc_co_u32_e32 v2, vcc, 0, v2, vcc
	s_waitcnt vmcnt(0)
	v_cmp_neq_f32_e32 vcc, v5, v7
	v_cndmask_b32_e64 v5, 0, 1, vcc
.LBB460_236:
	s_or_b64 exec, exec, s[0:1]
	v_or_b32_e32 v7, 0x80, v0
	v_cmp_gt_u32_e32 vcc, s10, v7
	s_and_saveexec_b64 s[2:3], vcc
	s_cbranch_execz .LBB460_238
; %bb.237:
	v_lshlrev_b32_e32 v3, 2, v0
	global_load_dword v6, v3, s[16:17] offset:512
	global_load_dword v8, v3, s[28:29] offset:512
	v_mov_b32_e32 v4, s34
	v_add_co_u32_e64 v3, s[0:1], s31, v7
	v_addc_co_u32_e64 v4, s[0:1], 0, v4, s[0:1]
	s_waitcnt vmcnt(0)
	v_cmp_neq_f32_e64 s[0:1], v6, v8
	v_cndmask_b32_e64 v6, 0, 1, s[0:1]
.LBB460_238:
	s_or_b64 exec, exec, s[2:3]
	v_and_b32_e32 v8, 0xffff, v6
	v_and_b32_e32 v6, 1, v6
	v_cmp_lt_i64_e64 s[2:3], v[3:4], v[1:2]
	v_and_b32_e32 v7, 0xffff, v5
	v_cmp_eq_u32_e64 s[0:1], 1, v6
	v_and_b32_e32 v5, 1, v5
	v_cmp_eq_u32_e64 s[8:9], 1, v5
	s_and_b64 s[0:1], s[0:1], s[2:3]
	v_cndmask_b32_e64 v5, v8, 1, s[8:9]
	v_cndmask_b32_e64 v8, v1, v3, s[0:1]
	;; [unrolled: 1-line block ×3, first 2 shown]
	v_cndmask_b32_e32 v1, v1, v3, vcc
	v_mbcnt_lo_u32_b32 v3, -1, 0
	v_cndmask_b32_e64 v6, v2, v4, s[0:1]
	v_cndmask_b32_e32 v7, v7, v5, vcc
	v_mbcnt_hi_u32_b32 v5, -1, v3
	v_cndmask_b32_e64 v4, v4, v6, s[8:9]
	v_and_b32_e32 v6, 63, v5
	v_cndmask_b32_e32 v2, v2, v4, vcc
	v_cmp_ne_u32_e32 vcc, 63, v6
	v_addc_co_u32_e32 v3, vcc, 0, v5, vcc
	v_lshlrev_b32_e32 v4, 2, v3
	ds_bpermute_b32 v9, v4, v7
	ds_bpermute_b32 v3, v4, v1
	;; [unrolled: 1-line block ×3, first 2 shown]
	s_min_u32 s8, s10, 0x80
	v_and_b32_e32 v8, 64, v0
	v_sub_u32_e64 v8, s8, v8 clamp
	v_add_u32_e32 v10, 1, v6
	v_cmp_lt_u32_e32 vcc, v10, v8
	s_and_saveexec_b64 s[0:1], vcc
	s_cbranch_execz .LBB460_244
; %bb.239:
	s_waitcnt lgkmcnt(2)
	v_and_b32_e32 v10, v9, v7
	v_cmp_ne_u32_e32 vcc, 0, v10
	s_and_saveexec_b64 s[2:3], vcc
	s_xor_b64 s[2:3], exec, s[2:3]
	s_cbranch_execz .LBB460_241
; %bb.240:
	s_waitcnt lgkmcnt(0)
	v_cmp_lt_i64_e32 vcc, v[3:4], v[1:2]
                                        ; implicit-def: $vgpr7
                                        ; implicit-def: $vgpr9
	v_cndmask_b32_e32 v2, v2, v4, vcc
	v_cndmask_b32_e32 v1, v1, v3, vcc
                                        ; implicit-def: $vgpr3_vgpr4
.LBB460_241:
	s_or_saveexec_b64 s[2:3], s[2:3]
	v_mov_b32_e32 v10, 1
	s_xor_b64 exec, exec, s[2:3]
	s_cbranch_execz .LBB460_243
; %bb.242:
	v_and_b32_e32 v7, 1, v7
	v_cmp_eq_u32_e32 vcc, 1, v7
	s_waitcnt lgkmcnt(1)
	v_cndmask_b32_e32 v1, v3, v1, vcc
	v_and_b32_e32 v3, 0xff, v9
	s_waitcnt lgkmcnt(0)
	v_cndmask_b32_e32 v2, v4, v2, vcc
	v_cndmask_b32_e64 v10, v3, 1, vcc
.LBB460_243:
	s_or_b64 exec, exec, s[2:3]
	v_mov_b32_e32 v7, v10
.LBB460_244:
	s_or_b64 exec, exec, s[0:1]
	v_cmp_gt_u32_e32 vcc, 62, v6
	s_waitcnt lgkmcnt(1)
	v_cndmask_b32_e64 v3, 0, 2, vcc
	s_waitcnt lgkmcnt(0)
	v_add_lshl_u32 v4, v3, v5, 2
	ds_bpermute_b32 v9, v4, v7
	ds_bpermute_b32 v3, v4, v1
	ds_bpermute_b32 v4, v4, v2
	v_add_u32_e32 v10, 2, v6
	v_cmp_lt_u32_e32 vcc, v10, v8
	s_and_saveexec_b64 s[0:1], vcc
	s_cbranch_execz .LBB460_250
; %bb.245:
	s_waitcnt lgkmcnt(2)
	v_and_b32_e32 v10, v7, v9
	v_and_b32_e32 v10, 1, v10
	v_cmp_eq_u32_e32 vcc, 1, v10
	s_and_saveexec_b64 s[2:3], vcc
	s_xor_b64 s[2:3], exec, s[2:3]
	s_cbranch_execz .LBB460_247
; %bb.246:
	s_waitcnt lgkmcnt(0)
	v_cmp_lt_i64_e32 vcc, v[3:4], v[1:2]
                                        ; implicit-def: $vgpr7
                                        ; implicit-def: $vgpr9
	v_cndmask_b32_e32 v2, v2, v4, vcc
	v_cndmask_b32_e32 v1, v1, v3, vcc
                                        ; implicit-def: $vgpr3_vgpr4
.LBB460_247:
	s_or_saveexec_b64 s[2:3], s[2:3]
	v_mov_b32_e32 v10, 1
	s_xor_b64 exec, exec, s[2:3]
	s_cbranch_execz .LBB460_249
; %bb.248:
	v_and_b32_e32 v7, 1, v7
	v_cmp_eq_u32_e32 vcc, 1, v7
	s_waitcnt lgkmcnt(1)
	v_cndmask_b32_e32 v1, v3, v1, vcc
	v_and_b32_e32 v3, 0xff, v9
	s_waitcnt lgkmcnt(0)
	v_cndmask_b32_e32 v2, v4, v2, vcc
	v_cndmask_b32_e64 v10, v3, 1, vcc
.LBB460_249:
	s_or_b64 exec, exec, s[2:3]
	v_mov_b32_e32 v7, v10
.LBB460_250:
	s_or_b64 exec, exec, s[0:1]
	v_cmp_gt_u32_e32 vcc, 60, v6
	s_waitcnt lgkmcnt(1)
	v_cndmask_b32_e64 v3, 0, 4, vcc
	s_waitcnt lgkmcnt(0)
	v_add_lshl_u32 v4, v3, v5, 2
	ds_bpermute_b32 v9, v4, v7
	ds_bpermute_b32 v3, v4, v1
	ds_bpermute_b32 v4, v4, v2
	v_add_u32_e32 v10, 4, v6
	v_cmp_lt_u32_e32 vcc, v10, v8
	s_and_saveexec_b64 s[0:1], vcc
	s_cbranch_execz .LBB460_256
; %bb.251:
	s_waitcnt lgkmcnt(2)
	v_and_b32_e32 v10, v7, v9
	v_and_b32_e32 v10, 1, v10
	v_cmp_eq_u32_e32 vcc, 1, v10
	s_and_saveexec_b64 s[2:3], vcc
	s_xor_b64 s[2:3], exec, s[2:3]
	s_cbranch_execz .LBB460_253
; %bb.252:
	s_waitcnt lgkmcnt(0)
	v_cmp_lt_i64_e32 vcc, v[3:4], v[1:2]
                                        ; implicit-def: $vgpr7
                                        ; implicit-def: $vgpr9
	v_cndmask_b32_e32 v2, v2, v4, vcc
	v_cndmask_b32_e32 v1, v1, v3, vcc
                                        ; implicit-def: $vgpr3_vgpr4
.LBB460_253:
	s_or_saveexec_b64 s[2:3], s[2:3]
	v_mov_b32_e32 v10, 1
	s_xor_b64 exec, exec, s[2:3]
	s_cbranch_execz .LBB460_255
; %bb.254:
	v_and_b32_e32 v7, 1, v7
	v_cmp_eq_u32_e32 vcc, 1, v7
	s_waitcnt lgkmcnt(1)
	v_cndmask_b32_e32 v1, v3, v1, vcc
	v_and_b32_e32 v3, 0xff, v9
	s_waitcnt lgkmcnt(0)
	v_cndmask_b32_e32 v2, v4, v2, vcc
	v_cndmask_b32_e64 v10, v3, 1, vcc
.LBB460_255:
	s_or_b64 exec, exec, s[2:3]
	v_mov_b32_e32 v7, v10
.LBB460_256:
	;; [unrolled: 47-line block ×4, first 2 shown]
	s_or_b64 exec, exec, s[0:1]
	s_waitcnt lgkmcnt(2)
	v_lshlrev_b32_e32 v9, 2, v5
	s_waitcnt lgkmcnt(0)
	v_or_b32_e32 v4, 0x80, v9
	ds_bpermute_b32 v10, v4, v7
	ds_bpermute_b32 v3, v4, v1
	;; [unrolled: 1-line block ×3, first 2 shown]
	v_add_u32_e32 v6, 32, v6
	v_cmp_lt_u32_e32 vcc, v6, v8
	v_mov_b32_e32 v6, v7
	s_and_saveexec_b64 s[0:1], vcc
	s_cbranch_execz .LBB460_274
; %bb.269:
	s_waitcnt lgkmcnt(2)
	v_and_b32_e32 v6, v7, v10
	v_and_b32_e32 v6, 1, v6
	v_cmp_eq_u32_e32 vcc, 1, v6
	s_and_saveexec_b64 s[2:3], vcc
	s_xor_b64 s[2:3], exec, s[2:3]
	s_cbranch_execz .LBB460_271
; %bb.270:
	s_waitcnt lgkmcnt(0)
	v_cmp_lt_i64_e32 vcc, v[3:4], v[1:2]
                                        ; implicit-def: $vgpr7
                                        ; implicit-def: $vgpr10
	v_cndmask_b32_e32 v2, v2, v4, vcc
	v_cndmask_b32_e32 v1, v1, v3, vcc
                                        ; implicit-def: $vgpr3_vgpr4
.LBB460_271:
	s_or_saveexec_b64 s[2:3], s[2:3]
	v_mov_b32_e32 v6, 1
	s_xor_b64 exec, exec, s[2:3]
	s_cbranch_execz .LBB460_273
; %bb.272:
	v_and_b32_e32 v6, 1, v7
	v_cmp_eq_u32_e32 vcc, 1, v6
	v_cndmask_b32_e64 v6, v10, 1, vcc
	s_waitcnt lgkmcnt(0)
	v_cndmask_b32_e32 v2, v4, v2, vcc
	v_cndmask_b32_e32 v1, v3, v1, vcc
.LBB460_273:
	s_or_b64 exec, exec, s[2:3]
	v_and_b32_e32 v7, 0xff, v6
.LBB460_274:
	s_or_b64 exec, exec, s[0:1]
	v_cmp_eq_u32_e32 vcc, 0, v5
	s_and_saveexec_b64 s[0:1], vcc
	s_cbranch_execz .LBB460_276
; %bb.275:
	s_waitcnt lgkmcnt(1)
	v_lshrrev_b32_e32 v3, 2, v0
	v_and_b32_e32 v3, 16, v3
	ds_write_b8 v3, v6 offset:128
	ds_write_b64 v3, v[1:2] offset:136
.LBB460_276:
	s_or_b64 exec, exec, s[0:1]
	v_cmp_gt_u32_e32 vcc, 2, v0
	s_waitcnt lgkmcnt(0)
	s_barrier
	s_and_saveexec_b64 s[0:1], vcc
	s_cbranch_execz .LBB460_284
; %bb.277:
	v_lshlrev_b32_e32 v1, 4, v5
	ds_read_u8 v6, v1 offset:128
	ds_read_b64 v[1:2], v1 offset:136
	v_or_b32_e32 v4, 4, v9
	s_add_i32 s8, s8, 63
	v_and_b32_e32 v5, 1, v5
	s_waitcnt lgkmcnt(1)
	v_and_b32_e32 v7, 0xff, v6
	s_waitcnt lgkmcnt(0)
	ds_bpermute_b32 v3, v4, v1
	ds_bpermute_b32 v8, v4, v7
	;; [unrolled: 1-line block ×3, first 2 shown]
	s_lshr_b32 s2, s8, 6
	v_add_u32_e32 v5, 1, v5
	v_cmp_gt_u32_e32 vcc, s2, v5
	s_and_saveexec_b64 s[2:3], vcc
	s_cbranch_execz .LBB460_283
; %bb.278:
	s_waitcnt lgkmcnt(1)
	v_and_b32_e32 v5, v7, v8
	v_and_b32_e32 v5, 1, v5
	v_cmp_eq_u32_e32 vcc, 1, v5
	s_and_saveexec_b64 s[8:9], vcc
	s_xor_b64 s[8:9], exec, s[8:9]
	s_cbranch_execz .LBB460_280
; %bb.279:
	s_waitcnt lgkmcnt(0)
	v_cmp_lt_i64_e32 vcc, v[3:4], v[1:2]
                                        ; implicit-def: $vgpr6
                                        ; implicit-def: $vgpr8
	v_cndmask_b32_e32 v2, v2, v4, vcc
	v_cndmask_b32_e32 v1, v1, v3, vcc
                                        ; implicit-def: $vgpr3_vgpr4
.LBB460_280:
	s_or_saveexec_b64 s[8:9], s[8:9]
	v_mov_b32_e32 v7, 1
	s_xor_b64 exec, exec, s[8:9]
	s_cbranch_execz .LBB460_282
; %bb.281:
	v_and_b32_e32 v5, 1, v6
	v_cmp_eq_u32_e32 vcc, 1, v5
	s_waitcnt lgkmcnt(0)
	v_cndmask_b32_e32 v2, v4, v2, vcc
	v_cndmask_b32_e32 v1, v3, v1, vcc
	v_cndmask_b32_e64 v7, v8, 1, vcc
.LBB460_282:
	s_or_b64 exec, exec, s[8:9]
.LBB460_283:
	s_or_b64 exec, exec, s[2:3]
.LBB460_284:
	s_or_b64 exec, exec, s[0:1]
.LBB460_285:
	v_cmp_eq_u32_e32 vcc, 0, v0
                                        ; implicit-def: $vgpr3_vgpr4
                                        ; implicit-def: $vgpr5
	s_and_saveexec_b64 s[0:1], vcc
	s_xor_b64 s[8:9], exec, s[0:1]
	s_cbranch_execz .LBB460_289
; %bb.286:
	s_waitcnt lgkmcnt(0)
	v_mov_b32_e32 v3, s18
	s_cmp_eq_u64 s[22:23], 0
	v_mov_b32_e32 v4, s19
	v_mov_b32_e32 v5, s33
	s_cbranch_scc1 .LBB460_288
; %bb.287:
	v_and_b32_e32 v3, 1, v7
	v_cmp_gt_i64_e64 s[0:1], s[18:19], v[1:2]
	s_bitcmp1_b32 s33, 0
	v_cmp_eq_u32_e32 vcc, 1, v3
	s_cselect_b64 s[2:3], -1, 0
	v_mov_b32_e32 v3, s18
	s_and_b64 vcc, vcc, s[0:1]
	v_mov_b32_e32 v4, s19
	v_cndmask_b32_e32 v3, v3, v1, vcc
	v_cndmask_b32_e32 v4, v4, v2, vcc
	v_cndmask_b32_e64 v5, v7, 1, s[2:3]
	v_cndmask_b32_e64 v4, v2, v4, s[2:3]
	;; [unrolled: 1-line block ×3, first 2 shown]
.LBB460_288:
	s_or_b64 s[14:15], s[14:15], exec
.LBB460_289:
	s_or_b64 exec, exec, s[8:9]
	v_mov_b32_e32 v1, s6
	v_mov_b32_e32 v2, s7
	s_branch .LBB460_306
.LBB460_290:
	s_cmp_eq_u32 s38, 1
	s_cbranch_scc0 .LBB460_305
; %bb.291:
	s_mov_b32 s9, 0
	s_lshl_b32 s8, s6, 7
	s_mov_b32 s7, s9
	s_lshr_b64 s[0:1], s[22:23], 7
	s_cmp_lg_u64 s[0:1], s[6:7]
	s_cbranch_scc0 .LBB460_309
; %bb.292:
	s_lshl_b64 s[0:1], s[8:9], 2
	s_add_u32 s2, s24, s0
	s_addc_u32 s3, s25, s1
	s_add_u32 s0, s26, s0
	v_lshlrev_b32_e32 v1, 2, v0
	s_addc_u32 s1, s27, s1
	s_waitcnt lgkmcnt(1)
	global_load_dword v5, v1, s[2:3]
	s_waitcnt lgkmcnt(0)
	global_load_dword v6, v1, s[0:1]
	s_add_u32 s0, s20, s8
	s_addc_u32 s1, s21, 0
	v_mov_b32_e32 v2, s1
	v_add_co_u32_e32 v1, vcc, s0, v0
	v_addc_co_u32_e32 v2, vcc, 0, v2, vcc
	s_nop 0
	v_mov_b32_dpp v3, v1 quad_perm:[1,0,3,2] row_mask:0xf bank_mask:0xf bound_ctrl:1
	v_mov_b32_dpp v4, v2 quad_perm:[1,0,3,2] row_mask:0xf bank_mask:0xf bound_ctrl:1
	v_cmp_lt_i64_e32 vcc, v[1:2], v[3:4]
                                        ; implicit-def: $vgpr7
	s_waitcnt vmcnt(0)
	v_cmp_neq_f32_e64 s[0:1], v5, v6
	v_cndmask_b32_e64 v5, 0, 1, s[0:1]
	s_and_b64 vcc, s[0:1], vcc
	v_cndmask_b32_e32 v3, v3, v1, vcc
	v_mov_b32_dpp v5, v5 quad_perm:[1,0,3,2] row_mask:0xf bank_mask:0xf bound_ctrl:1
	v_and_b32_e32 v5, 1, v5
	v_cndmask_b32_e32 v4, v4, v2, vcc
	v_cmp_eq_u32_e32 vcc, 1, v5
	s_or_b64 s[0:1], vcc, s[0:1]
	v_cndmask_b32_e32 v3, v1, v3, vcc
	v_cndmask_b32_e64 v1, 0, 1, s[0:1]
	v_cndmask_b32_e32 v4, v2, v4, vcc
	v_mov_b32_dpp v5, v3 quad_perm:[2,3,0,1] row_mask:0xf bank_mask:0xf bound_ctrl:1
	v_mov_b32_dpp v1, v1 quad_perm:[2,3,0,1] row_mask:0xf bank_mask:0xf bound_ctrl:1
	v_and_b32_e32 v1, 1, v1
	v_cmp_eq_u32_e32 vcc, 1, v1
	s_and_b64 s[2:3], vcc, s[0:1]
	v_mov_b32_dpp v6, v4 quad_perm:[2,3,0,1] row_mask:0xf bank_mask:0xf bound_ctrl:1
	s_xor_b64 s[2:3], s[2:3], -1
                                        ; implicit-def: $vgpr1_vgpr2
	s_and_saveexec_b64 s[10:11], s[2:3]
	s_xor_b64 s[2:3], exec, s[10:11]
; %bb.293:
	s_or_b64 s[0:1], vcc, s[0:1]
	v_cndmask_b32_e32 v2, v4, v6, vcc
	v_cndmask_b32_e32 v1, v3, v5, vcc
	v_cndmask_b32_e64 v7, 0, 1, s[0:1]
                                        ; implicit-def: $vgpr3_vgpr4
                                        ; implicit-def: $vgpr5_vgpr6
; %bb.294:
	s_andn2_saveexec_b64 s[0:1], s[2:3]
; %bb.295:
	v_cmp_lt_i64_e32 vcc, v[3:4], v[5:6]
	v_mov_b32_e32 v7, 1
	v_cndmask_b32_e32 v2, v6, v4, vcc
	v_cndmask_b32_e32 v1, v5, v3, vcc
; %bb.296:
	s_or_b64 exec, exec, s[0:1]
	s_nop 0
	v_mov_b32_dpp v4, v1 row_ror:4 row_mask:0xf bank_mask:0xf bound_ctrl:1
	v_mov_b32_dpp v5, v2 row_ror:4 row_mask:0xf bank_mask:0xf bound_ctrl:1
	v_and_b32_e32 v8, 1, v7
	v_cmp_lt_i64_e64 s[0:1], v[1:2], v[4:5]
	v_mov_b32_dpp v6, v7 row_ror:4 row_mask:0xf bank_mask:0xf bound_ctrl:1
	v_cmp_eq_u32_e32 vcc, 1, v8
	v_and_b32_e32 v6, 1, v6
	s_and_b64 vcc, vcc, s[0:1]
	v_cmp_eq_u32_e64 s[2:3], 1, v6
	v_cndmask_b32_e32 v4, v4, v1, vcc
	v_cndmask_b32_e32 v5, v5, v2, vcc
	v_cndmask_b32_e64 v2, v2, v5, s[2:3]
	v_cndmask_b32_e64 v1, v1, v4, s[2:3]
	v_cndmask_b32_e64 v6, v7, 1, s[2:3]
	v_mov_b32_dpp v5, v2 row_ror:8 row_mask:0xf bank_mask:0xf bound_ctrl:1
	v_mov_b32_dpp v4, v1 row_ror:8 row_mask:0xf bank_mask:0xf bound_ctrl:1
	v_and_b32_e32 v8, 1, v6
	v_cmp_lt_i64_e64 s[0:1], v[1:2], v[4:5]
	v_mov_b32_dpp v7, v6 row_ror:8 row_mask:0xf bank_mask:0xf bound_ctrl:1
	v_cmp_eq_u32_e32 vcc, 1, v8
	v_and_b32_e32 v7, 1, v7
	s_and_b64 vcc, vcc, s[0:1]
	v_cmp_eq_u32_e64 s[2:3], 1, v7
	v_cndmask_b32_e32 v4, v4, v1, vcc
	v_cndmask_b32_e32 v5, v5, v2, vcc
	v_cndmask_b32_e64 v2, v2, v5, s[2:3]
	v_cndmask_b32_e64 v1, v1, v4, s[2:3]
	;; [unrolled: 1-line block ×3, first 2 shown]
	v_mov_b32_dpp v5, v2 row_bcast:15 row_mask:0xf bank_mask:0xf bound_ctrl:1
	v_mov_b32_dpp v4, v1 row_bcast:15 row_mask:0xf bank_mask:0xf bound_ctrl:1
	v_and_b32_e32 v8, 1, v6
	v_cmp_lt_i64_e64 s[0:1], v[1:2], v[4:5]
	v_mov_b32_dpp v7, v6 row_bcast:15 row_mask:0xf bank_mask:0xf bound_ctrl:1
	v_cmp_eq_u32_e32 vcc, 1, v8
	v_and_b32_e32 v7, 1, v7
	s_and_b64 vcc, vcc, s[0:1]
	v_cmp_eq_u32_e64 s[2:3], 1, v7
	v_cndmask_b32_e32 v4, v4, v1, vcc
	v_cndmask_b32_e32 v5, v5, v2, vcc
	v_cndmask_b32_e64 v2, v2, v5, s[2:3]
	v_cndmask_b32_e64 v1, v1, v4, s[2:3]
	;; [unrolled: 1-line block ×3, first 2 shown]
	v_mov_b32_dpp v5, v2 row_bcast:31 row_mask:0xf bank_mask:0xf bound_ctrl:1
	v_mov_b32_dpp v4, v1 row_bcast:31 row_mask:0xf bank_mask:0xf bound_ctrl:1
	v_and_b32_e32 v8, 1, v6
	v_cmp_lt_i64_e64 s[0:1], v[1:2], v[4:5]
	v_mov_b32_dpp v7, v6 row_bcast:31 row_mask:0xf bank_mask:0xf bound_ctrl:1
	v_cmp_eq_u32_e32 vcc, 1, v8
	v_mbcnt_lo_u32_b32 v3, -1, 0
	v_and_b32_e32 v7, 1, v7
	s_and_b64 vcc, vcc, s[0:1]
	v_mbcnt_hi_u32_b32 v3, -1, v3
	v_cmp_eq_u32_e64 s[2:3], 1, v7
	v_cndmask_b32_e32 v5, v5, v2, vcc
	v_cndmask_b32_e32 v4, v4, v1, vcc
	v_cndmask_b32_e64 v2, v2, v5, s[2:3]
	v_lshlrev_b32_e32 v5, 2, v3
	v_cndmask_b32_e64 v6, v6, 1, s[2:3]
	v_cndmask_b32_e64 v1, v1, v4, s[2:3]
	v_or_b32_e32 v4, 0xfc, v5
	ds_bpermute_b32 v7, v4, v6
	ds_bpermute_b32 v1, v4, v1
	;; [unrolled: 1-line block ×3, first 2 shown]
	v_cmp_eq_u32_e32 vcc, 0, v3
	s_and_saveexec_b64 s[0:1], vcc
	s_cbranch_execz .LBB460_298
; %bb.297:
	v_lshrrev_b32_e32 v4, 2, v0
	v_and_b32_e32 v4, 16, v4
	s_waitcnt lgkmcnt(2)
	ds_write_b8 v4, v7
	s_waitcnt lgkmcnt(1)
	ds_write_b64 v4, v[1:2] offset:8
.LBB460_298:
	s_or_b64 exec, exec, s[0:1]
	v_cmp_gt_u32_e32 vcc, 64, v0
	s_waitcnt lgkmcnt(0)
	s_barrier
	s_and_saveexec_b64 s[0:1], vcc
	s_cbranch_execz .LBB460_304
; %bb.299:
	v_and_b32_e32 v1, 1, v3
	v_lshlrev_b32_e32 v1, 4, v1
	ds_read_u8 v8, v1
	ds_read_b64 v[3:4], v1 offset:8
	v_or_b32_e32 v2, 4, v5
	s_waitcnt lgkmcnt(1)
	v_and_b32_e32 v1, 0xff, v8
	ds_bpermute_b32 v9, v2, v1
	s_waitcnt lgkmcnt(1)
	ds_bpermute_b32 v5, v2, v3
	ds_bpermute_b32 v6, v2, v4
	s_waitcnt lgkmcnt(2)
	v_and_b32_e32 v1, v8, v9
	v_and_b32_e32 v1, 1, v1
	v_cmp_eq_u32_e32 vcc, 1, v1
                                        ; implicit-def: $vgpr1_vgpr2
	s_and_saveexec_b64 s[2:3], vcc
	s_xor_b64 s[2:3], exec, s[2:3]
	s_cbranch_execz .LBB460_301
; %bb.300:
	s_waitcnt lgkmcnt(0)
	v_cmp_lt_i64_e32 vcc, v[5:6], v[3:4]
                                        ; implicit-def: $vgpr8
                                        ; implicit-def: $vgpr9
	v_cndmask_b32_e32 v2, v4, v6, vcc
	v_cndmask_b32_e32 v1, v3, v5, vcc
                                        ; implicit-def: $vgpr5_vgpr6
                                        ; implicit-def: $vgpr3_vgpr4
.LBB460_301:
	s_or_saveexec_b64 s[2:3], s[2:3]
	v_mov_b32_e32 v7, 1
	s_xor_b64 exec, exec, s[2:3]
	s_cbranch_execz .LBB460_303
; %bb.302:
	v_and_b32_e32 v1, 1, v8
	v_cmp_eq_u32_e32 vcc, 1, v1
	s_waitcnt lgkmcnt(0)
	v_cndmask_b32_e32 v2, v6, v4, vcc
	v_cndmask_b32_e32 v1, v5, v3, vcc
	v_cndmask_b32_e64 v7, v9, 1, vcc
.LBB460_303:
	s_or_b64 exec, exec, s[2:3]
.LBB460_304:
	s_or_b64 exec, exec, s[0:1]
	s_branch .LBB460_359
.LBB460_305:
                                        ; implicit-def: $vgpr3_vgpr4
                                        ; implicit-def: $vgpr5
                                        ; implicit-def: $vgpr1_vgpr2
.LBB460_306:
	s_and_saveexec_b64 s[0:1], s[14:15]
	s_cbranch_execz .LBB460_308
.LBB460_307:
	s_load_dwordx2 s[0:1], s[4:5], 0x38
	v_lshlrev_b64 v[0:1], 4, v[1:2]
	s_waitcnt lgkmcnt(0)
	v_mov_b32_e32 v2, s1
	v_add_co_u32_e32 v0, vcc, s0, v0
	v_addc_co_u32_e32 v1, vcc, v2, v1, vcc
	global_store_byte v[0:1], v5, off
	global_store_dwordx2 v[0:1], v[3:4], off offset:8
.LBB460_308:
	s_endpgm
.LBB460_309:
                                        ; implicit-def: $vgpr1_vgpr2
                                        ; implicit-def: $vgpr7
	s_cbranch_execz .LBB460_359
; %bb.310:
	s_sub_i32 s2, s22, s8
	v_mov_b32_e32 v1, 0
	v_cmp_gt_u32_e32 vcc, s2, v0
	v_mov_b32_e32 v2, 0
	v_mov_b32_e32 v9, 0
	s_and_saveexec_b64 s[0:1], vcc
	s_cbranch_execz .LBB460_312
; %bb.311:
	s_lshl_b64 s[10:11], s[8:9], 2
	s_add_u32 s12, s26, s10
	s_addc_u32 s13, s27, s11
	s_add_u32 s10, s24, s10
	s_addc_u32 s11, s25, s11
	v_lshlrev_b32_e32 v1, 2, v0
	s_waitcnt lgkmcnt(2)
	global_load_dword v3, v1, s[10:11]
	s_waitcnt lgkmcnt(0)
	global_load_dword v4, v1, s[12:13]
	s_add_u32 s3, s20, s8
	s_addc_u32 s8, s21, 0
	v_mov_b32_e32 v2, s8
	v_add_co_u32_e32 v1, vcc, s3, v0
	v_addc_co_u32_e32 v2, vcc, 0, v2, vcc
	s_waitcnt vmcnt(0)
	v_cmp_neq_f32_e32 vcc, v3, v4
	v_cndmask_b32_e64 v9, 0, 1, vcc
.LBB460_312:
	s_or_b64 exec, exec, s[0:1]
	s_waitcnt lgkmcnt(2)
	v_mbcnt_lo_u32_b32 v3, -1, 0
	s_waitcnt lgkmcnt(1)
	v_mbcnt_hi_u32_b32 v5, -1, v3
	s_waitcnt lgkmcnt(0)
	v_and_b32_e32 v6, 63, v5
	v_cmp_ne_u32_e32 vcc, 63, v6
	v_addc_co_u32_e32 v3, vcc, 0, v5, vcc
	v_and_b32_e32 v7, 0xffff, v9
	v_lshlrev_b32_e32 v4, 2, v3
	ds_bpermute_b32 v10, v4, v7
	ds_bpermute_b32 v3, v4, v1
	;; [unrolled: 1-line block ×3, first 2 shown]
	s_min_u32 s8, s2, 0x80
	v_and_b32_e32 v8, 64, v0
	v_sub_u32_e64 v8, s8, v8 clamp
	v_add_u32_e32 v11, 1, v6
	v_cmp_lt_u32_e32 vcc, v11, v8
	s_and_saveexec_b64 s[0:1], vcc
	s_cbranch_execz .LBB460_318
; %bb.313:
	s_waitcnt lgkmcnt(2)
	v_and_b32_e32 v7, v10, v7
	v_and_b32_e32 v7, 1, v7
	v_cmp_eq_u32_e32 vcc, 1, v7
	s_and_saveexec_b64 s[2:3], vcc
	s_xor_b64 s[2:3], exec, s[2:3]
	s_cbranch_execz .LBB460_315
; %bb.314:
	s_waitcnt lgkmcnt(0)
	v_cmp_lt_i64_e32 vcc, v[3:4], v[1:2]
                                        ; implicit-def: $vgpr9
                                        ; implicit-def: $vgpr10
	v_cndmask_b32_e32 v2, v2, v4, vcc
	v_cndmask_b32_e32 v1, v1, v3, vcc
                                        ; implicit-def: $vgpr3_vgpr4
.LBB460_315:
	s_or_saveexec_b64 s[2:3], s[2:3]
	v_mov_b32_e32 v7, 1
	s_xor_b64 exec, exec, s[2:3]
	s_cbranch_execz .LBB460_317
; %bb.316:
	v_and_b32_e32 v7, 1, v9
	v_cmp_eq_u32_e32 vcc, 1, v7
	s_waitcnt lgkmcnt(1)
	v_cndmask_b32_e32 v1, v3, v1, vcc
	v_and_b32_e32 v3, 0xff, v10
	s_waitcnt lgkmcnt(0)
	v_cndmask_b32_e32 v2, v4, v2, vcc
	v_cndmask_b32_e64 v7, v3, 1, vcc
.LBB460_317:
	s_or_b64 exec, exec, s[2:3]
.LBB460_318:
	s_or_b64 exec, exec, s[0:1]
	v_cmp_gt_u32_e32 vcc, 62, v6
	s_waitcnt lgkmcnt(1)
	v_cndmask_b32_e64 v3, 0, 2, vcc
	s_waitcnt lgkmcnt(0)
	v_add_lshl_u32 v4, v3, v5, 2
	ds_bpermute_b32 v9, v4, v7
	ds_bpermute_b32 v3, v4, v1
	ds_bpermute_b32 v4, v4, v2
	v_add_u32_e32 v10, 2, v6
	v_cmp_lt_u32_e32 vcc, v10, v8
	s_and_saveexec_b64 s[0:1], vcc
	s_cbranch_execz .LBB460_324
; %bb.319:
	s_waitcnt lgkmcnt(2)
	v_and_b32_e32 v10, v7, v9
	v_and_b32_e32 v10, 1, v10
	v_cmp_eq_u32_e32 vcc, 1, v10
	s_and_saveexec_b64 s[2:3], vcc
	s_xor_b64 s[2:3], exec, s[2:3]
	s_cbranch_execz .LBB460_321
; %bb.320:
	s_waitcnt lgkmcnt(0)
	v_cmp_lt_i64_e32 vcc, v[3:4], v[1:2]
                                        ; implicit-def: $vgpr7
                                        ; implicit-def: $vgpr9
	v_cndmask_b32_e32 v2, v2, v4, vcc
	v_cndmask_b32_e32 v1, v1, v3, vcc
                                        ; implicit-def: $vgpr3_vgpr4
.LBB460_321:
	s_or_saveexec_b64 s[2:3], s[2:3]
	v_mov_b32_e32 v10, 1
	s_xor_b64 exec, exec, s[2:3]
	s_cbranch_execz .LBB460_323
; %bb.322:
	v_and_b32_e32 v7, 1, v7
	v_cmp_eq_u32_e32 vcc, 1, v7
	s_waitcnt lgkmcnt(1)
	v_cndmask_b32_e32 v1, v3, v1, vcc
	v_and_b32_e32 v3, 0xff, v9
	s_waitcnt lgkmcnt(0)
	v_cndmask_b32_e32 v2, v4, v2, vcc
	v_cndmask_b32_e64 v10, v3, 1, vcc
.LBB460_323:
	s_or_b64 exec, exec, s[2:3]
	v_mov_b32_e32 v7, v10
.LBB460_324:
	s_or_b64 exec, exec, s[0:1]
	v_cmp_gt_u32_e32 vcc, 60, v6
	s_waitcnt lgkmcnt(1)
	v_cndmask_b32_e64 v3, 0, 4, vcc
	s_waitcnt lgkmcnt(0)
	v_add_lshl_u32 v4, v3, v5, 2
	ds_bpermute_b32 v9, v4, v7
	ds_bpermute_b32 v3, v4, v1
	ds_bpermute_b32 v4, v4, v2
	v_add_u32_e32 v10, 4, v6
	v_cmp_lt_u32_e32 vcc, v10, v8
	s_and_saveexec_b64 s[0:1], vcc
	s_cbranch_execz .LBB460_330
; %bb.325:
	s_waitcnt lgkmcnt(2)
	v_and_b32_e32 v10, v7, v9
	v_and_b32_e32 v10, 1, v10
	v_cmp_eq_u32_e32 vcc, 1, v10
	s_and_saveexec_b64 s[2:3], vcc
	s_xor_b64 s[2:3], exec, s[2:3]
	s_cbranch_execz .LBB460_327
; %bb.326:
	s_waitcnt lgkmcnt(0)
	v_cmp_lt_i64_e32 vcc, v[3:4], v[1:2]
                                        ; implicit-def: $vgpr7
                                        ; implicit-def: $vgpr9
	v_cndmask_b32_e32 v2, v2, v4, vcc
	v_cndmask_b32_e32 v1, v1, v3, vcc
                                        ; implicit-def: $vgpr3_vgpr4
.LBB460_327:
	s_or_saveexec_b64 s[2:3], s[2:3]
	v_mov_b32_e32 v10, 1
	s_xor_b64 exec, exec, s[2:3]
	s_cbranch_execz .LBB460_329
; %bb.328:
	v_and_b32_e32 v7, 1, v7
	v_cmp_eq_u32_e32 vcc, 1, v7
	s_waitcnt lgkmcnt(1)
	v_cndmask_b32_e32 v1, v3, v1, vcc
	v_and_b32_e32 v3, 0xff, v9
	s_waitcnt lgkmcnt(0)
	v_cndmask_b32_e32 v2, v4, v2, vcc
	v_cndmask_b32_e64 v10, v3, 1, vcc
.LBB460_329:
	s_or_b64 exec, exec, s[2:3]
	v_mov_b32_e32 v7, v10
.LBB460_330:
	;; [unrolled: 47-line block ×4, first 2 shown]
	s_or_b64 exec, exec, s[0:1]
	s_waitcnt lgkmcnt(2)
	v_lshlrev_b32_e32 v9, 2, v5
	s_waitcnt lgkmcnt(0)
	v_or_b32_e32 v4, 0x80, v9
	ds_bpermute_b32 v10, v4, v7
	ds_bpermute_b32 v3, v4, v1
	;; [unrolled: 1-line block ×3, first 2 shown]
	v_add_u32_e32 v6, 32, v6
	v_cmp_lt_u32_e32 vcc, v6, v8
	v_mov_b32_e32 v6, v7
	s_and_saveexec_b64 s[0:1], vcc
	s_cbranch_execz .LBB460_348
; %bb.343:
	s_waitcnt lgkmcnt(2)
	v_and_b32_e32 v6, v7, v10
	v_and_b32_e32 v6, 1, v6
	v_cmp_eq_u32_e32 vcc, 1, v6
	s_and_saveexec_b64 s[2:3], vcc
	s_xor_b64 s[2:3], exec, s[2:3]
	s_cbranch_execz .LBB460_345
; %bb.344:
	s_waitcnt lgkmcnt(0)
	v_cmp_lt_i64_e32 vcc, v[3:4], v[1:2]
                                        ; implicit-def: $vgpr7
                                        ; implicit-def: $vgpr10
	v_cndmask_b32_e32 v2, v2, v4, vcc
	v_cndmask_b32_e32 v1, v1, v3, vcc
                                        ; implicit-def: $vgpr3_vgpr4
.LBB460_345:
	s_or_saveexec_b64 s[2:3], s[2:3]
	v_mov_b32_e32 v6, 1
	s_xor_b64 exec, exec, s[2:3]
	s_cbranch_execz .LBB460_347
; %bb.346:
	v_and_b32_e32 v6, 1, v7
	v_cmp_eq_u32_e32 vcc, 1, v6
	v_cndmask_b32_e64 v6, v10, 1, vcc
	s_waitcnt lgkmcnt(0)
	v_cndmask_b32_e32 v2, v4, v2, vcc
	v_cndmask_b32_e32 v1, v3, v1, vcc
.LBB460_347:
	s_or_b64 exec, exec, s[2:3]
	v_and_b32_e32 v7, 0xff, v6
.LBB460_348:
	s_or_b64 exec, exec, s[0:1]
	v_cmp_eq_u32_e32 vcc, 0, v5
	s_and_saveexec_b64 s[0:1], vcc
	s_cbranch_execz .LBB460_350
; %bb.349:
	s_waitcnt lgkmcnt(1)
	v_lshrrev_b32_e32 v3, 2, v0
	v_and_b32_e32 v3, 16, v3
	ds_write_b8 v3, v6 offset:128
	ds_write_b64 v3, v[1:2] offset:136
.LBB460_350:
	s_or_b64 exec, exec, s[0:1]
	v_cmp_gt_u32_e32 vcc, 2, v0
	s_waitcnt lgkmcnt(0)
	s_barrier
	s_and_saveexec_b64 s[0:1], vcc
	s_cbranch_execz .LBB460_358
; %bb.351:
	v_lshlrev_b32_e32 v1, 4, v5
	ds_read_u8 v6, v1 offset:128
	ds_read_b64 v[1:2], v1 offset:136
	v_or_b32_e32 v4, 4, v9
	s_add_i32 s8, s8, 63
	v_and_b32_e32 v5, 1, v5
	s_waitcnt lgkmcnt(1)
	v_and_b32_e32 v7, 0xff, v6
	s_waitcnt lgkmcnt(0)
	ds_bpermute_b32 v3, v4, v1
	ds_bpermute_b32 v8, v4, v7
	ds_bpermute_b32 v4, v4, v2
	s_lshr_b32 s2, s8, 6
	v_add_u32_e32 v5, 1, v5
	v_cmp_gt_u32_e32 vcc, s2, v5
	s_and_saveexec_b64 s[2:3], vcc
	s_cbranch_execz .LBB460_357
; %bb.352:
	s_waitcnt lgkmcnt(1)
	v_and_b32_e32 v5, v7, v8
	v_and_b32_e32 v5, 1, v5
	v_cmp_eq_u32_e32 vcc, 1, v5
	s_and_saveexec_b64 s[8:9], vcc
	s_xor_b64 s[8:9], exec, s[8:9]
	s_cbranch_execz .LBB460_354
; %bb.353:
	s_waitcnt lgkmcnt(0)
	v_cmp_lt_i64_e32 vcc, v[3:4], v[1:2]
                                        ; implicit-def: $vgpr6
                                        ; implicit-def: $vgpr8
	v_cndmask_b32_e32 v2, v2, v4, vcc
	v_cndmask_b32_e32 v1, v1, v3, vcc
                                        ; implicit-def: $vgpr3_vgpr4
.LBB460_354:
	s_or_saveexec_b64 s[8:9], s[8:9]
	v_mov_b32_e32 v7, 1
	s_xor_b64 exec, exec, s[8:9]
	s_cbranch_execz .LBB460_356
; %bb.355:
	v_and_b32_e32 v5, 1, v6
	v_cmp_eq_u32_e32 vcc, 1, v5
	s_waitcnt lgkmcnt(0)
	v_cndmask_b32_e32 v2, v4, v2, vcc
	v_cndmask_b32_e32 v1, v3, v1, vcc
	v_cndmask_b32_e64 v7, v8, 1, vcc
.LBB460_356:
	s_or_b64 exec, exec, s[8:9]
.LBB460_357:
	s_or_b64 exec, exec, s[2:3]
.LBB460_358:
	s_or_b64 exec, exec, s[0:1]
.LBB460_359:
	v_cmp_eq_u32_e32 vcc, 0, v0
                                        ; implicit-def: $vgpr3_vgpr4
                                        ; implicit-def: $vgpr5
	s_and_saveexec_b64 s[8:9], vcc
	s_cbranch_execz .LBB460_363
; %bb.360:
	s_waitcnt lgkmcnt(0)
	v_mov_b32_e32 v3, s18
	s_cmp_eq_u64 s[22:23], 0
	v_mov_b32_e32 v4, s19
	v_mov_b32_e32 v5, s33
	s_cbranch_scc1 .LBB460_362
; %bb.361:
	v_and_b32_e32 v0, 1, v7
	v_cmp_gt_i64_e64 s[0:1], s[18:19], v[1:2]
	s_bitcmp1_b32 s33, 0
	v_cmp_eq_u32_e32 vcc, 1, v0
	s_cselect_b64 s[2:3], -1, 0
	v_mov_b32_e32 v0, s18
	s_and_b64 vcc, vcc, s[0:1]
	v_mov_b32_e32 v3, s19
	v_cndmask_b32_e32 v0, v0, v1, vcc
	v_cndmask_b32_e32 v3, v3, v2, vcc
	v_cndmask_b32_e64 v5, v7, 1, s[2:3]
	v_cndmask_b32_e64 v4, v2, v3, s[2:3]
	;; [unrolled: 1-line block ×3, first 2 shown]
.LBB460_362:
	s_or_b64 s[14:15], s[14:15], exec
.LBB460_363:
	s_or_b64 exec, exec, s[8:9]
	v_mov_b32_e32 v1, s6
	v_mov_b32_e32 v2, s7
	s_and_saveexec_b64 s[0:1], s[14:15]
	s_cbranch_execnz .LBB460_307
	s_branch .LBB460_308
	.section	.rodata,"a",@progbits
	.p2align	6, 0x0
	.amdhsa_kernel _ZN7rocprim17ROCPRIM_400000_NS6detail17trampoline_kernelINS0_14default_configENS1_22reduce_config_selectorIN6thrust23THRUST_200600_302600_NS5tupleIblNS6_9null_typeES8_S8_S8_S8_S8_S8_S8_EEEEZNS1_11reduce_implILb1ES3_NS6_12zip_iteratorINS7_INS6_11hip_rocprim26transform_input_iterator_tIbNSD_35transform_pair_of_input_iterators_tIbNS6_6detail15normal_iteratorINS6_10device_ptrIKfEEEESL_NS6_8equal_toIfEEEENSG_9not_fun_tINSD_8identityEEEEENSD_19counting_iterator_tIlEES8_S8_S8_S8_S8_S8_S8_S8_EEEEPS9_S9_NSD_9__find_if7functorIS9_EEEE10hipError_tPvRmT1_T2_T3_mT4_P12ihipStream_tbEUlT_E1_NS1_11comp_targetILNS1_3genE2ELNS1_11target_archE906ELNS1_3gpuE6ELNS1_3repE0EEENS1_30default_config_static_selectorELNS0_4arch9wavefront6targetE1EEEvS14_
		.amdhsa_group_segment_fixed_size 160
		.amdhsa_private_segment_fixed_size 0
		.amdhsa_kernarg_size 88
		.amdhsa_user_sgpr_count 6
		.amdhsa_user_sgpr_private_segment_buffer 1
		.amdhsa_user_sgpr_dispatch_ptr 0
		.amdhsa_user_sgpr_queue_ptr 0
		.amdhsa_user_sgpr_kernarg_segment_ptr 1
		.amdhsa_user_sgpr_dispatch_id 0
		.amdhsa_user_sgpr_flat_scratch_init 0
		.amdhsa_user_sgpr_private_segment_size 0
		.amdhsa_uses_dynamic_stack 0
		.amdhsa_system_sgpr_private_segment_wavefront_offset 0
		.amdhsa_system_sgpr_workgroup_id_x 1
		.amdhsa_system_sgpr_workgroup_id_y 0
		.amdhsa_system_sgpr_workgroup_id_z 0
		.amdhsa_system_sgpr_workgroup_info 0
		.amdhsa_system_vgpr_workitem_id 0
		.amdhsa_next_free_vgpr 27
		.amdhsa_next_free_sgpr 42
		.amdhsa_reserve_vcc 1
		.amdhsa_reserve_flat_scratch 0
		.amdhsa_float_round_mode_32 0
		.amdhsa_float_round_mode_16_64 0
		.amdhsa_float_denorm_mode_32 3
		.amdhsa_float_denorm_mode_16_64 3
		.amdhsa_dx10_clamp 1
		.amdhsa_ieee_mode 1
		.amdhsa_fp16_overflow 0
		.amdhsa_exception_fp_ieee_invalid_op 0
		.amdhsa_exception_fp_denorm_src 0
		.amdhsa_exception_fp_ieee_div_zero 0
		.amdhsa_exception_fp_ieee_overflow 0
		.amdhsa_exception_fp_ieee_underflow 0
		.amdhsa_exception_fp_ieee_inexact 0
		.amdhsa_exception_int_div_zero 0
	.end_amdhsa_kernel
	.section	.text._ZN7rocprim17ROCPRIM_400000_NS6detail17trampoline_kernelINS0_14default_configENS1_22reduce_config_selectorIN6thrust23THRUST_200600_302600_NS5tupleIblNS6_9null_typeES8_S8_S8_S8_S8_S8_S8_EEEEZNS1_11reduce_implILb1ES3_NS6_12zip_iteratorINS7_INS6_11hip_rocprim26transform_input_iterator_tIbNSD_35transform_pair_of_input_iterators_tIbNS6_6detail15normal_iteratorINS6_10device_ptrIKfEEEESL_NS6_8equal_toIfEEEENSG_9not_fun_tINSD_8identityEEEEENSD_19counting_iterator_tIlEES8_S8_S8_S8_S8_S8_S8_S8_EEEEPS9_S9_NSD_9__find_if7functorIS9_EEEE10hipError_tPvRmT1_T2_T3_mT4_P12ihipStream_tbEUlT_E1_NS1_11comp_targetILNS1_3genE2ELNS1_11target_archE906ELNS1_3gpuE6ELNS1_3repE0EEENS1_30default_config_static_selectorELNS0_4arch9wavefront6targetE1EEEvS14_,"axG",@progbits,_ZN7rocprim17ROCPRIM_400000_NS6detail17trampoline_kernelINS0_14default_configENS1_22reduce_config_selectorIN6thrust23THRUST_200600_302600_NS5tupleIblNS6_9null_typeES8_S8_S8_S8_S8_S8_S8_EEEEZNS1_11reduce_implILb1ES3_NS6_12zip_iteratorINS7_INS6_11hip_rocprim26transform_input_iterator_tIbNSD_35transform_pair_of_input_iterators_tIbNS6_6detail15normal_iteratorINS6_10device_ptrIKfEEEESL_NS6_8equal_toIfEEEENSG_9not_fun_tINSD_8identityEEEEENSD_19counting_iterator_tIlEES8_S8_S8_S8_S8_S8_S8_S8_EEEEPS9_S9_NSD_9__find_if7functorIS9_EEEE10hipError_tPvRmT1_T2_T3_mT4_P12ihipStream_tbEUlT_E1_NS1_11comp_targetILNS1_3genE2ELNS1_11target_archE906ELNS1_3gpuE6ELNS1_3repE0EEENS1_30default_config_static_selectorELNS0_4arch9wavefront6targetE1EEEvS14_,comdat
.Lfunc_end460:
	.size	_ZN7rocprim17ROCPRIM_400000_NS6detail17trampoline_kernelINS0_14default_configENS1_22reduce_config_selectorIN6thrust23THRUST_200600_302600_NS5tupleIblNS6_9null_typeES8_S8_S8_S8_S8_S8_S8_EEEEZNS1_11reduce_implILb1ES3_NS6_12zip_iteratorINS7_INS6_11hip_rocprim26transform_input_iterator_tIbNSD_35transform_pair_of_input_iterators_tIbNS6_6detail15normal_iteratorINS6_10device_ptrIKfEEEESL_NS6_8equal_toIfEEEENSG_9not_fun_tINSD_8identityEEEEENSD_19counting_iterator_tIlEES8_S8_S8_S8_S8_S8_S8_S8_EEEEPS9_S9_NSD_9__find_if7functorIS9_EEEE10hipError_tPvRmT1_T2_T3_mT4_P12ihipStream_tbEUlT_E1_NS1_11comp_targetILNS1_3genE2ELNS1_11target_archE906ELNS1_3gpuE6ELNS1_3repE0EEENS1_30default_config_static_selectorELNS0_4arch9wavefront6targetE1EEEvS14_, .Lfunc_end460-_ZN7rocprim17ROCPRIM_400000_NS6detail17trampoline_kernelINS0_14default_configENS1_22reduce_config_selectorIN6thrust23THRUST_200600_302600_NS5tupleIblNS6_9null_typeES8_S8_S8_S8_S8_S8_S8_EEEEZNS1_11reduce_implILb1ES3_NS6_12zip_iteratorINS7_INS6_11hip_rocprim26transform_input_iterator_tIbNSD_35transform_pair_of_input_iterators_tIbNS6_6detail15normal_iteratorINS6_10device_ptrIKfEEEESL_NS6_8equal_toIfEEEENSG_9not_fun_tINSD_8identityEEEEENSD_19counting_iterator_tIlEES8_S8_S8_S8_S8_S8_S8_S8_EEEEPS9_S9_NSD_9__find_if7functorIS9_EEEE10hipError_tPvRmT1_T2_T3_mT4_P12ihipStream_tbEUlT_E1_NS1_11comp_targetILNS1_3genE2ELNS1_11target_archE906ELNS1_3gpuE6ELNS1_3repE0EEENS1_30default_config_static_selectorELNS0_4arch9wavefront6targetE1EEEvS14_
                                        ; -- End function
	.set _ZN7rocprim17ROCPRIM_400000_NS6detail17trampoline_kernelINS0_14default_configENS1_22reduce_config_selectorIN6thrust23THRUST_200600_302600_NS5tupleIblNS6_9null_typeES8_S8_S8_S8_S8_S8_S8_EEEEZNS1_11reduce_implILb1ES3_NS6_12zip_iteratorINS7_INS6_11hip_rocprim26transform_input_iterator_tIbNSD_35transform_pair_of_input_iterators_tIbNS6_6detail15normal_iteratorINS6_10device_ptrIKfEEEESL_NS6_8equal_toIfEEEENSG_9not_fun_tINSD_8identityEEEEENSD_19counting_iterator_tIlEES8_S8_S8_S8_S8_S8_S8_S8_EEEEPS9_S9_NSD_9__find_if7functorIS9_EEEE10hipError_tPvRmT1_T2_T3_mT4_P12ihipStream_tbEUlT_E1_NS1_11comp_targetILNS1_3genE2ELNS1_11target_archE906ELNS1_3gpuE6ELNS1_3repE0EEENS1_30default_config_static_selectorELNS0_4arch9wavefront6targetE1EEEvS14_.num_vgpr, 27
	.set _ZN7rocprim17ROCPRIM_400000_NS6detail17trampoline_kernelINS0_14default_configENS1_22reduce_config_selectorIN6thrust23THRUST_200600_302600_NS5tupleIblNS6_9null_typeES8_S8_S8_S8_S8_S8_S8_EEEEZNS1_11reduce_implILb1ES3_NS6_12zip_iteratorINS7_INS6_11hip_rocprim26transform_input_iterator_tIbNSD_35transform_pair_of_input_iterators_tIbNS6_6detail15normal_iteratorINS6_10device_ptrIKfEEEESL_NS6_8equal_toIfEEEENSG_9not_fun_tINSD_8identityEEEEENSD_19counting_iterator_tIlEES8_S8_S8_S8_S8_S8_S8_S8_EEEEPS9_S9_NSD_9__find_if7functorIS9_EEEE10hipError_tPvRmT1_T2_T3_mT4_P12ihipStream_tbEUlT_E1_NS1_11comp_targetILNS1_3genE2ELNS1_11target_archE906ELNS1_3gpuE6ELNS1_3repE0EEENS1_30default_config_static_selectorELNS0_4arch9wavefront6targetE1EEEvS14_.num_agpr, 0
	.set _ZN7rocprim17ROCPRIM_400000_NS6detail17trampoline_kernelINS0_14default_configENS1_22reduce_config_selectorIN6thrust23THRUST_200600_302600_NS5tupleIblNS6_9null_typeES8_S8_S8_S8_S8_S8_S8_EEEEZNS1_11reduce_implILb1ES3_NS6_12zip_iteratorINS7_INS6_11hip_rocprim26transform_input_iterator_tIbNSD_35transform_pair_of_input_iterators_tIbNS6_6detail15normal_iteratorINS6_10device_ptrIKfEEEESL_NS6_8equal_toIfEEEENSG_9not_fun_tINSD_8identityEEEEENSD_19counting_iterator_tIlEES8_S8_S8_S8_S8_S8_S8_S8_EEEEPS9_S9_NSD_9__find_if7functorIS9_EEEE10hipError_tPvRmT1_T2_T3_mT4_P12ihipStream_tbEUlT_E1_NS1_11comp_targetILNS1_3genE2ELNS1_11target_archE906ELNS1_3gpuE6ELNS1_3repE0EEENS1_30default_config_static_selectorELNS0_4arch9wavefront6targetE1EEEvS14_.numbered_sgpr, 42
	.set _ZN7rocprim17ROCPRIM_400000_NS6detail17trampoline_kernelINS0_14default_configENS1_22reduce_config_selectorIN6thrust23THRUST_200600_302600_NS5tupleIblNS6_9null_typeES8_S8_S8_S8_S8_S8_S8_EEEEZNS1_11reduce_implILb1ES3_NS6_12zip_iteratorINS7_INS6_11hip_rocprim26transform_input_iterator_tIbNSD_35transform_pair_of_input_iterators_tIbNS6_6detail15normal_iteratorINS6_10device_ptrIKfEEEESL_NS6_8equal_toIfEEEENSG_9not_fun_tINSD_8identityEEEEENSD_19counting_iterator_tIlEES8_S8_S8_S8_S8_S8_S8_S8_EEEEPS9_S9_NSD_9__find_if7functorIS9_EEEE10hipError_tPvRmT1_T2_T3_mT4_P12ihipStream_tbEUlT_E1_NS1_11comp_targetILNS1_3genE2ELNS1_11target_archE906ELNS1_3gpuE6ELNS1_3repE0EEENS1_30default_config_static_selectorELNS0_4arch9wavefront6targetE1EEEvS14_.num_named_barrier, 0
	.set _ZN7rocprim17ROCPRIM_400000_NS6detail17trampoline_kernelINS0_14default_configENS1_22reduce_config_selectorIN6thrust23THRUST_200600_302600_NS5tupleIblNS6_9null_typeES8_S8_S8_S8_S8_S8_S8_EEEEZNS1_11reduce_implILb1ES3_NS6_12zip_iteratorINS7_INS6_11hip_rocprim26transform_input_iterator_tIbNSD_35transform_pair_of_input_iterators_tIbNS6_6detail15normal_iteratorINS6_10device_ptrIKfEEEESL_NS6_8equal_toIfEEEENSG_9not_fun_tINSD_8identityEEEEENSD_19counting_iterator_tIlEES8_S8_S8_S8_S8_S8_S8_S8_EEEEPS9_S9_NSD_9__find_if7functorIS9_EEEE10hipError_tPvRmT1_T2_T3_mT4_P12ihipStream_tbEUlT_E1_NS1_11comp_targetILNS1_3genE2ELNS1_11target_archE906ELNS1_3gpuE6ELNS1_3repE0EEENS1_30default_config_static_selectorELNS0_4arch9wavefront6targetE1EEEvS14_.private_seg_size, 0
	.set _ZN7rocprim17ROCPRIM_400000_NS6detail17trampoline_kernelINS0_14default_configENS1_22reduce_config_selectorIN6thrust23THRUST_200600_302600_NS5tupleIblNS6_9null_typeES8_S8_S8_S8_S8_S8_S8_EEEEZNS1_11reduce_implILb1ES3_NS6_12zip_iteratorINS7_INS6_11hip_rocprim26transform_input_iterator_tIbNSD_35transform_pair_of_input_iterators_tIbNS6_6detail15normal_iteratorINS6_10device_ptrIKfEEEESL_NS6_8equal_toIfEEEENSG_9not_fun_tINSD_8identityEEEEENSD_19counting_iterator_tIlEES8_S8_S8_S8_S8_S8_S8_S8_EEEEPS9_S9_NSD_9__find_if7functorIS9_EEEE10hipError_tPvRmT1_T2_T3_mT4_P12ihipStream_tbEUlT_E1_NS1_11comp_targetILNS1_3genE2ELNS1_11target_archE906ELNS1_3gpuE6ELNS1_3repE0EEENS1_30default_config_static_selectorELNS0_4arch9wavefront6targetE1EEEvS14_.uses_vcc, 1
	.set _ZN7rocprim17ROCPRIM_400000_NS6detail17trampoline_kernelINS0_14default_configENS1_22reduce_config_selectorIN6thrust23THRUST_200600_302600_NS5tupleIblNS6_9null_typeES8_S8_S8_S8_S8_S8_S8_EEEEZNS1_11reduce_implILb1ES3_NS6_12zip_iteratorINS7_INS6_11hip_rocprim26transform_input_iterator_tIbNSD_35transform_pair_of_input_iterators_tIbNS6_6detail15normal_iteratorINS6_10device_ptrIKfEEEESL_NS6_8equal_toIfEEEENSG_9not_fun_tINSD_8identityEEEEENSD_19counting_iterator_tIlEES8_S8_S8_S8_S8_S8_S8_S8_EEEEPS9_S9_NSD_9__find_if7functorIS9_EEEE10hipError_tPvRmT1_T2_T3_mT4_P12ihipStream_tbEUlT_E1_NS1_11comp_targetILNS1_3genE2ELNS1_11target_archE906ELNS1_3gpuE6ELNS1_3repE0EEENS1_30default_config_static_selectorELNS0_4arch9wavefront6targetE1EEEvS14_.uses_flat_scratch, 0
	.set _ZN7rocprim17ROCPRIM_400000_NS6detail17trampoline_kernelINS0_14default_configENS1_22reduce_config_selectorIN6thrust23THRUST_200600_302600_NS5tupleIblNS6_9null_typeES8_S8_S8_S8_S8_S8_S8_EEEEZNS1_11reduce_implILb1ES3_NS6_12zip_iteratorINS7_INS6_11hip_rocprim26transform_input_iterator_tIbNSD_35transform_pair_of_input_iterators_tIbNS6_6detail15normal_iteratorINS6_10device_ptrIKfEEEESL_NS6_8equal_toIfEEEENSG_9not_fun_tINSD_8identityEEEEENSD_19counting_iterator_tIlEES8_S8_S8_S8_S8_S8_S8_S8_EEEEPS9_S9_NSD_9__find_if7functorIS9_EEEE10hipError_tPvRmT1_T2_T3_mT4_P12ihipStream_tbEUlT_E1_NS1_11comp_targetILNS1_3genE2ELNS1_11target_archE906ELNS1_3gpuE6ELNS1_3repE0EEENS1_30default_config_static_selectorELNS0_4arch9wavefront6targetE1EEEvS14_.has_dyn_sized_stack, 0
	.set _ZN7rocprim17ROCPRIM_400000_NS6detail17trampoline_kernelINS0_14default_configENS1_22reduce_config_selectorIN6thrust23THRUST_200600_302600_NS5tupleIblNS6_9null_typeES8_S8_S8_S8_S8_S8_S8_EEEEZNS1_11reduce_implILb1ES3_NS6_12zip_iteratorINS7_INS6_11hip_rocprim26transform_input_iterator_tIbNSD_35transform_pair_of_input_iterators_tIbNS6_6detail15normal_iteratorINS6_10device_ptrIKfEEEESL_NS6_8equal_toIfEEEENSG_9not_fun_tINSD_8identityEEEEENSD_19counting_iterator_tIlEES8_S8_S8_S8_S8_S8_S8_S8_EEEEPS9_S9_NSD_9__find_if7functorIS9_EEEE10hipError_tPvRmT1_T2_T3_mT4_P12ihipStream_tbEUlT_E1_NS1_11comp_targetILNS1_3genE2ELNS1_11target_archE906ELNS1_3gpuE6ELNS1_3repE0EEENS1_30default_config_static_selectorELNS0_4arch9wavefront6targetE1EEEvS14_.has_recursion, 0
	.set _ZN7rocprim17ROCPRIM_400000_NS6detail17trampoline_kernelINS0_14default_configENS1_22reduce_config_selectorIN6thrust23THRUST_200600_302600_NS5tupleIblNS6_9null_typeES8_S8_S8_S8_S8_S8_S8_EEEEZNS1_11reduce_implILb1ES3_NS6_12zip_iteratorINS7_INS6_11hip_rocprim26transform_input_iterator_tIbNSD_35transform_pair_of_input_iterators_tIbNS6_6detail15normal_iteratorINS6_10device_ptrIKfEEEESL_NS6_8equal_toIfEEEENSG_9not_fun_tINSD_8identityEEEEENSD_19counting_iterator_tIlEES8_S8_S8_S8_S8_S8_S8_S8_EEEEPS9_S9_NSD_9__find_if7functorIS9_EEEE10hipError_tPvRmT1_T2_T3_mT4_P12ihipStream_tbEUlT_E1_NS1_11comp_targetILNS1_3genE2ELNS1_11target_archE906ELNS1_3gpuE6ELNS1_3repE0EEENS1_30default_config_static_selectorELNS0_4arch9wavefront6targetE1EEEvS14_.has_indirect_call, 0
	.section	.AMDGPU.csdata,"",@progbits
; Kernel info:
; codeLenInByte = 13144
; TotalNumSgprs: 46
; NumVgprs: 27
; ScratchSize: 0
; MemoryBound: 0
; FloatMode: 240
; IeeeMode: 1
; LDSByteSize: 160 bytes/workgroup (compile time only)
; SGPRBlocks: 5
; VGPRBlocks: 6
; NumSGPRsForWavesPerEU: 46
; NumVGPRsForWavesPerEU: 27
; Occupancy: 9
; WaveLimiterHint : 0
; COMPUTE_PGM_RSRC2:SCRATCH_EN: 0
; COMPUTE_PGM_RSRC2:USER_SGPR: 6
; COMPUTE_PGM_RSRC2:TRAP_HANDLER: 0
; COMPUTE_PGM_RSRC2:TGID_X_EN: 1
; COMPUTE_PGM_RSRC2:TGID_Y_EN: 0
; COMPUTE_PGM_RSRC2:TGID_Z_EN: 0
; COMPUTE_PGM_RSRC2:TIDIG_COMP_CNT: 0
	.section	.text._ZN7rocprim17ROCPRIM_400000_NS6detail17trampoline_kernelINS0_14default_configENS1_22reduce_config_selectorIN6thrust23THRUST_200600_302600_NS5tupleIblNS6_9null_typeES8_S8_S8_S8_S8_S8_S8_EEEEZNS1_11reduce_implILb1ES3_NS6_12zip_iteratorINS7_INS6_11hip_rocprim26transform_input_iterator_tIbNSD_35transform_pair_of_input_iterators_tIbNS6_6detail15normal_iteratorINS6_10device_ptrIKfEEEESL_NS6_8equal_toIfEEEENSG_9not_fun_tINSD_8identityEEEEENSD_19counting_iterator_tIlEES8_S8_S8_S8_S8_S8_S8_S8_EEEEPS9_S9_NSD_9__find_if7functorIS9_EEEE10hipError_tPvRmT1_T2_T3_mT4_P12ihipStream_tbEUlT_E1_NS1_11comp_targetILNS1_3genE10ELNS1_11target_archE1201ELNS1_3gpuE5ELNS1_3repE0EEENS1_30default_config_static_selectorELNS0_4arch9wavefront6targetE1EEEvS14_,"axG",@progbits,_ZN7rocprim17ROCPRIM_400000_NS6detail17trampoline_kernelINS0_14default_configENS1_22reduce_config_selectorIN6thrust23THRUST_200600_302600_NS5tupleIblNS6_9null_typeES8_S8_S8_S8_S8_S8_S8_EEEEZNS1_11reduce_implILb1ES3_NS6_12zip_iteratorINS7_INS6_11hip_rocprim26transform_input_iterator_tIbNSD_35transform_pair_of_input_iterators_tIbNS6_6detail15normal_iteratorINS6_10device_ptrIKfEEEESL_NS6_8equal_toIfEEEENSG_9not_fun_tINSD_8identityEEEEENSD_19counting_iterator_tIlEES8_S8_S8_S8_S8_S8_S8_S8_EEEEPS9_S9_NSD_9__find_if7functorIS9_EEEE10hipError_tPvRmT1_T2_T3_mT4_P12ihipStream_tbEUlT_E1_NS1_11comp_targetILNS1_3genE10ELNS1_11target_archE1201ELNS1_3gpuE5ELNS1_3repE0EEENS1_30default_config_static_selectorELNS0_4arch9wavefront6targetE1EEEvS14_,comdat
	.protected	_ZN7rocprim17ROCPRIM_400000_NS6detail17trampoline_kernelINS0_14default_configENS1_22reduce_config_selectorIN6thrust23THRUST_200600_302600_NS5tupleIblNS6_9null_typeES8_S8_S8_S8_S8_S8_S8_EEEEZNS1_11reduce_implILb1ES3_NS6_12zip_iteratorINS7_INS6_11hip_rocprim26transform_input_iterator_tIbNSD_35transform_pair_of_input_iterators_tIbNS6_6detail15normal_iteratorINS6_10device_ptrIKfEEEESL_NS6_8equal_toIfEEEENSG_9not_fun_tINSD_8identityEEEEENSD_19counting_iterator_tIlEES8_S8_S8_S8_S8_S8_S8_S8_EEEEPS9_S9_NSD_9__find_if7functorIS9_EEEE10hipError_tPvRmT1_T2_T3_mT4_P12ihipStream_tbEUlT_E1_NS1_11comp_targetILNS1_3genE10ELNS1_11target_archE1201ELNS1_3gpuE5ELNS1_3repE0EEENS1_30default_config_static_selectorELNS0_4arch9wavefront6targetE1EEEvS14_ ; -- Begin function _ZN7rocprim17ROCPRIM_400000_NS6detail17trampoline_kernelINS0_14default_configENS1_22reduce_config_selectorIN6thrust23THRUST_200600_302600_NS5tupleIblNS6_9null_typeES8_S8_S8_S8_S8_S8_S8_EEEEZNS1_11reduce_implILb1ES3_NS6_12zip_iteratorINS7_INS6_11hip_rocprim26transform_input_iterator_tIbNSD_35transform_pair_of_input_iterators_tIbNS6_6detail15normal_iteratorINS6_10device_ptrIKfEEEESL_NS6_8equal_toIfEEEENSG_9not_fun_tINSD_8identityEEEEENSD_19counting_iterator_tIlEES8_S8_S8_S8_S8_S8_S8_S8_EEEEPS9_S9_NSD_9__find_if7functorIS9_EEEE10hipError_tPvRmT1_T2_T3_mT4_P12ihipStream_tbEUlT_E1_NS1_11comp_targetILNS1_3genE10ELNS1_11target_archE1201ELNS1_3gpuE5ELNS1_3repE0EEENS1_30default_config_static_selectorELNS0_4arch9wavefront6targetE1EEEvS14_
	.globl	_ZN7rocprim17ROCPRIM_400000_NS6detail17trampoline_kernelINS0_14default_configENS1_22reduce_config_selectorIN6thrust23THRUST_200600_302600_NS5tupleIblNS6_9null_typeES8_S8_S8_S8_S8_S8_S8_EEEEZNS1_11reduce_implILb1ES3_NS6_12zip_iteratorINS7_INS6_11hip_rocprim26transform_input_iterator_tIbNSD_35transform_pair_of_input_iterators_tIbNS6_6detail15normal_iteratorINS6_10device_ptrIKfEEEESL_NS6_8equal_toIfEEEENSG_9not_fun_tINSD_8identityEEEEENSD_19counting_iterator_tIlEES8_S8_S8_S8_S8_S8_S8_S8_EEEEPS9_S9_NSD_9__find_if7functorIS9_EEEE10hipError_tPvRmT1_T2_T3_mT4_P12ihipStream_tbEUlT_E1_NS1_11comp_targetILNS1_3genE10ELNS1_11target_archE1201ELNS1_3gpuE5ELNS1_3repE0EEENS1_30default_config_static_selectorELNS0_4arch9wavefront6targetE1EEEvS14_
	.p2align	8
	.type	_ZN7rocprim17ROCPRIM_400000_NS6detail17trampoline_kernelINS0_14default_configENS1_22reduce_config_selectorIN6thrust23THRUST_200600_302600_NS5tupleIblNS6_9null_typeES8_S8_S8_S8_S8_S8_S8_EEEEZNS1_11reduce_implILb1ES3_NS6_12zip_iteratorINS7_INS6_11hip_rocprim26transform_input_iterator_tIbNSD_35transform_pair_of_input_iterators_tIbNS6_6detail15normal_iteratorINS6_10device_ptrIKfEEEESL_NS6_8equal_toIfEEEENSG_9not_fun_tINSD_8identityEEEEENSD_19counting_iterator_tIlEES8_S8_S8_S8_S8_S8_S8_S8_EEEEPS9_S9_NSD_9__find_if7functorIS9_EEEE10hipError_tPvRmT1_T2_T3_mT4_P12ihipStream_tbEUlT_E1_NS1_11comp_targetILNS1_3genE10ELNS1_11target_archE1201ELNS1_3gpuE5ELNS1_3repE0EEENS1_30default_config_static_selectorELNS0_4arch9wavefront6targetE1EEEvS14_,@function
_ZN7rocprim17ROCPRIM_400000_NS6detail17trampoline_kernelINS0_14default_configENS1_22reduce_config_selectorIN6thrust23THRUST_200600_302600_NS5tupleIblNS6_9null_typeES8_S8_S8_S8_S8_S8_S8_EEEEZNS1_11reduce_implILb1ES3_NS6_12zip_iteratorINS7_INS6_11hip_rocprim26transform_input_iterator_tIbNSD_35transform_pair_of_input_iterators_tIbNS6_6detail15normal_iteratorINS6_10device_ptrIKfEEEESL_NS6_8equal_toIfEEEENSG_9not_fun_tINSD_8identityEEEEENSD_19counting_iterator_tIlEES8_S8_S8_S8_S8_S8_S8_S8_EEEEPS9_S9_NSD_9__find_if7functorIS9_EEEE10hipError_tPvRmT1_T2_T3_mT4_P12ihipStream_tbEUlT_E1_NS1_11comp_targetILNS1_3genE10ELNS1_11target_archE1201ELNS1_3gpuE5ELNS1_3repE0EEENS1_30default_config_static_selectorELNS0_4arch9wavefront6targetE1EEEvS14_: ; @_ZN7rocprim17ROCPRIM_400000_NS6detail17trampoline_kernelINS0_14default_configENS1_22reduce_config_selectorIN6thrust23THRUST_200600_302600_NS5tupleIblNS6_9null_typeES8_S8_S8_S8_S8_S8_S8_EEEEZNS1_11reduce_implILb1ES3_NS6_12zip_iteratorINS7_INS6_11hip_rocprim26transform_input_iterator_tIbNSD_35transform_pair_of_input_iterators_tIbNS6_6detail15normal_iteratorINS6_10device_ptrIKfEEEESL_NS6_8equal_toIfEEEENSG_9not_fun_tINSD_8identityEEEEENSD_19counting_iterator_tIlEES8_S8_S8_S8_S8_S8_S8_S8_EEEEPS9_S9_NSD_9__find_if7functorIS9_EEEE10hipError_tPvRmT1_T2_T3_mT4_P12ihipStream_tbEUlT_E1_NS1_11comp_targetILNS1_3genE10ELNS1_11target_archE1201ELNS1_3gpuE5ELNS1_3repE0EEENS1_30default_config_static_selectorELNS0_4arch9wavefront6targetE1EEEvS14_
; %bb.0:
	.section	.rodata,"a",@progbits
	.p2align	6, 0x0
	.amdhsa_kernel _ZN7rocprim17ROCPRIM_400000_NS6detail17trampoline_kernelINS0_14default_configENS1_22reduce_config_selectorIN6thrust23THRUST_200600_302600_NS5tupleIblNS6_9null_typeES8_S8_S8_S8_S8_S8_S8_EEEEZNS1_11reduce_implILb1ES3_NS6_12zip_iteratorINS7_INS6_11hip_rocprim26transform_input_iterator_tIbNSD_35transform_pair_of_input_iterators_tIbNS6_6detail15normal_iteratorINS6_10device_ptrIKfEEEESL_NS6_8equal_toIfEEEENSG_9not_fun_tINSD_8identityEEEEENSD_19counting_iterator_tIlEES8_S8_S8_S8_S8_S8_S8_S8_EEEEPS9_S9_NSD_9__find_if7functorIS9_EEEE10hipError_tPvRmT1_T2_T3_mT4_P12ihipStream_tbEUlT_E1_NS1_11comp_targetILNS1_3genE10ELNS1_11target_archE1201ELNS1_3gpuE5ELNS1_3repE0EEENS1_30default_config_static_selectorELNS0_4arch9wavefront6targetE1EEEvS14_
		.amdhsa_group_segment_fixed_size 0
		.amdhsa_private_segment_fixed_size 0
		.amdhsa_kernarg_size 88
		.amdhsa_user_sgpr_count 6
		.amdhsa_user_sgpr_private_segment_buffer 1
		.amdhsa_user_sgpr_dispatch_ptr 0
		.amdhsa_user_sgpr_queue_ptr 0
		.amdhsa_user_sgpr_kernarg_segment_ptr 1
		.amdhsa_user_sgpr_dispatch_id 0
		.amdhsa_user_sgpr_flat_scratch_init 0
		.amdhsa_user_sgpr_private_segment_size 0
		.amdhsa_uses_dynamic_stack 0
		.amdhsa_system_sgpr_private_segment_wavefront_offset 0
		.amdhsa_system_sgpr_workgroup_id_x 1
		.amdhsa_system_sgpr_workgroup_id_y 0
		.amdhsa_system_sgpr_workgroup_id_z 0
		.amdhsa_system_sgpr_workgroup_info 0
		.amdhsa_system_vgpr_workitem_id 0
		.amdhsa_next_free_vgpr 1
		.amdhsa_next_free_sgpr 0
		.amdhsa_reserve_vcc 0
		.amdhsa_reserve_flat_scratch 0
		.amdhsa_float_round_mode_32 0
		.amdhsa_float_round_mode_16_64 0
		.amdhsa_float_denorm_mode_32 3
		.amdhsa_float_denorm_mode_16_64 3
		.amdhsa_dx10_clamp 1
		.amdhsa_ieee_mode 1
		.amdhsa_fp16_overflow 0
		.amdhsa_exception_fp_ieee_invalid_op 0
		.amdhsa_exception_fp_denorm_src 0
		.amdhsa_exception_fp_ieee_div_zero 0
		.amdhsa_exception_fp_ieee_overflow 0
		.amdhsa_exception_fp_ieee_underflow 0
		.amdhsa_exception_fp_ieee_inexact 0
		.amdhsa_exception_int_div_zero 0
	.end_amdhsa_kernel
	.section	.text._ZN7rocprim17ROCPRIM_400000_NS6detail17trampoline_kernelINS0_14default_configENS1_22reduce_config_selectorIN6thrust23THRUST_200600_302600_NS5tupleIblNS6_9null_typeES8_S8_S8_S8_S8_S8_S8_EEEEZNS1_11reduce_implILb1ES3_NS6_12zip_iteratorINS7_INS6_11hip_rocprim26transform_input_iterator_tIbNSD_35transform_pair_of_input_iterators_tIbNS6_6detail15normal_iteratorINS6_10device_ptrIKfEEEESL_NS6_8equal_toIfEEEENSG_9not_fun_tINSD_8identityEEEEENSD_19counting_iterator_tIlEES8_S8_S8_S8_S8_S8_S8_S8_EEEEPS9_S9_NSD_9__find_if7functorIS9_EEEE10hipError_tPvRmT1_T2_T3_mT4_P12ihipStream_tbEUlT_E1_NS1_11comp_targetILNS1_3genE10ELNS1_11target_archE1201ELNS1_3gpuE5ELNS1_3repE0EEENS1_30default_config_static_selectorELNS0_4arch9wavefront6targetE1EEEvS14_,"axG",@progbits,_ZN7rocprim17ROCPRIM_400000_NS6detail17trampoline_kernelINS0_14default_configENS1_22reduce_config_selectorIN6thrust23THRUST_200600_302600_NS5tupleIblNS6_9null_typeES8_S8_S8_S8_S8_S8_S8_EEEEZNS1_11reduce_implILb1ES3_NS6_12zip_iteratorINS7_INS6_11hip_rocprim26transform_input_iterator_tIbNSD_35transform_pair_of_input_iterators_tIbNS6_6detail15normal_iteratorINS6_10device_ptrIKfEEEESL_NS6_8equal_toIfEEEENSG_9not_fun_tINSD_8identityEEEEENSD_19counting_iterator_tIlEES8_S8_S8_S8_S8_S8_S8_S8_EEEEPS9_S9_NSD_9__find_if7functorIS9_EEEE10hipError_tPvRmT1_T2_T3_mT4_P12ihipStream_tbEUlT_E1_NS1_11comp_targetILNS1_3genE10ELNS1_11target_archE1201ELNS1_3gpuE5ELNS1_3repE0EEENS1_30default_config_static_selectorELNS0_4arch9wavefront6targetE1EEEvS14_,comdat
.Lfunc_end461:
	.size	_ZN7rocprim17ROCPRIM_400000_NS6detail17trampoline_kernelINS0_14default_configENS1_22reduce_config_selectorIN6thrust23THRUST_200600_302600_NS5tupleIblNS6_9null_typeES8_S8_S8_S8_S8_S8_S8_EEEEZNS1_11reduce_implILb1ES3_NS6_12zip_iteratorINS7_INS6_11hip_rocprim26transform_input_iterator_tIbNSD_35transform_pair_of_input_iterators_tIbNS6_6detail15normal_iteratorINS6_10device_ptrIKfEEEESL_NS6_8equal_toIfEEEENSG_9not_fun_tINSD_8identityEEEEENSD_19counting_iterator_tIlEES8_S8_S8_S8_S8_S8_S8_S8_EEEEPS9_S9_NSD_9__find_if7functorIS9_EEEE10hipError_tPvRmT1_T2_T3_mT4_P12ihipStream_tbEUlT_E1_NS1_11comp_targetILNS1_3genE10ELNS1_11target_archE1201ELNS1_3gpuE5ELNS1_3repE0EEENS1_30default_config_static_selectorELNS0_4arch9wavefront6targetE1EEEvS14_, .Lfunc_end461-_ZN7rocprim17ROCPRIM_400000_NS6detail17trampoline_kernelINS0_14default_configENS1_22reduce_config_selectorIN6thrust23THRUST_200600_302600_NS5tupleIblNS6_9null_typeES8_S8_S8_S8_S8_S8_S8_EEEEZNS1_11reduce_implILb1ES3_NS6_12zip_iteratorINS7_INS6_11hip_rocprim26transform_input_iterator_tIbNSD_35transform_pair_of_input_iterators_tIbNS6_6detail15normal_iteratorINS6_10device_ptrIKfEEEESL_NS6_8equal_toIfEEEENSG_9not_fun_tINSD_8identityEEEEENSD_19counting_iterator_tIlEES8_S8_S8_S8_S8_S8_S8_S8_EEEEPS9_S9_NSD_9__find_if7functorIS9_EEEE10hipError_tPvRmT1_T2_T3_mT4_P12ihipStream_tbEUlT_E1_NS1_11comp_targetILNS1_3genE10ELNS1_11target_archE1201ELNS1_3gpuE5ELNS1_3repE0EEENS1_30default_config_static_selectorELNS0_4arch9wavefront6targetE1EEEvS14_
                                        ; -- End function
	.set _ZN7rocprim17ROCPRIM_400000_NS6detail17trampoline_kernelINS0_14default_configENS1_22reduce_config_selectorIN6thrust23THRUST_200600_302600_NS5tupleIblNS6_9null_typeES8_S8_S8_S8_S8_S8_S8_EEEEZNS1_11reduce_implILb1ES3_NS6_12zip_iteratorINS7_INS6_11hip_rocprim26transform_input_iterator_tIbNSD_35transform_pair_of_input_iterators_tIbNS6_6detail15normal_iteratorINS6_10device_ptrIKfEEEESL_NS6_8equal_toIfEEEENSG_9not_fun_tINSD_8identityEEEEENSD_19counting_iterator_tIlEES8_S8_S8_S8_S8_S8_S8_S8_EEEEPS9_S9_NSD_9__find_if7functorIS9_EEEE10hipError_tPvRmT1_T2_T3_mT4_P12ihipStream_tbEUlT_E1_NS1_11comp_targetILNS1_3genE10ELNS1_11target_archE1201ELNS1_3gpuE5ELNS1_3repE0EEENS1_30default_config_static_selectorELNS0_4arch9wavefront6targetE1EEEvS14_.num_vgpr, 0
	.set _ZN7rocprim17ROCPRIM_400000_NS6detail17trampoline_kernelINS0_14default_configENS1_22reduce_config_selectorIN6thrust23THRUST_200600_302600_NS5tupleIblNS6_9null_typeES8_S8_S8_S8_S8_S8_S8_EEEEZNS1_11reduce_implILb1ES3_NS6_12zip_iteratorINS7_INS6_11hip_rocprim26transform_input_iterator_tIbNSD_35transform_pair_of_input_iterators_tIbNS6_6detail15normal_iteratorINS6_10device_ptrIKfEEEESL_NS6_8equal_toIfEEEENSG_9not_fun_tINSD_8identityEEEEENSD_19counting_iterator_tIlEES8_S8_S8_S8_S8_S8_S8_S8_EEEEPS9_S9_NSD_9__find_if7functorIS9_EEEE10hipError_tPvRmT1_T2_T3_mT4_P12ihipStream_tbEUlT_E1_NS1_11comp_targetILNS1_3genE10ELNS1_11target_archE1201ELNS1_3gpuE5ELNS1_3repE0EEENS1_30default_config_static_selectorELNS0_4arch9wavefront6targetE1EEEvS14_.num_agpr, 0
	.set _ZN7rocprim17ROCPRIM_400000_NS6detail17trampoline_kernelINS0_14default_configENS1_22reduce_config_selectorIN6thrust23THRUST_200600_302600_NS5tupleIblNS6_9null_typeES8_S8_S8_S8_S8_S8_S8_EEEEZNS1_11reduce_implILb1ES3_NS6_12zip_iteratorINS7_INS6_11hip_rocprim26transform_input_iterator_tIbNSD_35transform_pair_of_input_iterators_tIbNS6_6detail15normal_iteratorINS6_10device_ptrIKfEEEESL_NS6_8equal_toIfEEEENSG_9not_fun_tINSD_8identityEEEEENSD_19counting_iterator_tIlEES8_S8_S8_S8_S8_S8_S8_S8_EEEEPS9_S9_NSD_9__find_if7functorIS9_EEEE10hipError_tPvRmT1_T2_T3_mT4_P12ihipStream_tbEUlT_E1_NS1_11comp_targetILNS1_3genE10ELNS1_11target_archE1201ELNS1_3gpuE5ELNS1_3repE0EEENS1_30default_config_static_selectorELNS0_4arch9wavefront6targetE1EEEvS14_.numbered_sgpr, 0
	.set _ZN7rocprim17ROCPRIM_400000_NS6detail17trampoline_kernelINS0_14default_configENS1_22reduce_config_selectorIN6thrust23THRUST_200600_302600_NS5tupleIblNS6_9null_typeES8_S8_S8_S8_S8_S8_S8_EEEEZNS1_11reduce_implILb1ES3_NS6_12zip_iteratorINS7_INS6_11hip_rocprim26transform_input_iterator_tIbNSD_35transform_pair_of_input_iterators_tIbNS6_6detail15normal_iteratorINS6_10device_ptrIKfEEEESL_NS6_8equal_toIfEEEENSG_9not_fun_tINSD_8identityEEEEENSD_19counting_iterator_tIlEES8_S8_S8_S8_S8_S8_S8_S8_EEEEPS9_S9_NSD_9__find_if7functorIS9_EEEE10hipError_tPvRmT1_T2_T3_mT4_P12ihipStream_tbEUlT_E1_NS1_11comp_targetILNS1_3genE10ELNS1_11target_archE1201ELNS1_3gpuE5ELNS1_3repE0EEENS1_30default_config_static_selectorELNS0_4arch9wavefront6targetE1EEEvS14_.num_named_barrier, 0
	.set _ZN7rocprim17ROCPRIM_400000_NS6detail17trampoline_kernelINS0_14default_configENS1_22reduce_config_selectorIN6thrust23THRUST_200600_302600_NS5tupleIblNS6_9null_typeES8_S8_S8_S8_S8_S8_S8_EEEEZNS1_11reduce_implILb1ES3_NS6_12zip_iteratorINS7_INS6_11hip_rocprim26transform_input_iterator_tIbNSD_35transform_pair_of_input_iterators_tIbNS6_6detail15normal_iteratorINS6_10device_ptrIKfEEEESL_NS6_8equal_toIfEEEENSG_9not_fun_tINSD_8identityEEEEENSD_19counting_iterator_tIlEES8_S8_S8_S8_S8_S8_S8_S8_EEEEPS9_S9_NSD_9__find_if7functorIS9_EEEE10hipError_tPvRmT1_T2_T3_mT4_P12ihipStream_tbEUlT_E1_NS1_11comp_targetILNS1_3genE10ELNS1_11target_archE1201ELNS1_3gpuE5ELNS1_3repE0EEENS1_30default_config_static_selectorELNS0_4arch9wavefront6targetE1EEEvS14_.private_seg_size, 0
	.set _ZN7rocprim17ROCPRIM_400000_NS6detail17trampoline_kernelINS0_14default_configENS1_22reduce_config_selectorIN6thrust23THRUST_200600_302600_NS5tupleIblNS6_9null_typeES8_S8_S8_S8_S8_S8_S8_EEEEZNS1_11reduce_implILb1ES3_NS6_12zip_iteratorINS7_INS6_11hip_rocprim26transform_input_iterator_tIbNSD_35transform_pair_of_input_iterators_tIbNS6_6detail15normal_iteratorINS6_10device_ptrIKfEEEESL_NS6_8equal_toIfEEEENSG_9not_fun_tINSD_8identityEEEEENSD_19counting_iterator_tIlEES8_S8_S8_S8_S8_S8_S8_S8_EEEEPS9_S9_NSD_9__find_if7functorIS9_EEEE10hipError_tPvRmT1_T2_T3_mT4_P12ihipStream_tbEUlT_E1_NS1_11comp_targetILNS1_3genE10ELNS1_11target_archE1201ELNS1_3gpuE5ELNS1_3repE0EEENS1_30default_config_static_selectorELNS0_4arch9wavefront6targetE1EEEvS14_.uses_vcc, 0
	.set _ZN7rocprim17ROCPRIM_400000_NS6detail17trampoline_kernelINS0_14default_configENS1_22reduce_config_selectorIN6thrust23THRUST_200600_302600_NS5tupleIblNS6_9null_typeES8_S8_S8_S8_S8_S8_S8_EEEEZNS1_11reduce_implILb1ES3_NS6_12zip_iteratorINS7_INS6_11hip_rocprim26transform_input_iterator_tIbNSD_35transform_pair_of_input_iterators_tIbNS6_6detail15normal_iteratorINS6_10device_ptrIKfEEEESL_NS6_8equal_toIfEEEENSG_9not_fun_tINSD_8identityEEEEENSD_19counting_iterator_tIlEES8_S8_S8_S8_S8_S8_S8_S8_EEEEPS9_S9_NSD_9__find_if7functorIS9_EEEE10hipError_tPvRmT1_T2_T3_mT4_P12ihipStream_tbEUlT_E1_NS1_11comp_targetILNS1_3genE10ELNS1_11target_archE1201ELNS1_3gpuE5ELNS1_3repE0EEENS1_30default_config_static_selectorELNS0_4arch9wavefront6targetE1EEEvS14_.uses_flat_scratch, 0
	.set _ZN7rocprim17ROCPRIM_400000_NS6detail17trampoline_kernelINS0_14default_configENS1_22reduce_config_selectorIN6thrust23THRUST_200600_302600_NS5tupleIblNS6_9null_typeES8_S8_S8_S8_S8_S8_S8_EEEEZNS1_11reduce_implILb1ES3_NS6_12zip_iteratorINS7_INS6_11hip_rocprim26transform_input_iterator_tIbNSD_35transform_pair_of_input_iterators_tIbNS6_6detail15normal_iteratorINS6_10device_ptrIKfEEEESL_NS6_8equal_toIfEEEENSG_9not_fun_tINSD_8identityEEEEENSD_19counting_iterator_tIlEES8_S8_S8_S8_S8_S8_S8_S8_EEEEPS9_S9_NSD_9__find_if7functorIS9_EEEE10hipError_tPvRmT1_T2_T3_mT4_P12ihipStream_tbEUlT_E1_NS1_11comp_targetILNS1_3genE10ELNS1_11target_archE1201ELNS1_3gpuE5ELNS1_3repE0EEENS1_30default_config_static_selectorELNS0_4arch9wavefront6targetE1EEEvS14_.has_dyn_sized_stack, 0
	.set _ZN7rocprim17ROCPRIM_400000_NS6detail17trampoline_kernelINS0_14default_configENS1_22reduce_config_selectorIN6thrust23THRUST_200600_302600_NS5tupleIblNS6_9null_typeES8_S8_S8_S8_S8_S8_S8_EEEEZNS1_11reduce_implILb1ES3_NS6_12zip_iteratorINS7_INS6_11hip_rocprim26transform_input_iterator_tIbNSD_35transform_pair_of_input_iterators_tIbNS6_6detail15normal_iteratorINS6_10device_ptrIKfEEEESL_NS6_8equal_toIfEEEENSG_9not_fun_tINSD_8identityEEEEENSD_19counting_iterator_tIlEES8_S8_S8_S8_S8_S8_S8_S8_EEEEPS9_S9_NSD_9__find_if7functorIS9_EEEE10hipError_tPvRmT1_T2_T3_mT4_P12ihipStream_tbEUlT_E1_NS1_11comp_targetILNS1_3genE10ELNS1_11target_archE1201ELNS1_3gpuE5ELNS1_3repE0EEENS1_30default_config_static_selectorELNS0_4arch9wavefront6targetE1EEEvS14_.has_recursion, 0
	.set _ZN7rocprim17ROCPRIM_400000_NS6detail17trampoline_kernelINS0_14default_configENS1_22reduce_config_selectorIN6thrust23THRUST_200600_302600_NS5tupleIblNS6_9null_typeES8_S8_S8_S8_S8_S8_S8_EEEEZNS1_11reduce_implILb1ES3_NS6_12zip_iteratorINS7_INS6_11hip_rocprim26transform_input_iterator_tIbNSD_35transform_pair_of_input_iterators_tIbNS6_6detail15normal_iteratorINS6_10device_ptrIKfEEEESL_NS6_8equal_toIfEEEENSG_9not_fun_tINSD_8identityEEEEENSD_19counting_iterator_tIlEES8_S8_S8_S8_S8_S8_S8_S8_EEEEPS9_S9_NSD_9__find_if7functorIS9_EEEE10hipError_tPvRmT1_T2_T3_mT4_P12ihipStream_tbEUlT_E1_NS1_11comp_targetILNS1_3genE10ELNS1_11target_archE1201ELNS1_3gpuE5ELNS1_3repE0EEENS1_30default_config_static_selectorELNS0_4arch9wavefront6targetE1EEEvS14_.has_indirect_call, 0
	.section	.AMDGPU.csdata,"",@progbits
; Kernel info:
; codeLenInByte = 0
; TotalNumSgprs: 4
; NumVgprs: 0
; ScratchSize: 0
; MemoryBound: 0
; FloatMode: 240
; IeeeMode: 1
; LDSByteSize: 0 bytes/workgroup (compile time only)
; SGPRBlocks: 0
; VGPRBlocks: 0
; NumSGPRsForWavesPerEU: 4
; NumVGPRsForWavesPerEU: 1
; Occupancy: 10
; WaveLimiterHint : 0
; COMPUTE_PGM_RSRC2:SCRATCH_EN: 0
; COMPUTE_PGM_RSRC2:USER_SGPR: 6
; COMPUTE_PGM_RSRC2:TRAP_HANDLER: 0
; COMPUTE_PGM_RSRC2:TGID_X_EN: 1
; COMPUTE_PGM_RSRC2:TGID_Y_EN: 0
; COMPUTE_PGM_RSRC2:TGID_Z_EN: 0
; COMPUTE_PGM_RSRC2:TIDIG_COMP_CNT: 0
	.section	.text._ZN7rocprim17ROCPRIM_400000_NS6detail17trampoline_kernelINS0_14default_configENS1_22reduce_config_selectorIN6thrust23THRUST_200600_302600_NS5tupleIblNS6_9null_typeES8_S8_S8_S8_S8_S8_S8_EEEEZNS1_11reduce_implILb1ES3_NS6_12zip_iteratorINS7_INS6_11hip_rocprim26transform_input_iterator_tIbNSD_35transform_pair_of_input_iterators_tIbNS6_6detail15normal_iteratorINS6_10device_ptrIKfEEEESL_NS6_8equal_toIfEEEENSG_9not_fun_tINSD_8identityEEEEENSD_19counting_iterator_tIlEES8_S8_S8_S8_S8_S8_S8_S8_EEEEPS9_S9_NSD_9__find_if7functorIS9_EEEE10hipError_tPvRmT1_T2_T3_mT4_P12ihipStream_tbEUlT_E1_NS1_11comp_targetILNS1_3genE10ELNS1_11target_archE1200ELNS1_3gpuE4ELNS1_3repE0EEENS1_30default_config_static_selectorELNS0_4arch9wavefront6targetE1EEEvS14_,"axG",@progbits,_ZN7rocprim17ROCPRIM_400000_NS6detail17trampoline_kernelINS0_14default_configENS1_22reduce_config_selectorIN6thrust23THRUST_200600_302600_NS5tupleIblNS6_9null_typeES8_S8_S8_S8_S8_S8_S8_EEEEZNS1_11reduce_implILb1ES3_NS6_12zip_iteratorINS7_INS6_11hip_rocprim26transform_input_iterator_tIbNSD_35transform_pair_of_input_iterators_tIbNS6_6detail15normal_iteratorINS6_10device_ptrIKfEEEESL_NS6_8equal_toIfEEEENSG_9not_fun_tINSD_8identityEEEEENSD_19counting_iterator_tIlEES8_S8_S8_S8_S8_S8_S8_S8_EEEEPS9_S9_NSD_9__find_if7functorIS9_EEEE10hipError_tPvRmT1_T2_T3_mT4_P12ihipStream_tbEUlT_E1_NS1_11comp_targetILNS1_3genE10ELNS1_11target_archE1200ELNS1_3gpuE4ELNS1_3repE0EEENS1_30default_config_static_selectorELNS0_4arch9wavefront6targetE1EEEvS14_,comdat
	.protected	_ZN7rocprim17ROCPRIM_400000_NS6detail17trampoline_kernelINS0_14default_configENS1_22reduce_config_selectorIN6thrust23THRUST_200600_302600_NS5tupleIblNS6_9null_typeES8_S8_S8_S8_S8_S8_S8_EEEEZNS1_11reduce_implILb1ES3_NS6_12zip_iteratorINS7_INS6_11hip_rocprim26transform_input_iterator_tIbNSD_35transform_pair_of_input_iterators_tIbNS6_6detail15normal_iteratorINS6_10device_ptrIKfEEEESL_NS6_8equal_toIfEEEENSG_9not_fun_tINSD_8identityEEEEENSD_19counting_iterator_tIlEES8_S8_S8_S8_S8_S8_S8_S8_EEEEPS9_S9_NSD_9__find_if7functorIS9_EEEE10hipError_tPvRmT1_T2_T3_mT4_P12ihipStream_tbEUlT_E1_NS1_11comp_targetILNS1_3genE10ELNS1_11target_archE1200ELNS1_3gpuE4ELNS1_3repE0EEENS1_30default_config_static_selectorELNS0_4arch9wavefront6targetE1EEEvS14_ ; -- Begin function _ZN7rocprim17ROCPRIM_400000_NS6detail17trampoline_kernelINS0_14default_configENS1_22reduce_config_selectorIN6thrust23THRUST_200600_302600_NS5tupleIblNS6_9null_typeES8_S8_S8_S8_S8_S8_S8_EEEEZNS1_11reduce_implILb1ES3_NS6_12zip_iteratorINS7_INS6_11hip_rocprim26transform_input_iterator_tIbNSD_35transform_pair_of_input_iterators_tIbNS6_6detail15normal_iteratorINS6_10device_ptrIKfEEEESL_NS6_8equal_toIfEEEENSG_9not_fun_tINSD_8identityEEEEENSD_19counting_iterator_tIlEES8_S8_S8_S8_S8_S8_S8_S8_EEEEPS9_S9_NSD_9__find_if7functorIS9_EEEE10hipError_tPvRmT1_T2_T3_mT4_P12ihipStream_tbEUlT_E1_NS1_11comp_targetILNS1_3genE10ELNS1_11target_archE1200ELNS1_3gpuE4ELNS1_3repE0EEENS1_30default_config_static_selectorELNS0_4arch9wavefront6targetE1EEEvS14_
	.globl	_ZN7rocprim17ROCPRIM_400000_NS6detail17trampoline_kernelINS0_14default_configENS1_22reduce_config_selectorIN6thrust23THRUST_200600_302600_NS5tupleIblNS6_9null_typeES8_S8_S8_S8_S8_S8_S8_EEEEZNS1_11reduce_implILb1ES3_NS6_12zip_iteratorINS7_INS6_11hip_rocprim26transform_input_iterator_tIbNSD_35transform_pair_of_input_iterators_tIbNS6_6detail15normal_iteratorINS6_10device_ptrIKfEEEESL_NS6_8equal_toIfEEEENSG_9not_fun_tINSD_8identityEEEEENSD_19counting_iterator_tIlEES8_S8_S8_S8_S8_S8_S8_S8_EEEEPS9_S9_NSD_9__find_if7functorIS9_EEEE10hipError_tPvRmT1_T2_T3_mT4_P12ihipStream_tbEUlT_E1_NS1_11comp_targetILNS1_3genE10ELNS1_11target_archE1200ELNS1_3gpuE4ELNS1_3repE0EEENS1_30default_config_static_selectorELNS0_4arch9wavefront6targetE1EEEvS14_
	.p2align	8
	.type	_ZN7rocprim17ROCPRIM_400000_NS6detail17trampoline_kernelINS0_14default_configENS1_22reduce_config_selectorIN6thrust23THRUST_200600_302600_NS5tupleIblNS6_9null_typeES8_S8_S8_S8_S8_S8_S8_EEEEZNS1_11reduce_implILb1ES3_NS6_12zip_iteratorINS7_INS6_11hip_rocprim26transform_input_iterator_tIbNSD_35transform_pair_of_input_iterators_tIbNS6_6detail15normal_iteratorINS6_10device_ptrIKfEEEESL_NS6_8equal_toIfEEEENSG_9not_fun_tINSD_8identityEEEEENSD_19counting_iterator_tIlEES8_S8_S8_S8_S8_S8_S8_S8_EEEEPS9_S9_NSD_9__find_if7functorIS9_EEEE10hipError_tPvRmT1_T2_T3_mT4_P12ihipStream_tbEUlT_E1_NS1_11comp_targetILNS1_3genE10ELNS1_11target_archE1200ELNS1_3gpuE4ELNS1_3repE0EEENS1_30default_config_static_selectorELNS0_4arch9wavefront6targetE1EEEvS14_,@function
_ZN7rocprim17ROCPRIM_400000_NS6detail17trampoline_kernelINS0_14default_configENS1_22reduce_config_selectorIN6thrust23THRUST_200600_302600_NS5tupleIblNS6_9null_typeES8_S8_S8_S8_S8_S8_S8_EEEEZNS1_11reduce_implILb1ES3_NS6_12zip_iteratorINS7_INS6_11hip_rocprim26transform_input_iterator_tIbNSD_35transform_pair_of_input_iterators_tIbNS6_6detail15normal_iteratorINS6_10device_ptrIKfEEEESL_NS6_8equal_toIfEEEENSG_9not_fun_tINSD_8identityEEEEENSD_19counting_iterator_tIlEES8_S8_S8_S8_S8_S8_S8_S8_EEEEPS9_S9_NSD_9__find_if7functorIS9_EEEE10hipError_tPvRmT1_T2_T3_mT4_P12ihipStream_tbEUlT_E1_NS1_11comp_targetILNS1_3genE10ELNS1_11target_archE1200ELNS1_3gpuE4ELNS1_3repE0EEENS1_30default_config_static_selectorELNS0_4arch9wavefront6targetE1EEEvS14_: ; @_ZN7rocprim17ROCPRIM_400000_NS6detail17trampoline_kernelINS0_14default_configENS1_22reduce_config_selectorIN6thrust23THRUST_200600_302600_NS5tupleIblNS6_9null_typeES8_S8_S8_S8_S8_S8_S8_EEEEZNS1_11reduce_implILb1ES3_NS6_12zip_iteratorINS7_INS6_11hip_rocprim26transform_input_iterator_tIbNSD_35transform_pair_of_input_iterators_tIbNS6_6detail15normal_iteratorINS6_10device_ptrIKfEEEESL_NS6_8equal_toIfEEEENSG_9not_fun_tINSD_8identityEEEEENSD_19counting_iterator_tIlEES8_S8_S8_S8_S8_S8_S8_S8_EEEEPS9_S9_NSD_9__find_if7functorIS9_EEEE10hipError_tPvRmT1_T2_T3_mT4_P12ihipStream_tbEUlT_E1_NS1_11comp_targetILNS1_3genE10ELNS1_11target_archE1200ELNS1_3gpuE4ELNS1_3repE0EEENS1_30default_config_static_selectorELNS0_4arch9wavefront6targetE1EEEvS14_
; %bb.0:
	.section	.rodata,"a",@progbits
	.p2align	6, 0x0
	.amdhsa_kernel _ZN7rocprim17ROCPRIM_400000_NS6detail17trampoline_kernelINS0_14default_configENS1_22reduce_config_selectorIN6thrust23THRUST_200600_302600_NS5tupleIblNS6_9null_typeES8_S8_S8_S8_S8_S8_S8_EEEEZNS1_11reduce_implILb1ES3_NS6_12zip_iteratorINS7_INS6_11hip_rocprim26transform_input_iterator_tIbNSD_35transform_pair_of_input_iterators_tIbNS6_6detail15normal_iteratorINS6_10device_ptrIKfEEEESL_NS6_8equal_toIfEEEENSG_9not_fun_tINSD_8identityEEEEENSD_19counting_iterator_tIlEES8_S8_S8_S8_S8_S8_S8_S8_EEEEPS9_S9_NSD_9__find_if7functorIS9_EEEE10hipError_tPvRmT1_T2_T3_mT4_P12ihipStream_tbEUlT_E1_NS1_11comp_targetILNS1_3genE10ELNS1_11target_archE1200ELNS1_3gpuE4ELNS1_3repE0EEENS1_30default_config_static_selectorELNS0_4arch9wavefront6targetE1EEEvS14_
		.amdhsa_group_segment_fixed_size 0
		.amdhsa_private_segment_fixed_size 0
		.amdhsa_kernarg_size 88
		.amdhsa_user_sgpr_count 6
		.amdhsa_user_sgpr_private_segment_buffer 1
		.amdhsa_user_sgpr_dispatch_ptr 0
		.amdhsa_user_sgpr_queue_ptr 0
		.amdhsa_user_sgpr_kernarg_segment_ptr 1
		.amdhsa_user_sgpr_dispatch_id 0
		.amdhsa_user_sgpr_flat_scratch_init 0
		.amdhsa_user_sgpr_private_segment_size 0
		.amdhsa_uses_dynamic_stack 0
		.amdhsa_system_sgpr_private_segment_wavefront_offset 0
		.amdhsa_system_sgpr_workgroup_id_x 1
		.amdhsa_system_sgpr_workgroup_id_y 0
		.amdhsa_system_sgpr_workgroup_id_z 0
		.amdhsa_system_sgpr_workgroup_info 0
		.amdhsa_system_vgpr_workitem_id 0
		.amdhsa_next_free_vgpr 1
		.amdhsa_next_free_sgpr 0
		.amdhsa_reserve_vcc 0
		.amdhsa_reserve_flat_scratch 0
		.amdhsa_float_round_mode_32 0
		.amdhsa_float_round_mode_16_64 0
		.amdhsa_float_denorm_mode_32 3
		.amdhsa_float_denorm_mode_16_64 3
		.amdhsa_dx10_clamp 1
		.amdhsa_ieee_mode 1
		.amdhsa_fp16_overflow 0
		.amdhsa_exception_fp_ieee_invalid_op 0
		.amdhsa_exception_fp_denorm_src 0
		.amdhsa_exception_fp_ieee_div_zero 0
		.amdhsa_exception_fp_ieee_overflow 0
		.amdhsa_exception_fp_ieee_underflow 0
		.amdhsa_exception_fp_ieee_inexact 0
		.amdhsa_exception_int_div_zero 0
	.end_amdhsa_kernel
	.section	.text._ZN7rocprim17ROCPRIM_400000_NS6detail17trampoline_kernelINS0_14default_configENS1_22reduce_config_selectorIN6thrust23THRUST_200600_302600_NS5tupleIblNS6_9null_typeES8_S8_S8_S8_S8_S8_S8_EEEEZNS1_11reduce_implILb1ES3_NS6_12zip_iteratorINS7_INS6_11hip_rocprim26transform_input_iterator_tIbNSD_35transform_pair_of_input_iterators_tIbNS6_6detail15normal_iteratorINS6_10device_ptrIKfEEEESL_NS6_8equal_toIfEEEENSG_9not_fun_tINSD_8identityEEEEENSD_19counting_iterator_tIlEES8_S8_S8_S8_S8_S8_S8_S8_EEEEPS9_S9_NSD_9__find_if7functorIS9_EEEE10hipError_tPvRmT1_T2_T3_mT4_P12ihipStream_tbEUlT_E1_NS1_11comp_targetILNS1_3genE10ELNS1_11target_archE1200ELNS1_3gpuE4ELNS1_3repE0EEENS1_30default_config_static_selectorELNS0_4arch9wavefront6targetE1EEEvS14_,"axG",@progbits,_ZN7rocprim17ROCPRIM_400000_NS6detail17trampoline_kernelINS0_14default_configENS1_22reduce_config_selectorIN6thrust23THRUST_200600_302600_NS5tupleIblNS6_9null_typeES8_S8_S8_S8_S8_S8_S8_EEEEZNS1_11reduce_implILb1ES3_NS6_12zip_iteratorINS7_INS6_11hip_rocprim26transform_input_iterator_tIbNSD_35transform_pair_of_input_iterators_tIbNS6_6detail15normal_iteratorINS6_10device_ptrIKfEEEESL_NS6_8equal_toIfEEEENSG_9not_fun_tINSD_8identityEEEEENSD_19counting_iterator_tIlEES8_S8_S8_S8_S8_S8_S8_S8_EEEEPS9_S9_NSD_9__find_if7functorIS9_EEEE10hipError_tPvRmT1_T2_T3_mT4_P12ihipStream_tbEUlT_E1_NS1_11comp_targetILNS1_3genE10ELNS1_11target_archE1200ELNS1_3gpuE4ELNS1_3repE0EEENS1_30default_config_static_selectorELNS0_4arch9wavefront6targetE1EEEvS14_,comdat
.Lfunc_end462:
	.size	_ZN7rocprim17ROCPRIM_400000_NS6detail17trampoline_kernelINS0_14default_configENS1_22reduce_config_selectorIN6thrust23THRUST_200600_302600_NS5tupleIblNS6_9null_typeES8_S8_S8_S8_S8_S8_S8_EEEEZNS1_11reduce_implILb1ES3_NS6_12zip_iteratorINS7_INS6_11hip_rocprim26transform_input_iterator_tIbNSD_35transform_pair_of_input_iterators_tIbNS6_6detail15normal_iteratorINS6_10device_ptrIKfEEEESL_NS6_8equal_toIfEEEENSG_9not_fun_tINSD_8identityEEEEENSD_19counting_iterator_tIlEES8_S8_S8_S8_S8_S8_S8_S8_EEEEPS9_S9_NSD_9__find_if7functorIS9_EEEE10hipError_tPvRmT1_T2_T3_mT4_P12ihipStream_tbEUlT_E1_NS1_11comp_targetILNS1_3genE10ELNS1_11target_archE1200ELNS1_3gpuE4ELNS1_3repE0EEENS1_30default_config_static_selectorELNS0_4arch9wavefront6targetE1EEEvS14_, .Lfunc_end462-_ZN7rocprim17ROCPRIM_400000_NS6detail17trampoline_kernelINS0_14default_configENS1_22reduce_config_selectorIN6thrust23THRUST_200600_302600_NS5tupleIblNS6_9null_typeES8_S8_S8_S8_S8_S8_S8_EEEEZNS1_11reduce_implILb1ES3_NS6_12zip_iteratorINS7_INS6_11hip_rocprim26transform_input_iterator_tIbNSD_35transform_pair_of_input_iterators_tIbNS6_6detail15normal_iteratorINS6_10device_ptrIKfEEEESL_NS6_8equal_toIfEEEENSG_9not_fun_tINSD_8identityEEEEENSD_19counting_iterator_tIlEES8_S8_S8_S8_S8_S8_S8_S8_EEEEPS9_S9_NSD_9__find_if7functorIS9_EEEE10hipError_tPvRmT1_T2_T3_mT4_P12ihipStream_tbEUlT_E1_NS1_11comp_targetILNS1_3genE10ELNS1_11target_archE1200ELNS1_3gpuE4ELNS1_3repE0EEENS1_30default_config_static_selectorELNS0_4arch9wavefront6targetE1EEEvS14_
                                        ; -- End function
	.set _ZN7rocprim17ROCPRIM_400000_NS6detail17trampoline_kernelINS0_14default_configENS1_22reduce_config_selectorIN6thrust23THRUST_200600_302600_NS5tupleIblNS6_9null_typeES8_S8_S8_S8_S8_S8_S8_EEEEZNS1_11reduce_implILb1ES3_NS6_12zip_iteratorINS7_INS6_11hip_rocprim26transform_input_iterator_tIbNSD_35transform_pair_of_input_iterators_tIbNS6_6detail15normal_iteratorINS6_10device_ptrIKfEEEESL_NS6_8equal_toIfEEEENSG_9not_fun_tINSD_8identityEEEEENSD_19counting_iterator_tIlEES8_S8_S8_S8_S8_S8_S8_S8_EEEEPS9_S9_NSD_9__find_if7functorIS9_EEEE10hipError_tPvRmT1_T2_T3_mT4_P12ihipStream_tbEUlT_E1_NS1_11comp_targetILNS1_3genE10ELNS1_11target_archE1200ELNS1_3gpuE4ELNS1_3repE0EEENS1_30default_config_static_selectorELNS0_4arch9wavefront6targetE1EEEvS14_.num_vgpr, 0
	.set _ZN7rocprim17ROCPRIM_400000_NS6detail17trampoline_kernelINS0_14default_configENS1_22reduce_config_selectorIN6thrust23THRUST_200600_302600_NS5tupleIblNS6_9null_typeES8_S8_S8_S8_S8_S8_S8_EEEEZNS1_11reduce_implILb1ES3_NS6_12zip_iteratorINS7_INS6_11hip_rocprim26transform_input_iterator_tIbNSD_35transform_pair_of_input_iterators_tIbNS6_6detail15normal_iteratorINS6_10device_ptrIKfEEEESL_NS6_8equal_toIfEEEENSG_9not_fun_tINSD_8identityEEEEENSD_19counting_iterator_tIlEES8_S8_S8_S8_S8_S8_S8_S8_EEEEPS9_S9_NSD_9__find_if7functorIS9_EEEE10hipError_tPvRmT1_T2_T3_mT4_P12ihipStream_tbEUlT_E1_NS1_11comp_targetILNS1_3genE10ELNS1_11target_archE1200ELNS1_3gpuE4ELNS1_3repE0EEENS1_30default_config_static_selectorELNS0_4arch9wavefront6targetE1EEEvS14_.num_agpr, 0
	.set _ZN7rocprim17ROCPRIM_400000_NS6detail17trampoline_kernelINS0_14default_configENS1_22reduce_config_selectorIN6thrust23THRUST_200600_302600_NS5tupleIblNS6_9null_typeES8_S8_S8_S8_S8_S8_S8_EEEEZNS1_11reduce_implILb1ES3_NS6_12zip_iteratorINS7_INS6_11hip_rocprim26transform_input_iterator_tIbNSD_35transform_pair_of_input_iterators_tIbNS6_6detail15normal_iteratorINS6_10device_ptrIKfEEEESL_NS6_8equal_toIfEEEENSG_9not_fun_tINSD_8identityEEEEENSD_19counting_iterator_tIlEES8_S8_S8_S8_S8_S8_S8_S8_EEEEPS9_S9_NSD_9__find_if7functorIS9_EEEE10hipError_tPvRmT1_T2_T3_mT4_P12ihipStream_tbEUlT_E1_NS1_11comp_targetILNS1_3genE10ELNS1_11target_archE1200ELNS1_3gpuE4ELNS1_3repE0EEENS1_30default_config_static_selectorELNS0_4arch9wavefront6targetE1EEEvS14_.numbered_sgpr, 0
	.set _ZN7rocprim17ROCPRIM_400000_NS6detail17trampoline_kernelINS0_14default_configENS1_22reduce_config_selectorIN6thrust23THRUST_200600_302600_NS5tupleIblNS6_9null_typeES8_S8_S8_S8_S8_S8_S8_EEEEZNS1_11reduce_implILb1ES3_NS6_12zip_iteratorINS7_INS6_11hip_rocprim26transform_input_iterator_tIbNSD_35transform_pair_of_input_iterators_tIbNS6_6detail15normal_iteratorINS6_10device_ptrIKfEEEESL_NS6_8equal_toIfEEEENSG_9not_fun_tINSD_8identityEEEEENSD_19counting_iterator_tIlEES8_S8_S8_S8_S8_S8_S8_S8_EEEEPS9_S9_NSD_9__find_if7functorIS9_EEEE10hipError_tPvRmT1_T2_T3_mT4_P12ihipStream_tbEUlT_E1_NS1_11comp_targetILNS1_3genE10ELNS1_11target_archE1200ELNS1_3gpuE4ELNS1_3repE0EEENS1_30default_config_static_selectorELNS0_4arch9wavefront6targetE1EEEvS14_.num_named_barrier, 0
	.set _ZN7rocprim17ROCPRIM_400000_NS6detail17trampoline_kernelINS0_14default_configENS1_22reduce_config_selectorIN6thrust23THRUST_200600_302600_NS5tupleIblNS6_9null_typeES8_S8_S8_S8_S8_S8_S8_EEEEZNS1_11reduce_implILb1ES3_NS6_12zip_iteratorINS7_INS6_11hip_rocprim26transform_input_iterator_tIbNSD_35transform_pair_of_input_iterators_tIbNS6_6detail15normal_iteratorINS6_10device_ptrIKfEEEESL_NS6_8equal_toIfEEEENSG_9not_fun_tINSD_8identityEEEEENSD_19counting_iterator_tIlEES8_S8_S8_S8_S8_S8_S8_S8_EEEEPS9_S9_NSD_9__find_if7functorIS9_EEEE10hipError_tPvRmT1_T2_T3_mT4_P12ihipStream_tbEUlT_E1_NS1_11comp_targetILNS1_3genE10ELNS1_11target_archE1200ELNS1_3gpuE4ELNS1_3repE0EEENS1_30default_config_static_selectorELNS0_4arch9wavefront6targetE1EEEvS14_.private_seg_size, 0
	.set _ZN7rocprim17ROCPRIM_400000_NS6detail17trampoline_kernelINS0_14default_configENS1_22reduce_config_selectorIN6thrust23THRUST_200600_302600_NS5tupleIblNS6_9null_typeES8_S8_S8_S8_S8_S8_S8_EEEEZNS1_11reduce_implILb1ES3_NS6_12zip_iteratorINS7_INS6_11hip_rocprim26transform_input_iterator_tIbNSD_35transform_pair_of_input_iterators_tIbNS6_6detail15normal_iteratorINS6_10device_ptrIKfEEEESL_NS6_8equal_toIfEEEENSG_9not_fun_tINSD_8identityEEEEENSD_19counting_iterator_tIlEES8_S8_S8_S8_S8_S8_S8_S8_EEEEPS9_S9_NSD_9__find_if7functorIS9_EEEE10hipError_tPvRmT1_T2_T3_mT4_P12ihipStream_tbEUlT_E1_NS1_11comp_targetILNS1_3genE10ELNS1_11target_archE1200ELNS1_3gpuE4ELNS1_3repE0EEENS1_30default_config_static_selectorELNS0_4arch9wavefront6targetE1EEEvS14_.uses_vcc, 0
	.set _ZN7rocprim17ROCPRIM_400000_NS6detail17trampoline_kernelINS0_14default_configENS1_22reduce_config_selectorIN6thrust23THRUST_200600_302600_NS5tupleIblNS6_9null_typeES8_S8_S8_S8_S8_S8_S8_EEEEZNS1_11reduce_implILb1ES3_NS6_12zip_iteratorINS7_INS6_11hip_rocprim26transform_input_iterator_tIbNSD_35transform_pair_of_input_iterators_tIbNS6_6detail15normal_iteratorINS6_10device_ptrIKfEEEESL_NS6_8equal_toIfEEEENSG_9not_fun_tINSD_8identityEEEEENSD_19counting_iterator_tIlEES8_S8_S8_S8_S8_S8_S8_S8_EEEEPS9_S9_NSD_9__find_if7functorIS9_EEEE10hipError_tPvRmT1_T2_T3_mT4_P12ihipStream_tbEUlT_E1_NS1_11comp_targetILNS1_3genE10ELNS1_11target_archE1200ELNS1_3gpuE4ELNS1_3repE0EEENS1_30default_config_static_selectorELNS0_4arch9wavefront6targetE1EEEvS14_.uses_flat_scratch, 0
	.set _ZN7rocprim17ROCPRIM_400000_NS6detail17trampoline_kernelINS0_14default_configENS1_22reduce_config_selectorIN6thrust23THRUST_200600_302600_NS5tupleIblNS6_9null_typeES8_S8_S8_S8_S8_S8_S8_EEEEZNS1_11reduce_implILb1ES3_NS6_12zip_iteratorINS7_INS6_11hip_rocprim26transform_input_iterator_tIbNSD_35transform_pair_of_input_iterators_tIbNS6_6detail15normal_iteratorINS6_10device_ptrIKfEEEESL_NS6_8equal_toIfEEEENSG_9not_fun_tINSD_8identityEEEEENSD_19counting_iterator_tIlEES8_S8_S8_S8_S8_S8_S8_S8_EEEEPS9_S9_NSD_9__find_if7functorIS9_EEEE10hipError_tPvRmT1_T2_T3_mT4_P12ihipStream_tbEUlT_E1_NS1_11comp_targetILNS1_3genE10ELNS1_11target_archE1200ELNS1_3gpuE4ELNS1_3repE0EEENS1_30default_config_static_selectorELNS0_4arch9wavefront6targetE1EEEvS14_.has_dyn_sized_stack, 0
	.set _ZN7rocprim17ROCPRIM_400000_NS6detail17trampoline_kernelINS0_14default_configENS1_22reduce_config_selectorIN6thrust23THRUST_200600_302600_NS5tupleIblNS6_9null_typeES8_S8_S8_S8_S8_S8_S8_EEEEZNS1_11reduce_implILb1ES3_NS6_12zip_iteratorINS7_INS6_11hip_rocprim26transform_input_iterator_tIbNSD_35transform_pair_of_input_iterators_tIbNS6_6detail15normal_iteratorINS6_10device_ptrIKfEEEESL_NS6_8equal_toIfEEEENSG_9not_fun_tINSD_8identityEEEEENSD_19counting_iterator_tIlEES8_S8_S8_S8_S8_S8_S8_S8_EEEEPS9_S9_NSD_9__find_if7functorIS9_EEEE10hipError_tPvRmT1_T2_T3_mT4_P12ihipStream_tbEUlT_E1_NS1_11comp_targetILNS1_3genE10ELNS1_11target_archE1200ELNS1_3gpuE4ELNS1_3repE0EEENS1_30default_config_static_selectorELNS0_4arch9wavefront6targetE1EEEvS14_.has_recursion, 0
	.set _ZN7rocprim17ROCPRIM_400000_NS6detail17trampoline_kernelINS0_14default_configENS1_22reduce_config_selectorIN6thrust23THRUST_200600_302600_NS5tupleIblNS6_9null_typeES8_S8_S8_S8_S8_S8_S8_EEEEZNS1_11reduce_implILb1ES3_NS6_12zip_iteratorINS7_INS6_11hip_rocprim26transform_input_iterator_tIbNSD_35transform_pair_of_input_iterators_tIbNS6_6detail15normal_iteratorINS6_10device_ptrIKfEEEESL_NS6_8equal_toIfEEEENSG_9not_fun_tINSD_8identityEEEEENSD_19counting_iterator_tIlEES8_S8_S8_S8_S8_S8_S8_S8_EEEEPS9_S9_NSD_9__find_if7functorIS9_EEEE10hipError_tPvRmT1_T2_T3_mT4_P12ihipStream_tbEUlT_E1_NS1_11comp_targetILNS1_3genE10ELNS1_11target_archE1200ELNS1_3gpuE4ELNS1_3repE0EEENS1_30default_config_static_selectorELNS0_4arch9wavefront6targetE1EEEvS14_.has_indirect_call, 0
	.section	.AMDGPU.csdata,"",@progbits
; Kernel info:
; codeLenInByte = 0
; TotalNumSgprs: 4
; NumVgprs: 0
; ScratchSize: 0
; MemoryBound: 0
; FloatMode: 240
; IeeeMode: 1
; LDSByteSize: 0 bytes/workgroup (compile time only)
; SGPRBlocks: 0
; VGPRBlocks: 0
; NumSGPRsForWavesPerEU: 4
; NumVGPRsForWavesPerEU: 1
; Occupancy: 10
; WaveLimiterHint : 0
; COMPUTE_PGM_RSRC2:SCRATCH_EN: 0
; COMPUTE_PGM_RSRC2:USER_SGPR: 6
; COMPUTE_PGM_RSRC2:TRAP_HANDLER: 0
; COMPUTE_PGM_RSRC2:TGID_X_EN: 1
; COMPUTE_PGM_RSRC2:TGID_Y_EN: 0
; COMPUTE_PGM_RSRC2:TGID_Z_EN: 0
; COMPUTE_PGM_RSRC2:TIDIG_COMP_CNT: 0
	.section	.text._ZN7rocprim17ROCPRIM_400000_NS6detail17trampoline_kernelINS0_14default_configENS1_22reduce_config_selectorIN6thrust23THRUST_200600_302600_NS5tupleIblNS6_9null_typeES8_S8_S8_S8_S8_S8_S8_EEEEZNS1_11reduce_implILb1ES3_NS6_12zip_iteratorINS7_INS6_11hip_rocprim26transform_input_iterator_tIbNSD_35transform_pair_of_input_iterators_tIbNS6_6detail15normal_iteratorINS6_10device_ptrIKfEEEESL_NS6_8equal_toIfEEEENSG_9not_fun_tINSD_8identityEEEEENSD_19counting_iterator_tIlEES8_S8_S8_S8_S8_S8_S8_S8_EEEEPS9_S9_NSD_9__find_if7functorIS9_EEEE10hipError_tPvRmT1_T2_T3_mT4_P12ihipStream_tbEUlT_E1_NS1_11comp_targetILNS1_3genE9ELNS1_11target_archE1100ELNS1_3gpuE3ELNS1_3repE0EEENS1_30default_config_static_selectorELNS0_4arch9wavefront6targetE1EEEvS14_,"axG",@progbits,_ZN7rocprim17ROCPRIM_400000_NS6detail17trampoline_kernelINS0_14default_configENS1_22reduce_config_selectorIN6thrust23THRUST_200600_302600_NS5tupleIblNS6_9null_typeES8_S8_S8_S8_S8_S8_S8_EEEEZNS1_11reduce_implILb1ES3_NS6_12zip_iteratorINS7_INS6_11hip_rocprim26transform_input_iterator_tIbNSD_35transform_pair_of_input_iterators_tIbNS6_6detail15normal_iteratorINS6_10device_ptrIKfEEEESL_NS6_8equal_toIfEEEENSG_9not_fun_tINSD_8identityEEEEENSD_19counting_iterator_tIlEES8_S8_S8_S8_S8_S8_S8_S8_EEEEPS9_S9_NSD_9__find_if7functorIS9_EEEE10hipError_tPvRmT1_T2_T3_mT4_P12ihipStream_tbEUlT_E1_NS1_11comp_targetILNS1_3genE9ELNS1_11target_archE1100ELNS1_3gpuE3ELNS1_3repE0EEENS1_30default_config_static_selectorELNS0_4arch9wavefront6targetE1EEEvS14_,comdat
	.protected	_ZN7rocprim17ROCPRIM_400000_NS6detail17trampoline_kernelINS0_14default_configENS1_22reduce_config_selectorIN6thrust23THRUST_200600_302600_NS5tupleIblNS6_9null_typeES8_S8_S8_S8_S8_S8_S8_EEEEZNS1_11reduce_implILb1ES3_NS6_12zip_iteratorINS7_INS6_11hip_rocprim26transform_input_iterator_tIbNSD_35transform_pair_of_input_iterators_tIbNS6_6detail15normal_iteratorINS6_10device_ptrIKfEEEESL_NS6_8equal_toIfEEEENSG_9not_fun_tINSD_8identityEEEEENSD_19counting_iterator_tIlEES8_S8_S8_S8_S8_S8_S8_S8_EEEEPS9_S9_NSD_9__find_if7functorIS9_EEEE10hipError_tPvRmT1_T2_T3_mT4_P12ihipStream_tbEUlT_E1_NS1_11comp_targetILNS1_3genE9ELNS1_11target_archE1100ELNS1_3gpuE3ELNS1_3repE0EEENS1_30default_config_static_selectorELNS0_4arch9wavefront6targetE1EEEvS14_ ; -- Begin function _ZN7rocprim17ROCPRIM_400000_NS6detail17trampoline_kernelINS0_14default_configENS1_22reduce_config_selectorIN6thrust23THRUST_200600_302600_NS5tupleIblNS6_9null_typeES8_S8_S8_S8_S8_S8_S8_EEEEZNS1_11reduce_implILb1ES3_NS6_12zip_iteratorINS7_INS6_11hip_rocprim26transform_input_iterator_tIbNSD_35transform_pair_of_input_iterators_tIbNS6_6detail15normal_iteratorINS6_10device_ptrIKfEEEESL_NS6_8equal_toIfEEEENSG_9not_fun_tINSD_8identityEEEEENSD_19counting_iterator_tIlEES8_S8_S8_S8_S8_S8_S8_S8_EEEEPS9_S9_NSD_9__find_if7functorIS9_EEEE10hipError_tPvRmT1_T2_T3_mT4_P12ihipStream_tbEUlT_E1_NS1_11comp_targetILNS1_3genE9ELNS1_11target_archE1100ELNS1_3gpuE3ELNS1_3repE0EEENS1_30default_config_static_selectorELNS0_4arch9wavefront6targetE1EEEvS14_
	.globl	_ZN7rocprim17ROCPRIM_400000_NS6detail17trampoline_kernelINS0_14default_configENS1_22reduce_config_selectorIN6thrust23THRUST_200600_302600_NS5tupleIblNS6_9null_typeES8_S8_S8_S8_S8_S8_S8_EEEEZNS1_11reduce_implILb1ES3_NS6_12zip_iteratorINS7_INS6_11hip_rocprim26transform_input_iterator_tIbNSD_35transform_pair_of_input_iterators_tIbNS6_6detail15normal_iteratorINS6_10device_ptrIKfEEEESL_NS6_8equal_toIfEEEENSG_9not_fun_tINSD_8identityEEEEENSD_19counting_iterator_tIlEES8_S8_S8_S8_S8_S8_S8_S8_EEEEPS9_S9_NSD_9__find_if7functorIS9_EEEE10hipError_tPvRmT1_T2_T3_mT4_P12ihipStream_tbEUlT_E1_NS1_11comp_targetILNS1_3genE9ELNS1_11target_archE1100ELNS1_3gpuE3ELNS1_3repE0EEENS1_30default_config_static_selectorELNS0_4arch9wavefront6targetE1EEEvS14_
	.p2align	8
	.type	_ZN7rocprim17ROCPRIM_400000_NS6detail17trampoline_kernelINS0_14default_configENS1_22reduce_config_selectorIN6thrust23THRUST_200600_302600_NS5tupleIblNS6_9null_typeES8_S8_S8_S8_S8_S8_S8_EEEEZNS1_11reduce_implILb1ES3_NS6_12zip_iteratorINS7_INS6_11hip_rocprim26transform_input_iterator_tIbNSD_35transform_pair_of_input_iterators_tIbNS6_6detail15normal_iteratorINS6_10device_ptrIKfEEEESL_NS6_8equal_toIfEEEENSG_9not_fun_tINSD_8identityEEEEENSD_19counting_iterator_tIlEES8_S8_S8_S8_S8_S8_S8_S8_EEEEPS9_S9_NSD_9__find_if7functorIS9_EEEE10hipError_tPvRmT1_T2_T3_mT4_P12ihipStream_tbEUlT_E1_NS1_11comp_targetILNS1_3genE9ELNS1_11target_archE1100ELNS1_3gpuE3ELNS1_3repE0EEENS1_30default_config_static_selectorELNS0_4arch9wavefront6targetE1EEEvS14_,@function
_ZN7rocprim17ROCPRIM_400000_NS6detail17trampoline_kernelINS0_14default_configENS1_22reduce_config_selectorIN6thrust23THRUST_200600_302600_NS5tupleIblNS6_9null_typeES8_S8_S8_S8_S8_S8_S8_EEEEZNS1_11reduce_implILb1ES3_NS6_12zip_iteratorINS7_INS6_11hip_rocprim26transform_input_iterator_tIbNSD_35transform_pair_of_input_iterators_tIbNS6_6detail15normal_iteratorINS6_10device_ptrIKfEEEESL_NS6_8equal_toIfEEEENSG_9not_fun_tINSD_8identityEEEEENSD_19counting_iterator_tIlEES8_S8_S8_S8_S8_S8_S8_S8_EEEEPS9_S9_NSD_9__find_if7functorIS9_EEEE10hipError_tPvRmT1_T2_T3_mT4_P12ihipStream_tbEUlT_E1_NS1_11comp_targetILNS1_3genE9ELNS1_11target_archE1100ELNS1_3gpuE3ELNS1_3repE0EEENS1_30default_config_static_selectorELNS0_4arch9wavefront6targetE1EEEvS14_: ; @_ZN7rocprim17ROCPRIM_400000_NS6detail17trampoline_kernelINS0_14default_configENS1_22reduce_config_selectorIN6thrust23THRUST_200600_302600_NS5tupleIblNS6_9null_typeES8_S8_S8_S8_S8_S8_S8_EEEEZNS1_11reduce_implILb1ES3_NS6_12zip_iteratorINS7_INS6_11hip_rocprim26transform_input_iterator_tIbNSD_35transform_pair_of_input_iterators_tIbNS6_6detail15normal_iteratorINS6_10device_ptrIKfEEEESL_NS6_8equal_toIfEEEENSG_9not_fun_tINSD_8identityEEEEENSD_19counting_iterator_tIlEES8_S8_S8_S8_S8_S8_S8_S8_EEEEPS9_S9_NSD_9__find_if7functorIS9_EEEE10hipError_tPvRmT1_T2_T3_mT4_P12ihipStream_tbEUlT_E1_NS1_11comp_targetILNS1_3genE9ELNS1_11target_archE1100ELNS1_3gpuE3ELNS1_3repE0EEENS1_30default_config_static_selectorELNS0_4arch9wavefront6targetE1EEEvS14_
; %bb.0:
	.section	.rodata,"a",@progbits
	.p2align	6, 0x0
	.amdhsa_kernel _ZN7rocprim17ROCPRIM_400000_NS6detail17trampoline_kernelINS0_14default_configENS1_22reduce_config_selectorIN6thrust23THRUST_200600_302600_NS5tupleIblNS6_9null_typeES8_S8_S8_S8_S8_S8_S8_EEEEZNS1_11reduce_implILb1ES3_NS6_12zip_iteratorINS7_INS6_11hip_rocprim26transform_input_iterator_tIbNSD_35transform_pair_of_input_iterators_tIbNS6_6detail15normal_iteratorINS6_10device_ptrIKfEEEESL_NS6_8equal_toIfEEEENSG_9not_fun_tINSD_8identityEEEEENSD_19counting_iterator_tIlEES8_S8_S8_S8_S8_S8_S8_S8_EEEEPS9_S9_NSD_9__find_if7functorIS9_EEEE10hipError_tPvRmT1_T2_T3_mT4_P12ihipStream_tbEUlT_E1_NS1_11comp_targetILNS1_3genE9ELNS1_11target_archE1100ELNS1_3gpuE3ELNS1_3repE0EEENS1_30default_config_static_selectorELNS0_4arch9wavefront6targetE1EEEvS14_
		.amdhsa_group_segment_fixed_size 0
		.amdhsa_private_segment_fixed_size 0
		.amdhsa_kernarg_size 88
		.amdhsa_user_sgpr_count 6
		.amdhsa_user_sgpr_private_segment_buffer 1
		.amdhsa_user_sgpr_dispatch_ptr 0
		.amdhsa_user_sgpr_queue_ptr 0
		.amdhsa_user_sgpr_kernarg_segment_ptr 1
		.amdhsa_user_sgpr_dispatch_id 0
		.amdhsa_user_sgpr_flat_scratch_init 0
		.amdhsa_user_sgpr_private_segment_size 0
		.amdhsa_uses_dynamic_stack 0
		.amdhsa_system_sgpr_private_segment_wavefront_offset 0
		.amdhsa_system_sgpr_workgroup_id_x 1
		.amdhsa_system_sgpr_workgroup_id_y 0
		.amdhsa_system_sgpr_workgroup_id_z 0
		.amdhsa_system_sgpr_workgroup_info 0
		.amdhsa_system_vgpr_workitem_id 0
		.amdhsa_next_free_vgpr 1
		.amdhsa_next_free_sgpr 0
		.amdhsa_reserve_vcc 0
		.amdhsa_reserve_flat_scratch 0
		.amdhsa_float_round_mode_32 0
		.amdhsa_float_round_mode_16_64 0
		.amdhsa_float_denorm_mode_32 3
		.amdhsa_float_denorm_mode_16_64 3
		.amdhsa_dx10_clamp 1
		.amdhsa_ieee_mode 1
		.amdhsa_fp16_overflow 0
		.amdhsa_exception_fp_ieee_invalid_op 0
		.amdhsa_exception_fp_denorm_src 0
		.amdhsa_exception_fp_ieee_div_zero 0
		.amdhsa_exception_fp_ieee_overflow 0
		.amdhsa_exception_fp_ieee_underflow 0
		.amdhsa_exception_fp_ieee_inexact 0
		.amdhsa_exception_int_div_zero 0
	.end_amdhsa_kernel
	.section	.text._ZN7rocprim17ROCPRIM_400000_NS6detail17trampoline_kernelINS0_14default_configENS1_22reduce_config_selectorIN6thrust23THRUST_200600_302600_NS5tupleIblNS6_9null_typeES8_S8_S8_S8_S8_S8_S8_EEEEZNS1_11reduce_implILb1ES3_NS6_12zip_iteratorINS7_INS6_11hip_rocprim26transform_input_iterator_tIbNSD_35transform_pair_of_input_iterators_tIbNS6_6detail15normal_iteratorINS6_10device_ptrIKfEEEESL_NS6_8equal_toIfEEEENSG_9not_fun_tINSD_8identityEEEEENSD_19counting_iterator_tIlEES8_S8_S8_S8_S8_S8_S8_S8_EEEEPS9_S9_NSD_9__find_if7functorIS9_EEEE10hipError_tPvRmT1_T2_T3_mT4_P12ihipStream_tbEUlT_E1_NS1_11comp_targetILNS1_3genE9ELNS1_11target_archE1100ELNS1_3gpuE3ELNS1_3repE0EEENS1_30default_config_static_selectorELNS0_4arch9wavefront6targetE1EEEvS14_,"axG",@progbits,_ZN7rocprim17ROCPRIM_400000_NS6detail17trampoline_kernelINS0_14default_configENS1_22reduce_config_selectorIN6thrust23THRUST_200600_302600_NS5tupleIblNS6_9null_typeES8_S8_S8_S8_S8_S8_S8_EEEEZNS1_11reduce_implILb1ES3_NS6_12zip_iteratorINS7_INS6_11hip_rocprim26transform_input_iterator_tIbNSD_35transform_pair_of_input_iterators_tIbNS6_6detail15normal_iteratorINS6_10device_ptrIKfEEEESL_NS6_8equal_toIfEEEENSG_9not_fun_tINSD_8identityEEEEENSD_19counting_iterator_tIlEES8_S8_S8_S8_S8_S8_S8_S8_EEEEPS9_S9_NSD_9__find_if7functorIS9_EEEE10hipError_tPvRmT1_T2_T3_mT4_P12ihipStream_tbEUlT_E1_NS1_11comp_targetILNS1_3genE9ELNS1_11target_archE1100ELNS1_3gpuE3ELNS1_3repE0EEENS1_30default_config_static_selectorELNS0_4arch9wavefront6targetE1EEEvS14_,comdat
.Lfunc_end463:
	.size	_ZN7rocprim17ROCPRIM_400000_NS6detail17trampoline_kernelINS0_14default_configENS1_22reduce_config_selectorIN6thrust23THRUST_200600_302600_NS5tupleIblNS6_9null_typeES8_S8_S8_S8_S8_S8_S8_EEEEZNS1_11reduce_implILb1ES3_NS6_12zip_iteratorINS7_INS6_11hip_rocprim26transform_input_iterator_tIbNSD_35transform_pair_of_input_iterators_tIbNS6_6detail15normal_iteratorINS6_10device_ptrIKfEEEESL_NS6_8equal_toIfEEEENSG_9not_fun_tINSD_8identityEEEEENSD_19counting_iterator_tIlEES8_S8_S8_S8_S8_S8_S8_S8_EEEEPS9_S9_NSD_9__find_if7functorIS9_EEEE10hipError_tPvRmT1_T2_T3_mT4_P12ihipStream_tbEUlT_E1_NS1_11comp_targetILNS1_3genE9ELNS1_11target_archE1100ELNS1_3gpuE3ELNS1_3repE0EEENS1_30default_config_static_selectorELNS0_4arch9wavefront6targetE1EEEvS14_, .Lfunc_end463-_ZN7rocprim17ROCPRIM_400000_NS6detail17trampoline_kernelINS0_14default_configENS1_22reduce_config_selectorIN6thrust23THRUST_200600_302600_NS5tupleIblNS6_9null_typeES8_S8_S8_S8_S8_S8_S8_EEEEZNS1_11reduce_implILb1ES3_NS6_12zip_iteratorINS7_INS6_11hip_rocprim26transform_input_iterator_tIbNSD_35transform_pair_of_input_iterators_tIbNS6_6detail15normal_iteratorINS6_10device_ptrIKfEEEESL_NS6_8equal_toIfEEEENSG_9not_fun_tINSD_8identityEEEEENSD_19counting_iterator_tIlEES8_S8_S8_S8_S8_S8_S8_S8_EEEEPS9_S9_NSD_9__find_if7functorIS9_EEEE10hipError_tPvRmT1_T2_T3_mT4_P12ihipStream_tbEUlT_E1_NS1_11comp_targetILNS1_3genE9ELNS1_11target_archE1100ELNS1_3gpuE3ELNS1_3repE0EEENS1_30default_config_static_selectorELNS0_4arch9wavefront6targetE1EEEvS14_
                                        ; -- End function
	.set _ZN7rocprim17ROCPRIM_400000_NS6detail17trampoline_kernelINS0_14default_configENS1_22reduce_config_selectorIN6thrust23THRUST_200600_302600_NS5tupleIblNS6_9null_typeES8_S8_S8_S8_S8_S8_S8_EEEEZNS1_11reduce_implILb1ES3_NS6_12zip_iteratorINS7_INS6_11hip_rocprim26transform_input_iterator_tIbNSD_35transform_pair_of_input_iterators_tIbNS6_6detail15normal_iteratorINS6_10device_ptrIKfEEEESL_NS6_8equal_toIfEEEENSG_9not_fun_tINSD_8identityEEEEENSD_19counting_iterator_tIlEES8_S8_S8_S8_S8_S8_S8_S8_EEEEPS9_S9_NSD_9__find_if7functorIS9_EEEE10hipError_tPvRmT1_T2_T3_mT4_P12ihipStream_tbEUlT_E1_NS1_11comp_targetILNS1_3genE9ELNS1_11target_archE1100ELNS1_3gpuE3ELNS1_3repE0EEENS1_30default_config_static_selectorELNS0_4arch9wavefront6targetE1EEEvS14_.num_vgpr, 0
	.set _ZN7rocprim17ROCPRIM_400000_NS6detail17trampoline_kernelINS0_14default_configENS1_22reduce_config_selectorIN6thrust23THRUST_200600_302600_NS5tupleIblNS6_9null_typeES8_S8_S8_S8_S8_S8_S8_EEEEZNS1_11reduce_implILb1ES3_NS6_12zip_iteratorINS7_INS6_11hip_rocprim26transform_input_iterator_tIbNSD_35transform_pair_of_input_iterators_tIbNS6_6detail15normal_iteratorINS6_10device_ptrIKfEEEESL_NS6_8equal_toIfEEEENSG_9not_fun_tINSD_8identityEEEEENSD_19counting_iterator_tIlEES8_S8_S8_S8_S8_S8_S8_S8_EEEEPS9_S9_NSD_9__find_if7functorIS9_EEEE10hipError_tPvRmT1_T2_T3_mT4_P12ihipStream_tbEUlT_E1_NS1_11comp_targetILNS1_3genE9ELNS1_11target_archE1100ELNS1_3gpuE3ELNS1_3repE0EEENS1_30default_config_static_selectorELNS0_4arch9wavefront6targetE1EEEvS14_.num_agpr, 0
	.set _ZN7rocprim17ROCPRIM_400000_NS6detail17trampoline_kernelINS0_14default_configENS1_22reduce_config_selectorIN6thrust23THRUST_200600_302600_NS5tupleIblNS6_9null_typeES8_S8_S8_S8_S8_S8_S8_EEEEZNS1_11reduce_implILb1ES3_NS6_12zip_iteratorINS7_INS6_11hip_rocprim26transform_input_iterator_tIbNSD_35transform_pair_of_input_iterators_tIbNS6_6detail15normal_iteratorINS6_10device_ptrIKfEEEESL_NS6_8equal_toIfEEEENSG_9not_fun_tINSD_8identityEEEEENSD_19counting_iterator_tIlEES8_S8_S8_S8_S8_S8_S8_S8_EEEEPS9_S9_NSD_9__find_if7functorIS9_EEEE10hipError_tPvRmT1_T2_T3_mT4_P12ihipStream_tbEUlT_E1_NS1_11comp_targetILNS1_3genE9ELNS1_11target_archE1100ELNS1_3gpuE3ELNS1_3repE0EEENS1_30default_config_static_selectorELNS0_4arch9wavefront6targetE1EEEvS14_.numbered_sgpr, 0
	.set _ZN7rocprim17ROCPRIM_400000_NS6detail17trampoline_kernelINS0_14default_configENS1_22reduce_config_selectorIN6thrust23THRUST_200600_302600_NS5tupleIblNS6_9null_typeES8_S8_S8_S8_S8_S8_S8_EEEEZNS1_11reduce_implILb1ES3_NS6_12zip_iteratorINS7_INS6_11hip_rocprim26transform_input_iterator_tIbNSD_35transform_pair_of_input_iterators_tIbNS6_6detail15normal_iteratorINS6_10device_ptrIKfEEEESL_NS6_8equal_toIfEEEENSG_9not_fun_tINSD_8identityEEEEENSD_19counting_iterator_tIlEES8_S8_S8_S8_S8_S8_S8_S8_EEEEPS9_S9_NSD_9__find_if7functorIS9_EEEE10hipError_tPvRmT1_T2_T3_mT4_P12ihipStream_tbEUlT_E1_NS1_11comp_targetILNS1_3genE9ELNS1_11target_archE1100ELNS1_3gpuE3ELNS1_3repE0EEENS1_30default_config_static_selectorELNS0_4arch9wavefront6targetE1EEEvS14_.num_named_barrier, 0
	.set _ZN7rocprim17ROCPRIM_400000_NS6detail17trampoline_kernelINS0_14default_configENS1_22reduce_config_selectorIN6thrust23THRUST_200600_302600_NS5tupleIblNS6_9null_typeES8_S8_S8_S8_S8_S8_S8_EEEEZNS1_11reduce_implILb1ES3_NS6_12zip_iteratorINS7_INS6_11hip_rocprim26transform_input_iterator_tIbNSD_35transform_pair_of_input_iterators_tIbNS6_6detail15normal_iteratorINS6_10device_ptrIKfEEEESL_NS6_8equal_toIfEEEENSG_9not_fun_tINSD_8identityEEEEENSD_19counting_iterator_tIlEES8_S8_S8_S8_S8_S8_S8_S8_EEEEPS9_S9_NSD_9__find_if7functorIS9_EEEE10hipError_tPvRmT1_T2_T3_mT4_P12ihipStream_tbEUlT_E1_NS1_11comp_targetILNS1_3genE9ELNS1_11target_archE1100ELNS1_3gpuE3ELNS1_3repE0EEENS1_30default_config_static_selectorELNS0_4arch9wavefront6targetE1EEEvS14_.private_seg_size, 0
	.set _ZN7rocprim17ROCPRIM_400000_NS6detail17trampoline_kernelINS0_14default_configENS1_22reduce_config_selectorIN6thrust23THRUST_200600_302600_NS5tupleIblNS6_9null_typeES8_S8_S8_S8_S8_S8_S8_EEEEZNS1_11reduce_implILb1ES3_NS6_12zip_iteratorINS7_INS6_11hip_rocprim26transform_input_iterator_tIbNSD_35transform_pair_of_input_iterators_tIbNS6_6detail15normal_iteratorINS6_10device_ptrIKfEEEESL_NS6_8equal_toIfEEEENSG_9not_fun_tINSD_8identityEEEEENSD_19counting_iterator_tIlEES8_S8_S8_S8_S8_S8_S8_S8_EEEEPS9_S9_NSD_9__find_if7functorIS9_EEEE10hipError_tPvRmT1_T2_T3_mT4_P12ihipStream_tbEUlT_E1_NS1_11comp_targetILNS1_3genE9ELNS1_11target_archE1100ELNS1_3gpuE3ELNS1_3repE0EEENS1_30default_config_static_selectorELNS0_4arch9wavefront6targetE1EEEvS14_.uses_vcc, 0
	.set _ZN7rocprim17ROCPRIM_400000_NS6detail17trampoline_kernelINS0_14default_configENS1_22reduce_config_selectorIN6thrust23THRUST_200600_302600_NS5tupleIblNS6_9null_typeES8_S8_S8_S8_S8_S8_S8_EEEEZNS1_11reduce_implILb1ES3_NS6_12zip_iteratorINS7_INS6_11hip_rocprim26transform_input_iterator_tIbNSD_35transform_pair_of_input_iterators_tIbNS6_6detail15normal_iteratorINS6_10device_ptrIKfEEEESL_NS6_8equal_toIfEEEENSG_9not_fun_tINSD_8identityEEEEENSD_19counting_iterator_tIlEES8_S8_S8_S8_S8_S8_S8_S8_EEEEPS9_S9_NSD_9__find_if7functorIS9_EEEE10hipError_tPvRmT1_T2_T3_mT4_P12ihipStream_tbEUlT_E1_NS1_11comp_targetILNS1_3genE9ELNS1_11target_archE1100ELNS1_3gpuE3ELNS1_3repE0EEENS1_30default_config_static_selectorELNS0_4arch9wavefront6targetE1EEEvS14_.uses_flat_scratch, 0
	.set _ZN7rocprim17ROCPRIM_400000_NS6detail17trampoline_kernelINS0_14default_configENS1_22reduce_config_selectorIN6thrust23THRUST_200600_302600_NS5tupleIblNS6_9null_typeES8_S8_S8_S8_S8_S8_S8_EEEEZNS1_11reduce_implILb1ES3_NS6_12zip_iteratorINS7_INS6_11hip_rocprim26transform_input_iterator_tIbNSD_35transform_pair_of_input_iterators_tIbNS6_6detail15normal_iteratorINS6_10device_ptrIKfEEEESL_NS6_8equal_toIfEEEENSG_9not_fun_tINSD_8identityEEEEENSD_19counting_iterator_tIlEES8_S8_S8_S8_S8_S8_S8_S8_EEEEPS9_S9_NSD_9__find_if7functorIS9_EEEE10hipError_tPvRmT1_T2_T3_mT4_P12ihipStream_tbEUlT_E1_NS1_11comp_targetILNS1_3genE9ELNS1_11target_archE1100ELNS1_3gpuE3ELNS1_3repE0EEENS1_30default_config_static_selectorELNS0_4arch9wavefront6targetE1EEEvS14_.has_dyn_sized_stack, 0
	.set _ZN7rocprim17ROCPRIM_400000_NS6detail17trampoline_kernelINS0_14default_configENS1_22reduce_config_selectorIN6thrust23THRUST_200600_302600_NS5tupleIblNS6_9null_typeES8_S8_S8_S8_S8_S8_S8_EEEEZNS1_11reduce_implILb1ES3_NS6_12zip_iteratorINS7_INS6_11hip_rocprim26transform_input_iterator_tIbNSD_35transform_pair_of_input_iterators_tIbNS6_6detail15normal_iteratorINS6_10device_ptrIKfEEEESL_NS6_8equal_toIfEEEENSG_9not_fun_tINSD_8identityEEEEENSD_19counting_iterator_tIlEES8_S8_S8_S8_S8_S8_S8_S8_EEEEPS9_S9_NSD_9__find_if7functorIS9_EEEE10hipError_tPvRmT1_T2_T3_mT4_P12ihipStream_tbEUlT_E1_NS1_11comp_targetILNS1_3genE9ELNS1_11target_archE1100ELNS1_3gpuE3ELNS1_3repE0EEENS1_30default_config_static_selectorELNS0_4arch9wavefront6targetE1EEEvS14_.has_recursion, 0
	.set _ZN7rocprim17ROCPRIM_400000_NS6detail17trampoline_kernelINS0_14default_configENS1_22reduce_config_selectorIN6thrust23THRUST_200600_302600_NS5tupleIblNS6_9null_typeES8_S8_S8_S8_S8_S8_S8_EEEEZNS1_11reduce_implILb1ES3_NS6_12zip_iteratorINS7_INS6_11hip_rocprim26transform_input_iterator_tIbNSD_35transform_pair_of_input_iterators_tIbNS6_6detail15normal_iteratorINS6_10device_ptrIKfEEEESL_NS6_8equal_toIfEEEENSG_9not_fun_tINSD_8identityEEEEENSD_19counting_iterator_tIlEES8_S8_S8_S8_S8_S8_S8_S8_EEEEPS9_S9_NSD_9__find_if7functorIS9_EEEE10hipError_tPvRmT1_T2_T3_mT4_P12ihipStream_tbEUlT_E1_NS1_11comp_targetILNS1_3genE9ELNS1_11target_archE1100ELNS1_3gpuE3ELNS1_3repE0EEENS1_30default_config_static_selectorELNS0_4arch9wavefront6targetE1EEEvS14_.has_indirect_call, 0
	.section	.AMDGPU.csdata,"",@progbits
; Kernel info:
; codeLenInByte = 0
; TotalNumSgprs: 4
; NumVgprs: 0
; ScratchSize: 0
; MemoryBound: 0
; FloatMode: 240
; IeeeMode: 1
; LDSByteSize: 0 bytes/workgroup (compile time only)
; SGPRBlocks: 0
; VGPRBlocks: 0
; NumSGPRsForWavesPerEU: 4
; NumVGPRsForWavesPerEU: 1
; Occupancy: 10
; WaveLimiterHint : 0
; COMPUTE_PGM_RSRC2:SCRATCH_EN: 0
; COMPUTE_PGM_RSRC2:USER_SGPR: 6
; COMPUTE_PGM_RSRC2:TRAP_HANDLER: 0
; COMPUTE_PGM_RSRC2:TGID_X_EN: 1
; COMPUTE_PGM_RSRC2:TGID_Y_EN: 0
; COMPUTE_PGM_RSRC2:TGID_Z_EN: 0
; COMPUTE_PGM_RSRC2:TIDIG_COMP_CNT: 0
	.section	.text._ZN7rocprim17ROCPRIM_400000_NS6detail17trampoline_kernelINS0_14default_configENS1_22reduce_config_selectorIN6thrust23THRUST_200600_302600_NS5tupleIblNS6_9null_typeES8_S8_S8_S8_S8_S8_S8_EEEEZNS1_11reduce_implILb1ES3_NS6_12zip_iteratorINS7_INS6_11hip_rocprim26transform_input_iterator_tIbNSD_35transform_pair_of_input_iterators_tIbNS6_6detail15normal_iteratorINS6_10device_ptrIKfEEEESL_NS6_8equal_toIfEEEENSG_9not_fun_tINSD_8identityEEEEENSD_19counting_iterator_tIlEES8_S8_S8_S8_S8_S8_S8_S8_EEEEPS9_S9_NSD_9__find_if7functorIS9_EEEE10hipError_tPvRmT1_T2_T3_mT4_P12ihipStream_tbEUlT_E1_NS1_11comp_targetILNS1_3genE8ELNS1_11target_archE1030ELNS1_3gpuE2ELNS1_3repE0EEENS1_30default_config_static_selectorELNS0_4arch9wavefront6targetE1EEEvS14_,"axG",@progbits,_ZN7rocprim17ROCPRIM_400000_NS6detail17trampoline_kernelINS0_14default_configENS1_22reduce_config_selectorIN6thrust23THRUST_200600_302600_NS5tupleIblNS6_9null_typeES8_S8_S8_S8_S8_S8_S8_EEEEZNS1_11reduce_implILb1ES3_NS6_12zip_iteratorINS7_INS6_11hip_rocprim26transform_input_iterator_tIbNSD_35transform_pair_of_input_iterators_tIbNS6_6detail15normal_iteratorINS6_10device_ptrIKfEEEESL_NS6_8equal_toIfEEEENSG_9not_fun_tINSD_8identityEEEEENSD_19counting_iterator_tIlEES8_S8_S8_S8_S8_S8_S8_S8_EEEEPS9_S9_NSD_9__find_if7functorIS9_EEEE10hipError_tPvRmT1_T2_T3_mT4_P12ihipStream_tbEUlT_E1_NS1_11comp_targetILNS1_3genE8ELNS1_11target_archE1030ELNS1_3gpuE2ELNS1_3repE0EEENS1_30default_config_static_selectorELNS0_4arch9wavefront6targetE1EEEvS14_,comdat
	.protected	_ZN7rocprim17ROCPRIM_400000_NS6detail17trampoline_kernelINS0_14default_configENS1_22reduce_config_selectorIN6thrust23THRUST_200600_302600_NS5tupleIblNS6_9null_typeES8_S8_S8_S8_S8_S8_S8_EEEEZNS1_11reduce_implILb1ES3_NS6_12zip_iteratorINS7_INS6_11hip_rocprim26transform_input_iterator_tIbNSD_35transform_pair_of_input_iterators_tIbNS6_6detail15normal_iteratorINS6_10device_ptrIKfEEEESL_NS6_8equal_toIfEEEENSG_9not_fun_tINSD_8identityEEEEENSD_19counting_iterator_tIlEES8_S8_S8_S8_S8_S8_S8_S8_EEEEPS9_S9_NSD_9__find_if7functorIS9_EEEE10hipError_tPvRmT1_T2_T3_mT4_P12ihipStream_tbEUlT_E1_NS1_11comp_targetILNS1_3genE8ELNS1_11target_archE1030ELNS1_3gpuE2ELNS1_3repE0EEENS1_30default_config_static_selectorELNS0_4arch9wavefront6targetE1EEEvS14_ ; -- Begin function _ZN7rocprim17ROCPRIM_400000_NS6detail17trampoline_kernelINS0_14default_configENS1_22reduce_config_selectorIN6thrust23THRUST_200600_302600_NS5tupleIblNS6_9null_typeES8_S8_S8_S8_S8_S8_S8_EEEEZNS1_11reduce_implILb1ES3_NS6_12zip_iteratorINS7_INS6_11hip_rocprim26transform_input_iterator_tIbNSD_35transform_pair_of_input_iterators_tIbNS6_6detail15normal_iteratorINS6_10device_ptrIKfEEEESL_NS6_8equal_toIfEEEENSG_9not_fun_tINSD_8identityEEEEENSD_19counting_iterator_tIlEES8_S8_S8_S8_S8_S8_S8_S8_EEEEPS9_S9_NSD_9__find_if7functorIS9_EEEE10hipError_tPvRmT1_T2_T3_mT4_P12ihipStream_tbEUlT_E1_NS1_11comp_targetILNS1_3genE8ELNS1_11target_archE1030ELNS1_3gpuE2ELNS1_3repE0EEENS1_30default_config_static_selectorELNS0_4arch9wavefront6targetE1EEEvS14_
	.globl	_ZN7rocprim17ROCPRIM_400000_NS6detail17trampoline_kernelINS0_14default_configENS1_22reduce_config_selectorIN6thrust23THRUST_200600_302600_NS5tupleIblNS6_9null_typeES8_S8_S8_S8_S8_S8_S8_EEEEZNS1_11reduce_implILb1ES3_NS6_12zip_iteratorINS7_INS6_11hip_rocprim26transform_input_iterator_tIbNSD_35transform_pair_of_input_iterators_tIbNS6_6detail15normal_iteratorINS6_10device_ptrIKfEEEESL_NS6_8equal_toIfEEEENSG_9not_fun_tINSD_8identityEEEEENSD_19counting_iterator_tIlEES8_S8_S8_S8_S8_S8_S8_S8_EEEEPS9_S9_NSD_9__find_if7functorIS9_EEEE10hipError_tPvRmT1_T2_T3_mT4_P12ihipStream_tbEUlT_E1_NS1_11comp_targetILNS1_3genE8ELNS1_11target_archE1030ELNS1_3gpuE2ELNS1_3repE0EEENS1_30default_config_static_selectorELNS0_4arch9wavefront6targetE1EEEvS14_
	.p2align	8
	.type	_ZN7rocprim17ROCPRIM_400000_NS6detail17trampoline_kernelINS0_14default_configENS1_22reduce_config_selectorIN6thrust23THRUST_200600_302600_NS5tupleIblNS6_9null_typeES8_S8_S8_S8_S8_S8_S8_EEEEZNS1_11reduce_implILb1ES3_NS6_12zip_iteratorINS7_INS6_11hip_rocprim26transform_input_iterator_tIbNSD_35transform_pair_of_input_iterators_tIbNS6_6detail15normal_iteratorINS6_10device_ptrIKfEEEESL_NS6_8equal_toIfEEEENSG_9not_fun_tINSD_8identityEEEEENSD_19counting_iterator_tIlEES8_S8_S8_S8_S8_S8_S8_S8_EEEEPS9_S9_NSD_9__find_if7functorIS9_EEEE10hipError_tPvRmT1_T2_T3_mT4_P12ihipStream_tbEUlT_E1_NS1_11comp_targetILNS1_3genE8ELNS1_11target_archE1030ELNS1_3gpuE2ELNS1_3repE0EEENS1_30default_config_static_selectorELNS0_4arch9wavefront6targetE1EEEvS14_,@function
_ZN7rocprim17ROCPRIM_400000_NS6detail17trampoline_kernelINS0_14default_configENS1_22reduce_config_selectorIN6thrust23THRUST_200600_302600_NS5tupleIblNS6_9null_typeES8_S8_S8_S8_S8_S8_S8_EEEEZNS1_11reduce_implILb1ES3_NS6_12zip_iteratorINS7_INS6_11hip_rocprim26transform_input_iterator_tIbNSD_35transform_pair_of_input_iterators_tIbNS6_6detail15normal_iteratorINS6_10device_ptrIKfEEEESL_NS6_8equal_toIfEEEENSG_9not_fun_tINSD_8identityEEEEENSD_19counting_iterator_tIlEES8_S8_S8_S8_S8_S8_S8_S8_EEEEPS9_S9_NSD_9__find_if7functorIS9_EEEE10hipError_tPvRmT1_T2_T3_mT4_P12ihipStream_tbEUlT_E1_NS1_11comp_targetILNS1_3genE8ELNS1_11target_archE1030ELNS1_3gpuE2ELNS1_3repE0EEENS1_30default_config_static_selectorELNS0_4arch9wavefront6targetE1EEEvS14_: ; @_ZN7rocprim17ROCPRIM_400000_NS6detail17trampoline_kernelINS0_14default_configENS1_22reduce_config_selectorIN6thrust23THRUST_200600_302600_NS5tupleIblNS6_9null_typeES8_S8_S8_S8_S8_S8_S8_EEEEZNS1_11reduce_implILb1ES3_NS6_12zip_iteratorINS7_INS6_11hip_rocprim26transform_input_iterator_tIbNSD_35transform_pair_of_input_iterators_tIbNS6_6detail15normal_iteratorINS6_10device_ptrIKfEEEESL_NS6_8equal_toIfEEEENSG_9not_fun_tINSD_8identityEEEEENSD_19counting_iterator_tIlEES8_S8_S8_S8_S8_S8_S8_S8_EEEEPS9_S9_NSD_9__find_if7functorIS9_EEEE10hipError_tPvRmT1_T2_T3_mT4_P12ihipStream_tbEUlT_E1_NS1_11comp_targetILNS1_3genE8ELNS1_11target_archE1030ELNS1_3gpuE2ELNS1_3repE0EEENS1_30default_config_static_selectorELNS0_4arch9wavefront6targetE1EEEvS14_
; %bb.0:
	.section	.rodata,"a",@progbits
	.p2align	6, 0x0
	.amdhsa_kernel _ZN7rocprim17ROCPRIM_400000_NS6detail17trampoline_kernelINS0_14default_configENS1_22reduce_config_selectorIN6thrust23THRUST_200600_302600_NS5tupleIblNS6_9null_typeES8_S8_S8_S8_S8_S8_S8_EEEEZNS1_11reduce_implILb1ES3_NS6_12zip_iteratorINS7_INS6_11hip_rocprim26transform_input_iterator_tIbNSD_35transform_pair_of_input_iterators_tIbNS6_6detail15normal_iteratorINS6_10device_ptrIKfEEEESL_NS6_8equal_toIfEEEENSG_9not_fun_tINSD_8identityEEEEENSD_19counting_iterator_tIlEES8_S8_S8_S8_S8_S8_S8_S8_EEEEPS9_S9_NSD_9__find_if7functorIS9_EEEE10hipError_tPvRmT1_T2_T3_mT4_P12ihipStream_tbEUlT_E1_NS1_11comp_targetILNS1_3genE8ELNS1_11target_archE1030ELNS1_3gpuE2ELNS1_3repE0EEENS1_30default_config_static_selectorELNS0_4arch9wavefront6targetE1EEEvS14_
		.amdhsa_group_segment_fixed_size 0
		.amdhsa_private_segment_fixed_size 0
		.amdhsa_kernarg_size 88
		.amdhsa_user_sgpr_count 6
		.amdhsa_user_sgpr_private_segment_buffer 1
		.amdhsa_user_sgpr_dispatch_ptr 0
		.amdhsa_user_sgpr_queue_ptr 0
		.amdhsa_user_sgpr_kernarg_segment_ptr 1
		.amdhsa_user_sgpr_dispatch_id 0
		.amdhsa_user_sgpr_flat_scratch_init 0
		.amdhsa_user_sgpr_private_segment_size 0
		.amdhsa_uses_dynamic_stack 0
		.amdhsa_system_sgpr_private_segment_wavefront_offset 0
		.amdhsa_system_sgpr_workgroup_id_x 1
		.amdhsa_system_sgpr_workgroup_id_y 0
		.amdhsa_system_sgpr_workgroup_id_z 0
		.amdhsa_system_sgpr_workgroup_info 0
		.amdhsa_system_vgpr_workitem_id 0
		.amdhsa_next_free_vgpr 1
		.amdhsa_next_free_sgpr 0
		.amdhsa_reserve_vcc 0
		.amdhsa_reserve_flat_scratch 0
		.amdhsa_float_round_mode_32 0
		.amdhsa_float_round_mode_16_64 0
		.amdhsa_float_denorm_mode_32 3
		.amdhsa_float_denorm_mode_16_64 3
		.amdhsa_dx10_clamp 1
		.amdhsa_ieee_mode 1
		.amdhsa_fp16_overflow 0
		.amdhsa_exception_fp_ieee_invalid_op 0
		.amdhsa_exception_fp_denorm_src 0
		.amdhsa_exception_fp_ieee_div_zero 0
		.amdhsa_exception_fp_ieee_overflow 0
		.amdhsa_exception_fp_ieee_underflow 0
		.amdhsa_exception_fp_ieee_inexact 0
		.amdhsa_exception_int_div_zero 0
	.end_amdhsa_kernel
	.section	.text._ZN7rocprim17ROCPRIM_400000_NS6detail17trampoline_kernelINS0_14default_configENS1_22reduce_config_selectorIN6thrust23THRUST_200600_302600_NS5tupleIblNS6_9null_typeES8_S8_S8_S8_S8_S8_S8_EEEEZNS1_11reduce_implILb1ES3_NS6_12zip_iteratorINS7_INS6_11hip_rocprim26transform_input_iterator_tIbNSD_35transform_pair_of_input_iterators_tIbNS6_6detail15normal_iteratorINS6_10device_ptrIKfEEEESL_NS6_8equal_toIfEEEENSG_9not_fun_tINSD_8identityEEEEENSD_19counting_iterator_tIlEES8_S8_S8_S8_S8_S8_S8_S8_EEEEPS9_S9_NSD_9__find_if7functorIS9_EEEE10hipError_tPvRmT1_T2_T3_mT4_P12ihipStream_tbEUlT_E1_NS1_11comp_targetILNS1_3genE8ELNS1_11target_archE1030ELNS1_3gpuE2ELNS1_3repE0EEENS1_30default_config_static_selectorELNS0_4arch9wavefront6targetE1EEEvS14_,"axG",@progbits,_ZN7rocprim17ROCPRIM_400000_NS6detail17trampoline_kernelINS0_14default_configENS1_22reduce_config_selectorIN6thrust23THRUST_200600_302600_NS5tupleIblNS6_9null_typeES8_S8_S8_S8_S8_S8_S8_EEEEZNS1_11reduce_implILb1ES3_NS6_12zip_iteratorINS7_INS6_11hip_rocprim26transform_input_iterator_tIbNSD_35transform_pair_of_input_iterators_tIbNS6_6detail15normal_iteratorINS6_10device_ptrIKfEEEESL_NS6_8equal_toIfEEEENSG_9not_fun_tINSD_8identityEEEEENSD_19counting_iterator_tIlEES8_S8_S8_S8_S8_S8_S8_S8_EEEEPS9_S9_NSD_9__find_if7functorIS9_EEEE10hipError_tPvRmT1_T2_T3_mT4_P12ihipStream_tbEUlT_E1_NS1_11comp_targetILNS1_3genE8ELNS1_11target_archE1030ELNS1_3gpuE2ELNS1_3repE0EEENS1_30default_config_static_selectorELNS0_4arch9wavefront6targetE1EEEvS14_,comdat
.Lfunc_end464:
	.size	_ZN7rocprim17ROCPRIM_400000_NS6detail17trampoline_kernelINS0_14default_configENS1_22reduce_config_selectorIN6thrust23THRUST_200600_302600_NS5tupleIblNS6_9null_typeES8_S8_S8_S8_S8_S8_S8_EEEEZNS1_11reduce_implILb1ES3_NS6_12zip_iteratorINS7_INS6_11hip_rocprim26transform_input_iterator_tIbNSD_35transform_pair_of_input_iterators_tIbNS6_6detail15normal_iteratorINS6_10device_ptrIKfEEEESL_NS6_8equal_toIfEEEENSG_9not_fun_tINSD_8identityEEEEENSD_19counting_iterator_tIlEES8_S8_S8_S8_S8_S8_S8_S8_EEEEPS9_S9_NSD_9__find_if7functorIS9_EEEE10hipError_tPvRmT1_T2_T3_mT4_P12ihipStream_tbEUlT_E1_NS1_11comp_targetILNS1_3genE8ELNS1_11target_archE1030ELNS1_3gpuE2ELNS1_3repE0EEENS1_30default_config_static_selectorELNS0_4arch9wavefront6targetE1EEEvS14_, .Lfunc_end464-_ZN7rocprim17ROCPRIM_400000_NS6detail17trampoline_kernelINS0_14default_configENS1_22reduce_config_selectorIN6thrust23THRUST_200600_302600_NS5tupleIblNS6_9null_typeES8_S8_S8_S8_S8_S8_S8_EEEEZNS1_11reduce_implILb1ES3_NS6_12zip_iteratorINS7_INS6_11hip_rocprim26transform_input_iterator_tIbNSD_35transform_pair_of_input_iterators_tIbNS6_6detail15normal_iteratorINS6_10device_ptrIKfEEEESL_NS6_8equal_toIfEEEENSG_9not_fun_tINSD_8identityEEEEENSD_19counting_iterator_tIlEES8_S8_S8_S8_S8_S8_S8_S8_EEEEPS9_S9_NSD_9__find_if7functorIS9_EEEE10hipError_tPvRmT1_T2_T3_mT4_P12ihipStream_tbEUlT_E1_NS1_11comp_targetILNS1_3genE8ELNS1_11target_archE1030ELNS1_3gpuE2ELNS1_3repE0EEENS1_30default_config_static_selectorELNS0_4arch9wavefront6targetE1EEEvS14_
                                        ; -- End function
	.set _ZN7rocprim17ROCPRIM_400000_NS6detail17trampoline_kernelINS0_14default_configENS1_22reduce_config_selectorIN6thrust23THRUST_200600_302600_NS5tupleIblNS6_9null_typeES8_S8_S8_S8_S8_S8_S8_EEEEZNS1_11reduce_implILb1ES3_NS6_12zip_iteratorINS7_INS6_11hip_rocprim26transform_input_iterator_tIbNSD_35transform_pair_of_input_iterators_tIbNS6_6detail15normal_iteratorINS6_10device_ptrIKfEEEESL_NS6_8equal_toIfEEEENSG_9not_fun_tINSD_8identityEEEEENSD_19counting_iterator_tIlEES8_S8_S8_S8_S8_S8_S8_S8_EEEEPS9_S9_NSD_9__find_if7functorIS9_EEEE10hipError_tPvRmT1_T2_T3_mT4_P12ihipStream_tbEUlT_E1_NS1_11comp_targetILNS1_3genE8ELNS1_11target_archE1030ELNS1_3gpuE2ELNS1_3repE0EEENS1_30default_config_static_selectorELNS0_4arch9wavefront6targetE1EEEvS14_.num_vgpr, 0
	.set _ZN7rocprim17ROCPRIM_400000_NS6detail17trampoline_kernelINS0_14default_configENS1_22reduce_config_selectorIN6thrust23THRUST_200600_302600_NS5tupleIblNS6_9null_typeES8_S8_S8_S8_S8_S8_S8_EEEEZNS1_11reduce_implILb1ES3_NS6_12zip_iteratorINS7_INS6_11hip_rocprim26transform_input_iterator_tIbNSD_35transform_pair_of_input_iterators_tIbNS6_6detail15normal_iteratorINS6_10device_ptrIKfEEEESL_NS6_8equal_toIfEEEENSG_9not_fun_tINSD_8identityEEEEENSD_19counting_iterator_tIlEES8_S8_S8_S8_S8_S8_S8_S8_EEEEPS9_S9_NSD_9__find_if7functorIS9_EEEE10hipError_tPvRmT1_T2_T3_mT4_P12ihipStream_tbEUlT_E1_NS1_11comp_targetILNS1_3genE8ELNS1_11target_archE1030ELNS1_3gpuE2ELNS1_3repE0EEENS1_30default_config_static_selectorELNS0_4arch9wavefront6targetE1EEEvS14_.num_agpr, 0
	.set _ZN7rocprim17ROCPRIM_400000_NS6detail17trampoline_kernelINS0_14default_configENS1_22reduce_config_selectorIN6thrust23THRUST_200600_302600_NS5tupleIblNS6_9null_typeES8_S8_S8_S8_S8_S8_S8_EEEEZNS1_11reduce_implILb1ES3_NS6_12zip_iteratorINS7_INS6_11hip_rocprim26transform_input_iterator_tIbNSD_35transform_pair_of_input_iterators_tIbNS6_6detail15normal_iteratorINS6_10device_ptrIKfEEEESL_NS6_8equal_toIfEEEENSG_9not_fun_tINSD_8identityEEEEENSD_19counting_iterator_tIlEES8_S8_S8_S8_S8_S8_S8_S8_EEEEPS9_S9_NSD_9__find_if7functorIS9_EEEE10hipError_tPvRmT1_T2_T3_mT4_P12ihipStream_tbEUlT_E1_NS1_11comp_targetILNS1_3genE8ELNS1_11target_archE1030ELNS1_3gpuE2ELNS1_3repE0EEENS1_30default_config_static_selectorELNS0_4arch9wavefront6targetE1EEEvS14_.numbered_sgpr, 0
	.set _ZN7rocprim17ROCPRIM_400000_NS6detail17trampoline_kernelINS0_14default_configENS1_22reduce_config_selectorIN6thrust23THRUST_200600_302600_NS5tupleIblNS6_9null_typeES8_S8_S8_S8_S8_S8_S8_EEEEZNS1_11reduce_implILb1ES3_NS6_12zip_iteratorINS7_INS6_11hip_rocprim26transform_input_iterator_tIbNSD_35transform_pair_of_input_iterators_tIbNS6_6detail15normal_iteratorINS6_10device_ptrIKfEEEESL_NS6_8equal_toIfEEEENSG_9not_fun_tINSD_8identityEEEEENSD_19counting_iterator_tIlEES8_S8_S8_S8_S8_S8_S8_S8_EEEEPS9_S9_NSD_9__find_if7functorIS9_EEEE10hipError_tPvRmT1_T2_T3_mT4_P12ihipStream_tbEUlT_E1_NS1_11comp_targetILNS1_3genE8ELNS1_11target_archE1030ELNS1_3gpuE2ELNS1_3repE0EEENS1_30default_config_static_selectorELNS0_4arch9wavefront6targetE1EEEvS14_.num_named_barrier, 0
	.set _ZN7rocprim17ROCPRIM_400000_NS6detail17trampoline_kernelINS0_14default_configENS1_22reduce_config_selectorIN6thrust23THRUST_200600_302600_NS5tupleIblNS6_9null_typeES8_S8_S8_S8_S8_S8_S8_EEEEZNS1_11reduce_implILb1ES3_NS6_12zip_iteratorINS7_INS6_11hip_rocprim26transform_input_iterator_tIbNSD_35transform_pair_of_input_iterators_tIbNS6_6detail15normal_iteratorINS6_10device_ptrIKfEEEESL_NS6_8equal_toIfEEEENSG_9not_fun_tINSD_8identityEEEEENSD_19counting_iterator_tIlEES8_S8_S8_S8_S8_S8_S8_S8_EEEEPS9_S9_NSD_9__find_if7functorIS9_EEEE10hipError_tPvRmT1_T2_T3_mT4_P12ihipStream_tbEUlT_E1_NS1_11comp_targetILNS1_3genE8ELNS1_11target_archE1030ELNS1_3gpuE2ELNS1_3repE0EEENS1_30default_config_static_selectorELNS0_4arch9wavefront6targetE1EEEvS14_.private_seg_size, 0
	.set _ZN7rocprim17ROCPRIM_400000_NS6detail17trampoline_kernelINS0_14default_configENS1_22reduce_config_selectorIN6thrust23THRUST_200600_302600_NS5tupleIblNS6_9null_typeES8_S8_S8_S8_S8_S8_S8_EEEEZNS1_11reduce_implILb1ES3_NS6_12zip_iteratorINS7_INS6_11hip_rocprim26transform_input_iterator_tIbNSD_35transform_pair_of_input_iterators_tIbNS6_6detail15normal_iteratorINS6_10device_ptrIKfEEEESL_NS6_8equal_toIfEEEENSG_9not_fun_tINSD_8identityEEEEENSD_19counting_iterator_tIlEES8_S8_S8_S8_S8_S8_S8_S8_EEEEPS9_S9_NSD_9__find_if7functorIS9_EEEE10hipError_tPvRmT1_T2_T3_mT4_P12ihipStream_tbEUlT_E1_NS1_11comp_targetILNS1_3genE8ELNS1_11target_archE1030ELNS1_3gpuE2ELNS1_3repE0EEENS1_30default_config_static_selectorELNS0_4arch9wavefront6targetE1EEEvS14_.uses_vcc, 0
	.set _ZN7rocprim17ROCPRIM_400000_NS6detail17trampoline_kernelINS0_14default_configENS1_22reduce_config_selectorIN6thrust23THRUST_200600_302600_NS5tupleIblNS6_9null_typeES8_S8_S8_S8_S8_S8_S8_EEEEZNS1_11reduce_implILb1ES3_NS6_12zip_iteratorINS7_INS6_11hip_rocprim26transform_input_iterator_tIbNSD_35transform_pair_of_input_iterators_tIbNS6_6detail15normal_iteratorINS6_10device_ptrIKfEEEESL_NS6_8equal_toIfEEEENSG_9not_fun_tINSD_8identityEEEEENSD_19counting_iterator_tIlEES8_S8_S8_S8_S8_S8_S8_S8_EEEEPS9_S9_NSD_9__find_if7functorIS9_EEEE10hipError_tPvRmT1_T2_T3_mT4_P12ihipStream_tbEUlT_E1_NS1_11comp_targetILNS1_3genE8ELNS1_11target_archE1030ELNS1_3gpuE2ELNS1_3repE0EEENS1_30default_config_static_selectorELNS0_4arch9wavefront6targetE1EEEvS14_.uses_flat_scratch, 0
	.set _ZN7rocprim17ROCPRIM_400000_NS6detail17trampoline_kernelINS0_14default_configENS1_22reduce_config_selectorIN6thrust23THRUST_200600_302600_NS5tupleIblNS6_9null_typeES8_S8_S8_S8_S8_S8_S8_EEEEZNS1_11reduce_implILb1ES3_NS6_12zip_iteratorINS7_INS6_11hip_rocprim26transform_input_iterator_tIbNSD_35transform_pair_of_input_iterators_tIbNS6_6detail15normal_iteratorINS6_10device_ptrIKfEEEESL_NS6_8equal_toIfEEEENSG_9not_fun_tINSD_8identityEEEEENSD_19counting_iterator_tIlEES8_S8_S8_S8_S8_S8_S8_S8_EEEEPS9_S9_NSD_9__find_if7functorIS9_EEEE10hipError_tPvRmT1_T2_T3_mT4_P12ihipStream_tbEUlT_E1_NS1_11comp_targetILNS1_3genE8ELNS1_11target_archE1030ELNS1_3gpuE2ELNS1_3repE0EEENS1_30default_config_static_selectorELNS0_4arch9wavefront6targetE1EEEvS14_.has_dyn_sized_stack, 0
	.set _ZN7rocprim17ROCPRIM_400000_NS6detail17trampoline_kernelINS0_14default_configENS1_22reduce_config_selectorIN6thrust23THRUST_200600_302600_NS5tupleIblNS6_9null_typeES8_S8_S8_S8_S8_S8_S8_EEEEZNS1_11reduce_implILb1ES3_NS6_12zip_iteratorINS7_INS6_11hip_rocprim26transform_input_iterator_tIbNSD_35transform_pair_of_input_iterators_tIbNS6_6detail15normal_iteratorINS6_10device_ptrIKfEEEESL_NS6_8equal_toIfEEEENSG_9not_fun_tINSD_8identityEEEEENSD_19counting_iterator_tIlEES8_S8_S8_S8_S8_S8_S8_S8_EEEEPS9_S9_NSD_9__find_if7functorIS9_EEEE10hipError_tPvRmT1_T2_T3_mT4_P12ihipStream_tbEUlT_E1_NS1_11comp_targetILNS1_3genE8ELNS1_11target_archE1030ELNS1_3gpuE2ELNS1_3repE0EEENS1_30default_config_static_selectorELNS0_4arch9wavefront6targetE1EEEvS14_.has_recursion, 0
	.set _ZN7rocprim17ROCPRIM_400000_NS6detail17trampoline_kernelINS0_14default_configENS1_22reduce_config_selectorIN6thrust23THRUST_200600_302600_NS5tupleIblNS6_9null_typeES8_S8_S8_S8_S8_S8_S8_EEEEZNS1_11reduce_implILb1ES3_NS6_12zip_iteratorINS7_INS6_11hip_rocprim26transform_input_iterator_tIbNSD_35transform_pair_of_input_iterators_tIbNS6_6detail15normal_iteratorINS6_10device_ptrIKfEEEESL_NS6_8equal_toIfEEEENSG_9not_fun_tINSD_8identityEEEEENSD_19counting_iterator_tIlEES8_S8_S8_S8_S8_S8_S8_S8_EEEEPS9_S9_NSD_9__find_if7functorIS9_EEEE10hipError_tPvRmT1_T2_T3_mT4_P12ihipStream_tbEUlT_E1_NS1_11comp_targetILNS1_3genE8ELNS1_11target_archE1030ELNS1_3gpuE2ELNS1_3repE0EEENS1_30default_config_static_selectorELNS0_4arch9wavefront6targetE1EEEvS14_.has_indirect_call, 0
	.section	.AMDGPU.csdata,"",@progbits
; Kernel info:
; codeLenInByte = 0
; TotalNumSgprs: 4
; NumVgprs: 0
; ScratchSize: 0
; MemoryBound: 0
; FloatMode: 240
; IeeeMode: 1
; LDSByteSize: 0 bytes/workgroup (compile time only)
; SGPRBlocks: 0
; VGPRBlocks: 0
; NumSGPRsForWavesPerEU: 4
; NumVGPRsForWavesPerEU: 1
; Occupancy: 10
; WaveLimiterHint : 0
; COMPUTE_PGM_RSRC2:SCRATCH_EN: 0
; COMPUTE_PGM_RSRC2:USER_SGPR: 6
; COMPUTE_PGM_RSRC2:TRAP_HANDLER: 0
; COMPUTE_PGM_RSRC2:TGID_X_EN: 1
; COMPUTE_PGM_RSRC2:TGID_Y_EN: 0
; COMPUTE_PGM_RSRC2:TGID_Z_EN: 0
; COMPUTE_PGM_RSRC2:TIDIG_COMP_CNT: 0
	.section	.text._ZN7rocprim17ROCPRIM_400000_NS6detail17trampoline_kernelINS0_14default_configENS1_22reduce_config_selectorIN6thrust23THRUST_200600_302600_NS5tupleIblNS6_9null_typeES8_S8_S8_S8_S8_S8_S8_EEEEZNS1_11reduce_implILb1ES3_NS6_12zip_iteratorINS7_INS6_11hip_rocprim26transform_input_iterator_tIbNSD_35transform_pair_of_input_iterators_tIbNS6_6detail15normal_iteratorINS6_10device_ptrIKyEEEESL_NS6_8equal_toIyEEEENSG_9not_fun_tINSD_8identityEEEEENSD_19counting_iterator_tIlEES8_S8_S8_S8_S8_S8_S8_S8_EEEEPS9_S9_NSD_9__find_if7functorIS9_EEEE10hipError_tPvRmT1_T2_T3_mT4_P12ihipStream_tbEUlT_E0_NS1_11comp_targetILNS1_3genE0ELNS1_11target_archE4294967295ELNS1_3gpuE0ELNS1_3repE0EEENS1_30default_config_static_selectorELNS0_4arch9wavefront6targetE1EEEvS14_,"axG",@progbits,_ZN7rocprim17ROCPRIM_400000_NS6detail17trampoline_kernelINS0_14default_configENS1_22reduce_config_selectorIN6thrust23THRUST_200600_302600_NS5tupleIblNS6_9null_typeES8_S8_S8_S8_S8_S8_S8_EEEEZNS1_11reduce_implILb1ES3_NS6_12zip_iteratorINS7_INS6_11hip_rocprim26transform_input_iterator_tIbNSD_35transform_pair_of_input_iterators_tIbNS6_6detail15normal_iteratorINS6_10device_ptrIKyEEEESL_NS6_8equal_toIyEEEENSG_9not_fun_tINSD_8identityEEEEENSD_19counting_iterator_tIlEES8_S8_S8_S8_S8_S8_S8_S8_EEEEPS9_S9_NSD_9__find_if7functorIS9_EEEE10hipError_tPvRmT1_T2_T3_mT4_P12ihipStream_tbEUlT_E0_NS1_11comp_targetILNS1_3genE0ELNS1_11target_archE4294967295ELNS1_3gpuE0ELNS1_3repE0EEENS1_30default_config_static_selectorELNS0_4arch9wavefront6targetE1EEEvS14_,comdat
	.protected	_ZN7rocprim17ROCPRIM_400000_NS6detail17trampoline_kernelINS0_14default_configENS1_22reduce_config_selectorIN6thrust23THRUST_200600_302600_NS5tupleIblNS6_9null_typeES8_S8_S8_S8_S8_S8_S8_EEEEZNS1_11reduce_implILb1ES3_NS6_12zip_iteratorINS7_INS6_11hip_rocprim26transform_input_iterator_tIbNSD_35transform_pair_of_input_iterators_tIbNS6_6detail15normal_iteratorINS6_10device_ptrIKyEEEESL_NS6_8equal_toIyEEEENSG_9not_fun_tINSD_8identityEEEEENSD_19counting_iterator_tIlEES8_S8_S8_S8_S8_S8_S8_S8_EEEEPS9_S9_NSD_9__find_if7functorIS9_EEEE10hipError_tPvRmT1_T2_T3_mT4_P12ihipStream_tbEUlT_E0_NS1_11comp_targetILNS1_3genE0ELNS1_11target_archE4294967295ELNS1_3gpuE0ELNS1_3repE0EEENS1_30default_config_static_selectorELNS0_4arch9wavefront6targetE1EEEvS14_ ; -- Begin function _ZN7rocprim17ROCPRIM_400000_NS6detail17trampoline_kernelINS0_14default_configENS1_22reduce_config_selectorIN6thrust23THRUST_200600_302600_NS5tupleIblNS6_9null_typeES8_S8_S8_S8_S8_S8_S8_EEEEZNS1_11reduce_implILb1ES3_NS6_12zip_iteratorINS7_INS6_11hip_rocprim26transform_input_iterator_tIbNSD_35transform_pair_of_input_iterators_tIbNS6_6detail15normal_iteratorINS6_10device_ptrIKyEEEESL_NS6_8equal_toIyEEEENSG_9not_fun_tINSD_8identityEEEEENSD_19counting_iterator_tIlEES8_S8_S8_S8_S8_S8_S8_S8_EEEEPS9_S9_NSD_9__find_if7functorIS9_EEEE10hipError_tPvRmT1_T2_T3_mT4_P12ihipStream_tbEUlT_E0_NS1_11comp_targetILNS1_3genE0ELNS1_11target_archE4294967295ELNS1_3gpuE0ELNS1_3repE0EEENS1_30default_config_static_selectorELNS0_4arch9wavefront6targetE1EEEvS14_
	.globl	_ZN7rocprim17ROCPRIM_400000_NS6detail17trampoline_kernelINS0_14default_configENS1_22reduce_config_selectorIN6thrust23THRUST_200600_302600_NS5tupleIblNS6_9null_typeES8_S8_S8_S8_S8_S8_S8_EEEEZNS1_11reduce_implILb1ES3_NS6_12zip_iteratorINS7_INS6_11hip_rocprim26transform_input_iterator_tIbNSD_35transform_pair_of_input_iterators_tIbNS6_6detail15normal_iteratorINS6_10device_ptrIKyEEEESL_NS6_8equal_toIyEEEENSG_9not_fun_tINSD_8identityEEEEENSD_19counting_iterator_tIlEES8_S8_S8_S8_S8_S8_S8_S8_EEEEPS9_S9_NSD_9__find_if7functorIS9_EEEE10hipError_tPvRmT1_T2_T3_mT4_P12ihipStream_tbEUlT_E0_NS1_11comp_targetILNS1_3genE0ELNS1_11target_archE4294967295ELNS1_3gpuE0ELNS1_3repE0EEENS1_30default_config_static_selectorELNS0_4arch9wavefront6targetE1EEEvS14_
	.p2align	8
	.type	_ZN7rocprim17ROCPRIM_400000_NS6detail17trampoline_kernelINS0_14default_configENS1_22reduce_config_selectorIN6thrust23THRUST_200600_302600_NS5tupleIblNS6_9null_typeES8_S8_S8_S8_S8_S8_S8_EEEEZNS1_11reduce_implILb1ES3_NS6_12zip_iteratorINS7_INS6_11hip_rocprim26transform_input_iterator_tIbNSD_35transform_pair_of_input_iterators_tIbNS6_6detail15normal_iteratorINS6_10device_ptrIKyEEEESL_NS6_8equal_toIyEEEENSG_9not_fun_tINSD_8identityEEEEENSD_19counting_iterator_tIlEES8_S8_S8_S8_S8_S8_S8_S8_EEEEPS9_S9_NSD_9__find_if7functorIS9_EEEE10hipError_tPvRmT1_T2_T3_mT4_P12ihipStream_tbEUlT_E0_NS1_11comp_targetILNS1_3genE0ELNS1_11target_archE4294967295ELNS1_3gpuE0ELNS1_3repE0EEENS1_30default_config_static_selectorELNS0_4arch9wavefront6targetE1EEEvS14_,@function
_ZN7rocprim17ROCPRIM_400000_NS6detail17trampoline_kernelINS0_14default_configENS1_22reduce_config_selectorIN6thrust23THRUST_200600_302600_NS5tupleIblNS6_9null_typeES8_S8_S8_S8_S8_S8_S8_EEEEZNS1_11reduce_implILb1ES3_NS6_12zip_iteratorINS7_INS6_11hip_rocprim26transform_input_iterator_tIbNSD_35transform_pair_of_input_iterators_tIbNS6_6detail15normal_iteratorINS6_10device_ptrIKyEEEESL_NS6_8equal_toIyEEEENSG_9not_fun_tINSD_8identityEEEEENSD_19counting_iterator_tIlEES8_S8_S8_S8_S8_S8_S8_S8_EEEEPS9_S9_NSD_9__find_if7functorIS9_EEEE10hipError_tPvRmT1_T2_T3_mT4_P12ihipStream_tbEUlT_E0_NS1_11comp_targetILNS1_3genE0ELNS1_11target_archE4294967295ELNS1_3gpuE0ELNS1_3repE0EEENS1_30default_config_static_selectorELNS0_4arch9wavefront6targetE1EEEvS14_: ; @_ZN7rocprim17ROCPRIM_400000_NS6detail17trampoline_kernelINS0_14default_configENS1_22reduce_config_selectorIN6thrust23THRUST_200600_302600_NS5tupleIblNS6_9null_typeES8_S8_S8_S8_S8_S8_S8_EEEEZNS1_11reduce_implILb1ES3_NS6_12zip_iteratorINS7_INS6_11hip_rocprim26transform_input_iterator_tIbNSD_35transform_pair_of_input_iterators_tIbNS6_6detail15normal_iteratorINS6_10device_ptrIKyEEEESL_NS6_8equal_toIyEEEENSG_9not_fun_tINSD_8identityEEEEENSD_19counting_iterator_tIlEES8_S8_S8_S8_S8_S8_S8_S8_EEEEPS9_S9_NSD_9__find_if7functorIS9_EEEE10hipError_tPvRmT1_T2_T3_mT4_P12ihipStream_tbEUlT_E0_NS1_11comp_targetILNS1_3genE0ELNS1_11target_archE4294967295ELNS1_3gpuE0ELNS1_3repE0EEENS1_30default_config_static_selectorELNS0_4arch9wavefront6targetE1EEEvS14_
; %bb.0:
	.section	.rodata,"a",@progbits
	.p2align	6, 0x0
	.amdhsa_kernel _ZN7rocprim17ROCPRIM_400000_NS6detail17trampoline_kernelINS0_14default_configENS1_22reduce_config_selectorIN6thrust23THRUST_200600_302600_NS5tupleIblNS6_9null_typeES8_S8_S8_S8_S8_S8_S8_EEEEZNS1_11reduce_implILb1ES3_NS6_12zip_iteratorINS7_INS6_11hip_rocprim26transform_input_iterator_tIbNSD_35transform_pair_of_input_iterators_tIbNS6_6detail15normal_iteratorINS6_10device_ptrIKyEEEESL_NS6_8equal_toIyEEEENSG_9not_fun_tINSD_8identityEEEEENSD_19counting_iterator_tIlEES8_S8_S8_S8_S8_S8_S8_S8_EEEEPS9_S9_NSD_9__find_if7functorIS9_EEEE10hipError_tPvRmT1_T2_T3_mT4_P12ihipStream_tbEUlT_E0_NS1_11comp_targetILNS1_3genE0ELNS1_11target_archE4294967295ELNS1_3gpuE0ELNS1_3repE0EEENS1_30default_config_static_selectorELNS0_4arch9wavefront6targetE1EEEvS14_
		.amdhsa_group_segment_fixed_size 0
		.amdhsa_private_segment_fixed_size 0
		.amdhsa_kernarg_size 104
		.amdhsa_user_sgpr_count 6
		.amdhsa_user_sgpr_private_segment_buffer 1
		.amdhsa_user_sgpr_dispatch_ptr 0
		.amdhsa_user_sgpr_queue_ptr 0
		.amdhsa_user_sgpr_kernarg_segment_ptr 1
		.amdhsa_user_sgpr_dispatch_id 0
		.amdhsa_user_sgpr_flat_scratch_init 0
		.amdhsa_user_sgpr_private_segment_size 0
		.amdhsa_uses_dynamic_stack 0
		.amdhsa_system_sgpr_private_segment_wavefront_offset 0
		.amdhsa_system_sgpr_workgroup_id_x 1
		.amdhsa_system_sgpr_workgroup_id_y 0
		.amdhsa_system_sgpr_workgroup_id_z 0
		.amdhsa_system_sgpr_workgroup_info 0
		.amdhsa_system_vgpr_workitem_id 0
		.amdhsa_next_free_vgpr 1
		.amdhsa_next_free_sgpr 0
		.amdhsa_reserve_vcc 0
		.amdhsa_reserve_flat_scratch 0
		.amdhsa_float_round_mode_32 0
		.amdhsa_float_round_mode_16_64 0
		.amdhsa_float_denorm_mode_32 3
		.amdhsa_float_denorm_mode_16_64 3
		.amdhsa_dx10_clamp 1
		.amdhsa_ieee_mode 1
		.amdhsa_fp16_overflow 0
		.amdhsa_exception_fp_ieee_invalid_op 0
		.amdhsa_exception_fp_denorm_src 0
		.amdhsa_exception_fp_ieee_div_zero 0
		.amdhsa_exception_fp_ieee_overflow 0
		.amdhsa_exception_fp_ieee_underflow 0
		.amdhsa_exception_fp_ieee_inexact 0
		.amdhsa_exception_int_div_zero 0
	.end_amdhsa_kernel
	.section	.text._ZN7rocprim17ROCPRIM_400000_NS6detail17trampoline_kernelINS0_14default_configENS1_22reduce_config_selectorIN6thrust23THRUST_200600_302600_NS5tupleIblNS6_9null_typeES8_S8_S8_S8_S8_S8_S8_EEEEZNS1_11reduce_implILb1ES3_NS6_12zip_iteratorINS7_INS6_11hip_rocprim26transform_input_iterator_tIbNSD_35transform_pair_of_input_iterators_tIbNS6_6detail15normal_iteratorINS6_10device_ptrIKyEEEESL_NS6_8equal_toIyEEEENSG_9not_fun_tINSD_8identityEEEEENSD_19counting_iterator_tIlEES8_S8_S8_S8_S8_S8_S8_S8_EEEEPS9_S9_NSD_9__find_if7functorIS9_EEEE10hipError_tPvRmT1_T2_T3_mT4_P12ihipStream_tbEUlT_E0_NS1_11comp_targetILNS1_3genE0ELNS1_11target_archE4294967295ELNS1_3gpuE0ELNS1_3repE0EEENS1_30default_config_static_selectorELNS0_4arch9wavefront6targetE1EEEvS14_,"axG",@progbits,_ZN7rocprim17ROCPRIM_400000_NS6detail17trampoline_kernelINS0_14default_configENS1_22reduce_config_selectorIN6thrust23THRUST_200600_302600_NS5tupleIblNS6_9null_typeES8_S8_S8_S8_S8_S8_S8_EEEEZNS1_11reduce_implILb1ES3_NS6_12zip_iteratorINS7_INS6_11hip_rocprim26transform_input_iterator_tIbNSD_35transform_pair_of_input_iterators_tIbNS6_6detail15normal_iteratorINS6_10device_ptrIKyEEEESL_NS6_8equal_toIyEEEENSG_9not_fun_tINSD_8identityEEEEENSD_19counting_iterator_tIlEES8_S8_S8_S8_S8_S8_S8_S8_EEEEPS9_S9_NSD_9__find_if7functorIS9_EEEE10hipError_tPvRmT1_T2_T3_mT4_P12ihipStream_tbEUlT_E0_NS1_11comp_targetILNS1_3genE0ELNS1_11target_archE4294967295ELNS1_3gpuE0ELNS1_3repE0EEENS1_30default_config_static_selectorELNS0_4arch9wavefront6targetE1EEEvS14_,comdat
.Lfunc_end465:
	.size	_ZN7rocprim17ROCPRIM_400000_NS6detail17trampoline_kernelINS0_14default_configENS1_22reduce_config_selectorIN6thrust23THRUST_200600_302600_NS5tupleIblNS6_9null_typeES8_S8_S8_S8_S8_S8_S8_EEEEZNS1_11reduce_implILb1ES3_NS6_12zip_iteratorINS7_INS6_11hip_rocprim26transform_input_iterator_tIbNSD_35transform_pair_of_input_iterators_tIbNS6_6detail15normal_iteratorINS6_10device_ptrIKyEEEESL_NS6_8equal_toIyEEEENSG_9not_fun_tINSD_8identityEEEEENSD_19counting_iterator_tIlEES8_S8_S8_S8_S8_S8_S8_S8_EEEEPS9_S9_NSD_9__find_if7functorIS9_EEEE10hipError_tPvRmT1_T2_T3_mT4_P12ihipStream_tbEUlT_E0_NS1_11comp_targetILNS1_3genE0ELNS1_11target_archE4294967295ELNS1_3gpuE0ELNS1_3repE0EEENS1_30default_config_static_selectorELNS0_4arch9wavefront6targetE1EEEvS14_, .Lfunc_end465-_ZN7rocprim17ROCPRIM_400000_NS6detail17trampoline_kernelINS0_14default_configENS1_22reduce_config_selectorIN6thrust23THRUST_200600_302600_NS5tupleIblNS6_9null_typeES8_S8_S8_S8_S8_S8_S8_EEEEZNS1_11reduce_implILb1ES3_NS6_12zip_iteratorINS7_INS6_11hip_rocprim26transform_input_iterator_tIbNSD_35transform_pair_of_input_iterators_tIbNS6_6detail15normal_iteratorINS6_10device_ptrIKyEEEESL_NS6_8equal_toIyEEEENSG_9not_fun_tINSD_8identityEEEEENSD_19counting_iterator_tIlEES8_S8_S8_S8_S8_S8_S8_S8_EEEEPS9_S9_NSD_9__find_if7functorIS9_EEEE10hipError_tPvRmT1_T2_T3_mT4_P12ihipStream_tbEUlT_E0_NS1_11comp_targetILNS1_3genE0ELNS1_11target_archE4294967295ELNS1_3gpuE0ELNS1_3repE0EEENS1_30default_config_static_selectorELNS0_4arch9wavefront6targetE1EEEvS14_
                                        ; -- End function
	.set _ZN7rocprim17ROCPRIM_400000_NS6detail17trampoline_kernelINS0_14default_configENS1_22reduce_config_selectorIN6thrust23THRUST_200600_302600_NS5tupleIblNS6_9null_typeES8_S8_S8_S8_S8_S8_S8_EEEEZNS1_11reduce_implILb1ES3_NS6_12zip_iteratorINS7_INS6_11hip_rocprim26transform_input_iterator_tIbNSD_35transform_pair_of_input_iterators_tIbNS6_6detail15normal_iteratorINS6_10device_ptrIKyEEEESL_NS6_8equal_toIyEEEENSG_9not_fun_tINSD_8identityEEEEENSD_19counting_iterator_tIlEES8_S8_S8_S8_S8_S8_S8_S8_EEEEPS9_S9_NSD_9__find_if7functorIS9_EEEE10hipError_tPvRmT1_T2_T3_mT4_P12ihipStream_tbEUlT_E0_NS1_11comp_targetILNS1_3genE0ELNS1_11target_archE4294967295ELNS1_3gpuE0ELNS1_3repE0EEENS1_30default_config_static_selectorELNS0_4arch9wavefront6targetE1EEEvS14_.num_vgpr, 0
	.set _ZN7rocprim17ROCPRIM_400000_NS6detail17trampoline_kernelINS0_14default_configENS1_22reduce_config_selectorIN6thrust23THRUST_200600_302600_NS5tupleIblNS6_9null_typeES8_S8_S8_S8_S8_S8_S8_EEEEZNS1_11reduce_implILb1ES3_NS6_12zip_iteratorINS7_INS6_11hip_rocprim26transform_input_iterator_tIbNSD_35transform_pair_of_input_iterators_tIbNS6_6detail15normal_iteratorINS6_10device_ptrIKyEEEESL_NS6_8equal_toIyEEEENSG_9not_fun_tINSD_8identityEEEEENSD_19counting_iterator_tIlEES8_S8_S8_S8_S8_S8_S8_S8_EEEEPS9_S9_NSD_9__find_if7functorIS9_EEEE10hipError_tPvRmT1_T2_T3_mT4_P12ihipStream_tbEUlT_E0_NS1_11comp_targetILNS1_3genE0ELNS1_11target_archE4294967295ELNS1_3gpuE0ELNS1_3repE0EEENS1_30default_config_static_selectorELNS0_4arch9wavefront6targetE1EEEvS14_.num_agpr, 0
	.set _ZN7rocprim17ROCPRIM_400000_NS6detail17trampoline_kernelINS0_14default_configENS1_22reduce_config_selectorIN6thrust23THRUST_200600_302600_NS5tupleIblNS6_9null_typeES8_S8_S8_S8_S8_S8_S8_EEEEZNS1_11reduce_implILb1ES3_NS6_12zip_iteratorINS7_INS6_11hip_rocprim26transform_input_iterator_tIbNSD_35transform_pair_of_input_iterators_tIbNS6_6detail15normal_iteratorINS6_10device_ptrIKyEEEESL_NS6_8equal_toIyEEEENSG_9not_fun_tINSD_8identityEEEEENSD_19counting_iterator_tIlEES8_S8_S8_S8_S8_S8_S8_S8_EEEEPS9_S9_NSD_9__find_if7functorIS9_EEEE10hipError_tPvRmT1_T2_T3_mT4_P12ihipStream_tbEUlT_E0_NS1_11comp_targetILNS1_3genE0ELNS1_11target_archE4294967295ELNS1_3gpuE0ELNS1_3repE0EEENS1_30default_config_static_selectorELNS0_4arch9wavefront6targetE1EEEvS14_.numbered_sgpr, 0
	.set _ZN7rocprim17ROCPRIM_400000_NS6detail17trampoline_kernelINS0_14default_configENS1_22reduce_config_selectorIN6thrust23THRUST_200600_302600_NS5tupleIblNS6_9null_typeES8_S8_S8_S8_S8_S8_S8_EEEEZNS1_11reduce_implILb1ES3_NS6_12zip_iteratorINS7_INS6_11hip_rocprim26transform_input_iterator_tIbNSD_35transform_pair_of_input_iterators_tIbNS6_6detail15normal_iteratorINS6_10device_ptrIKyEEEESL_NS6_8equal_toIyEEEENSG_9not_fun_tINSD_8identityEEEEENSD_19counting_iterator_tIlEES8_S8_S8_S8_S8_S8_S8_S8_EEEEPS9_S9_NSD_9__find_if7functorIS9_EEEE10hipError_tPvRmT1_T2_T3_mT4_P12ihipStream_tbEUlT_E0_NS1_11comp_targetILNS1_3genE0ELNS1_11target_archE4294967295ELNS1_3gpuE0ELNS1_3repE0EEENS1_30default_config_static_selectorELNS0_4arch9wavefront6targetE1EEEvS14_.num_named_barrier, 0
	.set _ZN7rocprim17ROCPRIM_400000_NS6detail17trampoline_kernelINS0_14default_configENS1_22reduce_config_selectorIN6thrust23THRUST_200600_302600_NS5tupleIblNS6_9null_typeES8_S8_S8_S8_S8_S8_S8_EEEEZNS1_11reduce_implILb1ES3_NS6_12zip_iteratorINS7_INS6_11hip_rocprim26transform_input_iterator_tIbNSD_35transform_pair_of_input_iterators_tIbNS6_6detail15normal_iteratorINS6_10device_ptrIKyEEEESL_NS6_8equal_toIyEEEENSG_9not_fun_tINSD_8identityEEEEENSD_19counting_iterator_tIlEES8_S8_S8_S8_S8_S8_S8_S8_EEEEPS9_S9_NSD_9__find_if7functorIS9_EEEE10hipError_tPvRmT1_T2_T3_mT4_P12ihipStream_tbEUlT_E0_NS1_11comp_targetILNS1_3genE0ELNS1_11target_archE4294967295ELNS1_3gpuE0ELNS1_3repE0EEENS1_30default_config_static_selectorELNS0_4arch9wavefront6targetE1EEEvS14_.private_seg_size, 0
	.set _ZN7rocprim17ROCPRIM_400000_NS6detail17trampoline_kernelINS0_14default_configENS1_22reduce_config_selectorIN6thrust23THRUST_200600_302600_NS5tupleIblNS6_9null_typeES8_S8_S8_S8_S8_S8_S8_EEEEZNS1_11reduce_implILb1ES3_NS6_12zip_iteratorINS7_INS6_11hip_rocprim26transform_input_iterator_tIbNSD_35transform_pair_of_input_iterators_tIbNS6_6detail15normal_iteratorINS6_10device_ptrIKyEEEESL_NS6_8equal_toIyEEEENSG_9not_fun_tINSD_8identityEEEEENSD_19counting_iterator_tIlEES8_S8_S8_S8_S8_S8_S8_S8_EEEEPS9_S9_NSD_9__find_if7functorIS9_EEEE10hipError_tPvRmT1_T2_T3_mT4_P12ihipStream_tbEUlT_E0_NS1_11comp_targetILNS1_3genE0ELNS1_11target_archE4294967295ELNS1_3gpuE0ELNS1_3repE0EEENS1_30default_config_static_selectorELNS0_4arch9wavefront6targetE1EEEvS14_.uses_vcc, 0
	.set _ZN7rocprim17ROCPRIM_400000_NS6detail17trampoline_kernelINS0_14default_configENS1_22reduce_config_selectorIN6thrust23THRUST_200600_302600_NS5tupleIblNS6_9null_typeES8_S8_S8_S8_S8_S8_S8_EEEEZNS1_11reduce_implILb1ES3_NS6_12zip_iteratorINS7_INS6_11hip_rocprim26transform_input_iterator_tIbNSD_35transform_pair_of_input_iterators_tIbNS6_6detail15normal_iteratorINS6_10device_ptrIKyEEEESL_NS6_8equal_toIyEEEENSG_9not_fun_tINSD_8identityEEEEENSD_19counting_iterator_tIlEES8_S8_S8_S8_S8_S8_S8_S8_EEEEPS9_S9_NSD_9__find_if7functorIS9_EEEE10hipError_tPvRmT1_T2_T3_mT4_P12ihipStream_tbEUlT_E0_NS1_11comp_targetILNS1_3genE0ELNS1_11target_archE4294967295ELNS1_3gpuE0ELNS1_3repE0EEENS1_30default_config_static_selectorELNS0_4arch9wavefront6targetE1EEEvS14_.uses_flat_scratch, 0
	.set _ZN7rocprim17ROCPRIM_400000_NS6detail17trampoline_kernelINS0_14default_configENS1_22reduce_config_selectorIN6thrust23THRUST_200600_302600_NS5tupleIblNS6_9null_typeES8_S8_S8_S8_S8_S8_S8_EEEEZNS1_11reduce_implILb1ES3_NS6_12zip_iteratorINS7_INS6_11hip_rocprim26transform_input_iterator_tIbNSD_35transform_pair_of_input_iterators_tIbNS6_6detail15normal_iteratorINS6_10device_ptrIKyEEEESL_NS6_8equal_toIyEEEENSG_9not_fun_tINSD_8identityEEEEENSD_19counting_iterator_tIlEES8_S8_S8_S8_S8_S8_S8_S8_EEEEPS9_S9_NSD_9__find_if7functorIS9_EEEE10hipError_tPvRmT1_T2_T3_mT4_P12ihipStream_tbEUlT_E0_NS1_11comp_targetILNS1_3genE0ELNS1_11target_archE4294967295ELNS1_3gpuE0ELNS1_3repE0EEENS1_30default_config_static_selectorELNS0_4arch9wavefront6targetE1EEEvS14_.has_dyn_sized_stack, 0
	.set _ZN7rocprim17ROCPRIM_400000_NS6detail17trampoline_kernelINS0_14default_configENS1_22reduce_config_selectorIN6thrust23THRUST_200600_302600_NS5tupleIblNS6_9null_typeES8_S8_S8_S8_S8_S8_S8_EEEEZNS1_11reduce_implILb1ES3_NS6_12zip_iteratorINS7_INS6_11hip_rocprim26transform_input_iterator_tIbNSD_35transform_pair_of_input_iterators_tIbNS6_6detail15normal_iteratorINS6_10device_ptrIKyEEEESL_NS6_8equal_toIyEEEENSG_9not_fun_tINSD_8identityEEEEENSD_19counting_iterator_tIlEES8_S8_S8_S8_S8_S8_S8_S8_EEEEPS9_S9_NSD_9__find_if7functorIS9_EEEE10hipError_tPvRmT1_T2_T3_mT4_P12ihipStream_tbEUlT_E0_NS1_11comp_targetILNS1_3genE0ELNS1_11target_archE4294967295ELNS1_3gpuE0ELNS1_3repE0EEENS1_30default_config_static_selectorELNS0_4arch9wavefront6targetE1EEEvS14_.has_recursion, 0
	.set _ZN7rocprim17ROCPRIM_400000_NS6detail17trampoline_kernelINS0_14default_configENS1_22reduce_config_selectorIN6thrust23THRUST_200600_302600_NS5tupleIblNS6_9null_typeES8_S8_S8_S8_S8_S8_S8_EEEEZNS1_11reduce_implILb1ES3_NS6_12zip_iteratorINS7_INS6_11hip_rocprim26transform_input_iterator_tIbNSD_35transform_pair_of_input_iterators_tIbNS6_6detail15normal_iteratorINS6_10device_ptrIKyEEEESL_NS6_8equal_toIyEEEENSG_9not_fun_tINSD_8identityEEEEENSD_19counting_iterator_tIlEES8_S8_S8_S8_S8_S8_S8_S8_EEEEPS9_S9_NSD_9__find_if7functorIS9_EEEE10hipError_tPvRmT1_T2_T3_mT4_P12ihipStream_tbEUlT_E0_NS1_11comp_targetILNS1_3genE0ELNS1_11target_archE4294967295ELNS1_3gpuE0ELNS1_3repE0EEENS1_30default_config_static_selectorELNS0_4arch9wavefront6targetE1EEEvS14_.has_indirect_call, 0
	.section	.AMDGPU.csdata,"",@progbits
; Kernel info:
; codeLenInByte = 0
; TotalNumSgprs: 4
; NumVgprs: 0
; ScratchSize: 0
; MemoryBound: 0
; FloatMode: 240
; IeeeMode: 1
; LDSByteSize: 0 bytes/workgroup (compile time only)
; SGPRBlocks: 0
; VGPRBlocks: 0
; NumSGPRsForWavesPerEU: 4
; NumVGPRsForWavesPerEU: 1
; Occupancy: 10
; WaveLimiterHint : 0
; COMPUTE_PGM_RSRC2:SCRATCH_EN: 0
; COMPUTE_PGM_RSRC2:USER_SGPR: 6
; COMPUTE_PGM_RSRC2:TRAP_HANDLER: 0
; COMPUTE_PGM_RSRC2:TGID_X_EN: 1
; COMPUTE_PGM_RSRC2:TGID_Y_EN: 0
; COMPUTE_PGM_RSRC2:TGID_Z_EN: 0
; COMPUTE_PGM_RSRC2:TIDIG_COMP_CNT: 0
	.section	.text._ZN7rocprim17ROCPRIM_400000_NS6detail17trampoline_kernelINS0_14default_configENS1_22reduce_config_selectorIN6thrust23THRUST_200600_302600_NS5tupleIblNS6_9null_typeES8_S8_S8_S8_S8_S8_S8_EEEEZNS1_11reduce_implILb1ES3_NS6_12zip_iteratorINS7_INS6_11hip_rocprim26transform_input_iterator_tIbNSD_35transform_pair_of_input_iterators_tIbNS6_6detail15normal_iteratorINS6_10device_ptrIKyEEEESL_NS6_8equal_toIyEEEENSG_9not_fun_tINSD_8identityEEEEENSD_19counting_iterator_tIlEES8_S8_S8_S8_S8_S8_S8_S8_EEEEPS9_S9_NSD_9__find_if7functorIS9_EEEE10hipError_tPvRmT1_T2_T3_mT4_P12ihipStream_tbEUlT_E0_NS1_11comp_targetILNS1_3genE5ELNS1_11target_archE942ELNS1_3gpuE9ELNS1_3repE0EEENS1_30default_config_static_selectorELNS0_4arch9wavefront6targetE1EEEvS14_,"axG",@progbits,_ZN7rocprim17ROCPRIM_400000_NS6detail17trampoline_kernelINS0_14default_configENS1_22reduce_config_selectorIN6thrust23THRUST_200600_302600_NS5tupleIblNS6_9null_typeES8_S8_S8_S8_S8_S8_S8_EEEEZNS1_11reduce_implILb1ES3_NS6_12zip_iteratorINS7_INS6_11hip_rocprim26transform_input_iterator_tIbNSD_35transform_pair_of_input_iterators_tIbNS6_6detail15normal_iteratorINS6_10device_ptrIKyEEEESL_NS6_8equal_toIyEEEENSG_9not_fun_tINSD_8identityEEEEENSD_19counting_iterator_tIlEES8_S8_S8_S8_S8_S8_S8_S8_EEEEPS9_S9_NSD_9__find_if7functorIS9_EEEE10hipError_tPvRmT1_T2_T3_mT4_P12ihipStream_tbEUlT_E0_NS1_11comp_targetILNS1_3genE5ELNS1_11target_archE942ELNS1_3gpuE9ELNS1_3repE0EEENS1_30default_config_static_selectorELNS0_4arch9wavefront6targetE1EEEvS14_,comdat
	.protected	_ZN7rocprim17ROCPRIM_400000_NS6detail17trampoline_kernelINS0_14default_configENS1_22reduce_config_selectorIN6thrust23THRUST_200600_302600_NS5tupleIblNS6_9null_typeES8_S8_S8_S8_S8_S8_S8_EEEEZNS1_11reduce_implILb1ES3_NS6_12zip_iteratorINS7_INS6_11hip_rocprim26transform_input_iterator_tIbNSD_35transform_pair_of_input_iterators_tIbNS6_6detail15normal_iteratorINS6_10device_ptrIKyEEEESL_NS6_8equal_toIyEEEENSG_9not_fun_tINSD_8identityEEEEENSD_19counting_iterator_tIlEES8_S8_S8_S8_S8_S8_S8_S8_EEEEPS9_S9_NSD_9__find_if7functorIS9_EEEE10hipError_tPvRmT1_T2_T3_mT4_P12ihipStream_tbEUlT_E0_NS1_11comp_targetILNS1_3genE5ELNS1_11target_archE942ELNS1_3gpuE9ELNS1_3repE0EEENS1_30default_config_static_selectorELNS0_4arch9wavefront6targetE1EEEvS14_ ; -- Begin function _ZN7rocprim17ROCPRIM_400000_NS6detail17trampoline_kernelINS0_14default_configENS1_22reduce_config_selectorIN6thrust23THRUST_200600_302600_NS5tupleIblNS6_9null_typeES8_S8_S8_S8_S8_S8_S8_EEEEZNS1_11reduce_implILb1ES3_NS6_12zip_iteratorINS7_INS6_11hip_rocprim26transform_input_iterator_tIbNSD_35transform_pair_of_input_iterators_tIbNS6_6detail15normal_iteratorINS6_10device_ptrIKyEEEESL_NS6_8equal_toIyEEEENSG_9not_fun_tINSD_8identityEEEEENSD_19counting_iterator_tIlEES8_S8_S8_S8_S8_S8_S8_S8_EEEEPS9_S9_NSD_9__find_if7functorIS9_EEEE10hipError_tPvRmT1_T2_T3_mT4_P12ihipStream_tbEUlT_E0_NS1_11comp_targetILNS1_3genE5ELNS1_11target_archE942ELNS1_3gpuE9ELNS1_3repE0EEENS1_30default_config_static_selectorELNS0_4arch9wavefront6targetE1EEEvS14_
	.globl	_ZN7rocprim17ROCPRIM_400000_NS6detail17trampoline_kernelINS0_14default_configENS1_22reduce_config_selectorIN6thrust23THRUST_200600_302600_NS5tupleIblNS6_9null_typeES8_S8_S8_S8_S8_S8_S8_EEEEZNS1_11reduce_implILb1ES3_NS6_12zip_iteratorINS7_INS6_11hip_rocprim26transform_input_iterator_tIbNSD_35transform_pair_of_input_iterators_tIbNS6_6detail15normal_iteratorINS6_10device_ptrIKyEEEESL_NS6_8equal_toIyEEEENSG_9not_fun_tINSD_8identityEEEEENSD_19counting_iterator_tIlEES8_S8_S8_S8_S8_S8_S8_S8_EEEEPS9_S9_NSD_9__find_if7functorIS9_EEEE10hipError_tPvRmT1_T2_T3_mT4_P12ihipStream_tbEUlT_E0_NS1_11comp_targetILNS1_3genE5ELNS1_11target_archE942ELNS1_3gpuE9ELNS1_3repE0EEENS1_30default_config_static_selectorELNS0_4arch9wavefront6targetE1EEEvS14_
	.p2align	8
	.type	_ZN7rocprim17ROCPRIM_400000_NS6detail17trampoline_kernelINS0_14default_configENS1_22reduce_config_selectorIN6thrust23THRUST_200600_302600_NS5tupleIblNS6_9null_typeES8_S8_S8_S8_S8_S8_S8_EEEEZNS1_11reduce_implILb1ES3_NS6_12zip_iteratorINS7_INS6_11hip_rocprim26transform_input_iterator_tIbNSD_35transform_pair_of_input_iterators_tIbNS6_6detail15normal_iteratorINS6_10device_ptrIKyEEEESL_NS6_8equal_toIyEEEENSG_9not_fun_tINSD_8identityEEEEENSD_19counting_iterator_tIlEES8_S8_S8_S8_S8_S8_S8_S8_EEEEPS9_S9_NSD_9__find_if7functorIS9_EEEE10hipError_tPvRmT1_T2_T3_mT4_P12ihipStream_tbEUlT_E0_NS1_11comp_targetILNS1_3genE5ELNS1_11target_archE942ELNS1_3gpuE9ELNS1_3repE0EEENS1_30default_config_static_selectorELNS0_4arch9wavefront6targetE1EEEvS14_,@function
_ZN7rocprim17ROCPRIM_400000_NS6detail17trampoline_kernelINS0_14default_configENS1_22reduce_config_selectorIN6thrust23THRUST_200600_302600_NS5tupleIblNS6_9null_typeES8_S8_S8_S8_S8_S8_S8_EEEEZNS1_11reduce_implILb1ES3_NS6_12zip_iteratorINS7_INS6_11hip_rocprim26transform_input_iterator_tIbNSD_35transform_pair_of_input_iterators_tIbNS6_6detail15normal_iteratorINS6_10device_ptrIKyEEEESL_NS6_8equal_toIyEEEENSG_9not_fun_tINSD_8identityEEEEENSD_19counting_iterator_tIlEES8_S8_S8_S8_S8_S8_S8_S8_EEEEPS9_S9_NSD_9__find_if7functorIS9_EEEE10hipError_tPvRmT1_T2_T3_mT4_P12ihipStream_tbEUlT_E0_NS1_11comp_targetILNS1_3genE5ELNS1_11target_archE942ELNS1_3gpuE9ELNS1_3repE0EEENS1_30default_config_static_selectorELNS0_4arch9wavefront6targetE1EEEvS14_: ; @_ZN7rocprim17ROCPRIM_400000_NS6detail17trampoline_kernelINS0_14default_configENS1_22reduce_config_selectorIN6thrust23THRUST_200600_302600_NS5tupleIblNS6_9null_typeES8_S8_S8_S8_S8_S8_S8_EEEEZNS1_11reduce_implILb1ES3_NS6_12zip_iteratorINS7_INS6_11hip_rocprim26transform_input_iterator_tIbNSD_35transform_pair_of_input_iterators_tIbNS6_6detail15normal_iteratorINS6_10device_ptrIKyEEEESL_NS6_8equal_toIyEEEENSG_9not_fun_tINSD_8identityEEEEENSD_19counting_iterator_tIlEES8_S8_S8_S8_S8_S8_S8_S8_EEEEPS9_S9_NSD_9__find_if7functorIS9_EEEE10hipError_tPvRmT1_T2_T3_mT4_P12ihipStream_tbEUlT_E0_NS1_11comp_targetILNS1_3genE5ELNS1_11target_archE942ELNS1_3gpuE9ELNS1_3repE0EEENS1_30default_config_static_selectorELNS0_4arch9wavefront6targetE1EEEvS14_
; %bb.0:
	.section	.rodata,"a",@progbits
	.p2align	6, 0x0
	.amdhsa_kernel _ZN7rocprim17ROCPRIM_400000_NS6detail17trampoline_kernelINS0_14default_configENS1_22reduce_config_selectorIN6thrust23THRUST_200600_302600_NS5tupleIblNS6_9null_typeES8_S8_S8_S8_S8_S8_S8_EEEEZNS1_11reduce_implILb1ES3_NS6_12zip_iteratorINS7_INS6_11hip_rocprim26transform_input_iterator_tIbNSD_35transform_pair_of_input_iterators_tIbNS6_6detail15normal_iteratorINS6_10device_ptrIKyEEEESL_NS6_8equal_toIyEEEENSG_9not_fun_tINSD_8identityEEEEENSD_19counting_iterator_tIlEES8_S8_S8_S8_S8_S8_S8_S8_EEEEPS9_S9_NSD_9__find_if7functorIS9_EEEE10hipError_tPvRmT1_T2_T3_mT4_P12ihipStream_tbEUlT_E0_NS1_11comp_targetILNS1_3genE5ELNS1_11target_archE942ELNS1_3gpuE9ELNS1_3repE0EEENS1_30default_config_static_selectorELNS0_4arch9wavefront6targetE1EEEvS14_
		.amdhsa_group_segment_fixed_size 0
		.amdhsa_private_segment_fixed_size 0
		.amdhsa_kernarg_size 104
		.amdhsa_user_sgpr_count 6
		.amdhsa_user_sgpr_private_segment_buffer 1
		.amdhsa_user_sgpr_dispatch_ptr 0
		.amdhsa_user_sgpr_queue_ptr 0
		.amdhsa_user_sgpr_kernarg_segment_ptr 1
		.amdhsa_user_sgpr_dispatch_id 0
		.amdhsa_user_sgpr_flat_scratch_init 0
		.amdhsa_user_sgpr_private_segment_size 0
		.amdhsa_uses_dynamic_stack 0
		.amdhsa_system_sgpr_private_segment_wavefront_offset 0
		.amdhsa_system_sgpr_workgroup_id_x 1
		.amdhsa_system_sgpr_workgroup_id_y 0
		.amdhsa_system_sgpr_workgroup_id_z 0
		.amdhsa_system_sgpr_workgroup_info 0
		.amdhsa_system_vgpr_workitem_id 0
		.amdhsa_next_free_vgpr 1
		.amdhsa_next_free_sgpr 0
		.amdhsa_reserve_vcc 0
		.amdhsa_reserve_flat_scratch 0
		.amdhsa_float_round_mode_32 0
		.amdhsa_float_round_mode_16_64 0
		.amdhsa_float_denorm_mode_32 3
		.amdhsa_float_denorm_mode_16_64 3
		.amdhsa_dx10_clamp 1
		.amdhsa_ieee_mode 1
		.amdhsa_fp16_overflow 0
		.amdhsa_exception_fp_ieee_invalid_op 0
		.amdhsa_exception_fp_denorm_src 0
		.amdhsa_exception_fp_ieee_div_zero 0
		.amdhsa_exception_fp_ieee_overflow 0
		.amdhsa_exception_fp_ieee_underflow 0
		.amdhsa_exception_fp_ieee_inexact 0
		.amdhsa_exception_int_div_zero 0
	.end_amdhsa_kernel
	.section	.text._ZN7rocprim17ROCPRIM_400000_NS6detail17trampoline_kernelINS0_14default_configENS1_22reduce_config_selectorIN6thrust23THRUST_200600_302600_NS5tupleIblNS6_9null_typeES8_S8_S8_S8_S8_S8_S8_EEEEZNS1_11reduce_implILb1ES3_NS6_12zip_iteratorINS7_INS6_11hip_rocprim26transform_input_iterator_tIbNSD_35transform_pair_of_input_iterators_tIbNS6_6detail15normal_iteratorINS6_10device_ptrIKyEEEESL_NS6_8equal_toIyEEEENSG_9not_fun_tINSD_8identityEEEEENSD_19counting_iterator_tIlEES8_S8_S8_S8_S8_S8_S8_S8_EEEEPS9_S9_NSD_9__find_if7functorIS9_EEEE10hipError_tPvRmT1_T2_T3_mT4_P12ihipStream_tbEUlT_E0_NS1_11comp_targetILNS1_3genE5ELNS1_11target_archE942ELNS1_3gpuE9ELNS1_3repE0EEENS1_30default_config_static_selectorELNS0_4arch9wavefront6targetE1EEEvS14_,"axG",@progbits,_ZN7rocprim17ROCPRIM_400000_NS6detail17trampoline_kernelINS0_14default_configENS1_22reduce_config_selectorIN6thrust23THRUST_200600_302600_NS5tupleIblNS6_9null_typeES8_S8_S8_S8_S8_S8_S8_EEEEZNS1_11reduce_implILb1ES3_NS6_12zip_iteratorINS7_INS6_11hip_rocprim26transform_input_iterator_tIbNSD_35transform_pair_of_input_iterators_tIbNS6_6detail15normal_iteratorINS6_10device_ptrIKyEEEESL_NS6_8equal_toIyEEEENSG_9not_fun_tINSD_8identityEEEEENSD_19counting_iterator_tIlEES8_S8_S8_S8_S8_S8_S8_S8_EEEEPS9_S9_NSD_9__find_if7functorIS9_EEEE10hipError_tPvRmT1_T2_T3_mT4_P12ihipStream_tbEUlT_E0_NS1_11comp_targetILNS1_3genE5ELNS1_11target_archE942ELNS1_3gpuE9ELNS1_3repE0EEENS1_30default_config_static_selectorELNS0_4arch9wavefront6targetE1EEEvS14_,comdat
.Lfunc_end466:
	.size	_ZN7rocprim17ROCPRIM_400000_NS6detail17trampoline_kernelINS0_14default_configENS1_22reduce_config_selectorIN6thrust23THRUST_200600_302600_NS5tupleIblNS6_9null_typeES8_S8_S8_S8_S8_S8_S8_EEEEZNS1_11reduce_implILb1ES3_NS6_12zip_iteratorINS7_INS6_11hip_rocprim26transform_input_iterator_tIbNSD_35transform_pair_of_input_iterators_tIbNS6_6detail15normal_iteratorINS6_10device_ptrIKyEEEESL_NS6_8equal_toIyEEEENSG_9not_fun_tINSD_8identityEEEEENSD_19counting_iterator_tIlEES8_S8_S8_S8_S8_S8_S8_S8_EEEEPS9_S9_NSD_9__find_if7functorIS9_EEEE10hipError_tPvRmT1_T2_T3_mT4_P12ihipStream_tbEUlT_E0_NS1_11comp_targetILNS1_3genE5ELNS1_11target_archE942ELNS1_3gpuE9ELNS1_3repE0EEENS1_30default_config_static_selectorELNS0_4arch9wavefront6targetE1EEEvS14_, .Lfunc_end466-_ZN7rocprim17ROCPRIM_400000_NS6detail17trampoline_kernelINS0_14default_configENS1_22reduce_config_selectorIN6thrust23THRUST_200600_302600_NS5tupleIblNS6_9null_typeES8_S8_S8_S8_S8_S8_S8_EEEEZNS1_11reduce_implILb1ES3_NS6_12zip_iteratorINS7_INS6_11hip_rocprim26transform_input_iterator_tIbNSD_35transform_pair_of_input_iterators_tIbNS6_6detail15normal_iteratorINS6_10device_ptrIKyEEEESL_NS6_8equal_toIyEEEENSG_9not_fun_tINSD_8identityEEEEENSD_19counting_iterator_tIlEES8_S8_S8_S8_S8_S8_S8_S8_EEEEPS9_S9_NSD_9__find_if7functorIS9_EEEE10hipError_tPvRmT1_T2_T3_mT4_P12ihipStream_tbEUlT_E0_NS1_11comp_targetILNS1_3genE5ELNS1_11target_archE942ELNS1_3gpuE9ELNS1_3repE0EEENS1_30default_config_static_selectorELNS0_4arch9wavefront6targetE1EEEvS14_
                                        ; -- End function
	.set _ZN7rocprim17ROCPRIM_400000_NS6detail17trampoline_kernelINS0_14default_configENS1_22reduce_config_selectorIN6thrust23THRUST_200600_302600_NS5tupleIblNS6_9null_typeES8_S8_S8_S8_S8_S8_S8_EEEEZNS1_11reduce_implILb1ES3_NS6_12zip_iteratorINS7_INS6_11hip_rocprim26transform_input_iterator_tIbNSD_35transform_pair_of_input_iterators_tIbNS6_6detail15normal_iteratorINS6_10device_ptrIKyEEEESL_NS6_8equal_toIyEEEENSG_9not_fun_tINSD_8identityEEEEENSD_19counting_iterator_tIlEES8_S8_S8_S8_S8_S8_S8_S8_EEEEPS9_S9_NSD_9__find_if7functorIS9_EEEE10hipError_tPvRmT1_T2_T3_mT4_P12ihipStream_tbEUlT_E0_NS1_11comp_targetILNS1_3genE5ELNS1_11target_archE942ELNS1_3gpuE9ELNS1_3repE0EEENS1_30default_config_static_selectorELNS0_4arch9wavefront6targetE1EEEvS14_.num_vgpr, 0
	.set _ZN7rocprim17ROCPRIM_400000_NS6detail17trampoline_kernelINS0_14default_configENS1_22reduce_config_selectorIN6thrust23THRUST_200600_302600_NS5tupleIblNS6_9null_typeES8_S8_S8_S8_S8_S8_S8_EEEEZNS1_11reduce_implILb1ES3_NS6_12zip_iteratorINS7_INS6_11hip_rocprim26transform_input_iterator_tIbNSD_35transform_pair_of_input_iterators_tIbNS6_6detail15normal_iteratorINS6_10device_ptrIKyEEEESL_NS6_8equal_toIyEEEENSG_9not_fun_tINSD_8identityEEEEENSD_19counting_iterator_tIlEES8_S8_S8_S8_S8_S8_S8_S8_EEEEPS9_S9_NSD_9__find_if7functorIS9_EEEE10hipError_tPvRmT1_T2_T3_mT4_P12ihipStream_tbEUlT_E0_NS1_11comp_targetILNS1_3genE5ELNS1_11target_archE942ELNS1_3gpuE9ELNS1_3repE0EEENS1_30default_config_static_selectorELNS0_4arch9wavefront6targetE1EEEvS14_.num_agpr, 0
	.set _ZN7rocprim17ROCPRIM_400000_NS6detail17trampoline_kernelINS0_14default_configENS1_22reduce_config_selectorIN6thrust23THRUST_200600_302600_NS5tupleIblNS6_9null_typeES8_S8_S8_S8_S8_S8_S8_EEEEZNS1_11reduce_implILb1ES3_NS6_12zip_iteratorINS7_INS6_11hip_rocprim26transform_input_iterator_tIbNSD_35transform_pair_of_input_iterators_tIbNS6_6detail15normal_iteratorINS6_10device_ptrIKyEEEESL_NS6_8equal_toIyEEEENSG_9not_fun_tINSD_8identityEEEEENSD_19counting_iterator_tIlEES8_S8_S8_S8_S8_S8_S8_S8_EEEEPS9_S9_NSD_9__find_if7functorIS9_EEEE10hipError_tPvRmT1_T2_T3_mT4_P12ihipStream_tbEUlT_E0_NS1_11comp_targetILNS1_3genE5ELNS1_11target_archE942ELNS1_3gpuE9ELNS1_3repE0EEENS1_30default_config_static_selectorELNS0_4arch9wavefront6targetE1EEEvS14_.numbered_sgpr, 0
	.set _ZN7rocprim17ROCPRIM_400000_NS6detail17trampoline_kernelINS0_14default_configENS1_22reduce_config_selectorIN6thrust23THRUST_200600_302600_NS5tupleIblNS6_9null_typeES8_S8_S8_S8_S8_S8_S8_EEEEZNS1_11reduce_implILb1ES3_NS6_12zip_iteratorINS7_INS6_11hip_rocprim26transform_input_iterator_tIbNSD_35transform_pair_of_input_iterators_tIbNS6_6detail15normal_iteratorINS6_10device_ptrIKyEEEESL_NS6_8equal_toIyEEEENSG_9not_fun_tINSD_8identityEEEEENSD_19counting_iterator_tIlEES8_S8_S8_S8_S8_S8_S8_S8_EEEEPS9_S9_NSD_9__find_if7functorIS9_EEEE10hipError_tPvRmT1_T2_T3_mT4_P12ihipStream_tbEUlT_E0_NS1_11comp_targetILNS1_3genE5ELNS1_11target_archE942ELNS1_3gpuE9ELNS1_3repE0EEENS1_30default_config_static_selectorELNS0_4arch9wavefront6targetE1EEEvS14_.num_named_barrier, 0
	.set _ZN7rocprim17ROCPRIM_400000_NS6detail17trampoline_kernelINS0_14default_configENS1_22reduce_config_selectorIN6thrust23THRUST_200600_302600_NS5tupleIblNS6_9null_typeES8_S8_S8_S8_S8_S8_S8_EEEEZNS1_11reduce_implILb1ES3_NS6_12zip_iteratorINS7_INS6_11hip_rocprim26transform_input_iterator_tIbNSD_35transform_pair_of_input_iterators_tIbNS6_6detail15normal_iteratorINS6_10device_ptrIKyEEEESL_NS6_8equal_toIyEEEENSG_9not_fun_tINSD_8identityEEEEENSD_19counting_iterator_tIlEES8_S8_S8_S8_S8_S8_S8_S8_EEEEPS9_S9_NSD_9__find_if7functorIS9_EEEE10hipError_tPvRmT1_T2_T3_mT4_P12ihipStream_tbEUlT_E0_NS1_11comp_targetILNS1_3genE5ELNS1_11target_archE942ELNS1_3gpuE9ELNS1_3repE0EEENS1_30default_config_static_selectorELNS0_4arch9wavefront6targetE1EEEvS14_.private_seg_size, 0
	.set _ZN7rocprim17ROCPRIM_400000_NS6detail17trampoline_kernelINS0_14default_configENS1_22reduce_config_selectorIN6thrust23THRUST_200600_302600_NS5tupleIblNS6_9null_typeES8_S8_S8_S8_S8_S8_S8_EEEEZNS1_11reduce_implILb1ES3_NS6_12zip_iteratorINS7_INS6_11hip_rocprim26transform_input_iterator_tIbNSD_35transform_pair_of_input_iterators_tIbNS6_6detail15normal_iteratorINS6_10device_ptrIKyEEEESL_NS6_8equal_toIyEEEENSG_9not_fun_tINSD_8identityEEEEENSD_19counting_iterator_tIlEES8_S8_S8_S8_S8_S8_S8_S8_EEEEPS9_S9_NSD_9__find_if7functorIS9_EEEE10hipError_tPvRmT1_T2_T3_mT4_P12ihipStream_tbEUlT_E0_NS1_11comp_targetILNS1_3genE5ELNS1_11target_archE942ELNS1_3gpuE9ELNS1_3repE0EEENS1_30default_config_static_selectorELNS0_4arch9wavefront6targetE1EEEvS14_.uses_vcc, 0
	.set _ZN7rocprim17ROCPRIM_400000_NS6detail17trampoline_kernelINS0_14default_configENS1_22reduce_config_selectorIN6thrust23THRUST_200600_302600_NS5tupleIblNS6_9null_typeES8_S8_S8_S8_S8_S8_S8_EEEEZNS1_11reduce_implILb1ES3_NS6_12zip_iteratorINS7_INS6_11hip_rocprim26transform_input_iterator_tIbNSD_35transform_pair_of_input_iterators_tIbNS6_6detail15normal_iteratorINS6_10device_ptrIKyEEEESL_NS6_8equal_toIyEEEENSG_9not_fun_tINSD_8identityEEEEENSD_19counting_iterator_tIlEES8_S8_S8_S8_S8_S8_S8_S8_EEEEPS9_S9_NSD_9__find_if7functorIS9_EEEE10hipError_tPvRmT1_T2_T3_mT4_P12ihipStream_tbEUlT_E0_NS1_11comp_targetILNS1_3genE5ELNS1_11target_archE942ELNS1_3gpuE9ELNS1_3repE0EEENS1_30default_config_static_selectorELNS0_4arch9wavefront6targetE1EEEvS14_.uses_flat_scratch, 0
	.set _ZN7rocprim17ROCPRIM_400000_NS6detail17trampoline_kernelINS0_14default_configENS1_22reduce_config_selectorIN6thrust23THRUST_200600_302600_NS5tupleIblNS6_9null_typeES8_S8_S8_S8_S8_S8_S8_EEEEZNS1_11reduce_implILb1ES3_NS6_12zip_iteratorINS7_INS6_11hip_rocprim26transform_input_iterator_tIbNSD_35transform_pair_of_input_iterators_tIbNS6_6detail15normal_iteratorINS6_10device_ptrIKyEEEESL_NS6_8equal_toIyEEEENSG_9not_fun_tINSD_8identityEEEEENSD_19counting_iterator_tIlEES8_S8_S8_S8_S8_S8_S8_S8_EEEEPS9_S9_NSD_9__find_if7functorIS9_EEEE10hipError_tPvRmT1_T2_T3_mT4_P12ihipStream_tbEUlT_E0_NS1_11comp_targetILNS1_3genE5ELNS1_11target_archE942ELNS1_3gpuE9ELNS1_3repE0EEENS1_30default_config_static_selectorELNS0_4arch9wavefront6targetE1EEEvS14_.has_dyn_sized_stack, 0
	.set _ZN7rocprim17ROCPRIM_400000_NS6detail17trampoline_kernelINS0_14default_configENS1_22reduce_config_selectorIN6thrust23THRUST_200600_302600_NS5tupleIblNS6_9null_typeES8_S8_S8_S8_S8_S8_S8_EEEEZNS1_11reduce_implILb1ES3_NS6_12zip_iteratorINS7_INS6_11hip_rocprim26transform_input_iterator_tIbNSD_35transform_pair_of_input_iterators_tIbNS6_6detail15normal_iteratorINS6_10device_ptrIKyEEEESL_NS6_8equal_toIyEEEENSG_9not_fun_tINSD_8identityEEEEENSD_19counting_iterator_tIlEES8_S8_S8_S8_S8_S8_S8_S8_EEEEPS9_S9_NSD_9__find_if7functorIS9_EEEE10hipError_tPvRmT1_T2_T3_mT4_P12ihipStream_tbEUlT_E0_NS1_11comp_targetILNS1_3genE5ELNS1_11target_archE942ELNS1_3gpuE9ELNS1_3repE0EEENS1_30default_config_static_selectorELNS0_4arch9wavefront6targetE1EEEvS14_.has_recursion, 0
	.set _ZN7rocprim17ROCPRIM_400000_NS6detail17trampoline_kernelINS0_14default_configENS1_22reduce_config_selectorIN6thrust23THRUST_200600_302600_NS5tupleIblNS6_9null_typeES8_S8_S8_S8_S8_S8_S8_EEEEZNS1_11reduce_implILb1ES3_NS6_12zip_iteratorINS7_INS6_11hip_rocprim26transform_input_iterator_tIbNSD_35transform_pair_of_input_iterators_tIbNS6_6detail15normal_iteratorINS6_10device_ptrIKyEEEESL_NS6_8equal_toIyEEEENSG_9not_fun_tINSD_8identityEEEEENSD_19counting_iterator_tIlEES8_S8_S8_S8_S8_S8_S8_S8_EEEEPS9_S9_NSD_9__find_if7functorIS9_EEEE10hipError_tPvRmT1_T2_T3_mT4_P12ihipStream_tbEUlT_E0_NS1_11comp_targetILNS1_3genE5ELNS1_11target_archE942ELNS1_3gpuE9ELNS1_3repE0EEENS1_30default_config_static_selectorELNS0_4arch9wavefront6targetE1EEEvS14_.has_indirect_call, 0
	.section	.AMDGPU.csdata,"",@progbits
; Kernel info:
; codeLenInByte = 0
; TotalNumSgprs: 4
; NumVgprs: 0
; ScratchSize: 0
; MemoryBound: 0
; FloatMode: 240
; IeeeMode: 1
; LDSByteSize: 0 bytes/workgroup (compile time only)
; SGPRBlocks: 0
; VGPRBlocks: 0
; NumSGPRsForWavesPerEU: 4
; NumVGPRsForWavesPerEU: 1
; Occupancy: 10
; WaveLimiterHint : 0
; COMPUTE_PGM_RSRC2:SCRATCH_EN: 0
; COMPUTE_PGM_RSRC2:USER_SGPR: 6
; COMPUTE_PGM_RSRC2:TRAP_HANDLER: 0
; COMPUTE_PGM_RSRC2:TGID_X_EN: 1
; COMPUTE_PGM_RSRC2:TGID_Y_EN: 0
; COMPUTE_PGM_RSRC2:TGID_Z_EN: 0
; COMPUTE_PGM_RSRC2:TIDIG_COMP_CNT: 0
	.section	.text._ZN7rocprim17ROCPRIM_400000_NS6detail17trampoline_kernelINS0_14default_configENS1_22reduce_config_selectorIN6thrust23THRUST_200600_302600_NS5tupleIblNS6_9null_typeES8_S8_S8_S8_S8_S8_S8_EEEEZNS1_11reduce_implILb1ES3_NS6_12zip_iteratorINS7_INS6_11hip_rocprim26transform_input_iterator_tIbNSD_35transform_pair_of_input_iterators_tIbNS6_6detail15normal_iteratorINS6_10device_ptrIKyEEEESL_NS6_8equal_toIyEEEENSG_9not_fun_tINSD_8identityEEEEENSD_19counting_iterator_tIlEES8_S8_S8_S8_S8_S8_S8_S8_EEEEPS9_S9_NSD_9__find_if7functorIS9_EEEE10hipError_tPvRmT1_T2_T3_mT4_P12ihipStream_tbEUlT_E0_NS1_11comp_targetILNS1_3genE4ELNS1_11target_archE910ELNS1_3gpuE8ELNS1_3repE0EEENS1_30default_config_static_selectorELNS0_4arch9wavefront6targetE1EEEvS14_,"axG",@progbits,_ZN7rocprim17ROCPRIM_400000_NS6detail17trampoline_kernelINS0_14default_configENS1_22reduce_config_selectorIN6thrust23THRUST_200600_302600_NS5tupleIblNS6_9null_typeES8_S8_S8_S8_S8_S8_S8_EEEEZNS1_11reduce_implILb1ES3_NS6_12zip_iteratorINS7_INS6_11hip_rocprim26transform_input_iterator_tIbNSD_35transform_pair_of_input_iterators_tIbNS6_6detail15normal_iteratorINS6_10device_ptrIKyEEEESL_NS6_8equal_toIyEEEENSG_9not_fun_tINSD_8identityEEEEENSD_19counting_iterator_tIlEES8_S8_S8_S8_S8_S8_S8_S8_EEEEPS9_S9_NSD_9__find_if7functorIS9_EEEE10hipError_tPvRmT1_T2_T3_mT4_P12ihipStream_tbEUlT_E0_NS1_11comp_targetILNS1_3genE4ELNS1_11target_archE910ELNS1_3gpuE8ELNS1_3repE0EEENS1_30default_config_static_selectorELNS0_4arch9wavefront6targetE1EEEvS14_,comdat
	.protected	_ZN7rocprim17ROCPRIM_400000_NS6detail17trampoline_kernelINS0_14default_configENS1_22reduce_config_selectorIN6thrust23THRUST_200600_302600_NS5tupleIblNS6_9null_typeES8_S8_S8_S8_S8_S8_S8_EEEEZNS1_11reduce_implILb1ES3_NS6_12zip_iteratorINS7_INS6_11hip_rocprim26transform_input_iterator_tIbNSD_35transform_pair_of_input_iterators_tIbNS6_6detail15normal_iteratorINS6_10device_ptrIKyEEEESL_NS6_8equal_toIyEEEENSG_9not_fun_tINSD_8identityEEEEENSD_19counting_iterator_tIlEES8_S8_S8_S8_S8_S8_S8_S8_EEEEPS9_S9_NSD_9__find_if7functorIS9_EEEE10hipError_tPvRmT1_T2_T3_mT4_P12ihipStream_tbEUlT_E0_NS1_11comp_targetILNS1_3genE4ELNS1_11target_archE910ELNS1_3gpuE8ELNS1_3repE0EEENS1_30default_config_static_selectorELNS0_4arch9wavefront6targetE1EEEvS14_ ; -- Begin function _ZN7rocprim17ROCPRIM_400000_NS6detail17trampoline_kernelINS0_14default_configENS1_22reduce_config_selectorIN6thrust23THRUST_200600_302600_NS5tupleIblNS6_9null_typeES8_S8_S8_S8_S8_S8_S8_EEEEZNS1_11reduce_implILb1ES3_NS6_12zip_iteratorINS7_INS6_11hip_rocprim26transform_input_iterator_tIbNSD_35transform_pair_of_input_iterators_tIbNS6_6detail15normal_iteratorINS6_10device_ptrIKyEEEESL_NS6_8equal_toIyEEEENSG_9not_fun_tINSD_8identityEEEEENSD_19counting_iterator_tIlEES8_S8_S8_S8_S8_S8_S8_S8_EEEEPS9_S9_NSD_9__find_if7functorIS9_EEEE10hipError_tPvRmT1_T2_T3_mT4_P12ihipStream_tbEUlT_E0_NS1_11comp_targetILNS1_3genE4ELNS1_11target_archE910ELNS1_3gpuE8ELNS1_3repE0EEENS1_30default_config_static_selectorELNS0_4arch9wavefront6targetE1EEEvS14_
	.globl	_ZN7rocprim17ROCPRIM_400000_NS6detail17trampoline_kernelINS0_14default_configENS1_22reduce_config_selectorIN6thrust23THRUST_200600_302600_NS5tupleIblNS6_9null_typeES8_S8_S8_S8_S8_S8_S8_EEEEZNS1_11reduce_implILb1ES3_NS6_12zip_iteratorINS7_INS6_11hip_rocprim26transform_input_iterator_tIbNSD_35transform_pair_of_input_iterators_tIbNS6_6detail15normal_iteratorINS6_10device_ptrIKyEEEESL_NS6_8equal_toIyEEEENSG_9not_fun_tINSD_8identityEEEEENSD_19counting_iterator_tIlEES8_S8_S8_S8_S8_S8_S8_S8_EEEEPS9_S9_NSD_9__find_if7functorIS9_EEEE10hipError_tPvRmT1_T2_T3_mT4_P12ihipStream_tbEUlT_E0_NS1_11comp_targetILNS1_3genE4ELNS1_11target_archE910ELNS1_3gpuE8ELNS1_3repE0EEENS1_30default_config_static_selectorELNS0_4arch9wavefront6targetE1EEEvS14_
	.p2align	8
	.type	_ZN7rocprim17ROCPRIM_400000_NS6detail17trampoline_kernelINS0_14default_configENS1_22reduce_config_selectorIN6thrust23THRUST_200600_302600_NS5tupleIblNS6_9null_typeES8_S8_S8_S8_S8_S8_S8_EEEEZNS1_11reduce_implILb1ES3_NS6_12zip_iteratorINS7_INS6_11hip_rocprim26transform_input_iterator_tIbNSD_35transform_pair_of_input_iterators_tIbNS6_6detail15normal_iteratorINS6_10device_ptrIKyEEEESL_NS6_8equal_toIyEEEENSG_9not_fun_tINSD_8identityEEEEENSD_19counting_iterator_tIlEES8_S8_S8_S8_S8_S8_S8_S8_EEEEPS9_S9_NSD_9__find_if7functorIS9_EEEE10hipError_tPvRmT1_T2_T3_mT4_P12ihipStream_tbEUlT_E0_NS1_11comp_targetILNS1_3genE4ELNS1_11target_archE910ELNS1_3gpuE8ELNS1_3repE0EEENS1_30default_config_static_selectorELNS0_4arch9wavefront6targetE1EEEvS14_,@function
_ZN7rocprim17ROCPRIM_400000_NS6detail17trampoline_kernelINS0_14default_configENS1_22reduce_config_selectorIN6thrust23THRUST_200600_302600_NS5tupleIblNS6_9null_typeES8_S8_S8_S8_S8_S8_S8_EEEEZNS1_11reduce_implILb1ES3_NS6_12zip_iteratorINS7_INS6_11hip_rocprim26transform_input_iterator_tIbNSD_35transform_pair_of_input_iterators_tIbNS6_6detail15normal_iteratorINS6_10device_ptrIKyEEEESL_NS6_8equal_toIyEEEENSG_9not_fun_tINSD_8identityEEEEENSD_19counting_iterator_tIlEES8_S8_S8_S8_S8_S8_S8_S8_EEEEPS9_S9_NSD_9__find_if7functorIS9_EEEE10hipError_tPvRmT1_T2_T3_mT4_P12ihipStream_tbEUlT_E0_NS1_11comp_targetILNS1_3genE4ELNS1_11target_archE910ELNS1_3gpuE8ELNS1_3repE0EEENS1_30default_config_static_selectorELNS0_4arch9wavefront6targetE1EEEvS14_: ; @_ZN7rocprim17ROCPRIM_400000_NS6detail17trampoline_kernelINS0_14default_configENS1_22reduce_config_selectorIN6thrust23THRUST_200600_302600_NS5tupleIblNS6_9null_typeES8_S8_S8_S8_S8_S8_S8_EEEEZNS1_11reduce_implILb1ES3_NS6_12zip_iteratorINS7_INS6_11hip_rocprim26transform_input_iterator_tIbNSD_35transform_pair_of_input_iterators_tIbNS6_6detail15normal_iteratorINS6_10device_ptrIKyEEEESL_NS6_8equal_toIyEEEENSG_9not_fun_tINSD_8identityEEEEENSD_19counting_iterator_tIlEES8_S8_S8_S8_S8_S8_S8_S8_EEEEPS9_S9_NSD_9__find_if7functorIS9_EEEE10hipError_tPvRmT1_T2_T3_mT4_P12ihipStream_tbEUlT_E0_NS1_11comp_targetILNS1_3genE4ELNS1_11target_archE910ELNS1_3gpuE8ELNS1_3repE0EEENS1_30default_config_static_selectorELNS0_4arch9wavefront6targetE1EEEvS14_
; %bb.0:
	.section	.rodata,"a",@progbits
	.p2align	6, 0x0
	.amdhsa_kernel _ZN7rocprim17ROCPRIM_400000_NS6detail17trampoline_kernelINS0_14default_configENS1_22reduce_config_selectorIN6thrust23THRUST_200600_302600_NS5tupleIblNS6_9null_typeES8_S8_S8_S8_S8_S8_S8_EEEEZNS1_11reduce_implILb1ES3_NS6_12zip_iteratorINS7_INS6_11hip_rocprim26transform_input_iterator_tIbNSD_35transform_pair_of_input_iterators_tIbNS6_6detail15normal_iteratorINS6_10device_ptrIKyEEEESL_NS6_8equal_toIyEEEENSG_9not_fun_tINSD_8identityEEEEENSD_19counting_iterator_tIlEES8_S8_S8_S8_S8_S8_S8_S8_EEEEPS9_S9_NSD_9__find_if7functorIS9_EEEE10hipError_tPvRmT1_T2_T3_mT4_P12ihipStream_tbEUlT_E0_NS1_11comp_targetILNS1_3genE4ELNS1_11target_archE910ELNS1_3gpuE8ELNS1_3repE0EEENS1_30default_config_static_selectorELNS0_4arch9wavefront6targetE1EEEvS14_
		.amdhsa_group_segment_fixed_size 0
		.amdhsa_private_segment_fixed_size 0
		.amdhsa_kernarg_size 104
		.amdhsa_user_sgpr_count 6
		.amdhsa_user_sgpr_private_segment_buffer 1
		.amdhsa_user_sgpr_dispatch_ptr 0
		.amdhsa_user_sgpr_queue_ptr 0
		.amdhsa_user_sgpr_kernarg_segment_ptr 1
		.amdhsa_user_sgpr_dispatch_id 0
		.amdhsa_user_sgpr_flat_scratch_init 0
		.amdhsa_user_sgpr_private_segment_size 0
		.amdhsa_uses_dynamic_stack 0
		.amdhsa_system_sgpr_private_segment_wavefront_offset 0
		.amdhsa_system_sgpr_workgroup_id_x 1
		.amdhsa_system_sgpr_workgroup_id_y 0
		.amdhsa_system_sgpr_workgroup_id_z 0
		.amdhsa_system_sgpr_workgroup_info 0
		.amdhsa_system_vgpr_workitem_id 0
		.amdhsa_next_free_vgpr 1
		.amdhsa_next_free_sgpr 0
		.amdhsa_reserve_vcc 0
		.amdhsa_reserve_flat_scratch 0
		.amdhsa_float_round_mode_32 0
		.amdhsa_float_round_mode_16_64 0
		.amdhsa_float_denorm_mode_32 3
		.amdhsa_float_denorm_mode_16_64 3
		.amdhsa_dx10_clamp 1
		.amdhsa_ieee_mode 1
		.amdhsa_fp16_overflow 0
		.amdhsa_exception_fp_ieee_invalid_op 0
		.amdhsa_exception_fp_denorm_src 0
		.amdhsa_exception_fp_ieee_div_zero 0
		.amdhsa_exception_fp_ieee_overflow 0
		.amdhsa_exception_fp_ieee_underflow 0
		.amdhsa_exception_fp_ieee_inexact 0
		.amdhsa_exception_int_div_zero 0
	.end_amdhsa_kernel
	.section	.text._ZN7rocprim17ROCPRIM_400000_NS6detail17trampoline_kernelINS0_14default_configENS1_22reduce_config_selectorIN6thrust23THRUST_200600_302600_NS5tupleIblNS6_9null_typeES8_S8_S8_S8_S8_S8_S8_EEEEZNS1_11reduce_implILb1ES3_NS6_12zip_iteratorINS7_INS6_11hip_rocprim26transform_input_iterator_tIbNSD_35transform_pair_of_input_iterators_tIbNS6_6detail15normal_iteratorINS6_10device_ptrIKyEEEESL_NS6_8equal_toIyEEEENSG_9not_fun_tINSD_8identityEEEEENSD_19counting_iterator_tIlEES8_S8_S8_S8_S8_S8_S8_S8_EEEEPS9_S9_NSD_9__find_if7functorIS9_EEEE10hipError_tPvRmT1_T2_T3_mT4_P12ihipStream_tbEUlT_E0_NS1_11comp_targetILNS1_3genE4ELNS1_11target_archE910ELNS1_3gpuE8ELNS1_3repE0EEENS1_30default_config_static_selectorELNS0_4arch9wavefront6targetE1EEEvS14_,"axG",@progbits,_ZN7rocprim17ROCPRIM_400000_NS6detail17trampoline_kernelINS0_14default_configENS1_22reduce_config_selectorIN6thrust23THRUST_200600_302600_NS5tupleIblNS6_9null_typeES8_S8_S8_S8_S8_S8_S8_EEEEZNS1_11reduce_implILb1ES3_NS6_12zip_iteratorINS7_INS6_11hip_rocprim26transform_input_iterator_tIbNSD_35transform_pair_of_input_iterators_tIbNS6_6detail15normal_iteratorINS6_10device_ptrIKyEEEESL_NS6_8equal_toIyEEEENSG_9not_fun_tINSD_8identityEEEEENSD_19counting_iterator_tIlEES8_S8_S8_S8_S8_S8_S8_S8_EEEEPS9_S9_NSD_9__find_if7functorIS9_EEEE10hipError_tPvRmT1_T2_T3_mT4_P12ihipStream_tbEUlT_E0_NS1_11comp_targetILNS1_3genE4ELNS1_11target_archE910ELNS1_3gpuE8ELNS1_3repE0EEENS1_30default_config_static_selectorELNS0_4arch9wavefront6targetE1EEEvS14_,comdat
.Lfunc_end467:
	.size	_ZN7rocprim17ROCPRIM_400000_NS6detail17trampoline_kernelINS0_14default_configENS1_22reduce_config_selectorIN6thrust23THRUST_200600_302600_NS5tupleIblNS6_9null_typeES8_S8_S8_S8_S8_S8_S8_EEEEZNS1_11reduce_implILb1ES3_NS6_12zip_iteratorINS7_INS6_11hip_rocprim26transform_input_iterator_tIbNSD_35transform_pair_of_input_iterators_tIbNS6_6detail15normal_iteratorINS6_10device_ptrIKyEEEESL_NS6_8equal_toIyEEEENSG_9not_fun_tINSD_8identityEEEEENSD_19counting_iterator_tIlEES8_S8_S8_S8_S8_S8_S8_S8_EEEEPS9_S9_NSD_9__find_if7functorIS9_EEEE10hipError_tPvRmT1_T2_T3_mT4_P12ihipStream_tbEUlT_E0_NS1_11comp_targetILNS1_3genE4ELNS1_11target_archE910ELNS1_3gpuE8ELNS1_3repE0EEENS1_30default_config_static_selectorELNS0_4arch9wavefront6targetE1EEEvS14_, .Lfunc_end467-_ZN7rocprim17ROCPRIM_400000_NS6detail17trampoline_kernelINS0_14default_configENS1_22reduce_config_selectorIN6thrust23THRUST_200600_302600_NS5tupleIblNS6_9null_typeES8_S8_S8_S8_S8_S8_S8_EEEEZNS1_11reduce_implILb1ES3_NS6_12zip_iteratorINS7_INS6_11hip_rocprim26transform_input_iterator_tIbNSD_35transform_pair_of_input_iterators_tIbNS6_6detail15normal_iteratorINS6_10device_ptrIKyEEEESL_NS6_8equal_toIyEEEENSG_9not_fun_tINSD_8identityEEEEENSD_19counting_iterator_tIlEES8_S8_S8_S8_S8_S8_S8_S8_EEEEPS9_S9_NSD_9__find_if7functorIS9_EEEE10hipError_tPvRmT1_T2_T3_mT4_P12ihipStream_tbEUlT_E0_NS1_11comp_targetILNS1_3genE4ELNS1_11target_archE910ELNS1_3gpuE8ELNS1_3repE0EEENS1_30default_config_static_selectorELNS0_4arch9wavefront6targetE1EEEvS14_
                                        ; -- End function
	.set _ZN7rocprim17ROCPRIM_400000_NS6detail17trampoline_kernelINS0_14default_configENS1_22reduce_config_selectorIN6thrust23THRUST_200600_302600_NS5tupleIblNS6_9null_typeES8_S8_S8_S8_S8_S8_S8_EEEEZNS1_11reduce_implILb1ES3_NS6_12zip_iteratorINS7_INS6_11hip_rocprim26transform_input_iterator_tIbNSD_35transform_pair_of_input_iterators_tIbNS6_6detail15normal_iteratorINS6_10device_ptrIKyEEEESL_NS6_8equal_toIyEEEENSG_9not_fun_tINSD_8identityEEEEENSD_19counting_iterator_tIlEES8_S8_S8_S8_S8_S8_S8_S8_EEEEPS9_S9_NSD_9__find_if7functorIS9_EEEE10hipError_tPvRmT1_T2_T3_mT4_P12ihipStream_tbEUlT_E0_NS1_11comp_targetILNS1_3genE4ELNS1_11target_archE910ELNS1_3gpuE8ELNS1_3repE0EEENS1_30default_config_static_selectorELNS0_4arch9wavefront6targetE1EEEvS14_.num_vgpr, 0
	.set _ZN7rocprim17ROCPRIM_400000_NS6detail17trampoline_kernelINS0_14default_configENS1_22reduce_config_selectorIN6thrust23THRUST_200600_302600_NS5tupleIblNS6_9null_typeES8_S8_S8_S8_S8_S8_S8_EEEEZNS1_11reduce_implILb1ES3_NS6_12zip_iteratorINS7_INS6_11hip_rocprim26transform_input_iterator_tIbNSD_35transform_pair_of_input_iterators_tIbNS6_6detail15normal_iteratorINS6_10device_ptrIKyEEEESL_NS6_8equal_toIyEEEENSG_9not_fun_tINSD_8identityEEEEENSD_19counting_iterator_tIlEES8_S8_S8_S8_S8_S8_S8_S8_EEEEPS9_S9_NSD_9__find_if7functorIS9_EEEE10hipError_tPvRmT1_T2_T3_mT4_P12ihipStream_tbEUlT_E0_NS1_11comp_targetILNS1_3genE4ELNS1_11target_archE910ELNS1_3gpuE8ELNS1_3repE0EEENS1_30default_config_static_selectorELNS0_4arch9wavefront6targetE1EEEvS14_.num_agpr, 0
	.set _ZN7rocprim17ROCPRIM_400000_NS6detail17trampoline_kernelINS0_14default_configENS1_22reduce_config_selectorIN6thrust23THRUST_200600_302600_NS5tupleIblNS6_9null_typeES8_S8_S8_S8_S8_S8_S8_EEEEZNS1_11reduce_implILb1ES3_NS6_12zip_iteratorINS7_INS6_11hip_rocprim26transform_input_iterator_tIbNSD_35transform_pair_of_input_iterators_tIbNS6_6detail15normal_iteratorINS6_10device_ptrIKyEEEESL_NS6_8equal_toIyEEEENSG_9not_fun_tINSD_8identityEEEEENSD_19counting_iterator_tIlEES8_S8_S8_S8_S8_S8_S8_S8_EEEEPS9_S9_NSD_9__find_if7functorIS9_EEEE10hipError_tPvRmT1_T2_T3_mT4_P12ihipStream_tbEUlT_E0_NS1_11comp_targetILNS1_3genE4ELNS1_11target_archE910ELNS1_3gpuE8ELNS1_3repE0EEENS1_30default_config_static_selectorELNS0_4arch9wavefront6targetE1EEEvS14_.numbered_sgpr, 0
	.set _ZN7rocprim17ROCPRIM_400000_NS6detail17trampoline_kernelINS0_14default_configENS1_22reduce_config_selectorIN6thrust23THRUST_200600_302600_NS5tupleIblNS6_9null_typeES8_S8_S8_S8_S8_S8_S8_EEEEZNS1_11reduce_implILb1ES3_NS6_12zip_iteratorINS7_INS6_11hip_rocprim26transform_input_iterator_tIbNSD_35transform_pair_of_input_iterators_tIbNS6_6detail15normal_iteratorINS6_10device_ptrIKyEEEESL_NS6_8equal_toIyEEEENSG_9not_fun_tINSD_8identityEEEEENSD_19counting_iterator_tIlEES8_S8_S8_S8_S8_S8_S8_S8_EEEEPS9_S9_NSD_9__find_if7functorIS9_EEEE10hipError_tPvRmT1_T2_T3_mT4_P12ihipStream_tbEUlT_E0_NS1_11comp_targetILNS1_3genE4ELNS1_11target_archE910ELNS1_3gpuE8ELNS1_3repE0EEENS1_30default_config_static_selectorELNS0_4arch9wavefront6targetE1EEEvS14_.num_named_barrier, 0
	.set _ZN7rocprim17ROCPRIM_400000_NS6detail17trampoline_kernelINS0_14default_configENS1_22reduce_config_selectorIN6thrust23THRUST_200600_302600_NS5tupleIblNS6_9null_typeES8_S8_S8_S8_S8_S8_S8_EEEEZNS1_11reduce_implILb1ES3_NS6_12zip_iteratorINS7_INS6_11hip_rocprim26transform_input_iterator_tIbNSD_35transform_pair_of_input_iterators_tIbNS6_6detail15normal_iteratorINS6_10device_ptrIKyEEEESL_NS6_8equal_toIyEEEENSG_9not_fun_tINSD_8identityEEEEENSD_19counting_iterator_tIlEES8_S8_S8_S8_S8_S8_S8_S8_EEEEPS9_S9_NSD_9__find_if7functorIS9_EEEE10hipError_tPvRmT1_T2_T3_mT4_P12ihipStream_tbEUlT_E0_NS1_11comp_targetILNS1_3genE4ELNS1_11target_archE910ELNS1_3gpuE8ELNS1_3repE0EEENS1_30default_config_static_selectorELNS0_4arch9wavefront6targetE1EEEvS14_.private_seg_size, 0
	.set _ZN7rocprim17ROCPRIM_400000_NS6detail17trampoline_kernelINS0_14default_configENS1_22reduce_config_selectorIN6thrust23THRUST_200600_302600_NS5tupleIblNS6_9null_typeES8_S8_S8_S8_S8_S8_S8_EEEEZNS1_11reduce_implILb1ES3_NS6_12zip_iteratorINS7_INS6_11hip_rocprim26transform_input_iterator_tIbNSD_35transform_pair_of_input_iterators_tIbNS6_6detail15normal_iteratorINS6_10device_ptrIKyEEEESL_NS6_8equal_toIyEEEENSG_9not_fun_tINSD_8identityEEEEENSD_19counting_iterator_tIlEES8_S8_S8_S8_S8_S8_S8_S8_EEEEPS9_S9_NSD_9__find_if7functorIS9_EEEE10hipError_tPvRmT1_T2_T3_mT4_P12ihipStream_tbEUlT_E0_NS1_11comp_targetILNS1_3genE4ELNS1_11target_archE910ELNS1_3gpuE8ELNS1_3repE0EEENS1_30default_config_static_selectorELNS0_4arch9wavefront6targetE1EEEvS14_.uses_vcc, 0
	.set _ZN7rocprim17ROCPRIM_400000_NS6detail17trampoline_kernelINS0_14default_configENS1_22reduce_config_selectorIN6thrust23THRUST_200600_302600_NS5tupleIblNS6_9null_typeES8_S8_S8_S8_S8_S8_S8_EEEEZNS1_11reduce_implILb1ES3_NS6_12zip_iteratorINS7_INS6_11hip_rocprim26transform_input_iterator_tIbNSD_35transform_pair_of_input_iterators_tIbNS6_6detail15normal_iteratorINS6_10device_ptrIKyEEEESL_NS6_8equal_toIyEEEENSG_9not_fun_tINSD_8identityEEEEENSD_19counting_iterator_tIlEES8_S8_S8_S8_S8_S8_S8_S8_EEEEPS9_S9_NSD_9__find_if7functorIS9_EEEE10hipError_tPvRmT1_T2_T3_mT4_P12ihipStream_tbEUlT_E0_NS1_11comp_targetILNS1_3genE4ELNS1_11target_archE910ELNS1_3gpuE8ELNS1_3repE0EEENS1_30default_config_static_selectorELNS0_4arch9wavefront6targetE1EEEvS14_.uses_flat_scratch, 0
	.set _ZN7rocprim17ROCPRIM_400000_NS6detail17trampoline_kernelINS0_14default_configENS1_22reduce_config_selectorIN6thrust23THRUST_200600_302600_NS5tupleIblNS6_9null_typeES8_S8_S8_S8_S8_S8_S8_EEEEZNS1_11reduce_implILb1ES3_NS6_12zip_iteratorINS7_INS6_11hip_rocprim26transform_input_iterator_tIbNSD_35transform_pair_of_input_iterators_tIbNS6_6detail15normal_iteratorINS6_10device_ptrIKyEEEESL_NS6_8equal_toIyEEEENSG_9not_fun_tINSD_8identityEEEEENSD_19counting_iterator_tIlEES8_S8_S8_S8_S8_S8_S8_S8_EEEEPS9_S9_NSD_9__find_if7functorIS9_EEEE10hipError_tPvRmT1_T2_T3_mT4_P12ihipStream_tbEUlT_E0_NS1_11comp_targetILNS1_3genE4ELNS1_11target_archE910ELNS1_3gpuE8ELNS1_3repE0EEENS1_30default_config_static_selectorELNS0_4arch9wavefront6targetE1EEEvS14_.has_dyn_sized_stack, 0
	.set _ZN7rocprim17ROCPRIM_400000_NS6detail17trampoline_kernelINS0_14default_configENS1_22reduce_config_selectorIN6thrust23THRUST_200600_302600_NS5tupleIblNS6_9null_typeES8_S8_S8_S8_S8_S8_S8_EEEEZNS1_11reduce_implILb1ES3_NS6_12zip_iteratorINS7_INS6_11hip_rocprim26transform_input_iterator_tIbNSD_35transform_pair_of_input_iterators_tIbNS6_6detail15normal_iteratorINS6_10device_ptrIKyEEEESL_NS6_8equal_toIyEEEENSG_9not_fun_tINSD_8identityEEEEENSD_19counting_iterator_tIlEES8_S8_S8_S8_S8_S8_S8_S8_EEEEPS9_S9_NSD_9__find_if7functorIS9_EEEE10hipError_tPvRmT1_T2_T3_mT4_P12ihipStream_tbEUlT_E0_NS1_11comp_targetILNS1_3genE4ELNS1_11target_archE910ELNS1_3gpuE8ELNS1_3repE0EEENS1_30default_config_static_selectorELNS0_4arch9wavefront6targetE1EEEvS14_.has_recursion, 0
	.set _ZN7rocprim17ROCPRIM_400000_NS6detail17trampoline_kernelINS0_14default_configENS1_22reduce_config_selectorIN6thrust23THRUST_200600_302600_NS5tupleIblNS6_9null_typeES8_S8_S8_S8_S8_S8_S8_EEEEZNS1_11reduce_implILb1ES3_NS6_12zip_iteratorINS7_INS6_11hip_rocprim26transform_input_iterator_tIbNSD_35transform_pair_of_input_iterators_tIbNS6_6detail15normal_iteratorINS6_10device_ptrIKyEEEESL_NS6_8equal_toIyEEEENSG_9not_fun_tINSD_8identityEEEEENSD_19counting_iterator_tIlEES8_S8_S8_S8_S8_S8_S8_S8_EEEEPS9_S9_NSD_9__find_if7functorIS9_EEEE10hipError_tPvRmT1_T2_T3_mT4_P12ihipStream_tbEUlT_E0_NS1_11comp_targetILNS1_3genE4ELNS1_11target_archE910ELNS1_3gpuE8ELNS1_3repE0EEENS1_30default_config_static_selectorELNS0_4arch9wavefront6targetE1EEEvS14_.has_indirect_call, 0
	.section	.AMDGPU.csdata,"",@progbits
; Kernel info:
; codeLenInByte = 0
; TotalNumSgprs: 4
; NumVgprs: 0
; ScratchSize: 0
; MemoryBound: 0
; FloatMode: 240
; IeeeMode: 1
; LDSByteSize: 0 bytes/workgroup (compile time only)
; SGPRBlocks: 0
; VGPRBlocks: 0
; NumSGPRsForWavesPerEU: 4
; NumVGPRsForWavesPerEU: 1
; Occupancy: 10
; WaveLimiterHint : 0
; COMPUTE_PGM_RSRC2:SCRATCH_EN: 0
; COMPUTE_PGM_RSRC2:USER_SGPR: 6
; COMPUTE_PGM_RSRC2:TRAP_HANDLER: 0
; COMPUTE_PGM_RSRC2:TGID_X_EN: 1
; COMPUTE_PGM_RSRC2:TGID_Y_EN: 0
; COMPUTE_PGM_RSRC2:TGID_Z_EN: 0
; COMPUTE_PGM_RSRC2:TIDIG_COMP_CNT: 0
	.section	.text._ZN7rocprim17ROCPRIM_400000_NS6detail17trampoline_kernelINS0_14default_configENS1_22reduce_config_selectorIN6thrust23THRUST_200600_302600_NS5tupleIblNS6_9null_typeES8_S8_S8_S8_S8_S8_S8_EEEEZNS1_11reduce_implILb1ES3_NS6_12zip_iteratorINS7_INS6_11hip_rocprim26transform_input_iterator_tIbNSD_35transform_pair_of_input_iterators_tIbNS6_6detail15normal_iteratorINS6_10device_ptrIKyEEEESL_NS6_8equal_toIyEEEENSG_9not_fun_tINSD_8identityEEEEENSD_19counting_iterator_tIlEES8_S8_S8_S8_S8_S8_S8_S8_EEEEPS9_S9_NSD_9__find_if7functorIS9_EEEE10hipError_tPvRmT1_T2_T3_mT4_P12ihipStream_tbEUlT_E0_NS1_11comp_targetILNS1_3genE3ELNS1_11target_archE908ELNS1_3gpuE7ELNS1_3repE0EEENS1_30default_config_static_selectorELNS0_4arch9wavefront6targetE1EEEvS14_,"axG",@progbits,_ZN7rocprim17ROCPRIM_400000_NS6detail17trampoline_kernelINS0_14default_configENS1_22reduce_config_selectorIN6thrust23THRUST_200600_302600_NS5tupleIblNS6_9null_typeES8_S8_S8_S8_S8_S8_S8_EEEEZNS1_11reduce_implILb1ES3_NS6_12zip_iteratorINS7_INS6_11hip_rocprim26transform_input_iterator_tIbNSD_35transform_pair_of_input_iterators_tIbNS6_6detail15normal_iteratorINS6_10device_ptrIKyEEEESL_NS6_8equal_toIyEEEENSG_9not_fun_tINSD_8identityEEEEENSD_19counting_iterator_tIlEES8_S8_S8_S8_S8_S8_S8_S8_EEEEPS9_S9_NSD_9__find_if7functorIS9_EEEE10hipError_tPvRmT1_T2_T3_mT4_P12ihipStream_tbEUlT_E0_NS1_11comp_targetILNS1_3genE3ELNS1_11target_archE908ELNS1_3gpuE7ELNS1_3repE0EEENS1_30default_config_static_selectorELNS0_4arch9wavefront6targetE1EEEvS14_,comdat
	.protected	_ZN7rocprim17ROCPRIM_400000_NS6detail17trampoline_kernelINS0_14default_configENS1_22reduce_config_selectorIN6thrust23THRUST_200600_302600_NS5tupleIblNS6_9null_typeES8_S8_S8_S8_S8_S8_S8_EEEEZNS1_11reduce_implILb1ES3_NS6_12zip_iteratorINS7_INS6_11hip_rocprim26transform_input_iterator_tIbNSD_35transform_pair_of_input_iterators_tIbNS6_6detail15normal_iteratorINS6_10device_ptrIKyEEEESL_NS6_8equal_toIyEEEENSG_9not_fun_tINSD_8identityEEEEENSD_19counting_iterator_tIlEES8_S8_S8_S8_S8_S8_S8_S8_EEEEPS9_S9_NSD_9__find_if7functorIS9_EEEE10hipError_tPvRmT1_T2_T3_mT4_P12ihipStream_tbEUlT_E0_NS1_11comp_targetILNS1_3genE3ELNS1_11target_archE908ELNS1_3gpuE7ELNS1_3repE0EEENS1_30default_config_static_selectorELNS0_4arch9wavefront6targetE1EEEvS14_ ; -- Begin function _ZN7rocprim17ROCPRIM_400000_NS6detail17trampoline_kernelINS0_14default_configENS1_22reduce_config_selectorIN6thrust23THRUST_200600_302600_NS5tupleIblNS6_9null_typeES8_S8_S8_S8_S8_S8_S8_EEEEZNS1_11reduce_implILb1ES3_NS6_12zip_iteratorINS7_INS6_11hip_rocprim26transform_input_iterator_tIbNSD_35transform_pair_of_input_iterators_tIbNS6_6detail15normal_iteratorINS6_10device_ptrIKyEEEESL_NS6_8equal_toIyEEEENSG_9not_fun_tINSD_8identityEEEEENSD_19counting_iterator_tIlEES8_S8_S8_S8_S8_S8_S8_S8_EEEEPS9_S9_NSD_9__find_if7functorIS9_EEEE10hipError_tPvRmT1_T2_T3_mT4_P12ihipStream_tbEUlT_E0_NS1_11comp_targetILNS1_3genE3ELNS1_11target_archE908ELNS1_3gpuE7ELNS1_3repE0EEENS1_30default_config_static_selectorELNS0_4arch9wavefront6targetE1EEEvS14_
	.globl	_ZN7rocprim17ROCPRIM_400000_NS6detail17trampoline_kernelINS0_14default_configENS1_22reduce_config_selectorIN6thrust23THRUST_200600_302600_NS5tupleIblNS6_9null_typeES8_S8_S8_S8_S8_S8_S8_EEEEZNS1_11reduce_implILb1ES3_NS6_12zip_iteratorINS7_INS6_11hip_rocprim26transform_input_iterator_tIbNSD_35transform_pair_of_input_iterators_tIbNS6_6detail15normal_iteratorINS6_10device_ptrIKyEEEESL_NS6_8equal_toIyEEEENSG_9not_fun_tINSD_8identityEEEEENSD_19counting_iterator_tIlEES8_S8_S8_S8_S8_S8_S8_S8_EEEEPS9_S9_NSD_9__find_if7functorIS9_EEEE10hipError_tPvRmT1_T2_T3_mT4_P12ihipStream_tbEUlT_E0_NS1_11comp_targetILNS1_3genE3ELNS1_11target_archE908ELNS1_3gpuE7ELNS1_3repE0EEENS1_30default_config_static_selectorELNS0_4arch9wavefront6targetE1EEEvS14_
	.p2align	8
	.type	_ZN7rocprim17ROCPRIM_400000_NS6detail17trampoline_kernelINS0_14default_configENS1_22reduce_config_selectorIN6thrust23THRUST_200600_302600_NS5tupleIblNS6_9null_typeES8_S8_S8_S8_S8_S8_S8_EEEEZNS1_11reduce_implILb1ES3_NS6_12zip_iteratorINS7_INS6_11hip_rocprim26transform_input_iterator_tIbNSD_35transform_pair_of_input_iterators_tIbNS6_6detail15normal_iteratorINS6_10device_ptrIKyEEEESL_NS6_8equal_toIyEEEENSG_9not_fun_tINSD_8identityEEEEENSD_19counting_iterator_tIlEES8_S8_S8_S8_S8_S8_S8_S8_EEEEPS9_S9_NSD_9__find_if7functorIS9_EEEE10hipError_tPvRmT1_T2_T3_mT4_P12ihipStream_tbEUlT_E0_NS1_11comp_targetILNS1_3genE3ELNS1_11target_archE908ELNS1_3gpuE7ELNS1_3repE0EEENS1_30default_config_static_selectorELNS0_4arch9wavefront6targetE1EEEvS14_,@function
_ZN7rocprim17ROCPRIM_400000_NS6detail17trampoline_kernelINS0_14default_configENS1_22reduce_config_selectorIN6thrust23THRUST_200600_302600_NS5tupleIblNS6_9null_typeES8_S8_S8_S8_S8_S8_S8_EEEEZNS1_11reduce_implILb1ES3_NS6_12zip_iteratorINS7_INS6_11hip_rocprim26transform_input_iterator_tIbNSD_35transform_pair_of_input_iterators_tIbNS6_6detail15normal_iteratorINS6_10device_ptrIKyEEEESL_NS6_8equal_toIyEEEENSG_9not_fun_tINSD_8identityEEEEENSD_19counting_iterator_tIlEES8_S8_S8_S8_S8_S8_S8_S8_EEEEPS9_S9_NSD_9__find_if7functorIS9_EEEE10hipError_tPvRmT1_T2_T3_mT4_P12ihipStream_tbEUlT_E0_NS1_11comp_targetILNS1_3genE3ELNS1_11target_archE908ELNS1_3gpuE7ELNS1_3repE0EEENS1_30default_config_static_selectorELNS0_4arch9wavefront6targetE1EEEvS14_: ; @_ZN7rocprim17ROCPRIM_400000_NS6detail17trampoline_kernelINS0_14default_configENS1_22reduce_config_selectorIN6thrust23THRUST_200600_302600_NS5tupleIblNS6_9null_typeES8_S8_S8_S8_S8_S8_S8_EEEEZNS1_11reduce_implILb1ES3_NS6_12zip_iteratorINS7_INS6_11hip_rocprim26transform_input_iterator_tIbNSD_35transform_pair_of_input_iterators_tIbNS6_6detail15normal_iteratorINS6_10device_ptrIKyEEEESL_NS6_8equal_toIyEEEENSG_9not_fun_tINSD_8identityEEEEENSD_19counting_iterator_tIlEES8_S8_S8_S8_S8_S8_S8_S8_EEEEPS9_S9_NSD_9__find_if7functorIS9_EEEE10hipError_tPvRmT1_T2_T3_mT4_P12ihipStream_tbEUlT_E0_NS1_11comp_targetILNS1_3genE3ELNS1_11target_archE908ELNS1_3gpuE7ELNS1_3repE0EEENS1_30default_config_static_selectorELNS0_4arch9wavefront6targetE1EEEvS14_
; %bb.0:
	.section	.rodata,"a",@progbits
	.p2align	6, 0x0
	.amdhsa_kernel _ZN7rocprim17ROCPRIM_400000_NS6detail17trampoline_kernelINS0_14default_configENS1_22reduce_config_selectorIN6thrust23THRUST_200600_302600_NS5tupleIblNS6_9null_typeES8_S8_S8_S8_S8_S8_S8_EEEEZNS1_11reduce_implILb1ES3_NS6_12zip_iteratorINS7_INS6_11hip_rocprim26transform_input_iterator_tIbNSD_35transform_pair_of_input_iterators_tIbNS6_6detail15normal_iteratorINS6_10device_ptrIKyEEEESL_NS6_8equal_toIyEEEENSG_9not_fun_tINSD_8identityEEEEENSD_19counting_iterator_tIlEES8_S8_S8_S8_S8_S8_S8_S8_EEEEPS9_S9_NSD_9__find_if7functorIS9_EEEE10hipError_tPvRmT1_T2_T3_mT4_P12ihipStream_tbEUlT_E0_NS1_11comp_targetILNS1_3genE3ELNS1_11target_archE908ELNS1_3gpuE7ELNS1_3repE0EEENS1_30default_config_static_selectorELNS0_4arch9wavefront6targetE1EEEvS14_
		.amdhsa_group_segment_fixed_size 0
		.amdhsa_private_segment_fixed_size 0
		.amdhsa_kernarg_size 104
		.amdhsa_user_sgpr_count 6
		.amdhsa_user_sgpr_private_segment_buffer 1
		.amdhsa_user_sgpr_dispatch_ptr 0
		.amdhsa_user_sgpr_queue_ptr 0
		.amdhsa_user_sgpr_kernarg_segment_ptr 1
		.amdhsa_user_sgpr_dispatch_id 0
		.amdhsa_user_sgpr_flat_scratch_init 0
		.amdhsa_user_sgpr_private_segment_size 0
		.amdhsa_uses_dynamic_stack 0
		.amdhsa_system_sgpr_private_segment_wavefront_offset 0
		.amdhsa_system_sgpr_workgroup_id_x 1
		.amdhsa_system_sgpr_workgroup_id_y 0
		.amdhsa_system_sgpr_workgroup_id_z 0
		.amdhsa_system_sgpr_workgroup_info 0
		.amdhsa_system_vgpr_workitem_id 0
		.amdhsa_next_free_vgpr 1
		.amdhsa_next_free_sgpr 0
		.amdhsa_reserve_vcc 0
		.amdhsa_reserve_flat_scratch 0
		.amdhsa_float_round_mode_32 0
		.amdhsa_float_round_mode_16_64 0
		.amdhsa_float_denorm_mode_32 3
		.amdhsa_float_denorm_mode_16_64 3
		.amdhsa_dx10_clamp 1
		.amdhsa_ieee_mode 1
		.amdhsa_fp16_overflow 0
		.amdhsa_exception_fp_ieee_invalid_op 0
		.amdhsa_exception_fp_denorm_src 0
		.amdhsa_exception_fp_ieee_div_zero 0
		.amdhsa_exception_fp_ieee_overflow 0
		.amdhsa_exception_fp_ieee_underflow 0
		.amdhsa_exception_fp_ieee_inexact 0
		.amdhsa_exception_int_div_zero 0
	.end_amdhsa_kernel
	.section	.text._ZN7rocprim17ROCPRIM_400000_NS6detail17trampoline_kernelINS0_14default_configENS1_22reduce_config_selectorIN6thrust23THRUST_200600_302600_NS5tupleIblNS6_9null_typeES8_S8_S8_S8_S8_S8_S8_EEEEZNS1_11reduce_implILb1ES3_NS6_12zip_iteratorINS7_INS6_11hip_rocprim26transform_input_iterator_tIbNSD_35transform_pair_of_input_iterators_tIbNS6_6detail15normal_iteratorINS6_10device_ptrIKyEEEESL_NS6_8equal_toIyEEEENSG_9not_fun_tINSD_8identityEEEEENSD_19counting_iterator_tIlEES8_S8_S8_S8_S8_S8_S8_S8_EEEEPS9_S9_NSD_9__find_if7functorIS9_EEEE10hipError_tPvRmT1_T2_T3_mT4_P12ihipStream_tbEUlT_E0_NS1_11comp_targetILNS1_3genE3ELNS1_11target_archE908ELNS1_3gpuE7ELNS1_3repE0EEENS1_30default_config_static_selectorELNS0_4arch9wavefront6targetE1EEEvS14_,"axG",@progbits,_ZN7rocprim17ROCPRIM_400000_NS6detail17trampoline_kernelINS0_14default_configENS1_22reduce_config_selectorIN6thrust23THRUST_200600_302600_NS5tupleIblNS6_9null_typeES8_S8_S8_S8_S8_S8_S8_EEEEZNS1_11reduce_implILb1ES3_NS6_12zip_iteratorINS7_INS6_11hip_rocprim26transform_input_iterator_tIbNSD_35transform_pair_of_input_iterators_tIbNS6_6detail15normal_iteratorINS6_10device_ptrIKyEEEESL_NS6_8equal_toIyEEEENSG_9not_fun_tINSD_8identityEEEEENSD_19counting_iterator_tIlEES8_S8_S8_S8_S8_S8_S8_S8_EEEEPS9_S9_NSD_9__find_if7functorIS9_EEEE10hipError_tPvRmT1_T2_T3_mT4_P12ihipStream_tbEUlT_E0_NS1_11comp_targetILNS1_3genE3ELNS1_11target_archE908ELNS1_3gpuE7ELNS1_3repE0EEENS1_30default_config_static_selectorELNS0_4arch9wavefront6targetE1EEEvS14_,comdat
.Lfunc_end468:
	.size	_ZN7rocprim17ROCPRIM_400000_NS6detail17trampoline_kernelINS0_14default_configENS1_22reduce_config_selectorIN6thrust23THRUST_200600_302600_NS5tupleIblNS6_9null_typeES8_S8_S8_S8_S8_S8_S8_EEEEZNS1_11reduce_implILb1ES3_NS6_12zip_iteratorINS7_INS6_11hip_rocprim26transform_input_iterator_tIbNSD_35transform_pair_of_input_iterators_tIbNS6_6detail15normal_iteratorINS6_10device_ptrIKyEEEESL_NS6_8equal_toIyEEEENSG_9not_fun_tINSD_8identityEEEEENSD_19counting_iterator_tIlEES8_S8_S8_S8_S8_S8_S8_S8_EEEEPS9_S9_NSD_9__find_if7functorIS9_EEEE10hipError_tPvRmT1_T2_T3_mT4_P12ihipStream_tbEUlT_E0_NS1_11comp_targetILNS1_3genE3ELNS1_11target_archE908ELNS1_3gpuE7ELNS1_3repE0EEENS1_30default_config_static_selectorELNS0_4arch9wavefront6targetE1EEEvS14_, .Lfunc_end468-_ZN7rocprim17ROCPRIM_400000_NS6detail17trampoline_kernelINS0_14default_configENS1_22reduce_config_selectorIN6thrust23THRUST_200600_302600_NS5tupleIblNS6_9null_typeES8_S8_S8_S8_S8_S8_S8_EEEEZNS1_11reduce_implILb1ES3_NS6_12zip_iteratorINS7_INS6_11hip_rocprim26transform_input_iterator_tIbNSD_35transform_pair_of_input_iterators_tIbNS6_6detail15normal_iteratorINS6_10device_ptrIKyEEEESL_NS6_8equal_toIyEEEENSG_9not_fun_tINSD_8identityEEEEENSD_19counting_iterator_tIlEES8_S8_S8_S8_S8_S8_S8_S8_EEEEPS9_S9_NSD_9__find_if7functorIS9_EEEE10hipError_tPvRmT1_T2_T3_mT4_P12ihipStream_tbEUlT_E0_NS1_11comp_targetILNS1_3genE3ELNS1_11target_archE908ELNS1_3gpuE7ELNS1_3repE0EEENS1_30default_config_static_selectorELNS0_4arch9wavefront6targetE1EEEvS14_
                                        ; -- End function
	.set _ZN7rocprim17ROCPRIM_400000_NS6detail17trampoline_kernelINS0_14default_configENS1_22reduce_config_selectorIN6thrust23THRUST_200600_302600_NS5tupleIblNS6_9null_typeES8_S8_S8_S8_S8_S8_S8_EEEEZNS1_11reduce_implILb1ES3_NS6_12zip_iteratorINS7_INS6_11hip_rocprim26transform_input_iterator_tIbNSD_35transform_pair_of_input_iterators_tIbNS6_6detail15normal_iteratorINS6_10device_ptrIKyEEEESL_NS6_8equal_toIyEEEENSG_9not_fun_tINSD_8identityEEEEENSD_19counting_iterator_tIlEES8_S8_S8_S8_S8_S8_S8_S8_EEEEPS9_S9_NSD_9__find_if7functorIS9_EEEE10hipError_tPvRmT1_T2_T3_mT4_P12ihipStream_tbEUlT_E0_NS1_11comp_targetILNS1_3genE3ELNS1_11target_archE908ELNS1_3gpuE7ELNS1_3repE0EEENS1_30default_config_static_selectorELNS0_4arch9wavefront6targetE1EEEvS14_.num_vgpr, 0
	.set _ZN7rocprim17ROCPRIM_400000_NS6detail17trampoline_kernelINS0_14default_configENS1_22reduce_config_selectorIN6thrust23THRUST_200600_302600_NS5tupleIblNS6_9null_typeES8_S8_S8_S8_S8_S8_S8_EEEEZNS1_11reduce_implILb1ES3_NS6_12zip_iteratorINS7_INS6_11hip_rocprim26transform_input_iterator_tIbNSD_35transform_pair_of_input_iterators_tIbNS6_6detail15normal_iteratorINS6_10device_ptrIKyEEEESL_NS6_8equal_toIyEEEENSG_9not_fun_tINSD_8identityEEEEENSD_19counting_iterator_tIlEES8_S8_S8_S8_S8_S8_S8_S8_EEEEPS9_S9_NSD_9__find_if7functorIS9_EEEE10hipError_tPvRmT1_T2_T3_mT4_P12ihipStream_tbEUlT_E0_NS1_11comp_targetILNS1_3genE3ELNS1_11target_archE908ELNS1_3gpuE7ELNS1_3repE0EEENS1_30default_config_static_selectorELNS0_4arch9wavefront6targetE1EEEvS14_.num_agpr, 0
	.set _ZN7rocprim17ROCPRIM_400000_NS6detail17trampoline_kernelINS0_14default_configENS1_22reduce_config_selectorIN6thrust23THRUST_200600_302600_NS5tupleIblNS6_9null_typeES8_S8_S8_S8_S8_S8_S8_EEEEZNS1_11reduce_implILb1ES3_NS6_12zip_iteratorINS7_INS6_11hip_rocprim26transform_input_iterator_tIbNSD_35transform_pair_of_input_iterators_tIbNS6_6detail15normal_iteratorINS6_10device_ptrIKyEEEESL_NS6_8equal_toIyEEEENSG_9not_fun_tINSD_8identityEEEEENSD_19counting_iterator_tIlEES8_S8_S8_S8_S8_S8_S8_S8_EEEEPS9_S9_NSD_9__find_if7functorIS9_EEEE10hipError_tPvRmT1_T2_T3_mT4_P12ihipStream_tbEUlT_E0_NS1_11comp_targetILNS1_3genE3ELNS1_11target_archE908ELNS1_3gpuE7ELNS1_3repE0EEENS1_30default_config_static_selectorELNS0_4arch9wavefront6targetE1EEEvS14_.numbered_sgpr, 0
	.set _ZN7rocprim17ROCPRIM_400000_NS6detail17trampoline_kernelINS0_14default_configENS1_22reduce_config_selectorIN6thrust23THRUST_200600_302600_NS5tupleIblNS6_9null_typeES8_S8_S8_S8_S8_S8_S8_EEEEZNS1_11reduce_implILb1ES3_NS6_12zip_iteratorINS7_INS6_11hip_rocprim26transform_input_iterator_tIbNSD_35transform_pair_of_input_iterators_tIbNS6_6detail15normal_iteratorINS6_10device_ptrIKyEEEESL_NS6_8equal_toIyEEEENSG_9not_fun_tINSD_8identityEEEEENSD_19counting_iterator_tIlEES8_S8_S8_S8_S8_S8_S8_S8_EEEEPS9_S9_NSD_9__find_if7functorIS9_EEEE10hipError_tPvRmT1_T2_T3_mT4_P12ihipStream_tbEUlT_E0_NS1_11comp_targetILNS1_3genE3ELNS1_11target_archE908ELNS1_3gpuE7ELNS1_3repE0EEENS1_30default_config_static_selectorELNS0_4arch9wavefront6targetE1EEEvS14_.num_named_barrier, 0
	.set _ZN7rocprim17ROCPRIM_400000_NS6detail17trampoline_kernelINS0_14default_configENS1_22reduce_config_selectorIN6thrust23THRUST_200600_302600_NS5tupleIblNS6_9null_typeES8_S8_S8_S8_S8_S8_S8_EEEEZNS1_11reduce_implILb1ES3_NS6_12zip_iteratorINS7_INS6_11hip_rocprim26transform_input_iterator_tIbNSD_35transform_pair_of_input_iterators_tIbNS6_6detail15normal_iteratorINS6_10device_ptrIKyEEEESL_NS6_8equal_toIyEEEENSG_9not_fun_tINSD_8identityEEEEENSD_19counting_iterator_tIlEES8_S8_S8_S8_S8_S8_S8_S8_EEEEPS9_S9_NSD_9__find_if7functorIS9_EEEE10hipError_tPvRmT1_T2_T3_mT4_P12ihipStream_tbEUlT_E0_NS1_11comp_targetILNS1_3genE3ELNS1_11target_archE908ELNS1_3gpuE7ELNS1_3repE0EEENS1_30default_config_static_selectorELNS0_4arch9wavefront6targetE1EEEvS14_.private_seg_size, 0
	.set _ZN7rocprim17ROCPRIM_400000_NS6detail17trampoline_kernelINS0_14default_configENS1_22reduce_config_selectorIN6thrust23THRUST_200600_302600_NS5tupleIblNS6_9null_typeES8_S8_S8_S8_S8_S8_S8_EEEEZNS1_11reduce_implILb1ES3_NS6_12zip_iteratorINS7_INS6_11hip_rocprim26transform_input_iterator_tIbNSD_35transform_pair_of_input_iterators_tIbNS6_6detail15normal_iteratorINS6_10device_ptrIKyEEEESL_NS6_8equal_toIyEEEENSG_9not_fun_tINSD_8identityEEEEENSD_19counting_iterator_tIlEES8_S8_S8_S8_S8_S8_S8_S8_EEEEPS9_S9_NSD_9__find_if7functorIS9_EEEE10hipError_tPvRmT1_T2_T3_mT4_P12ihipStream_tbEUlT_E0_NS1_11comp_targetILNS1_3genE3ELNS1_11target_archE908ELNS1_3gpuE7ELNS1_3repE0EEENS1_30default_config_static_selectorELNS0_4arch9wavefront6targetE1EEEvS14_.uses_vcc, 0
	.set _ZN7rocprim17ROCPRIM_400000_NS6detail17trampoline_kernelINS0_14default_configENS1_22reduce_config_selectorIN6thrust23THRUST_200600_302600_NS5tupleIblNS6_9null_typeES8_S8_S8_S8_S8_S8_S8_EEEEZNS1_11reduce_implILb1ES3_NS6_12zip_iteratorINS7_INS6_11hip_rocprim26transform_input_iterator_tIbNSD_35transform_pair_of_input_iterators_tIbNS6_6detail15normal_iteratorINS6_10device_ptrIKyEEEESL_NS6_8equal_toIyEEEENSG_9not_fun_tINSD_8identityEEEEENSD_19counting_iterator_tIlEES8_S8_S8_S8_S8_S8_S8_S8_EEEEPS9_S9_NSD_9__find_if7functorIS9_EEEE10hipError_tPvRmT1_T2_T3_mT4_P12ihipStream_tbEUlT_E0_NS1_11comp_targetILNS1_3genE3ELNS1_11target_archE908ELNS1_3gpuE7ELNS1_3repE0EEENS1_30default_config_static_selectorELNS0_4arch9wavefront6targetE1EEEvS14_.uses_flat_scratch, 0
	.set _ZN7rocprim17ROCPRIM_400000_NS6detail17trampoline_kernelINS0_14default_configENS1_22reduce_config_selectorIN6thrust23THRUST_200600_302600_NS5tupleIblNS6_9null_typeES8_S8_S8_S8_S8_S8_S8_EEEEZNS1_11reduce_implILb1ES3_NS6_12zip_iteratorINS7_INS6_11hip_rocprim26transform_input_iterator_tIbNSD_35transform_pair_of_input_iterators_tIbNS6_6detail15normal_iteratorINS6_10device_ptrIKyEEEESL_NS6_8equal_toIyEEEENSG_9not_fun_tINSD_8identityEEEEENSD_19counting_iterator_tIlEES8_S8_S8_S8_S8_S8_S8_S8_EEEEPS9_S9_NSD_9__find_if7functorIS9_EEEE10hipError_tPvRmT1_T2_T3_mT4_P12ihipStream_tbEUlT_E0_NS1_11comp_targetILNS1_3genE3ELNS1_11target_archE908ELNS1_3gpuE7ELNS1_3repE0EEENS1_30default_config_static_selectorELNS0_4arch9wavefront6targetE1EEEvS14_.has_dyn_sized_stack, 0
	.set _ZN7rocprim17ROCPRIM_400000_NS6detail17trampoline_kernelINS0_14default_configENS1_22reduce_config_selectorIN6thrust23THRUST_200600_302600_NS5tupleIblNS6_9null_typeES8_S8_S8_S8_S8_S8_S8_EEEEZNS1_11reduce_implILb1ES3_NS6_12zip_iteratorINS7_INS6_11hip_rocprim26transform_input_iterator_tIbNSD_35transform_pair_of_input_iterators_tIbNS6_6detail15normal_iteratorINS6_10device_ptrIKyEEEESL_NS6_8equal_toIyEEEENSG_9not_fun_tINSD_8identityEEEEENSD_19counting_iterator_tIlEES8_S8_S8_S8_S8_S8_S8_S8_EEEEPS9_S9_NSD_9__find_if7functorIS9_EEEE10hipError_tPvRmT1_T2_T3_mT4_P12ihipStream_tbEUlT_E0_NS1_11comp_targetILNS1_3genE3ELNS1_11target_archE908ELNS1_3gpuE7ELNS1_3repE0EEENS1_30default_config_static_selectorELNS0_4arch9wavefront6targetE1EEEvS14_.has_recursion, 0
	.set _ZN7rocprim17ROCPRIM_400000_NS6detail17trampoline_kernelINS0_14default_configENS1_22reduce_config_selectorIN6thrust23THRUST_200600_302600_NS5tupleIblNS6_9null_typeES8_S8_S8_S8_S8_S8_S8_EEEEZNS1_11reduce_implILb1ES3_NS6_12zip_iteratorINS7_INS6_11hip_rocprim26transform_input_iterator_tIbNSD_35transform_pair_of_input_iterators_tIbNS6_6detail15normal_iteratorINS6_10device_ptrIKyEEEESL_NS6_8equal_toIyEEEENSG_9not_fun_tINSD_8identityEEEEENSD_19counting_iterator_tIlEES8_S8_S8_S8_S8_S8_S8_S8_EEEEPS9_S9_NSD_9__find_if7functorIS9_EEEE10hipError_tPvRmT1_T2_T3_mT4_P12ihipStream_tbEUlT_E0_NS1_11comp_targetILNS1_3genE3ELNS1_11target_archE908ELNS1_3gpuE7ELNS1_3repE0EEENS1_30default_config_static_selectorELNS0_4arch9wavefront6targetE1EEEvS14_.has_indirect_call, 0
	.section	.AMDGPU.csdata,"",@progbits
; Kernel info:
; codeLenInByte = 0
; TotalNumSgprs: 4
; NumVgprs: 0
; ScratchSize: 0
; MemoryBound: 0
; FloatMode: 240
; IeeeMode: 1
; LDSByteSize: 0 bytes/workgroup (compile time only)
; SGPRBlocks: 0
; VGPRBlocks: 0
; NumSGPRsForWavesPerEU: 4
; NumVGPRsForWavesPerEU: 1
; Occupancy: 10
; WaveLimiterHint : 0
; COMPUTE_PGM_RSRC2:SCRATCH_EN: 0
; COMPUTE_PGM_RSRC2:USER_SGPR: 6
; COMPUTE_PGM_RSRC2:TRAP_HANDLER: 0
; COMPUTE_PGM_RSRC2:TGID_X_EN: 1
; COMPUTE_PGM_RSRC2:TGID_Y_EN: 0
; COMPUTE_PGM_RSRC2:TGID_Z_EN: 0
; COMPUTE_PGM_RSRC2:TIDIG_COMP_CNT: 0
	.section	.text._ZN7rocprim17ROCPRIM_400000_NS6detail17trampoline_kernelINS0_14default_configENS1_22reduce_config_selectorIN6thrust23THRUST_200600_302600_NS5tupleIblNS6_9null_typeES8_S8_S8_S8_S8_S8_S8_EEEEZNS1_11reduce_implILb1ES3_NS6_12zip_iteratorINS7_INS6_11hip_rocprim26transform_input_iterator_tIbNSD_35transform_pair_of_input_iterators_tIbNS6_6detail15normal_iteratorINS6_10device_ptrIKyEEEESL_NS6_8equal_toIyEEEENSG_9not_fun_tINSD_8identityEEEEENSD_19counting_iterator_tIlEES8_S8_S8_S8_S8_S8_S8_S8_EEEEPS9_S9_NSD_9__find_if7functorIS9_EEEE10hipError_tPvRmT1_T2_T3_mT4_P12ihipStream_tbEUlT_E0_NS1_11comp_targetILNS1_3genE2ELNS1_11target_archE906ELNS1_3gpuE6ELNS1_3repE0EEENS1_30default_config_static_selectorELNS0_4arch9wavefront6targetE1EEEvS14_,"axG",@progbits,_ZN7rocprim17ROCPRIM_400000_NS6detail17trampoline_kernelINS0_14default_configENS1_22reduce_config_selectorIN6thrust23THRUST_200600_302600_NS5tupleIblNS6_9null_typeES8_S8_S8_S8_S8_S8_S8_EEEEZNS1_11reduce_implILb1ES3_NS6_12zip_iteratorINS7_INS6_11hip_rocprim26transform_input_iterator_tIbNSD_35transform_pair_of_input_iterators_tIbNS6_6detail15normal_iteratorINS6_10device_ptrIKyEEEESL_NS6_8equal_toIyEEEENSG_9not_fun_tINSD_8identityEEEEENSD_19counting_iterator_tIlEES8_S8_S8_S8_S8_S8_S8_S8_EEEEPS9_S9_NSD_9__find_if7functorIS9_EEEE10hipError_tPvRmT1_T2_T3_mT4_P12ihipStream_tbEUlT_E0_NS1_11comp_targetILNS1_3genE2ELNS1_11target_archE906ELNS1_3gpuE6ELNS1_3repE0EEENS1_30default_config_static_selectorELNS0_4arch9wavefront6targetE1EEEvS14_,comdat
	.protected	_ZN7rocprim17ROCPRIM_400000_NS6detail17trampoline_kernelINS0_14default_configENS1_22reduce_config_selectorIN6thrust23THRUST_200600_302600_NS5tupleIblNS6_9null_typeES8_S8_S8_S8_S8_S8_S8_EEEEZNS1_11reduce_implILb1ES3_NS6_12zip_iteratorINS7_INS6_11hip_rocprim26transform_input_iterator_tIbNSD_35transform_pair_of_input_iterators_tIbNS6_6detail15normal_iteratorINS6_10device_ptrIKyEEEESL_NS6_8equal_toIyEEEENSG_9not_fun_tINSD_8identityEEEEENSD_19counting_iterator_tIlEES8_S8_S8_S8_S8_S8_S8_S8_EEEEPS9_S9_NSD_9__find_if7functorIS9_EEEE10hipError_tPvRmT1_T2_T3_mT4_P12ihipStream_tbEUlT_E0_NS1_11comp_targetILNS1_3genE2ELNS1_11target_archE906ELNS1_3gpuE6ELNS1_3repE0EEENS1_30default_config_static_selectorELNS0_4arch9wavefront6targetE1EEEvS14_ ; -- Begin function _ZN7rocprim17ROCPRIM_400000_NS6detail17trampoline_kernelINS0_14default_configENS1_22reduce_config_selectorIN6thrust23THRUST_200600_302600_NS5tupleIblNS6_9null_typeES8_S8_S8_S8_S8_S8_S8_EEEEZNS1_11reduce_implILb1ES3_NS6_12zip_iteratorINS7_INS6_11hip_rocprim26transform_input_iterator_tIbNSD_35transform_pair_of_input_iterators_tIbNS6_6detail15normal_iteratorINS6_10device_ptrIKyEEEESL_NS6_8equal_toIyEEEENSG_9not_fun_tINSD_8identityEEEEENSD_19counting_iterator_tIlEES8_S8_S8_S8_S8_S8_S8_S8_EEEEPS9_S9_NSD_9__find_if7functorIS9_EEEE10hipError_tPvRmT1_T2_T3_mT4_P12ihipStream_tbEUlT_E0_NS1_11comp_targetILNS1_3genE2ELNS1_11target_archE906ELNS1_3gpuE6ELNS1_3repE0EEENS1_30default_config_static_selectorELNS0_4arch9wavefront6targetE1EEEvS14_
	.globl	_ZN7rocprim17ROCPRIM_400000_NS6detail17trampoline_kernelINS0_14default_configENS1_22reduce_config_selectorIN6thrust23THRUST_200600_302600_NS5tupleIblNS6_9null_typeES8_S8_S8_S8_S8_S8_S8_EEEEZNS1_11reduce_implILb1ES3_NS6_12zip_iteratorINS7_INS6_11hip_rocprim26transform_input_iterator_tIbNSD_35transform_pair_of_input_iterators_tIbNS6_6detail15normal_iteratorINS6_10device_ptrIKyEEEESL_NS6_8equal_toIyEEEENSG_9not_fun_tINSD_8identityEEEEENSD_19counting_iterator_tIlEES8_S8_S8_S8_S8_S8_S8_S8_EEEEPS9_S9_NSD_9__find_if7functorIS9_EEEE10hipError_tPvRmT1_T2_T3_mT4_P12ihipStream_tbEUlT_E0_NS1_11comp_targetILNS1_3genE2ELNS1_11target_archE906ELNS1_3gpuE6ELNS1_3repE0EEENS1_30default_config_static_selectorELNS0_4arch9wavefront6targetE1EEEvS14_
	.p2align	8
	.type	_ZN7rocprim17ROCPRIM_400000_NS6detail17trampoline_kernelINS0_14default_configENS1_22reduce_config_selectorIN6thrust23THRUST_200600_302600_NS5tupleIblNS6_9null_typeES8_S8_S8_S8_S8_S8_S8_EEEEZNS1_11reduce_implILb1ES3_NS6_12zip_iteratorINS7_INS6_11hip_rocprim26transform_input_iterator_tIbNSD_35transform_pair_of_input_iterators_tIbNS6_6detail15normal_iteratorINS6_10device_ptrIKyEEEESL_NS6_8equal_toIyEEEENSG_9not_fun_tINSD_8identityEEEEENSD_19counting_iterator_tIlEES8_S8_S8_S8_S8_S8_S8_S8_EEEEPS9_S9_NSD_9__find_if7functorIS9_EEEE10hipError_tPvRmT1_T2_T3_mT4_P12ihipStream_tbEUlT_E0_NS1_11comp_targetILNS1_3genE2ELNS1_11target_archE906ELNS1_3gpuE6ELNS1_3repE0EEENS1_30default_config_static_selectorELNS0_4arch9wavefront6targetE1EEEvS14_,@function
_ZN7rocprim17ROCPRIM_400000_NS6detail17trampoline_kernelINS0_14default_configENS1_22reduce_config_selectorIN6thrust23THRUST_200600_302600_NS5tupleIblNS6_9null_typeES8_S8_S8_S8_S8_S8_S8_EEEEZNS1_11reduce_implILb1ES3_NS6_12zip_iteratorINS7_INS6_11hip_rocprim26transform_input_iterator_tIbNSD_35transform_pair_of_input_iterators_tIbNS6_6detail15normal_iteratorINS6_10device_ptrIKyEEEESL_NS6_8equal_toIyEEEENSG_9not_fun_tINSD_8identityEEEEENSD_19counting_iterator_tIlEES8_S8_S8_S8_S8_S8_S8_S8_EEEEPS9_S9_NSD_9__find_if7functorIS9_EEEE10hipError_tPvRmT1_T2_T3_mT4_P12ihipStream_tbEUlT_E0_NS1_11comp_targetILNS1_3genE2ELNS1_11target_archE906ELNS1_3gpuE6ELNS1_3repE0EEENS1_30default_config_static_selectorELNS0_4arch9wavefront6targetE1EEEvS14_: ; @_ZN7rocprim17ROCPRIM_400000_NS6detail17trampoline_kernelINS0_14default_configENS1_22reduce_config_selectorIN6thrust23THRUST_200600_302600_NS5tupleIblNS6_9null_typeES8_S8_S8_S8_S8_S8_S8_EEEEZNS1_11reduce_implILb1ES3_NS6_12zip_iteratorINS7_INS6_11hip_rocprim26transform_input_iterator_tIbNSD_35transform_pair_of_input_iterators_tIbNS6_6detail15normal_iteratorINS6_10device_ptrIKyEEEESL_NS6_8equal_toIyEEEENSG_9not_fun_tINSD_8identityEEEEENSD_19counting_iterator_tIlEES8_S8_S8_S8_S8_S8_S8_S8_EEEEPS9_S9_NSD_9__find_if7functorIS9_EEEE10hipError_tPvRmT1_T2_T3_mT4_P12ihipStream_tbEUlT_E0_NS1_11comp_targetILNS1_3genE2ELNS1_11target_archE906ELNS1_3gpuE6ELNS1_3repE0EEENS1_30default_config_static_selectorELNS0_4arch9wavefront6targetE1EEEvS14_
; %bb.0:
	s_load_dwordx8 s[12:19], s[4:5], 0x20
	s_load_dwordx4 s[0:3], s[4:5], 0x0
	s_load_dwordx4 s[20:23], s[4:5], 0x40
	s_mov_b32 s29, 0
	s_mov_b32 s7, s29
	s_waitcnt lgkmcnt(0)
	s_lshl_b64 s[8:9], s[14:15], 3
	s_add_u32 s10, s0, s8
	s_addc_u32 s11, s1, s9
	s_add_u32 s8, s2, s8
	s_addc_u32 s9, s3, s9
	s_lshl_b32 s28, s6, 8
	s_lshr_b64 s[0:1], s[16:17], 8
	s_lshl_b64 s[2:3], s[28:29], 3
	s_add_u32 s24, s10, s2
	s_addc_u32 s25, s11, s3
	s_add_u32 s26, s8, s2
	s_addc_u32 s27, s9, s3
	;; [unrolled: 2-line block ×4, first 2 shown]
	s_cmp_lg_u64 s[0:1], s[6:7]
	v_lshlrev_b32_e32 v9, 3, v0
	v_mbcnt_lo_u32_b32 v8, -1, 0
	s_cbranch_scc0 .LBB469_10
; %bb.1:
	global_load_dwordx2 v[1:2], v9, s[26:27]
	global_load_dwordx2 v[6:7], v9, s[26:27] offset:1024
	global_load_dwordx2 v[10:11], v9, s[24:25] offset:1024
	global_load_dwordx2 v[12:13], v9, s[24:25]
	v_mov_b32_e32 v4, s15
	v_add_co_u32_e32 v14, vcc, s14, v0
	v_addc_co_u32_e32 v4, vcc, 0, v4, vcc
	v_add_co_u32_e32 v15, vcc, 0x80, v14
	v_addc_co_u32_e32 v16, vcc, 0, v4, vcc
	v_mbcnt_hi_u32_b32 v3, -1, v8
	v_lshlrev_b32_e32 v5, 2, v3
	v_or_b32_e32 v17, 0xfc, v5
	s_waitcnt vmcnt(1)
	v_cmp_ne_u64_e32 vcc, v[10:11], v[6:7]
	s_waitcnt vmcnt(0)
	v_cmp_ne_u64_e64 s[0:1], v[12:13], v[1:2]
	v_cndmask_b32_e64 v2, v16, v4, s[0:1]
	v_cndmask_b32_e64 v1, v15, v14, s[0:1]
	s_nop 0
	v_mov_b32_dpp v7, v2 quad_perm:[1,0,3,2] row_mask:0xf bank_mask:0xf bound_ctrl:1
	s_or_b64 s[0:1], s[0:1], vcc
	v_mov_b32_dpp v6, v1 quad_perm:[1,0,3,2] row_mask:0xf bank_mask:0xf bound_ctrl:1
	v_cndmask_b32_e64 v4, 0, 1, s[0:1]
	v_cmp_lt_i64_e32 vcc, v[1:2], v[6:7]
	s_and_b64 vcc, s[0:1], vcc
	v_mov_b32_dpp v10, v4 quad_perm:[1,0,3,2] row_mask:0xf bank_mask:0xf bound_ctrl:1
	v_and_b32_e32 v10, 1, v10
	v_cndmask_b32_e32 v6, v6, v1, vcc
	v_cndmask_b32_e32 v7, v7, v2, vcc
	v_cmp_eq_u32_e32 vcc, 1, v10
	v_cndmask_b32_e32 v2, v2, v7, vcc
	v_cndmask_b32_e32 v1, v1, v6, vcc
	v_cndmask_b32_e64 v4, v4, 1, vcc
	v_mov_b32_dpp v7, v2 quad_perm:[2,3,0,1] row_mask:0xf bank_mask:0xf bound_ctrl:1
	v_mov_b32_dpp v6, v1 quad_perm:[2,3,0,1] row_mask:0xf bank_mask:0xf bound_ctrl:1
	v_and_b32_e32 v11, 1, v4
	v_cmp_lt_i64_e64 s[0:1], v[1:2], v[6:7]
	v_mov_b32_dpp v10, v4 quad_perm:[2,3,0,1] row_mask:0xf bank_mask:0xf bound_ctrl:1
	v_cmp_eq_u32_e32 vcc, 1, v11
	v_and_b32_e32 v10, 1, v10
	s_and_b64 vcc, vcc, s[0:1]
	v_cmp_eq_u32_e64 s[2:3], 1, v10
	v_cndmask_b32_e32 v6, v6, v1, vcc
	v_cndmask_b32_e32 v7, v7, v2, vcc
	v_cndmask_b32_e64 v1, v1, v6, s[2:3]
	v_cndmask_b32_e64 v2, v2, v7, s[2:3]
	;; [unrolled: 1-line block ×3, first 2 shown]
	v_mov_b32_dpp v6, v1 row_ror:4 row_mask:0xf bank_mask:0xf bound_ctrl:1
	v_mov_b32_dpp v7, v2 row_ror:4 row_mask:0xf bank_mask:0xf bound_ctrl:1
	v_and_b32_e32 v11, 1, v4
	v_cmp_lt_i64_e64 s[2:3], v[1:2], v[6:7]
	v_mov_b32_dpp v10, v4 row_ror:4 row_mask:0xf bank_mask:0xf bound_ctrl:1
	v_cmp_eq_u32_e32 vcc, 1, v11
	v_and_b32_e32 v10, 1, v10
	s_and_b64 vcc, vcc, s[2:3]
	v_cmp_eq_u32_e64 s[0:1], 1, v10
	v_cndmask_b32_e32 v6, v6, v1, vcc
	v_cndmask_b32_e32 v7, v7, v2, vcc
	v_cndmask_b32_e64 v1, v1, v6, s[0:1]
	v_cndmask_b32_e64 v2, v2, v7, s[0:1]
	v_cndmask_b32_e64 v4, v4, 1, s[0:1]
	v_mov_b32_dpp v6, v1 row_ror:8 row_mask:0xf bank_mask:0xf bound_ctrl:1
	v_mov_b32_dpp v7, v2 row_ror:8 row_mask:0xf bank_mask:0xf bound_ctrl:1
	v_and_b32_e32 v11, 1, v4
	v_cmp_lt_i64_e64 s[2:3], v[1:2], v[6:7]
	v_mov_b32_dpp v10, v4 row_ror:8 row_mask:0xf bank_mask:0xf bound_ctrl:1
	v_cmp_eq_u32_e64 s[8:9], 1, v11
	v_and_b32_e32 v10, 1, v10
	s_and_b64 s[2:3], s[8:9], s[2:3]
	v_cmp_eq_u32_e64 s[10:11], 1, v10
	v_cndmask_b32_e64 v6, v6, v1, s[2:3]
	v_cndmask_b32_e64 v7, v7, v2, s[2:3]
	;; [unrolled: 1-line block ×5, first 2 shown]
	v_mov_b32_dpp v10, v4 row_bcast:15 row_mask:0xf bank_mask:0xf bound_ctrl:1
	v_mov_b32_dpp v6, v1 row_bcast:15 row_mask:0xf bank_mask:0xf bound_ctrl:1
	;; [unrolled: 1-line block ×3, first 2 shown]
	v_and_b32_e32 v11, 1, v4
	v_and_b32_e32 v10, 1, v10
	v_cmp_lt_i64_e64 s[2:3], v[1:2], v[6:7]
	v_cmp_eq_u32_e32 vcc, 1, v11
	v_cmp_eq_u32_e64 s[0:1], 1, v10
	v_cndmask_b32_e64 v4, v4, 1, s[0:1]
	s_and_b64 vcc, vcc, s[2:3]
	v_cndmask_b32_e32 v6, v6, v1, vcc
	v_mov_b32_dpp v10, v4 row_bcast:31 row_mask:0xf bank_mask:0xf bound_ctrl:1
	v_cndmask_b32_e32 v7, v7, v2, vcc
	v_and_b32_e32 v11, 1, v4
	v_and_b32_e32 v10, 1, v10
	v_cndmask_b32_e64 v1, v1, v6, s[0:1]
	v_cndmask_b32_e64 v2, v2, v7, s[0:1]
	v_cmp_eq_u32_e64 s[12:13], 1, v11
	v_cmp_eq_u32_e64 s[8:9], 1, v10
	v_mov_b32_dpp v10, v1 row_bcast:31 row_mask:0xf bank_mask:0xf bound_ctrl:1
	v_mov_b32_dpp v11, v2 row_bcast:31 row_mask:0xf bank_mask:0xf bound_ctrl:1
	v_cmp_lt_i64_e32 vcc, v[1:2], v[10:11]
	v_cndmask_b32_e64 v4, v4, 1, s[8:9]
	s_and_b64 vcc, s[12:13], vcc
	ds_bpermute_b32 v7, v17, v4
	v_cndmask_b32_e32 v4, v10, v1, vcc
	v_cndmask_b32_e32 v6, v11, v2, vcc
	v_cndmask_b32_e64 v1, v1, v4, s[8:9]
	v_cndmask_b32_e64 v2, v2, v6, s[8:9]
	ds_bpermute_b32 v1, v17, v1
	ds_bpermute_b32 v2, v17, v2
	v_cmp_eq_u32_e32 vcc, 0, v3
	s_and_saveexec_b64 s[0:1], vcc
	s_cbranch_execz .LBB469_3
; %bb.2:
	v_lshrrev_b32_e32 v4, 2, v0
	v_and_b32_e32 v4, 16, v4
	s_waitcnt lgkmcnt(2)
	ds_write_b8 v4, v7
	s_waitcnt lgkmcnt(1)
	ds_write_b64 v4, v[1:2] offset:8
.LBB469_3:
	s_or_b64 exec, exec, s[0:1]
	v_cmp_gt_u32_e32 vcc, 64, v0
	s_waitcnt lgkmcnt(0)
	s_barrier
	s_and_saveexec_b64 s[0:1], vcc
	s_cbranch_execz .LBB469_9
; %bb.4:
	v_and_b32_e32 v1, 1, v3
	v_lshlrev_b32_e32 v1, 4, v1
	ds_read_u8 v10, v1
	ds_read_b64 v[3:4], v1 offset:8
	v_or_b32_e32 v2, 4, v5
	s_waitcnt lgkmcnt(1)
	v_and_b32_e32 v1, 0xff, v10
	ds_bpermute_b32 v11, v2, v1
	s_waitcnt lgkmcnt(1)
	ds_bpermute_b32 v5, v2, v3
	ds_bpermute_b32 v6, v2, v4
	s_waitcnt lgkmcnt(2)
	v_and_b32_e32 v1, v10, v11
	v_and_b32_e32 v1, 1, v1
	v_cmp_eq_u32_e32 vcc, 1, v1
                                        ; implicit-def: $vgpr1_vgpr2
	s_and_saveexec_b64 s[2:3], vcc
	s_xor_b64 s[2:3], exec, s[2:3]
	s_cbranch_execz .LBB469_6
; %bb.5:
	s_waitcnt lgkmcnt(0)
	v_cmp_lt_i64_e32 vcc, v[5:6], v[3:4]
                                        ; implicit-def: $vgpr10
                                        ; implicit-def: $vgpr11
	v_cndmask_b32_e32 v2, v4, v6, vcc
	v_cndmask_b32_e32 v1, v3, v5, vcc
                                        ; implicit-def: $vgpr5_vgpr6
                                        ; implicit-def: $vgpr3_vgpr4
.LBB469_6:
	s_or_saveexec_b64 s[2:3], s[2:3]
	v_mov_b32_e32 v7, 1
	s_xor_b64 exec, exec, s[2:3]
	s_cbranch_execz .LBB469_8
; %bb.7:
	v_and_b32_e32 v1, 1, v10
	v_cmp_eq_u32_e32 vcc, 1, v1
	s_waitcnt lgkmcnt(0)
	v_cndmask_b32_e32 v2, v6, v4, vcc
	v_cndmask_b32_e32 v1, v5, v3, vcc
	v_cndmask_b32_e64 v7, v11, 1, vcc
.LBB469_8:
	s_or_b64 exec, exec, s[2:3]
.LBB469_9:
	s_or_b64 exec, exec, s[0:1]
	s_load_dword s10, s[4:5], 0x50
	s_load_dwordx2 s[8:9], s[4:5], 0x58
	s_branch .LBB469_62
.LBB469_10:
                                        ; implicit-def: $vgpr1_vgpr2
                                        ; implicit-def: $vgpr7
	s_load_dword s10, s[4:5], 0x50
	s_load_dwordx2 s[8:9], s[4:5], 0x58
	s_cbranch_execz .LBB469_62
; %bb.11:
	s_sub_i32 s11, s16, s28
	v_mov_b32_e32 v3, 0
	v_mov_b32_e32 v1, 0
	v_cmp_gt_u32_e32 vcc, s11, v0
	s_waitcnt lgkmcnt(0)
	v_mov_b32_e32 v6, 0
	v_mov_b32_e32 v4, 0
	;; [unrolled: 1-line block ×4, first 2 shown]
	s_and_saveexec_b64 s[0:1], vcc
	s_cbranch_execz .LBB469_13
; %bb.12:
	global_load_dwordx2 v[10:11], v9, s[24:25]
	global_load_dwordx2 v[12:13], v9, s[26:27]
	v_mov_b32_e32 v2, s15
	v_add_co_u32_e32 v1, vcc, s14, v0
	v_addc_co_u32_e32 v2, vcc, 0, v2, vcc
	s_waitcnt vmcnt(0)
	v_cmp_ne_u64_e32 vcc, v[10:11], v[12:13]
	v_cndmask_b32_e64 v5, 0, 1, vcc
.LBB469_13:
	s_or_b64 exec, exec, s[0:1]
	v_or_b32_e32 v7, 0x80, v0
	v_cmp_gt_u32_e32 vcc, s11, v7
	s_and_saveexec_b64 s[2:3], vcc
	s_cbranch_execz .LBB469_15
; %bb.14:
	global_load_dwordx2 v[10:11], v9, s[24:25] offset:1024
	global_load_dwordx2 v[12:13], v9, s[26:27] offset:1024
	v_mov_b32_e32 v4, s15
	v_add_co_u32_e64 v3, s[0:1], s14, v7
	v_addc_co_u32_e64 v4, s[0:1], 0, v4, s[0:1]
	s_waitcnt vmcnt(0)
	v_cmp_ne_u64_e64 s[0:1], v[10:11], v[12:13]
	v_cndmask_b32_e64 v6, 0, 1, s[0:1]
.LBB469_15:
	s_or_b64 exec, exec, s[2:3]
	v_and_b32_e32 v7, 0xffff, v5
	v_and_b32_e32 v9, 0xffff, v6
	;; [unrolled: 1-line block ×4, first 2 shown]
	v_cmp_lt_i64_e64 s[2:3], v[3:4], v[1:2]
	v_cmp_eq_u32_e64 s[0:1], 1, v6
	v_cmp_eq_u32_e64 s[4:5], 1, v5
	v_cndmask_b32_e64 v5, v9, 1, s[4:5]
	s_and_b64 s[0:1], s[0:1], s[2:3]
	v_cndmask_b32_e64 v6, v2, v4, s[0:1]
	v_cndmask_b32_e64 v9, v1, v3, s[0:1]
	v_cndmask_b32_e32 v7, v7, v5, vcc
	v_mbcnt_hi_u32_b32 v5, -1, v8
	v_cndmask_b32_e64 v3, v3, v9, s[4:5]
	v_cndmask_b32_e64 v4, v4, v6, s[4:5]
	v_and_b32_e32 v6, 63, v5
	v_cndmask_b32_e32 v2, v2, v4, vcc
	v_cndmask_b32_e32 v1, v1, v3, vcc
	v_cmp_ne_u32_e32 vcc, 63, v6
	v_addc_co_u32_e32 v3, vcc, 0, v5, vcc
	v_lshlrev_b32_e32 v4, 2, v3
	ds_bpermute_b32 v9, v4, v7
	ds_bpermute_b32 v3, v4, v1
	;; [unrolled: 1-line block ×3, first 2 shown]
	s_min_u32 s4, s11, 0x80
	v_and_b32_e32 v8, 64, v0
	v_sub_u32_e64 v8, s4, v8 clamp
	v_add_u32_e32 v10, 1, v6
	v_cmp_lt_u32_e32 vcc, v10, v8
	s_and_saveexec_b64 s[0:1], vcc
	s_cbranch_execz .LBB469_21
; %bb.16:
	s_waitcnt lgkmcnt(2)
	v_and_b32_e32 v10, v9, v7
	v_cmp_ne_u32_e32 vcc, 0, v10
	s_and_saveexec_b64 s[2:3], vcc
	s_xor_b64 s[2:3], exec, s[2:3]
	s_cbranch_execz .LBB469_18
; %bb.17:
	s_waitcnt lgkmcnt(0)
	v_cmp_lt_i64_e32 vcc, v[3:4], v[1:2]
                                        ; implicit-def: $vgpr7
                                        ; implicit-def: $vgpr9
	v_cndmask_b32_e32 v2, v2, v4, vcc
	v_cndmask_b32_e32 v1, v1, v3, vcc
                                        ; implicit-def: $vgpr3_vgpr4
.LBB469_18:
	s_or_saveexec_b64 s[2:3], s[2:3]
	v_mov_b32_e32 v10, 1
	s_xor_b64 exec, exec, s[2:3]
	s_cbranch_execz .LBB469_20
; %bb.19:
	v_and_b32_e32 v7, 1, v7
	v_cmp_eq_u32_e32 vcc, 1, v7
	s_waitcnt lgkmcnt(1)
	v_cndmask_b32_e32 v1, v3, v1, vcc
	v_and_b32_e32 v3, 0xff, v9
	s_waitcnt lgkmcnt(0)
	v_cndmask_b32_e32 v2, v4, v2, vcc
	v_cndmask_b32_e64 v10, v3, 1, vcc
.LBB469_20:
	s_or_b64 exec, exec, s[2:3]
	v_mov_b32_e32 v7, v10
.LBB469_21:
	s_or_b64 exec, exec, s[0:1]
	v_cmp_gt_u32_e32 vcc, 62, v6
	s_waitcnt lgkmcnt(1)
	v_cndmask_b32_e64 v3, 0, 2, vcc
	s_waitcnt lgkmcnt(0)
	v_add_lshl_u32 v4, v3, v5, 2
	ds_bpermute_b32 v9, v4, v7
	ds_bpermute_b32 v3, v4, v1
	ds_bpermute_b32 v4, v4, v2
	v_add_u32_e32 v10, 2, v6
	v_cmp_lt_u32_e32 vcc, v10, v8
	s_and_saveexec_b64 s[0:1], vcc
	s_cbranch_execz .LBB469_27
; %bb.22:
	s_waitcnt lgkmcnt(2)
	v_and_b32_e32 v10, v7, v9
	v_and_b32_e32 v10, 1, v10
	v_cmp_eq_u32_e32 vcc, 1, v10
	s_and_saveexec_b64 s[2:3], vcc
	s_xor_b64 s[2:3], exec, s[2:3]
	s_cbranch_execz .LBB469_24
; %bb.23:
	s_waitcnt lgkmcnt(0)
	v_cmp_lt_i64_e32 vcc, v[3:4], v[1:2]
                                        ; implicit-def: $vgpr7
                                        ; implicit-def: $vgpr9
	v_cndmask_b32_e32 v2, v2, v4, vcc
	v_cndmask_b32_e32 v1, v1, v3, vcc
                                        ; implicit-def: $vgpr3_vgpr4
.LBB469_24:
	s_or_saveexec_b64 s[2:3], s[2:3]
	v_mov_b32_e32 v10, 1
	s_xor_b64 exec, exec, s[2:3]
	s_cbranch_execz .LBB469_26
; %bb.25:
	v_and_b32_e32 v7, 1, v7
	v_cmp_eq_u32_e32 vcc, 1, v7
	s_waitcnt lgkmcnt(1)
	v_cndmask_b32_e32 v1, v3, v1, vcc
	v_and_b32_e32 v3, 0xff, v9
	s_waitcnt lgkmcnt(0)
	v_cndmask_b32_e32 v2, v4, v2, vcc
	v_cndmask_b32_e64 v10, v3, 1, vcc
.LBB469_26:
	s_or_b64 exec, exec, s[2:3]
	v_mov_b32_e32 v7, v10
.LBB469_27:
	s_or_b64 exec, exec, s[0:1]
	v_cmp_gt_u32_e32 vcc, 60, v6
	s_waitcnt lgkmcnt(1)
	v_cndmask_b32_e64 v3, 0, 4, vcc
	s_waitcnt lgkmcnt(0)
	v_add_lshl_u32 v4, v3, v5, 2
	ds_bpermute_b32 v9, v4, v7
	ds_bpermute_b32 v3, v4, v1
	ds_bpermute_b32 v4, v4, v2
	v_add_u32_e32 v10, 4, v6
	v_cmp_lt_u32_e32 vcc, v10, v8
	s_and_saveexec_b64 s[0:1], vcc
	s_cbranch_execz .LBB469_33
; %bb.28:
	s_waitcnt lgkmcnt(2)
	v_and_b32_e32 v10, v7, v9
	v_and_b32_e32 v10, 1, v10
	v_cmp_eq_u32_e32 vcc, 1, v10
	s_and_saveexec_b64 s[2:3], vcc
	s_xor_b64 s[2:3], exec, s[2:3]
	s_cbranch_execz .LBB469_30
; %bb.29:
	s_waitcnt lgkmcnt(0)
	v_cmp_lt_i64_e32 vcc, v[3:4], v[1:2]
                                        ; implicit-def: $vgpr7
                                        ; implicit-def: $vgpr9
	v_cndmask_b32_e32 v2, v2, v4, vcc
	v_cndmask_b32_e32 v1, v1, v3, vcc
                                        ; implicit-def: $vgpr3_vgpr4
.LBB469_30:
	s_or_saveexec_b64 s[2:3], s[2:3]
	v_mov_b32_e32 v10, 1
	s_xor_b64 exec, exec, s[2:3]
	s_cbranch_execz .LBB469_32
; %bb.31:
	v_and_b32_e32 v7, 1, v7
	v_cmp_eq_u32_e32 vcc, 1, v7
	s_waitcnt lgkmcnt(1)
	v_cndmask_b32_e32 v1, v3, v1, vcc
	v_and_b32_e32 v3, 0xff, v9
	s_waitcnt lgkmcnt(0)
	v_cndmask_b32_e32 v2, v4, v2, vcc
	v_cndmask_b32_e64 v10, v3, 1, vcc
.LBB469_32:
	s_or_b64 exec, exec, s[2:3]
	v_mov_b32_e32 v7, v10
.LBB469_33:
	;; [unrolled: 47-line block ×4, first 2 shown]
	s_or_b64 exec, exec, s[0:1]
	s_waitcnt lgkmcnt(2)
	v_lshlrev_b32_e32 v9, 2, v5
	s_waitcnt lgkmcnt(0)
	v_or_b32_e32 v4, 0x80, v9
	ds_bpermute_b32 v10, v4, v7
	ds_bpermute_b32 v3, v4, v1
	;; [unrolled: 1-line block ×3, first 2 shown]
	v_add_u32_e32 v6, 32, v6
	v_cmp_lt_u32_e32 vcc, v6, v8
	v_mov_b32_e32 v6, v7
	s_and_saveexec_b64 s[0:1], vcc
	s_cbranch_execz .LBB469_51
; %bb.46:
	s_waitcnt lgkmcnt(2)
	v_and_b32_e32 v6, v7, v10
	v_and_b32_e32 v6, 1, v6
	v_cmp_eq_u32_e32 vcc, 1, v6
	s_and_saveexec_b64 s[2:3], vcc
	s_xor_b64 s[2:3], exec, s[2:3]
	s_cbranch_execz .LBB469_48
; %bb.47:
	s_waitcnt lgkmcnt(0)
	v_cmp_lt_i64_e32 vcc, v[3:4], v[1:2]
                                        ; implicit-def: $vgpr7
                                        ; implicit-def: $vgpr10
	v_cndmask_b32_e32 v2, v2, v4, vcc
	v_cndmask_b32_e32 v1, v1, v3, vcc
                                        ; implicit-def: $vgpr3_vgpr4
.LBB469_48:
	s_or_saveexec_b64 s[2:3], s[2:3]
	v_mov_b32_e32 v6, 1
	s_xor_b64 exec, exec, s[2:3]
	s_cbranch_execz .LBB469_50
; %bb.49:
	v_and_b32_e32 v6, 1, v7
	v_cmp_eq_u32_e32 vcc, 1, v6
	v_cndmask_b32_e64 v6, v10, 1, vcc
	s_waitcnt lgkmcnt(0)
	v_cndmask_b32_e32 v2, v4, v2, vcc
	v_cndmask_b32_e32 v1, v3, v1, vcc
.LBB469_50:
	s_or_b64 exec, exec, s[2:3]
	v_and_b32_e32 v7, 0xff, v6
.LBB469_51:
	s_or_b64 exec, exec, s[0:1]
	v_cmp_eq_u32_e32 vcc, 0, v5
	s_and_saveexec_b64 s[0:1], vcc
	s_cbranch_execz .LBB469_53
; %bb.52:
	s_waitcnt lgkmcnt(1)
	v_lshrrev_b32_e32 v3, 2, v0
	v_and_b32_e32 v3, 16, v3
	ds_write_b8 v3, v6 offset:32
	ds_write_b64 v3, v[1:2] offset:40
.LBB469_53:
	s_or_b64 exec, exec, s[0:1]
	v_cmp_gt_u32_e32 vcc, 2, v0
	s_waitcnt lgkmcnt(0)
	s_barrier
	s_and_saveexec_b64 s[0:1], vcc
	s_cbranch_execz .LBB469_61
; %bb.54:
	v_lshlrev_b32_e32 v1, 4, v5
	ds_read_u8 v6, v1 offset:32
	ds_read_b64 v[1:2], v1 offset:40
	v_or_b32_e32 v4, 4, v9
	s_add_i32 s4, s4, 63
	v_and_b32_e32 v5, 1, v5
	s_waitcnt lgkmcnt(1)
	v_and_b32_e32 v7, 0xff, v6
	s_waitcnt lgkmcnt(0)
	ds_bpermute_b32 v3, v4, v1
	ds_bpermute_b32 v8, v4, v7
	;; [unrolled: 1-line block ×3, first 2 shown]
	s_lshr_b32 s2, s4, 6
	v_add_u32_e32 v5, 1, v5
	v_cmp_gt_u32_e32 vcc, s2, v5
	s_and_saveexec_b64 s[2:3], vcc
	s_cbranch_execz .LBB469_60
; %bb.55:
	s_waitcnt lgkmcnt(1)
	v_and_b32_e32 v5, v7, v8
	v_and_b32_e32 v5, 1, v5
	v_cmp_eq_u32_e32 vcc, 1, v5
	s_and_saveexec_b64 s[4:5], vcc
	s_xor_b64 s[4:5], exec, s[4:5]
	s_cbranch_execz .LBB469_57
; %bb.56:
	s_waitcnt lgkmcnt(0)
	v_cmp_lt_i64_e32 vcc, v[3:4], v[1:2]
                                        ; implicit-def: $vgpr6
                                        ; implicit-def: $vgpr8
	v_cndmask_b32_e32 v2, v2, v4, vcc
	v_cndmask_b32_e32 v1, v1, v3, vcc
                                        ; implicit-def: $vgpr3_vgpr4
.LBB469_57:
	s_or_saveexec_b64 s[4:5], s[4:5]
	v_mov_b32_e32 v7, 1
	s_xor_b64 exec, exec, s[4:5]
	s_cbranch_execz .LBB469_59
; %bb.58:
	v_and_b32_e32 v5, 1, v6
	v_cmp_eq_u32_e32 vcc, 1, v5
	s_waitcnt lgkmcnt(0)
	v_cndmask_b32_e32 v2, v4, v2, vcc
	v_cndmask_b32_e32 v1, v3, v1, vcc
	v_cndmask_b32_e64 v7, v8, 1, vcc
.LBB469_59:
	s_or_b64 exec, exec, s[4:5]
.LBB469_60:
	s_or_b64 exec, exec, s[2:3]
.LBB469_61:
	s_or_b64 exec, exec, s[0:1]
.LBB469_62:
	v_cmp_eq_u32_e32 vcc, 0, v0
	s_and_saveexec_b64 s[0:1], vcc
	s_cbranch_execnz .LBB469_64
; %bb.63:
	s_endpgm
.LBB469_64:
	s_mul_i32 s0, s22, s21
	s_mul_hi_u32 s1, s22, s20
	s_add_i32 s0, s1, s0
	s_mul_i32 s1, s23, s20
	s_add_i32 s1, s0, s1
	s_mul_i32 s0, s22, s20
	s_lshl_b64 s[0:1], s[0:1], 4
	s_add_u32 s2, s18, s0
	s_addc_u32 s3, s19, s1
	s_cmp_eq_u64 s[16:17], 0
	s_waitcnt lgkmcnt(0)
	v_mov_b32_e32 v0, s9
	s_cselect_b64 vcc, -1, 0
	v_cndmask_b32_e32 v2, v2, v0, vcc
	v_mov_b32_e32 v0, s8
	s_lshl_b64 s[0:1], s[6:7], 4
	v_cndmask_b32_e32 v1, v1, v0, vcc
	v_mov_b32_e32 v0, s10
	s_add_u32 s0, s2, s0
	v_cndmask_b32_e32 v0, v7, v0, vcc
	s_addc_u32 s1, s3, s1
	v_mov_b32_e32 v3, 0
	global_store_byte v3, v0, s[0:1]
	global_store_dwordx2 v3, v[1:2], s[0:1] offset:8
	s_endpgm
	.section	.rodata,"a",@progbits
	.p2align	6, 0x0
	.amdhsa_kernel _ZN7rocprim17ROCPRIM_400000_NS6detail17trampoline_kernelINS0_14default_configENS1_22reduce_config_selectorIN6thrust23THRUST_200600_302600_NS5tupleIblNS6_9null_typeES8_S8_S8_S8_S8_S8_S8_EEEEZNS1_11reduce_implILb1ES3_NS6_12zip_iteratorINS7_INS6_11hip_rocprim26transform_input_iterator_tIbNSD_35transform_pair_of_input_iterators_tIbNS6_6detail15normal_iteratorINS6_10device_ptrIKyEEEESL_NS6_8equal_toIyEEEENSG_9not_fun_tINSD_8identityEEEEENSD_19counting_iterator_tIlEES8_S8_S8_S8_S8_S8_S8_S8_EEEEPS9_S9_NSD_9__find_if7functorIS9_EEEE10hipError_tPvRmT1_T2_T3_mT4_P12ihipStream_tbEUlT_E0_NS1_11comp_targetILNS1_3genE2ELNS1_11target_archE906ELNS1_3gpuE6ELNS1_3repE0EEENS1_30default_config_static_selectorELNS0_4arch9wavefront6targetE1EEEvS14_
		.amdhsa_group_segment_fixed_size 64
		.amdhsa_private_segment_fixed_size 0
		.amdhsa_kernarg_size 104
		.amdhsa_user_sgpr_count 6
		.amdhsa_user_sgpr_private_segment_buffer 1
		.amdhsa_user_sgpr_dispatch_ptr 0
		.amdhsa_user_sgpr_queue_ptr 0
		.amdhsa_user_sgpr_kernarg_segment_ptr 1
		.amdhsa_user_sgpr_dispatch_id 0
		.amdhsa_user_sgpr_flat_scratch_init 0
		.amdhsa_user_sgpr_private_segment_size 0
		.amdhsa_uses_dynamic_stack 0
		.amdhsa_system_sgpr_private_segment_wavefront_offset 0
		.amdhsa_system_sgpr_workgroup_id_x 1
		.amdhsa_system_sgpr_workgroup_id_y 0
		.amdhsa_system_sgpr_workgroup_id_z 0
		.amdhsa_system_sgpr_workgroup_info 0
		.amdhsa_system_vgpr_workitem_id 0
		.amdhsa_next_free_vgpr 18
		.amdhsa_next_free_sgpr 30
		.amdhsa_reserve_vcc 1
		.amdhsa_reserve_flat_scratch 0
		.amdhsa_float_round_mode_32 0
		.amdhsa_float_round_mode_16_64 0
		.amdhsa_float_denorm_mode_32 3
		.amdhsa_float_denorm_mode_16_64 3
		.amdhsa_dx10_clamp 1
		.amdhsa_ieee_mode 1
		.amdhsa_fp16_overflow 0
		.amdhsa_exception_fp_ieee_invalid_op 0
		.amdhsa_exception_fp_denorm_src 0
		.amdhsa_exception_fp_ieee_div_zero 0
		.amdhsa_exception_fp_ieee_overflow 0
		.amdhsa_exception_fp_ieee_underflow 0
		.amdhsa_exception_fp_ieee_inexact 0
		.amdhsa_exception_int_div_zero 0
	.end_amdhsa_kernel
	.section	.text._ZN7rocprim17ROCPRIM_400000_NS6detail17trampoline_kernelINS0_14default_configENS1_22reduce_config_selectorIN6thrust23THRUST_200600_302600_NS5tupleIblNS6_9null_typeES8_S8_S8_S8_S8_S8_S8_EEEEZNS1_11reduce_implILb1ES3_NS6_12zip_iteratorINS7_INS6_11hip_rocprim26transform_input_iterator_tIbNSD_35transform_pair_of_input_iterators_tIbNS6_6detail15normal_iteratorINS6_10device_ptrIKyEEEESL_NS6_8equal_toIyEEEENSG_9not_fun_tINSD_8identityEEEEENSD_19counting_iterator_tIlEES8_S8_S8_S8_S8_S8_S8_S8_EEEEPS9_S9_NSD_9__find_if7functorIS9_EEEE10hipError_tPvRmT1_T2_T3_mT4_P12ihipStream_tbEUlT_E0_NS1_11comp_targetILNS1_3genE2ELNS1_11target_archE906ELNS1_3gpuE6ELNS1_3repE0EEENS1_30default_config_static_selectorELNS0_4arch9wavefront6targetE1EEEvS14_,"axG",@progbits,_ZN7rocprim17ROCPRIM_400000_NS6detail17trampoline_kernelINS0_14default_configENS1_22reduce_config_selectorIN6thrust23THRUST_200600_302600_NS5tupleIblNS6_9null_typeES8_S8_S8_S8_S8_S8_S8_EEEEZNS1_11reduce_implILb1ES3_NS6_12zip_iteratorINS7_INS6_11hip_rocprim26transform_input_iterator_tIbNSD_35transform_pair_of_input_iterators_tIbNS6_6detail15normal_iteratorINS6_10device_ptrIKyEEEESL_NS6_8equal_toIyEEEENSG_9not_fun_tINSD_8identityEEEEENSD_19counting_iterator_tIlEES8_S8_S8_S8_S8_S8_S8_S8_EEEEPS9_S9_NSD_9__find_if7functorIS9_EEEE10hipError_tPvRmT1_T2_T3_mT4_P12ihipStream_tbEUlT_E0_NS1_11comp_targetILNS1_3genE2ELNS1_11target_archE906ELNS1_3gpuE6ELNS1_3repE0EEENS1_30default_config_static_selectorELNS0_4arch9wavefront6targetE1EEEvS14_,comdat
.Lfunc_end469:
	.size	_ZN7rocprim17ROCPRIM_400000_NS6detail17trampoline_kernelINS0_14default_configENS1_22reduce_config_selectorIN6thrust23THRUST_200600_302600_NS5tupleIblNS6_9null_typeES8_S8_S8_S8_S8_S8_S8_EEEEZNS1_11reduce_implILb1ES3_NS6_12zip_iteratorINS7_INS6_11hip_rocprim26transform_input_iterator_tIbNSD_35transform_pair_of_input_iterators_tIbNS6_6detail15normal_iteratorINS6_10device_ptrIKyEEEESL_NS6_8equal_toIyEEEENSG_9not_fun_tINSD_8identityEEEEENSD_19counting_iterator_tIlEES8_S8_S8_S8_S8_S8_S8_S8_EEEEPS9_S9_NSD_9__find_if7functorIS9_EEEE10hipError_tPvRmT1_T2_T3_mT4_P12ihipStream_tbEUlT_E0_NS1_11comp_targetILNS1_3genE2ELNS1_11target_archE906ELNS1_3gpuE6ELNS1_3repE0EEENS1_30default_config_static_selectorELNS0_4arch9wavefront6targetE1EEEvS14_, .Lfunc_end469-_ZN7rocprim17ROCPRIM_400000_NS6detail17trampoline_kernelINS0_14default_configENS1_22reduce_config_selectorIN6thrust23THRUST_200600_302600_NS5tupleIblNS6_9null_typeES8_S8_S8_S8_S8_S8_S8_EEEEZNS1_11reduce_implILb1ES3_NS6_12zip_iteratorINS7_INS6_11hip_rocprim26transform_input_iterator_tIbNSD_35transform_pair_of_input_iterators_tIbNS6_6detail15normal_iteratorINS6_10device_ptrIKyEEEESL_NS6_8equal_toIyEEEENSG_9not_fun_tINSD_8identityEEEEENSD_19counting_iterator_tIlEES8_S8_S8_S8_S8_S8_S8_S8_EEEEPS9_S9_NSD_9__find_if7functorIS9_EEEE10hipError_tPvRmT1_T2_T3_mT4_P12ihipStream_tbEUlT_E0_NS1_11comp_targetILNS1_3genE2ELNS1_11target_archE906ELNS1_3gpuE6ELNS1_3repE0EEENS1_30default_config_static_selectorELNS0_4arch9wavefront6targetE1EEEvS14_
                                        ; -- End function
	.set _ZN7rocprim17ROCPRIM_400000_NS6detail17trampoline_kernelINS0_14default_configENS1_22reduce_config_selectorIN6thrust23THRUST_200600_302600_NS5tupleIblNS6_9null_typeES8_S8_S8_S8_S8_S8_S8_EEEEZNS1_11reduce_implILb1ES3_NS6_12zip_iteratorINS7_INS6_11hip_rocprim26transform_input_iterator_tIbNSD_35transform_pair_of_input_iterators_tIbNS6_6detail15normal_iteratorINS6_10device_ptrIKyEEEESL_NS6_8equal_toIyEEEENSG_9not_fun_tINSD_8identityEEEEENSD_19counting_iterator_tIlEES8_S8_S8_S8_S8_S8_S8_S8_EEEEPS9_S9_NSD_9__find_if7functorIS9_EEEE10hipError_tPvRmT1_T2_T3_mT4_P12ihipStream_tbEUlT_E0_NS1_11comp_targetILNS1_3genE2ELNS1_11target_archE906ELNS1_3gpuE6ELNS1_3repE0EEENS1_30default_config_static_selectorELNS0_4arch9wavefront6targetE1EEEvS14_.num_vgpr, 18
	.set _ZN7rocprim17ROCPRIM_400000_NS6detail17trampoline_kernelINS0_14default_configENS1_22reduce_config_selectorIN6thrust23THRUST_200600_302600_NS5tupleIblNS6_9null_typeES8_S8_S8_S8_S8_S8_S8_EEEEZNS1_11reduce_implILb1ES3_NS6_12zip_iteratorINS7_INS6_11hip_rocprim26transform_input_iterator_tIbNSD_35transform_pair_of_input_iterators_tIbNS6_6detail15normal_iteratorINS6_10device_ptrIKyEEEESL_NS6_8equal_toIyEEEENSG_9not_fun_tINSD_8identityEEEEENSD_19counting_iterator_tIlEES8_S8_S8_S8_S8_S8_S8_S8_EEEEPS9_S9_NSD_9__find_if7functorIS9_EEEE10hipError_tPvRmT1_T2_T3_mT4_P12ihipStream_tbEUlT_E0_NS1_11comp_targetILNS1_3genE2ELNS1_11target_archE906ELNS1_3gpuE6ELNS1_3repE0EEENS1_30default_config_static_selectorELNS0_4arch9wavefront6targetE1EEEvS14_.num_agpr, 0
	.set _ZN7rocprim17ROCPRIM_400000_NS6detail17trampoline_kernelINS0_14default_configENS1_22reduce_config_selectorIN6thrust23THRUST_200600_302600_NS5tupleIblNS6_9null_typeES8_S8_S8_S8_S8_S8_S8_EEEEZNS1_11reduce_implILb1ES3_NS6_12zip_iteratorINS7_INS6_11hip_rocprim26transform_input_iterator_tIbNSD_35transform_pair_of_input_iterators_tIbNS6_6detail15normal_iteratorINS6_10device_ptrIKyEEEESL_NS6_8equal_toIyEEEENSG_9not_fun_tINSD_8identityEEEEENSD_19counting_iterator_tIlEES8_S8_S8_S8_S8_S8_S8_S8_EEEEPS9_S9_NSD_9__find_if7functorIS9_EEEE10hipError_tPvRmT1_T2_T3_mT4_P12ihipStream_tbEUlT_E0_NS1_11comp_targetILNS1_3genE2ELNS1_11target_archE906ELNS1_3gpuE6ELNS1_3repE0EEENS1_30default_config_static_selectorELNS0_4arch9wavefront6targetE1EEEvS14_.numbered_sgpr, 30
	.set _ZN7rocprim17ROCPRIM_400000_NS6detail17trampoline_kernelINS0_14default_configENS1_22reduce_config_selectorIN6thrust23THRUST_200600_302600_NS5tupleIblNS6_9null_typeES8_S8_S8_S8_S8_S8_S8_EEEEZNS1_11reduce_implILb1ES3_NS6_12zip_iteratorINS7_INS6_11hip_rocprim26transform_input_iterator_tIbNSD_35transform_pair_of_input_iterators_tIbNS6_6detail15normal_iteratorINS6_10device_ptrIKyEEEESL_NS6_8equal_toIyEEEENSG_9not_fun_tINSD_8identityEEEEENSD_19counting_iterator_tIlEES8_S8_S8_S8_S8_S8_S8_S8_EEEEPS9_S9_NSD_9__find_if7functorIS9_EEEE10hipError_tPvRmT1_T2_T3_mT4_P12ihipStream_tbEUlT_E0_NS1_11comp_targetILNS1_3genE2ELNS1_11target_archE906ELNS1_3gpuE6ELNS1_3repE0EEENS1_30default_config_static_selectorELNS0_4arch9wavefront6targetE1EEEvS14_.num_named_barrier, 0
	.set _ZN7rocprim17ROCPRIM_400000_NS6detail17trampoline_kernelINS0_14default_configENS1_22reduce_config_selectorIN6thrust23THRUST_200600_302600_NS5tupleIblNS6_9null_typeES8_S8_S8_S8_S8_S8_S8_EEEEZNS1_11reduce_implILb1ES3_NS6_12zip_iteratorINS7_INS6_11hip_rocprim26transform_input_iterator_tIbNSD_35transform_pair_of_input_iterators_tIbNS6_6detail15normal_iteratorINS6_10device_ptrIKyEEEESL_NS6_8equal_toIyEEEENSG_9not_fun_tINSD_8identityEEEEENSD_19counting_iterator_tIlEES8_S8_S8_S8_S8_S8_S8_S8_EEEEPS9_S9_NSD_9__find_if7functorIS9_EEEE10hipError_tPvRmT1_T2_T3_mT4_P12ihipStream_tbEUlT_E0_NS1_11comp_targetILNS1_3genE2ELNS1_11target_archE906ELNS1_3gpuE6ELNS1_3repE0EEENS1_30default_config_static_selectorELNS0_4arch9wavefront6targetE1EEEvS14_.private_seg_size, 0
	.set _ZN7rocprim17ROCPRIM_400000_NS6detail17trampoline_kernelINS0_14default_configENS1_22reduce_config_selectorIN6thrust23THRUST_200600_302600_NS5tupleIblNS6_9null_typeES8_S8_S8_S8_S8_S8_S8_EEEEZNS1_11reduce_implILb1ES3_NS6_12zip_iteratorINS7_INS6_11hip_rocprim26transform_input_iterator_tIbNSD_35transform_pair_of_input_iterators_tIbNS6_6detail15normal_iteratorINS6_10device_ptrIKyEEEESL_NS6_8equal_toIyEEEENSG_9not_fun_tINSD_8identityEEEEENSD_19counting_iterator_tIlEES8_S8_S8_S8_S8_S8_S8_S8_EEEEPS9_S9_NSD_9__find_if7functorIS9_EEEE10hipError_tPvRmT1_T2_T3_mT4_P12ihipStream_tbEUlT_E0_NS1_11comp_targetILNS1_3genE2ELNS1_11target_archE906ELNS1_3gpuE6ELNS1_3repE0EEENS1_30default_config_static_selectorELNS0_4arch9wavefront6targetE1EEEvS14_.uses_vcc, 1
	.set _ZN7rocprim17ROCPRIM_400000_NS6detail17trampoline_kernelINS0_14default_configENS1_22reduce_config_selectorIN6thrust23THRUST_200600_302600_NS5tupleIblNS6_9null_typeES8_S8_S8_S8_S8_S8_S8_EEEEZNS1_11reduce_implILb1ES3_NS6_12zip_iteratorINS7_INS6_11hip_rocprim26transform_input_iterator_tIbNSD_35transform_pair_of_input_iterators_tIbNS6_6detail15normal_iteratorINS6_10device_ptrIKyEEEESL_NS6_8equal_toIyEEEENSG_9not_fun_tINSD_8identityEEEEENSD_19counting_iterator_tIlEES8_S8_S8_S8_S8_S8_S8_S8_EEEEPS9_S9_NSD_9__find_if7functorIS9_EEEE10hipError_tPvRmT1_T2_T3_mT4_P12ihipStream_tbEUlT_E0_NS1_11comp_targetILNS1_3genE2ELNS1_11target_archE906ELNS1_3gpuE6ELNS1_3repE0EEENS1_30default_config_static_selectorELNS0_4arch9wavefront6targetE1EEEvS14_.uses_flat_scratch, 0
	.set _ZN7rocprim17ROCPRIM_400000_NS6detail17trampoline_kernelINS0_14default_configENS1_22reduce_config_selectorIN6thrust23THRUST_200600_302600_NS5tupleIblNS6_9null_typeES8_S8_S8_S8_S8_S8_S8_EEEEZNS1_11reduce_implILb1ES3_NS6_12zip_iteratorINS7_INS6_11hip_rocprim26transform_input_iterator_tIbNSD_35transform_pair_of_input_iterators_tIbNS6_6detail15normal_iteratorINS6_10device_ptrIKyEEEESL_NS6_8equal_toIyEEEENSG_9not_fun_tINSD_8identityEEEEENSD_19counting_iterator_tIlEES8_S8_S8_S8_S8_S8_S8_S8_EEEEPS9_S9_NSD_9__find_if7functorIS9_EEEE10hipError_tPvRmT1_T2_T3_mT4_P12ihipStream_tbEUlT_E0_NS1_11comp_targetILNS1_3genE2ELNS1_11target_archE906ELNS1_3gpuE6ELNS1_3repE0EEENS1_30default_config_static_selectorELNS0_4arch9wavefront6targetE1EEEvS14_.has_dyn_sized_stack, 0
	.set _ZN7rocprim17ROCPRIM_400000_NS6detail17trampoline_kernelINS0_14default_configENS1_22reduce_config_selectorIN6thrust23THRUST_200600_302600_NS5tupleIblNS6_9null_typeES8_S8_S8_S8_S8_S8_S8_EEEEZNS1_11reduce_implILb1ES3_NS6_12zip_iteratorINS7_INS6_11hip_rocprim26transform_input_iterator_tIbNSD_35transform_pair_of_input_iterators_tIbNS6_6detail15normal_iteratorINS6_10device_ptrIKyEEEESL_NS6_8equal_toIyEEEENSG_9not_fun_tINSD_8identityEEEEENSD_19counting_iterator_tIlEES8_S8_S8_S8_S8_S8_S8_S8_EEEEPS9_S9_NSD_9__find_if7functorIS9_EEEE10hipError_tPvRmT1_T2_T3_mT4_P12ihipStream_tbEUlT_E0_NS1_11comp_targetILNS1_3genE2ELNS1_11target_archE906ELNS1_3gpuE6ELNS1_3repE0EEENS1_30default_config_static_selectorELNS0_4arch9wavefront6targetE1EEEvS14_.has_recursion, 0
	.set _ZN7rocprim17ROCPRIM_400000_NS6detail17trampoline_kernelINS0_14default_configENS1_22reduce_config_selectorIN6thrust23THRUST_200600_302600_NS5tupleIblNS6_9null_typeES8_S8_S8_S8_S8_S8_S8_EEEEZNS1_11reduce_implILb1ES3_NS6_12zip_iteratorINS7_INS6_11hip_rocprim26transform_input_iterator_tIbNSD_35transform_pair_of_input_iterators_tIbNS6_6detail15normal_iteratorINS6_10device_ptrIKyEEEESL_NS6_8equal_toIyEEEENSG_9not_fun_tINSD_8identityEEEEENSD_19counting_iterator_tIlEES8_S8_S8_S8_S8_S8_S8_S8_EEEEPS9_S9_NSD_9__find_if7functorIS9_EEEE10hipError_tPvRmT1_T2_T3_mT4_P12ihipStream_tbEUlT_E0_NS1_11comp_targetILNS1_3genE2ELNS1_11target_archE906ELNS1_3gpuE6ELNS1_3repE0EEENS1_30default_config_static_selectorELNS0_4arch9wavefront6targetE1EEEvS14_.has_indirect_call, 0
	.section	.AMDGPU.csdata,"",@progbits
; Kernel info:
; codeLenInByte = 2796
; TotalNumSgprs: 34
; NumVgprs: 18
; ScratchSize: 0
; MemoryBound: 0
; FloatMode: 240
; IeeeMode: 1
; LDSByteSize: 64 bytes/workgroup (compile time only)
; SGPRBlocks: 4
; VGPRBlocks: 4
; NumSGPRsForWavesPerEU: 34
; NumVGPRsForWavesPerEU: 18
; Occupancy: 10
; WaveLimiterHint : 0
; COMPUTE_PGM_RSRC2:SCRATCH_EN: 0
; COMPUTE_PGM_RSRC2:USER_SGPR: 6
; COMPUTE_PGM_RSRC2:TRAP_HANDLER: 0
; COMPUTE_PGM_RSRC2:TGID_X_EN: 1
; COMPUTE_PGM_RSRC2:TGID_Y_EN: 0
; COMPUTE_PGM_RSRC2:TGID_Z_EN: 0
; COMPUTE_PGM_RSRC2:TIDIG_COMP_CNT: 0
	.section	.text._ZN7rocprim17ROCPRIM_400000_NS6detail17trampoline_kernelINS0_14default_configENS1_22reduce_config_selectorIN6thrust23THRUST_200600_302600_NS5tupleIblNS6_9null_typeES8_S8_S8_S8_S8_S8_S8_EEEEZNS1_11reduce_implILb1ES3_NS6_12zip_iteratorINS7_INS6_11hip_rocprim26transform_input_iterator_tIbNSD_35transform_pair_of_input_iterators_tIbNS6_6detail15normal_iteratorINS6_10device_ptrIKyEEEESL_NS6_8equal_toIyEEEENSG_9not_fun_tINSD_8identityEEEEENSD_19counting_iterator_tIlEES8_S8_S8_S8_S8_S8_S8_S8_EEEEPS9_S9_NSD_9__find_if7functorIS9_EEEE10hipError_tPvRmT1_T2_T3_mT4_P12ihipStream_tbEUlT_E0_NS1_11comp_targetILNS1_3genE10ELNS1_11target_archE1201ELNS1_3gpuE5ELNS1_3repE0EEENS1_30default_config_static_selectorELNS0_4arch9wavefront6targetE1EEEvS14_,"axG",@progbits,_ZN7rocprim17ROCPRIM_400000_NS6detail17trampoline_kernelINS0_14default_configENS1_22reduce_config_selectorIN6thrust23THRUST_200600_302600_NS5tupleIblNS6_9null_typeES8_S8_S8_S8_S8_S8_S8_EEEEZNS1_11reduce_implILb1ES3_NS6_12zip_iteratorINS7_INS6_11hip_rocprim26transform_input_iterator_tIbNSD_35transform_pair_of_input_iterators_tIbNS6_6detail15normal_iteratorINS6_10device_ptrIKyEEEESL_NS6_8equal_toIyEEEENSG_9not_fun_tINSD_8identityEEEEENSD_19counting_iterator_tIlEES8_S8_S8_S8_S8_S8_S8_S8_EEEEPS9_S9_NSD_9__find_if7functorIS9_EEEE10hipError_tPvRmT1_T2_T3_mT4_P12ihipStream_tbEUlT_E0_NS1_11comp_targetILNS1_3genE10ELNS1_11target_archE1201ELNS1_3gpuE5ELNS1_3repE0EEENS1_30default_config_static_selectorELNS0_4arch9wavefront6targetE1EEEvS14_,comdat
	.protected	_ZN7rocprim17ROCPRIM_400000_NS6detail17trampoline_kernelINS0_14default_configENS1_22reduce_config_selectorIN6thrust23THRUST_200600_302600_NS5tupleIblNS6_9null_typeES8_S8_S8_S8_S8_S8_S8_EEEEZNS1_11reduce_implILb1ES3_NS6_12zip_iteratorINS7_INS6_11hip_rocprim26transform_input_iterator_tIbNSD_35transform_pair_of_input_iterators_tIbNS6_6detail15normal_iteratorINS6_10device_ptrIKyEEEESL_NS6_8equal_toIyEEEENSG_9not_fun_tINSD_8identityEEEEENSD_19counting_iterator_tIlEES8_S8_S8_S8_S8_S8_S8_S8_EEEEPS9_S9_NSD_9__find_if7functorIS9_EEEE10hipError_tPvRmT1_T2_T3_mT4_P12ihipStream_tbEUlT_E0_NS1_11comp_targetILNS1_3genE10ELNS1_11target_archE1201ELNS1_3gpuE5ELNS1_3repE0EEENS1_30default_config_static_selectorELNS0_4arch9wavefront6targetE1EEEvS14_ ; -- Begin function _ZN7rocprim17ROCPRIM_400000_NS6detail17trampoline_kernelINS0_14default_configENS1_22reduce_config_selectorIN6thrust23THRUST_200600_302600_NS5tupleIblNS6_9null_typeES8_S8_S8_S8_S8_S8_S8_EEEEZNS1_11reduce_implILb1ES3_NS6_12zip_iteratorINS7_INS6_11hip_rocprim26transform_input_iterator_tIbNSD_35transform_pair_of_input_iterators_tIbNS6_6detail15normal_iteratorINS6_10device_ptrIKyEEEESL_NS6_8equal_toIyEEEENSG_9not_fun_tINSD_8identityEEEEENSD_19counting_iterator_tIlEES8_S8_S8_S8_S8_S8_S8_S8_EEEEPS9_S9_NSD_9__find_if7functorIS9_EEEE10hipError_tPvRmT1_T2_T3_mT4_P12ihipStream_tbEUlT_E0_NS1_11comp_targetILNS1_3genE10ELNS1_11target_archE1201ELNS1_3gpuE5ELNS1_3repE0EEENS1_30default_config_static_selectorELNS0_4arch9wavefront6targetE1EEEvS14_
	.globl	_ZN7rocprim17ROCPRIM_400000_NS6detail17trampoline_kernelINS0_14default_configENS1_22reduce_config_selectorIN6thrust23THRUST_200600_302600_NS5tupleIblNS6_9null_typeES8_S8_S8_S8_S8_S8_S8_EEEEZNS1_11reduce_implILb1ES3_NS6_12zip_iteratorINS7_INS6_11hip_rocprim26transform_input_iterator_tIbNSD_35transform_pair_of_input_iterators_tIbNS6_6detail15normal_iteratorINS6_10device_ptrIKyEEEESL_NS6_8equal_toIyEEEENSG_9not_fun_tINSD_8identityEEEEENSD_19counting_iterator_tIlEES8_S8_S8_S8_S8_S8_S8_S8_EEEEPS9_S9_NSD_9__find_if7functorIS9_EEEE10hipError_tPvRmT1_T2_T3_mT4_P12ihipStream_tbEUlT_E0_NS1_11comp_targetILNS1_3genE10ELNS1_11target_archE1201ELNS1_3gpuE5ELNS1_3repE0EEENS1_30default_config_static_selectorELNS0_4arch9wavefront6targetE1EEEvS14_
	.p2align	8
	.type	_ZN7rocprim17ROCPRIM_400000_NS6detail17trampoline_kernelINS0_14default_configENS1_22reduce_config_selectorIN6thrust23THRUST_200600_302600_NS5tupleIblNS6_9null_typeES8_S8_S8_S8_S8_S8_S8_EEEEZNS1_11reduce_implILb1ES3_NS6_12zip_iteratorINS7_INS6_11hip_rocprim26transform_input_iterator_tIbNSD_35transform_pair_of_input_iterators_tIbNS6_6detail15normal_iteratorINS6_10device_ptrIKyEEEESL_NS6_8equal_toIyEEEENSG_9not_fun_tINSD_8identityEEEEENSD_19counting_iterator_tIlEES8_S8_S8_S8_S8_S8_S8_S8_EEEEPS9_S9_NSD_9__find_if7functorIS9_EEEE10hipError_tPvRmT1_T2_T3_mT4_P12ihipStream_tbEUlT_E0_NS1_11comp_targetILNS1_3genE10ELNS1_11target_archE1201ELNS1_3gpuE5ELNS1_3repE0EEENS1_30default_config_static_selectorELNS0_4arch9wavefront6targetE1EEEvS14_,@function
_ZN7rocprim17ROCPRIM_400000_NS6detail17trampoline_kernelINS0_14default_configENS1_22reduce_config_selectorIN6thrust23THRUST_200600_302600_NS5tupleIblNS6_9null_typeES8_S8_S8_S8_S8_S8_S8_EEEEZNS1_11reduce_implILb1ES3_NS6_12zip_iteratorINS7_INS6_11hip_rocprim26transform_input_iterator_tIbNSD_35transform_pair_of_input_iterators_tIbNS6_6detail15normal_iteratorINS6_10device_ptrIKyEEEESL_NS6_8equal_toIyEEEENSG_9not_fun_tINSD_8identityEEEEENSD_19counting_iterator_tIlEES8_S8_S8_S8_S8_S8_S8_S8_EEEEPS9_S9_NSD_9__find_if7functorIS9_EEEE10hipError_tPvRmT1_T2_T3_mT4_P12ihipStream_tbEUlT_E0_NS1_11comp_targetILNS1_3genE10ELNS1_11target_archE1201ELNS1_3gpuE5ELNS1_3repE0EEENS1_30default_config_static_selectorELNS0_4arch9wavefront6targetE1EEEvS14_: ; @_ZN7rocprim17ROCPRIM_400000_NS6detail17trampoline_kernelINS0_14default_configENS1_22reduce_config_selectorIN6thrust23THRUST_200600_302600_NS5tupleIblNS6_9null_typeES8_S8_S8_S8_S8_S8_S8_EEEEZNS1_11reduce_implILb1ES3_NS6_12zip_iteratorINS7_INS6_11hip_rocprim26transform_input_iterator_tIbNSD_35transform_pair_of_input_iterators_tIbNS6_6detail15normal_iteratorINS6_10device_ptrIKyEEEESL_NS6_8equal_toIyEEEENSG_9not_fun_tINSD_8identityEEEEENSD_19counting_iterator_tIlEES8_S8_S8_S8_S8_S8_S8_S8_EEEEPS9_S9_NSD_9__find_if7functorIS9_EEEE10hipError_tPvRmT1_T2_T3_mT4_P12ihipStream_tbEUlT_E0_NS1_11comp_targetILNS1_3genE10ELNS1_11target_archE1201ELNS1_3gpuE5ELNS1_3repE0EEENS1_30default_config_static_selectorELNS0_4arch9wavefront6targetE1EEEvS14_
; %bb.0:
	.section	.rodata,"a",@progbits
	.p2align	6, 0x0
	.amdhsa_kernel _ZN7rocprim17ROCPRIM_400000_NS6detail17trampoline_kernelINS0_14default_configENS1_22reduce_config_selectorIN6thrust23THRUST_200600_302600_NS5tupleIblNS6_9null_typeES8_S8_S8_S8_S8_S8_S8_EEEEZNS1_11reduce_implILb1ES3_NS6_12zip_iteratorINS7_INS6_11hip_rocprim26transform_input_iterator_tIbNSD_35transform_pair_of_input_iterators_tIbNS6_6detail15normal_iteratorINS6_10device_ptrIKyEEEESL_NS6_8equal_toIyEEEENSG_9not_fun_tINSD_8identityEEEEENSD_19counting_iterator_tIlEES8_S8_S8_S8_S8_S8_S8_S8_EEEEPS9_S9_NSD_9__find_if7functorIS9_EEEE10hipError_tPvRmT1_T2_T3_mT4_P12ihipStream_tbEUlT_E0_NS1_11comp_targetILNS1_3genE10ELNS1_11target_archE1201ELNS1_3gpuE5ELNS1_3repE0EEENS1_30default_config_static_selectorELNS0_4arch9wavefront6targetE1EEEvS14_
		.amdhsa_group_segment_fixed_size 0
		.amdhsa_private_segment_fixed_size 0
		.amdhsa_kernarg_size 104
		.amdhsa_user_sgpr_count 6
		.amdhsa_user_sgpr_private_segment_buffer 1
		.amdhsa_user_sgpr_dispatch_ptr 0
		.amdhsa_user_sgpr_queue_ptr 0
		.amdhsa_user_sgpr_kernarg_segment_ptr 1
		.amdhsa_user_sgpr_dispatch_id 0
		.amdhsa_user_sgpr_flat_scratch_init 0
		.amdhsa_user_sgpr_private_segment_size 0
		.amdhsa_uses_dynamic_stack 0
		.amdhsa_system_sgpr_private_segment_wavefront_offset 0
		.amdhsa_system_sgpr_workgroup_id_x 1
		.amdhsa_system_sgpr_workgroup_id_y 0
		.amdhsa_system_sgpr_workgroup_id_z 0
		.amdhsa_system_sgpr_workgroup_info 0
		.amdhsa_system_vgpr_workitem_id 0
		.amdhsa_next_free_vgpr 1
		.amdhsa_next_free_sgpr 0
		.amdhsa_reserve_vcc 0
		.amdhsa_reserve_flat_scratch 0
		.amdhsa_float_round_mode_32 0
		.amdhsa_float_round_mode_16_64 0
		.amdhsa_float_denorm_mode_32 3
		.amdhsa_float_denorm_mode_16_64 3
		.amdhsa_dx10_clamp 1
		.amdhsa_ieee_mode 1
		.amdhsa_fp16_overflow 0
		.amdhsa_exception_fp_ieee_invalid_op 0
		.amdhsa_exception_fp_denorm_src 0
		.amdhsa_exception_fp_ieee_div_zero 0
		.amdhsa_exception_fp_ieee_overflow 0
		.amdhsa_exception_fp_ieee_underflow 0
		.amdhsa_exception_fp_ieee_inexact 0
		.amdhsa_exception_int_div_zero 0
	.end_amdhsa_kernel
	.section	.text._ZN7rocprim17ROCPRIM_400000_NS6detail17trampoline_kernelINS0_14default_configENS1_22reduce_config_selectorIN6thrust23THRUST_200600_302600_NS5tupleIblNS6_9null_typeES8_S8_S8_S8_S8_S8_S8_EEEEZNS1_11reduce_implILb1ES3_NS6_12zip_iteratorINS7_INS6_11hip_rocprim26transform_input_iterator_tIbNSD_35transform_pair_of_input_iterators_tIbNS6_6detail15normal_iteratorINS6_10device_ptrIKyEEEESL_NS6_8equal_toIyEEEENSG_9not_fun_tINSD_8identityEEEEENSD_19counting_iterator_tIlEES8_S8_S8_S8_S8_S8_S8_S8_EEEEPS9_S9_NSD_9__find_if7functorIS9_EEEE10hipError_tPvRmT1_T2_T3_mT4_P12ihipStream_tbEUlT_E0_NS1_11comp_targetILNS1_3genE10ELNS1_11target_archE1201ELNS1_3gpuE5ELNS1_3repE0EEENS1_30default_config_static_selectorELNS0_4arch9wavefront6targetE1EEEvS14_,"axG",@progbits,_ZN7rocprim17ROCPRIM_400000_NS6detail17trampoline_kernelINS0_14default_configENS1_22reduce_config_selectorIN6thrust23THRUST_200600_302600_NS5tupleIblNS6_9null_typeES8_S8_S8_S8_S8_S8_S8_EEEEZNS1_11reduce_implILb1ES3_NS6_12zip_iteratorINS7_INS6_11hip_rocprim26transform_input_iterator_tIbNSD_35transform_pair_of_input_iterators_tIbNS6_6detail15normal_iteratorINS6_10device_ptrIKyEEEESL_NS6_8equal_toIyEEEENSG_9not_fun_tINSD_8identityEEEEENSD_19counting_iterator_tIlEES8_S8_S8_S8_S8_S8_S8_S8_EEEEPS9_S9_NSD_9__find_if7functorIS9_EEEE10hipError_tPvRmT1_T2_T3_mT4_P12ihipStream_tbEUlT_E0_NS1_11comp_targetILNS1_3genE10ELNS1_11target_archE1201ELNS1_3gpuE5ELNS1_3repE0EEENS1_30default_config_static_selectorELNS0_4arch9wavefront6targetE1EEEvS14_,comdat
.Lfunc_end470:
	.size	_ZN7rocprim17ROCPRIM_400000_NS6detail17trampoline_kernelINS0_14default_configENS1_22reduce_config_selectorIN6thrust23THRUST_200600_302600_NS5tupleIblNS6_9null_typeES8_S8_S8_S8_S8_S8_S8_EEEEZNS1_11reduce_implILb1ES3_NS6_12zip_iteratorINS7_INS6_11hip_rocprim26transform_input_iterator_tIbNSD_35transform_pair_of_input_iterators_tIbNS6_6detail15normal_iteratorINS6_10device_ptrIKyEEEESL_NS6_8equal_toIyEEEENSG_9not_fun_tINSD_8identityEEEEENSD_19counting_iterator_tIlEES8_S8_S8_S8_S8_S8_S8_S8_EEEEPS9_S9_NSD_9__find_if7functorIS9_EEEE10hipError_tPvRmT1_T2_T3_mT4_P12ihipStream_tbEUlT_E0_NS1_11comp_targetILNS1_3genE10ELNS1_11target_archE1201ELNS1_3gpuE5ELNS1_3repE0EEENS1_30default_config_static_selectorELNS0_4arch9wavefront6targetE1EEEvS14_, .Lfunc_end470-_ZN7rocprim17ROCPRIM_400000_NS6detail17trampoline_kernelINS0_14default_configENS1_22reduce_config_selectorIN6thrust23THRUST_200600_302600_NS5tupleIblNS6_9null_typeES8_S8_S8_S8_S8_S8_S8_EEEEZNS1_11reduce_implILb1ES3_NS6_12zip_iteratorINS7_INS6_11hip_rocprim26transform_input_iterator_tIbNSD_35transform_pair_of_input_iterators_tIbNS6_6detail15normal_iteratorINS6_10device_ptrIKyEEEESL_NS6_8equal_toIyEEEENSG_9not_fun_tINSD_8identityEEEEENSD_19counting_iterator_tIlEES8_S8_S8_S8_S8_S8_S8_S8_EEEEPS9_S9_NSD_9__find_if7functorIS9_EEEE10hipError_tPvRmT1_T2_T3_mT4_P12ihipStream_tbEUlT_E0_NS1_11comp_targetILNS1_3genE10ELNS1_11target_archE1201ELNS1_3gpuE5ELNS1_3repE0EEENS1_30default_config_static_selectorELNS0_4arch9wavefront6targetE1EEEvS14_
                                        ; -- End function
	.set _ZN7rocprim17ROCPRIM_400000_NS6detail17trampoline_kernelINS0_14default_configENS1_22reduce_config_selectorIN6thrust23THRUST_200600_302600_NS5tupleIblNS6_9null_typeES8_S8_S8_S8_S8_S8_S8_EEEEZNS1_11reduce_implILb1ES3_NS6_12zip_iteratorINS7_INS6_11hip_rocprim26transform_input_iterator_tIbNSD_35transform_pair_of_input_iterators_tIbNS6_6detail15normal_iteratorINS6_10device_ptrIKyEEEESL_NS6_8equal_toIyEEEENSG_9not_fun_tINSD_8identityEEEEENSD_19counting_iterator_tIlEES8_S8_S8_S8_S8_S8_S8_S8_EEEEPS9_S9_NSD_9__find_if7functorIS9_EEEE10hipError_tPvRmT1_T2_T3_mT4_P12ihipStream_tbEUlT_E0_NS1_11comp_targetILNS1_3genE10ELNS1_11target_archE1201ELNS1_3gpuE5ELNS1_3repE0EEENS1_30default_config_static_selectorELNS0_4arch9wavefront6targetE1EEEvS14_.num_vgpr, 0
	.set _ZN7rocprim17ROCPRIM_400000_NS6detail17trampoline_kernelINS0_14default_configENS1_22reduce_config_selectorIN6thrust23THRUST_200600_302600_NS5tupleIblNS6_9null_typeES8_S8_S8_S8_S8_S8_S8_EEEEZNS1_11reduce_implILb1ES3_NS6_12zip_iteratorINS7_INS6_11hip_rocprim26transform_input_iterator_tIbNSD_35transform_pair_of_input_iterators_tIbNS6_6detail15normal_iteratorINS6_10device_ptrIKyEEEESL_NS6_8equal_toIyEEEENSG_9not_fun_tINSD_8identityEEEEENSD_19counting_iterator_tIlEES8_S8_S8_S8_S8_S8_S8_S8_EEEEPS9_S9_NSD_9__find_if7functorIS9_EEEE10hipError_tPvRmT1_T2_T3_mT4_P12ihipStream_tbEUlT_E0_NS1_11comp_targetILNS1_3genE10ELNS1_11target_archE1201ELNS1_3gpuE5ELNS1_3repE0EEENS1_30default_config_static_selectorELNS0_4arch9wavefront6targetE1EEEvS14_.num_agpr, 0
	.set _ZN7rocprim17ROCPRIM_400000_NS6detail17trampoline_kernelINS0_14default_configENS1_22reduce_config_selectorIN6thrust23THRUST_200600_302600_NS5tupleIblNS6_9null_typeES8_S8_S8_S8_S8_S8_S8_EEEEZNS1_11reduce_implILb1ES3_NS6_12zip_iteratorINS7_INS6_11hip_rocprim26transform_input_iterator_tIbNSD_35transform_pair_of_input_iterators_tIbNS6_6detail15normal_iteratorINS6_10device_ptrIKyEEEESL_NS6_8equal_toIyEEEENSG_9not_fun_tINSD_8identityEEEEENSD_19counting_iterator_tIlEES8_S8_S8_S8_S8_S8_S8_S8_EEEEPS9_S9_NSD_9__find_if7functorIS9_EEEE10hipError_tPvRmT1_T2_T3_mT4_P12ihipStream_tbEUlT_E0_NS1_11comp_targetILNS1_3genE10ELNS1_11target_archE1201ELNS1_3gpuE5ELNS1_3repE0EEENS1_30default_config_static_selectorELNS0_4arch9wavefront6targetE1EEEvS14_.numbered_sgpr, 0
	.set _ZN7rocprim17ROCPRIM_400000_NS6detail17trampoline_kernelINS0_14default_configENS1_22reduce_config_selectorIN6thrust23THRUST_200600_302600_NS5tupleIblNS6_9null_typeES8_S8_S8_S8_S8_S8_S8_EEEEZNS1_11reduce_implILb1ES3_NS6_12zip_iteratorINS7_INS6_11hip_rocprim26transform_input_iterator_tIbNSD_35transform_pair_of_input_iterators_tIbNS6_6detail15normal_iteratorINS6_10device_ptrIKyEEEESL_NS6_8equal_toIyEEEENSG_9not_fun_tINSD_8identityEEEEENSD_19counting_iterator_tIlEES8_S8_S8_S8_S8_S8_S8_S8_EEEEPS9_S9_NSD_9__find_if7functorIS9_EEEE10hipError_tPvRmT1_T2_T3_mT4_P12ihipStream_tbEUlT_E0_NS1_11comp_targetILNS1_3genE10ELNS1_11target_archE1201ELNS1_3gpuE5ELNS1_3repE0EEENS1_30default_config_static_selectorELNS0_4arch9wavefront6targetE1EEEvS14_.num_named_barrier, 0
	.set _ZN7rocprim17ROCPRIM_400000_NS6detail17trampoline_kernelINS0_14default_configENS1_22reduce_config_selectorIN6thrust23THRUST_200600_302600_NS5tupleIblNS6_9null_typeES8_S8_S8_S8_S8_S8_S8_EEEEZNS1_11reduce_implILb1ES3_NS6_12zip_iteratorINS7_INS6_11hip_rocprim26transform_input_iterator_tIbNSD_35transform_pair_of_input_iterators_tIbNS6_6detail15normal_iteratorINS6_10device_ptrIKyEEEESL_NS6_8equal_toIyEEEENSG_9not_fun_tINSD_8identityEEEEENSD_19counting_iterator_tIlEES8_S8_S8_S8_S8_S8_S8_S8_EEEEPS9_S9_NSD_9__find_if7functorIS9_EEEE10hipError_tPvRmT1_T2_T3_mT4_P12ihipStream_tbEUlT_E0_NS1_11comp_targetILNS1_3genE10ELNS1_11target_archE1201ELNS1_3gpuE5ELNS1_3repE0EEENS1_30default_config_static_selectorELNS0_4arch9wavefront6targetE1EEEvS14_.private_seg_size, 0
	.set _ZN7rocprim17ROCPRIM_400000_NS6detail17trampoline_kernelINS0_14default_configENS1_22reduce_config_selectorIN6thrust23THRUST_200600_302600_NS5tupleIblNS6_9null_typeES8_S8_S8_S8_S8_S8_S8_EEEEZNS1_11reduce_implILb1ES3_NS6_12zip_iteratorINS7_INS6_11hip_rocprim26transform_input_iterator_tIbNSD_35transform_pair_of_input_iterators_tIbNS6_6detail15normal_iteratorINS6_10device_ptrIKyEEEESL_NS6_8equal_toIyEEEENSG_9not_fun_tINSD_8identityEEEEENSD_19counting_iterator_tIlEES8_S8_S8_S8_S8_S8_S8_S8_EEEEPS9_S9_NSD_9__find_if7functorIS9_EEEE10hipError_tPvRmT1_T2_T3_mT4_P12ihipStream_tbEUlT_E0_NS1_11comp_targetILNS1_3genE10ELNS1_11target_archE1201ELNS1_3gpuE5ELNS1_3repE0EEENS1_30default_config_static_selectorELNS0_4arch9wavefront6targetE1EEEvS14_.uses_vcc, 0
	.set _ZN7rocprim17ROCPRIM_400000_NS6detail17trampoline_kernelINS0_14default_configENS1_22reduce_config_selectorIN6thrust23THRUST_200600_302600_NS5tupleIblNS6_9null_typeES8_S8_S8_S8_S8_S8_S8_EEEEZNS1_11reduce_implILb1ES3_NS6_12zip_iteratorINS7_INS6_11hip_rocprim26transform_input_iterator_tIbNSD_35transform_pair_of_input_iterators_tIbNS6_6detail15normal_iteratorINS6_10device_ptrIKyEEEESL_NS6_8equal_toIyEEEENSG_9not_fun_tINSD_8identityEEEEENSD_19counting_iterator_tIlEES8_S8_S8_S8_S8_S8_S8_S8_EEEEPS9_S9_NSD_9__find_if7functorIS9_EEEE10hipError_tPvRmT1_T2_T3_mT4_P12ihipStream_tbEUlT_E0_NS1_11comp_targetILNS1_3genE10ELNS1_11target_archE1201ELNS1_3gpuE5ELNS1_3repE0EEENS1_30default_config_static_selectorELNS0_4arch9wavefront6targetE1EEEvS14_.uses_flat_scratch, 0
	.set _ZN7rocprim17ROCPRIM_400000_NS6detail17trampoline_kernelINS0_14default_configENS1_22reduce_config_selectorIN6thrust23THRUST_200600_302600_NS5tupleIblNS6_9null_typeES8_S8_S8_S8_S8_S8_S8_EEEEZNS1_11reduce_implILb1ES3_NS6_12zip_iteratorINS7_INS6_11hip_rocprim26transform_input_iterator_tIbNSD_35transform_pair_of_input_iterators_tIbNS6_6detail15normal_iteratorINS6_10device_ptrIKyEEEESL_NS6_8equal_toIyEEEENSG_9not_fun_tINSD_8identityEEEEENSD_19counting_iterator_tIlEES8_S8_S8_S8_S8_S8_S8_S8_EEEEPS9_S9_NSD_9__find_if7functorIS9_EEEE10hipError_tPvRmT1_T2_T3_mT4_P12ihipStream_tbEUlT_E0_NS1_11comp_targetILNS1_3genE10ELNS1_11target_archE1201ELNS1_3gpuE5ELNS1_3repE0EEENS1_30default_config_static_selectorELNS0_4arch9wavefront6targetE1EEEvS14_.has_dyn_sized_stack, 0
	.set _ZN7rocprim17ROCPRIM_400000_NS6detail17trampoline_kernelINS0_14default_configENS1_22reduce_config_selectorIN6thrust23THRUST_200600_302600_NS5tupleIblNS6_9null_typeES8_S8_S8_S8_S8_S8_S8_EEEEZNS1_11reduce_implILb1ES3_NS6_12zip_iteratorINS7_INS6_11hip_rocprim26transform_input_iterator_tIbNSD_35transform_pair_of_input_iterators_tIbNS6_6detail15normal_iteratorINS6_10device_ptrIKyEEEESL_NS6_8equal_toIyEEEENSG_9not_fun_tINSD_8identityEEEEENSD_19counting_iterator_tIlEES8_S8_S8_S8_S8_S8_S8_S8_EEEEPS9_S9_NSD_9__find_if7functorIS9_EEEE10hipError_tPvRmT1_T2_T3_mT4_P12ihipStream_tbEUlT_E0_NS1_11comp_targetILNS1_3genE10ELNS1_11target_archE1201ELNS1_3gpuE5ELNS1_3repE0EEENS1_30default_config_static_selectorELNS0_4arch9wavefront6targetE1EEEvS14_.has_recursion, 0
	.set _ZN7rocprim17ROCPRIM_400000_NS6detail17trampoline_kernelINS0_14default_configENS1_22reduce_config_selectorIN6thrust23THRUST_200600_302600_NS5tupleIblNS6_9null_typeES8_S8_S8_S8_S8_S8_S8_EEEEZNS1_11reduce_implILb1ES3_NS6_12zip_iteratorINS7_INS6_11hip_rocprim26transform_input_iterator_tIbNSD_35transform_pair_of_input_iterators_tIbNS6_6detail15normal_iteratorINS6_10device_ptrIKyEEEESL_NS6_8equal_toIyEEEENSG_9not_fun_tINSD_8identityEEEEENSD_19counting_iterator_tIlEES8_S8_S8_S8_S8_S8_S8_S8_EEEEPS9_S9_NSD_9__find_if7functorIS9_EEEE10hipError_tPvRmT1_T2_T3_mT4_P12ihipStream_tbEUlT_E0_NS1_11comp_targetILNS1_3genE10ELNS1_11target_archE1201ELNS1_3gpuE5ELNS1_3repE0EEENS1_30default_config_static_selectorELNS0_4arch9wavefront6targetE1EEEvS14_.has_indirect_call, 0
	.section	.AMDGPU.csdata,"",@progbits
; Kernel info:
; codeLenInByte = 0
; TotalNumSgprs: 4
; NumVgprs: 0
; ScratchSize: 0
; MemoryBound: 0
; FloatMode: 240
; IeeeMode: 1
; LDSByteSize: 0 bytes/workgroup (compile time only)
; SGPRBlocks: 0
; VGPRBlocks: 0
; NumSGPRsForWavesPerEU: 4
; NumVGPRsForWavesPerEU: 1
; Occupancy: 10
; WaveLimiterHint : 0
; COMPUTE_PGM_RSRC2:SCRATCH_EN: 0
; COMPUTE_PGM_RSRC2:USER_SGPR: 6
; COMPUTE_PGM_RSRC2:TRAP_HANDLER: 0
; COMPUTE_PGM_RSRC2:TGID_X_EN: 1
; COMPUTE_PGM_RSRC2:TGID_Y_EN: 0
; COMPUTE_PGM_RSRC2:TGID_Z_EN: 0
; COMPUTE_PGM_RSRC2:TIDIG_COMP_CNT: 0
	.section	.text._ZN7rocprim17ROCPRIM_400000_NS6detail17trampoline_kernelINS0_14default_configENS1_22reduce_config_selectorIN6thrust23THRUST_200600_302600_NS5tupleIblNS6_9null_typeES8_S8_S8_S8_S8_S8_S8_EEEEZNS1_11reduce_implILb1ES3_NS6_12zip_iteratorINS7_INS6_11hip_rocprim26transform_input_iterator_tIbNSD_35transform_pair_of_input_iterators_tIbNS6_6detail15normal_iteratorINS6_10device_ptrIKyEEEESL_NS6_8equal_toIyEEEENSG_9not_fun_tINSD_8identityEEEEENSD_19counting_iterator_tIlEES8_S8_S8_S8_S8_S8_S8_S8_EEEEPS9_S9_NSD_9__find_if7functorIS9_EEEE10hipError_tPvRmT1_T2_T3_mT4_P12ihipStream_tbEUlT_E0_NS1_11comp_targetILNS1_3genE10ELNS1_11target_archE1200ELNS1_3gpuE4ELNS1_3repE0EEENS1_30default_config_static_selectorELNS0_4arch9wavefront6targetE1EEEvS14_,"axG",@progbits,_ZN7rocprim17ROCPRIM_400000_NS6detail17trampoline_kernelINS0_14default_configENS1_22reduce_config_selectorIN6thrust23THRUST_200600_302600_NS5tupleIblNS6_9null_typeES8_S8_S8_S8_S8_S8_S8_EEEEZNS1_11reduce_implILb1ES3_NS6_12zip_iteratorINS7_INS6_11hip_rocprim26transform_input_iterator_tIbNSD_35transform_pair_of_input_iterators_tIbNS6_6detail15normal_iteratorINS6_10device_ptrIKyEEEESL_NS6_8equal_toIyEEEENSG_9not_fun_tINSD_8identityEEEEENSD_19counting_iterator_tIlEES8_S8_S8_S8_S8_S8_S8_S8_EEEEPS9_S9_NSD_9__find_if7functorIS9_EEEE10hipError_tPvRmT1_T2_T3_mT4_P12ihipStream_tbEUlT_E0_NS1_11comp_targetILNS1_3genE10ELNS1_11target_archE1200ELNS1_3gpuE4ELNS1_3repE0EEENS1_30default_config_static_selectorELNS0_4arch9wavefront6targetE1EEEvS14_,comdat
	.protected	_ZN7rocprim17ROCPRIM_400000_NS6detail17trampoline_kernelINS0_14default_configENS1_22reduce_config_selectorIN6thrust23THRUST_200600_302600_NS5tupleIblNS6_9null_typeES8_S8_S8_S8_S8_S8_S8_EEEEZNS1_11reduce_implILb1ES3_NS6_12zip_iteratorINS7_INS6_11hip_rocprim26transform_input_iterator_tIbNSD_35transform_pair_of_input_iterators_tIbNS6_6detail15normal_iteratorINS6_10device_ptrIKyEEEESL_NS6_8equal_toIyEEEENSG_9not_fun_tINSD_8identityEEEEENSD_19counting_iterator_tIlEES8_S8_S8_S8_S8_S8_S8_S8_EEEEPS9_S9_NSD_9__find_if7functorIS9_EEEE10hipError_tPvRmT1_T2_T3_mT4_P12ihipStream_tbEUlT_E0_NS1_11comp_targetILNS1_3genE10ELNS1_11target_archE1200ELNS1_3gpuE4ELNS1_3repE0EEENS1_30default_config_static_selectorELNS0_4arch9wavefront6targetE1EEEvS14_ ; -- Begin function _ZN7rocprim17ROCPRIM_400000_NS6detail17trampoline_kernelINS0_14default_configENS1_22reduce_config_selectorIN6thrust23THRUST_200600_302600_NS5tupleIblNS6_9null_typeES8_S8_S8_S8_S8_S8_S8_EEEEZNS1_11reduce_implILb1ES3_NS6_12zip_iteratorINS7_INS6_11hip_rocprim26transform_input_iterator_tIbNSD_35transform_pair_of_input_iterators_tIbNS6_6detail15normal_iteratorINS6_10device_ptrIKyEEEESL_NS6_8equal_toIyEEEENSG_9not_fun_tINSD_8identityEEEEENSD_19counting_iterator_tIlEES8_S8_S8_S8_S8_S8_S8_S8_EEEEPS9_S9_NSD_9__find_if7functorIS9_EEEE10hipError_tPvRmT1_T2_T3_mT4_P12ihipStream_tbEUlT_E0_NS1_11comp_targetILNS1_3genE10ELNS1_11target_archE1200ELNS1_3gpuE4ELNS1_3repE0EEENS1_30default_config_static_selectorELNS0_4arch9wavefront6targetE1EEEvS14_
	.globl	_ZN7rocprim17ROCPRIM_400000_NS6detail17trampoline_kernelINS0_14default_configENS1_22reduce_config_selectorIN6thrust23THRUST_200600_302600_NS5tupleIblNS6_9null_typeES8_S8_S8_S8_S8_S8_S8_EEEEZNS1_11reduce_implILb1ES3_NS6_12zip_iteratorINS7_INS6_11hip_rocprim26transform_input_iterator_tIbNSD_35transform_pair_of_input_iterators_tIbNS6_6detail15normal_iteratorINS6_10device_ptrIKyEEEESL_NS6_8equal_toIyEEEENSG_9not_fun_tINSD_8identityEEEEENSD_19counting_iterator_tIlEES8_S8_S8_S8_S8_S8_S8_S8_EEEEPS9_S9_NSD_9__find_if7functorIS9_EEEE10hipError_tPvRmT1_T2_T3_mT4_P12ihipStream_tbEUlT_E0_NS1_11comp_targetILNS1_3genE10ELNS1_11target_archE1200ELNS1_3gpuE4ELNS1_3repE0EEENS1_30default_config_static_selectorELNS0_4arch9wavefront6targetE1EEEvS14_
	.p2align	8
	.type	_ZN7rocprim17ROCPRIM_400000_NS6detail17trampoline_kernelINS0_14default_configENS1_22reduce_config_selectorIN6thrust23THRUST_200600_302600_NS5tupleIblNS6_9null_typeES8_S8_S8_S8_S8_S8_S8_EEEEZNS1_11reduce_implILb1ES3_NS6_12zip_iteratorINS7_INS6_11hip_rocprim26transform_input_iterator_tIbNSD_35transform_pair_of_input_iterators_tIbNS6_6detail15normal_iteratorINS6_10device_ptrIKyEEEESL_NS6_8equal_toIyEEEENSG_9not_fun_tINSD_8identityEEEEENSD_19counting_iterator_tIlEES8_S8_S8_S8_S8_S8_S8_S8_EEEEPS9_S9_NSD_9__find_if7functorIS9_EEEE10hipError_tPvRmT1_T2_T3_mT4_P12ihipStream_tbEUlT_E0_NS1_11comp_targetILNS1_3genE10ELNS1_11target_archE1200ELNS1_3gpuE4ELNS1_3repE0EEENS1_30default_config_static_selectorELNS0_4arch9wavefront6targetE1EEEvS14_,@function
_ZN7rocprim17ROCPRIM_400000_NS6detail17trampoline_kernelINS0_14default_configENS1_22reduce_config_selectorIN6thrust23THRUST_200600_302600_NS5tupleIblNS6_9null_typeES8_S8_S8_S8_S8_S8_S8_EEEEZNS1_11reduce_implILb1ES3_NS6_12zip_iteratorINS7_INS6_11hip_rocprim26transform_input_iterator_tIbNSD_35transform_pair_of_input_iterators_tIbNS6_6detail15normal_iteratorINS6_10device_ptrIKyEEEESL_NS6_8equal_toIyEEEENSG_9not_fun_tINSD_8identityEEEEENSD_19counting_iterator_tIlEES8_S8_S8_S8_S8_S8_S8_S8_EEEEPS9_S9_NSD_9__find_if7functorIS9_EEEE10hipError_tPvRmT1_T2_T3_mT4_P12ihipStream_tbEUlT_E0_NS1_11comp_targetILNS1_3genE10ELNS1_11target_archE1200ELNS1_3gpuE4ELNS1_3repE0EEENS1_30default_config_static_selectorELNS0_4arch9wavefront6targetE1EEEvS14_: ; @_ZN7rocprim17ROCPRIM_400000_NS6detail17trampoline_kernelINS0_14default_configENS1_22reduce_config_selectorIN6thrust23THRUST_200600_302600_NS5tupleIblNS6_9null_typeES8_S8_S8_S8_S8_S8_S8_EEEEZNS1_11reduce_implILb1ES3_NS6_12zip_iteratorINS7_INS6_11hip_rocprim26transform_input_iterator_tIbNSD_35transform_pair_of_input_iterators_tIbNS6_6detail15normal_iteratorINS6_10device_ptrIKyEEEESL_NS6_8equal_toIyEEEENSG_9not_fun_tINSD_8identityEEEEENSD_19counting_iterator_tIlEES8_S8_S8_S8_S8_S8_S8_S8_EEEEPS9_S9_NSD_9__find_if7functorIS9_EEEE10hipError_tPvRmT1_T2_T3_mT4_P12ihipStream_tbEUlT_E0_NS1_11comp_targetILNS1_3genE10ELNS1_11target_archE1200ELNS1_3gpuE4ELNS1_3repE0EEENS1_30default_config_static_selectorELNS0_4arch9wavefront6targetE1EEEvS14_
; %bb.0:
	.section	.rodata,"a",@progbits
	.p2align	6, 0x0
	.amdhsa_kernel _ZN7rocprim17ROCPRIM_400000_NS6detail17trampoline_kernelINS0_14default_configENS1_22reduce_config_selectorIN6thrust23THRUST_200600_302600_NS5tupleIblNS6_9null_typeES8_S8_S8_S8_S8_S8_S8_EEEEZNS1_11reduce_implILb1ES3_NS6_12zip_iteratorINS7_INS6_11hip_rocprim26transform_input_iterator_tIbNSD_35transform_pair_of_input_iterators_tIbNS6_6detail15normal_iteratorINS6_10device_ptrIKyEEEESL_NS6_8equal_toIyEEEENSG_9not_fun_tINSD_8identityEEEEENSD_19counting_iterator_tIlEES8_S8_S8_S8_S8_S8_S8_S8_EEEEPS9_S9_NSD_9__find_if7functorIS9_EEEE10hipError_tPvRmT1_T2_T3_mT4_P12ihipStream_tbEUlT_E0_NS1_11comp_targetILNS1_3genE10ELNS1_11target_archE1200ELNS1_3gpuE4ELNS1_3repE0EEENS1_30default_config_static_selectorELNS0_4arch9wavefront6targetE1EEEvS14_
		.amdhsa_group_segment_fixed_size 0
		.amdhsa_private_segment_fixed_size 0
		.amdhsa_kernarg_size 104
		.amdhsa_user_sgpr_count 6
		.amdhsa_user_sgpr_private_segment_buffer 1
		.amdhsa_user_sgpr_dispatch_ptr 0
		.amdhsa_user_sgpr_queue_ptr 0
		.amdhsa_user_sgpr_kernarg_segment_ptr 1
		.amdhsa_user_sgpr_dispatch_id 0
		.amdhsa_user_sgpr_flat_scratch_init 0
		.amdhsa_user_sgpr_private_segment_size 0
		.amdhsa_uses_dynamic_stack 0
		.amdhsa_system_sgpr_private_segment_wavefront_offset 0
		.amdhsa_system_sgpr_workgroup_id_x 1
		.amdhsa_system_sgpr_workgroup_id_y 0
		.amdhsa_system_sgpr_workgroup_id_z 0
		.amdhsa_system_sgpr_workgroup_info 0
		.amdhsa_system_vgpr_workitem_id 0
		.amdhsa_next_free_vgpr 1
		.amdhsa_next_free_sgpr 0
		.amdhsa_reserve_vcc 0
		.amdhsa_reserve_flat_scratch 0
		.amdhsa_float_round_mode_32 0
		.amdhsa_float_round_mode_16_64 0
		.amdhsa_float_denorm_mode_32 3
		.amdhsa_float_denorm_mode_16_64 3
		.amdhsa_dx10_clamp 1
		.amdhsa_ieee_mode 1
		.amdhsa_fp16_overflow 0
		.amdhsa_exception_fp_ieee_invalid_op 0
		.amdhsa_exception_fp_denorm_src 0
		.amdhsa_exception_fp_ieee_div_zero 0
		.amdhsa_exception_fp_ieee_overflow 0
		.amdhsa_exception_fp_ieee_underflow 0
		.amdhsa_exception_fp_ieee_inexact 0
		.amdhsa_exception_int_div_zero 0
	.end_amdhsa_kernel
	.section	.text._ZN7rocprim17ROCPRIM_400000_NS6detail17trampoline_kernelINS0_14default_configENS1_22reduce_config_selectorIN6thrust23THRUST_200600_302600_NS5tupleIblNS6_9null_typeES8_S8_S8_S8_S8_S8_S8_EEEEZNS1_11reduce_implILb1ES3_NS6_12zip_iteratorINS7_INS6_11hip_rocprim26transform_input_iterator_tIbNSD_35transform_pair_of_input_iterators_tIbNS6_6detail15normal_iteratorINS6_10device_ptrIKyEEEESL_NS6_8equal_toIyEEEENSG_9not_fun_tINSD_8identityEEEEENSD_19counting_iterator_tIlEES8_S8_S8_S8_S8_S8_S8_S8_EEEEPS9_S9_NSD_9__find_if7functorIS9_EEEE10hipError_tPvRmT1_T2_T3_mT4_P12ihipStream_tbEUlT_E0_NS1_11comp_targetILNS1_3genE10ELNS1_11target_archE1200ELNS1_3gpuE4ELNS1_3repE0EEENS1_30default_config_static_selectorELNS0_4arch9wavefront6targetE1EEEvS14_,"axG",@progbits,_ZN7rocprim17ROCPRIM_400000_NS6detail17trampoline_kernelINS0_14default_configENS1_22reduce_config_selectorIN6thrust23THRUST_200600_302600_NS5tupleIblNS6_9null_typeES8_S8_S8_S8_S8_S8_S8_EEEEZNS1_11reduce_implILb1ES3_NS6_12zip_iteratorINS7_INS6_11hip_rocprim26transform_input_iterator_tIbNSD_35transform_pair_of_input_iterators_tIbNS6_6detail15normal_iteratorINS6_10device_ptrIKyEEEESL_NS6_8equal_toIyEEEENSG_9not_fun_tINSD_8identityEEEEENSD_19counting_iterator_tIlEES8_S8_S8_S8_S8_S8_S8_S8_EEEEPS9_S9_NSD_9__find_if7functorIS9_EEEE10hipError_tPvRmT1_T2_T3_mT4_P12ihipStream_tbEUlT_E0_NS1_11comp_targetILNS1_3genE10ELNS1_11target_archE1200ELNS1_3gpuE4ELNS1_3repE0EEENS1_30default_config_static_selectorELNS0_4arch9wavefront6targetE1EEEvS14_,comdat
.Lfunc_end471:
	.size	_ZN7rocprim17ROCPRIM_400000_NS6detail17trampoline_kernelINS0_14default_configENS1_22reduce_config_selectorIN6thrust23THRUST_200600_302600_NS5tupleIblNS6_9null_typeES8_S8_S8_S8_S8_S8_S8_EEEEZNS1_11reduce_implILb1ES3_NS6_12zip_iteratorINS7_INS6_11hip_rocprim26transform_input_iterator_tIbNSD_35transform_pair_of_input_iterators_tIbNS6_6detail15normal_iteratorINS6_10device_ptrIKyEEEESL_NS6_8equal_toIyEEEENSG_9not_fun_tINSD_8identityEEEEENSD_19counting_iterator_tIlEES8_S8_S8_S8_S8_S8_S8_S8_EEEEPS9_S9_NSD_9__find_if7functorIS9_EEEE10hipError_tPvRmT1_T2_T3_mT4_P12ihipStream_tbEUlT_E0_NS1_11comp_targetILNS1_3genE10ELNS1_11target_archE1200ELNS1_3gpuE4ELNS1_3repE0EEENS1_30default_config_static_selectorELNS0_4arch9wavefront6targetE1EEEvS14_, .Lfunc_end471-_ZN7rocprim17ROCPRIM_400000_NS6detail17trampoline_kernelINS0_14default_configENS1_22reduce_config_selectorIN6thrust23THRUST_200600_302600_NS5tupleIblNS6_9null_typeES8_S8_S8_S8_S8_S8_S8_EEEEZNS1_11reduce_implILb1ES3_NS6_12zip_iteratorINS7_INS6_11hip_rocprim26transform_input_iterator_tIbNSD_35transform_pair_of_input_iterators_tIbNS6_6detail15normal_iteratorINS6_10device_ptrIKyEEEESL_NS6_8equal_toIyEEEENSG_9not_fun_tINSD_8identityEEEEENSD_19counting_iterator_tIlEES8_S8_S8_S8_S8_S8_S8_S8_EEEEPS9_S9_NSD_9__find_if7functorIS9_EEEE10hipError_tPvRmT1_T2_T3_mT4_P12ihipStream_tbEUlT_E0_NS1_11comp_targetILNS1_3genE10ELNS1_11target_archE1200ELNS1_3gpuE4ELNS1_3repE0EEENS1_30default_config_static_selectorELNS0_4arch9wavefront6targetE1EEEvS14_
                                        ; -- End function
	.set _ZN7rocprim17ROCPRIM_400000_NS6detail17trampoline_kernelINS0_14default_configENS1_22reduce_config_selectorIN6thrust23THRUST_200600_302600_NS5tupleIblNS6_9null_typeES8_S8_S8_S8_S8_S8_S8_EEEEZNS1_11reduce_implILb1ES3_NS6_12zip_iteratorINS7_INS6_11hip_rocprim26transform_input_iterator_tIbNSD_35transform_pair_of_input_iterators_tIbNS6_6detail15normal_iteratorINS6_10device_ptrIKyEEEESL_NS6_8equal_toIyEEEENSG_9not_fun_tINSD_8identityEEEEENSD_19counting_iterator_tIlEES8_S8_S8_S8_S8_S8_S8_S8_EEEEPS9_S9_NSD_9__find_if7functorIS9_EEEE10hipError_tPvRmT1_T2_T3_mT4_P12ihipStream_tbEUlT_E0_NS1_11comp_targetILNS1_3genE10ELNS1_11target_archE1200ELNS1_3gpuE4ELNS1_3repE0EEENS1_30default_config_static_selectorELNS0_4arch9wavefront6targetE1EEEvS14_.num_vgpr, 0
	.set _ZN7rocprim17ROCPRIM_400000_NS6detail17trampoline_kernelINS0_14default_configENS1_22reduce_config_selectorIN6thrust23THRUST_200600_302600_NS5tupleIblNS6_9null_typeES8_S8_S8_S8_S8_S8_S8_EEEEZNS1_11reduce_implILb1ES3_NS6_12zip_iteratorINS7_INS6_11hip_rocprim26transform_input_iterator_tIbNSD_35transform_pair_of_input_iterators_tIbNS6_6detail15normal_iteratorINS6_10device_ptrIKyEEEESL_NS6_8equal_toIyEEEENSG_9not_fun_tINSD_8identityEEEEENSD_19counting_iterator_tIlEES8_S8_S8_S8_S8_S8_S8_S8_EEEEPS9_S9_NSD_9__find_if7functorIS9_EEEE10hipError_tPvRmT1_T2_T3_mT4_P12ihipStream_tbEUlT_E0_NS1_11comp_targetILNS1_3genE10ELNS1_11target_archE1200ELNS1_3gpuE4ELNS1_3repE0EEENS1_30default_config_static_selectorELNS0_4arch9wavefront6targetE1EEEvS14_.num_agpr, 0
	.set _ZN7rocprim17ROCPRIM_400000_NS6detail17trampoline_kernelINS0_14default_configENS1_22reduce_config_selectorIN6thrust23THRUST_200600_302600_NS5tupleIblNS6_9null_typeES8_S8_S8_S8_S8_S8_S8_EEEEZNS1_11reduce_implILb1ES3_NS6_12zip_iteratorINS7_INS6_11hip_rocprim26transform_input_iterator_tIbNSD_35transform_pair_of_input_iterators_tIbNS6_6detail15normal_iteratorINS6_10device_ptrIKyEEEESL_NS6_8equal_toIyEEEENSG_9not_fun_tINSD_8identityEEEEENSD_19counting_iterator_tIlEES8_S8_S8_S8_S8_S8_S8_S8_EEEEPS9_S9_NSD_9__find_if7functorIS9_EEEE10hipError_tPvRmT1_T2_T3_mT4_P12ihipStream_tbEUlT_E0_NS1_11comp_targetILNS1_3genE10ELNS1_11target_archE1200ELNS1_3gpuE4ELNS1_3repE0EEENS1_30default_config_static_selectorELNS0_4arch9wavefront6targetE1EEEvS14_.numbered_sgpr, 0
	.set _ZN7rocprim17ROCPRIM_400000_NS6detail17trampoline_kernelINS0_14default_configENS1_22reduce_config_selectorIN6thrust23THRUST_200600_302600_NS5tupleIblNS6_9null_typeES8_S8_S8_S8_S8_S8_S8_EEEEZNS1_11reduce_implILb1ES3_NS6_12zip_iteratorINS7_INS6_11hip_rocprim26transform_input_iterator_tIbNSD_35transform_pair_of_input_iterators_tIbNS6_6detail15normal_iteratorINS6_10device_ptrIKyEEEESL_NS6_8equal_toIyEEEENSG_9not_fun_tINSD_8identityEEEEENSD_19counting_iterator_tIlEES8_S8_S8_S8_S8_S8_S8_S8_EEEEPS9_S9_NSD_9__find_if7functorIS9_EEEE10hipError_tPvRmT1_T2_T3_mT4_P12ihipStream_tbEUlT_E0_NS1_11comp_targetILNS1_3genE10ELNS1_11target_archE1200ELNS1_3gpuE4ELNS1_3repE0EEENS1_30default_config_static_selectorELNS0_4arch9wavefront6targetE1EEEvS14_.num_named_barrier, 0
	.set _ZN7rocprim17ROCPRIM_400000_NS6detail17trampoline_kernelINS0_14default_configENS1_22reduce_config_selectorIN6thrust23THRUST_200600_302600_NS5tupleIblNS6_9null_typeES8_S8_S8_S8_S8_S8_S8_EEEEZNS1_11reduce_implILb1ES3_NS6_12zip_iteratorINS7_INS6_11hip_rocprim26transform_input_iterator_tIbNSD_35transform_pair_of_input_iterators_tIbNS6_6detail15normal_iteratorINS6_10device_ptrIKyEEEESL_NS6_8equal_toIyEEEENSG_9not_fun_tINSD_8identityEEEEENSD_19counting_iterator_tIlEES8_S8_S8_S8_S8_S8_S8_S8_EEEEPS9_S9_NSD_9__find_if7functorIS9_EEEE10hipError_tPvRmT1_T2_T3_mT4_P12ihipStream_tbEUlT_E0_NS1_11comp_targetILNS1_3genE10ELNS1_11target_archE1200ELNS1_3gpuE4ELNS1_3repE0EEENS1_30default_config_static_selectorELNS0_4arch9wavefront6targetE1EEEvS14_.private_seg_size, 0
	.set _ZN7rocprim17ROCPRIM_400000_NS6detail17trampoline_kernelINS0_14default_configENS1_22reduce_config_selectorIN6thrust23THRUST_200600_302600_NS5tupleIblNS6_9null_typeES8_S8_S8_S8_S8_S8_S8_EEEEZNS1_11reduce_implILb1ES3_NS6_12zip_iteratorINS7_INS6_11hip_rocprim26transform_input_iterator_tIbNSD_35transform_pair_of_input_iterators_tIbNS6_6detail15normal_iteratorINS6_10device_ptrIKyEEEESL_NS6_8equal_toIyEEEENSG_9not_fun_tINSD_8identityEEEEENSD_19counting_iterator_tIlEES8_S8_S8_S8_S8_S8_S8_S8_EEEEPS9_S9_NSD_9__find_if7functorIS9_EEEE10hipError_tPvRmT1_T2_T3_mT4_P12ihipStream_tbEUlT_E0_NS1_11comp_targetILNS1_3genE10ELNS1_11target_archE1200ELNS1_3gpuE4ELNS1_3repE0EEENS1_30default_config_static_selectorELNS0_4arch9wavefront6targetE1EEEvS14_.uses_vcc, 0
	.set _ZN7rocprim17ROCPRIM_400000_NS6detail17trampoline_kernelINS0_14default_configENS1_22reduce_config_selectorIN6thrust23THRUST_200600_302600_NS5tupleIblNS6_9null_typeES8_S8_S8_S8_S8_S8_S8_EEEEZNS1_11reduce_implILb1ES3_NS6_12zip_iteratorINS7_INS6_11hip_rocprim26transform_input_iterator_tIbNSD_35transform_pair_of_input_iterators_tIbNS6_6detail15normal_iteratorINS6_10device_ptrIKyEEEESL_NS6_8equal_toIyEEEENSG_9not_fun_tINSD_8identityEEEEENSD_19counting_iterator_tIlEES8_S8_S8_S8_S8_S8_S8_S8_EEEEPS9_S9_NSD_9__find_if7functorIS9_EEEE10hipError_tPvRmT1_T2_T3_mT4_P12ihipStream_tbEUlT_E0_NS1_11comp_targetILNS1_3genE10ELNS1_11target_archE1200ELNS1_3gpuE4ELNS1_3repE0EEENS1_30default_config_static_selectorELNS0_4arch9wavefront6targetE1EEEvS14_.uses_flat_scratch, 0
	.set _ZN7rocprim17ROCPRIM_400000_NS6detail17trampoline_kernelINS0_14default_configENS1_22reduce_config_selectorIN6thrust23THRUST_200600_302600_NS5tupleIblNS6_9null_typeES8_S8_S8_S8_S8_S8_S8_EEEEZNS1_11reduce_implILb1ES3_NS6_12zip_iteratorINS7_INS6_11hip_rocprim26transform_input_iterator_tIbNSD_35transform_pair_of_input_iterators_tIbNS6_6detail15normal_iteratorINS6_10device_ptrIKyEEEESL_NS6_8equal_toIyEEEENSG_9not_fun_tINSD_8identityEEEEENSD_19counting_iterator_tIlEES8_S8_S8_S8_S8_S8_S8_S8_EEEEPS9_S9_NSD_9__find_if7functorIS9_EEEE10hipError_tPvRmT1_T2_T3_mT4_P12ihipStream_tbEUlT_E0_NS1_11comp_targetILNS1_3genE10ELNS1_11target_archE1200ELNS1_3gpuE4ELNS1_3repE0EEENS1_30default_config_static_selectorELNS0_4arch9wavefront6targetE1EEEvS14_.has_dyn_sized_stack, 0
	.set _ZN7rocprim17ROCPRIM_400000_NS6detail17trampoline_kernelINS0_14default_configENS1_22reduce_config_selectorIN6thrust23THRUST_200600_302600_NS5tupleIblNS6_9null_typeES8_S8_S8_S8_S8_S8_S8_EEEEZNS1_11reduce_implILb1ES3_NS6_12zip_iteratorINS7_INS6_11hip_rocprim26transform_input_iterator_tIbNSD_35transform_pair_of_input_iterators_tIbNS6_6detail15normal_iteratorINS6_10device_ptrIKyEEEESL_NS6_8equal_toIyEEEENSG_9not_fun_tINSD_8identityEEEEENSD_19counting_iterator_tIlEES8_S8_S8_S8_S8_S8_S8_S8_EEEEPS9_S9_NSD_9__find_if7functorIS9_EEEE10hipError_tPvRmT1_T2_T3_mT4_P12ihipStream_tbEUlT_E0_NS1_11comp_targetILNS1_3genE10ELNS1_11target_archE1200ELNS1_3gpuE4ELNS1_3repE0EEENS1_30default_config_static_selectorELNS0_4arch9wavefront6targetE1EEEvS14_.has_recursion, 0
	.set _ZN7rocprim17ROCPRIM_400000_NS6detail17trampoline_kernelINS0_14default_configENS1_22reduce_config_selectorIN6thrust23THRUST_200600_302600_NS5tupleIblNS6_9null_typeES8_S8_S8_S8_S8_S8_S8_EEEEZNS1_11reduce_implILb1ES3_NS6_12zip_iteratorINS7_INS6_11hip_rocprim26transform_input_iterator_tIbNSD_35transform_pair_of_input_iterators_tIbNS6_6detail15normal_iteratorINS6_10device_ptrIKyEEEESL_NS6_8equal_toIyEEEENSG_9not_fun_tINSD_8identityEEEEENSD_19counting_iterator_tIlEES8_S8_S8_S8_S8_S8_S8_S8_EEEEPS9_S9_NSD_9__find_if7functorIS9_EEEE10hipError_tPvRmT1_T2_T3_mT4_P12ihipStream_tbEUlT_E0_NS1_11comp_targetILNS1_3genE10ELNS1_11target_archE1200ELNS1_3gpuE4ELNS1_3repE0EEENS1_30default_config_static_selectorELNS0_4arch9wavefront6targetE1EEEvS14_.has_indirect_call, 0
	.section	.AMDGPU.csdata,"",@progbits
; Kernel info:
; codeLenInByte = 0
; TotalNumSgprs: 4
; NumVgprs: 0
; ScratchSize: 0
; MemoryBound: 0
; FloatMode: 240
; IeeeMode: 1
; LDSByteSize: 0 bytes/workgroup (compile time only)
; SGPRBlocks: 0
; VGPRBlocks: 0
; NumSGPRsForWavesPerEU: 4
; NumVGPRsForWavesPerEU: 1
; Occupancy: 10
; WaveLimiterHint : 0
; COMPUTE_PGM_RSRC2:SCRATCH_EN: 0
; COMPUTE_PGM_RSRC2:USER_SGPR: 6
; COMPUTE_PGM_RSRC2:TRAP_HANDLER: 0
; COMPUTE_PGM_RSRC2:TGID_X_EN: 1
; COMPUTE_PGM_RSRC2:TGID_Y_EN: 0
; COMPUTE_PGM_RSRC2:TGID_Z_EN: 0
; COMPUTE_PGM_RSRC2:TIDIG_COMP_CNT: 0
	.section	.text._ZN7rocprim17ROCPRIM_400000_NS6detail17trampoline_kernelINS0_14default_configENS1_22reduce_config_selectorIN6thrust23THRUST_200600_302600_NS5tupleIblNS6_9null_typeES8_S8_S8_S8_S8_S8_S8_EEEEZNS1_11reduce_implILb1ES3_NS6_12zip_iteratorINS7_INS6_11hip_rocprim26transform_input_iterator_tIbNSD_35transform_pair_of_input_iterators_tIbNS6_6detail15normal_iteratorINS6_10device_ptrIKyEEEESL_NS6_8equal_toIyEEEENSG_9not_fun_tINSD_8identityEEEEENSD_19counting_iterator_tIlEES8_S8_S8_S8_S8_S8_S8_S8_EEEEPS9_S9_NSD_9__find_if7functorIS9_EEEE10hipError_tPvRmT1_T2_T3_mT4_P12ihipStream_tbEUlT_E0_NS1_11comp_targetILNS1_3genE9ELNS1_11target_archE1100ELNS1_3gpuE3ELNS1_3repE0EEENS1_30default_config_static_selectorELNS0_4arch9wavefront6targetE1EEEvS14_,"axG",@progbits,_ZN7rocprim17ROCPRIM_400000_NS6detail17trampoline_kernelINS0_14default_configENS1_22reduce_config_selectorIN6thrust23THRUST_200600_302600_NS5tupleIblNS6_9null_typeES8_S8_S8_S8_S8_S8_S8_EEEEZNS1_11reduce_implILb1ES3_NS6_12zip_iteratorINS7_INS6_11hip_rocprim26transform_input_iterator_tIbNSD_35transform_pair_of_input_iterators_tIbNS6_6detail15normal_iteratorINS6_10device_ptrIKyEEEESL_NS6_8equal_toIyEEEENSG_9not_fun_tINSD_8identityEEEEENSD_19counting_iterator_tIlEES8_S8_S8_S8_S8_S8_S8_S8_EEEEPS9_S9_NSD_9__find_if7functorIS9_EEEE10hipError_tPvRmT1_T2_T3_mT4_P12ihipStream_tbEUlT_E0_NS1_11comp_targetILNS1_3genE9ELNS1_11target_archE1100ELNS1_3gpuE3ELNS1_3repE0EEENS1_30default_config_static_selectorELNS0_4arch9wavefront6targetE1EEEvS14_,comdat
	.protected	_ZN7rocprim17ROCPRIM_400000_NS6detail17trampoline_kernelINS0_14default_configENS1_22reduce_config_selectorIN6thrust23THRUST_200600_302600_NS5tupleIblNS6_9null_typeES8_S8_S8_S8_S8_S8_S8_EEEEZNS1_11reduce_implILb1ES3_NS6_12zip_iteratorINS7_INS6_11hip_rocprim26transform_input_iterator_tIbNSD_35transform_pair_of_input_iterators_tIbNS6_6detail15normal_iteratorINS6_10device_ptrIKyEEEESL_NS6_8equal_toIyEEEENSG_9not_fun_tINSD_8identityEEEEENSD_19counting_iterator_tIlEES8_S8_S8_S8_S8_S8_S8_S8_EEEEPS9_S9_NSD_9__find_if7functorIS9_EEEE10hipError_tPvRmT1_T2_T3_mT4_P12ihipStream_tbEUlT_E0_NS1_11comp_targetILNS1_3genE9ELNS1_11target_archE1100ELNS1_3gpuE3ELNS1_3repE0EEENS1_30default_config_static_selectorELNS0_4arch9wavefront6targetE1EEEvS14_ ; -- Begin function _ZN7rocprim17ROCPRIM_400000_NS6detail17trampoline_kernelINS0_14default_configENS1_22reduce_config_selectorIN6thrust23THRUST_200600_302600_NS5tupleIblNS6_9null_typeES8_S8_S8_S8_S8_S8_S8_EEEEZNS1_11reduce_implILb1ES3_NS6_12zip_iteratorINS7_INS6_11hip_rocprim26transform_input_iterator_tIbNSD_35transform_pair_of_input_iterators_tIbNS6_6detail15normal_iteratorINS6_10device_ptrIKyEEEESL_NS6_8equal_toIyEEEENSG_9not_fun_tINSD_8identityEEEEENSD_19counting_iterator_tIlEES8_S8_S8_S8_S8_S8_S8_S8_EEEEPS9_S9_NSD_9__find_if7functorIS9_EEEE10hipError_tPvRmT1_T2_T3_mT4_P12ihipStream_tbEUlT_E0_NS1_11comp_targetILNS1_3genE9ELNS1_11target_archE1100ELNS1_3gpuE3ELNS1_3repE0EEENS1_30default_config_static_selectorELNS0_4arch9wavefront6targetE1EEEvS14_
	.globl	_ZN7rocprim17ROCPRIM_400000_NS6detail17trampoline_kernelINS0_14default_configENS1_22reduce_config_selectorIN6thrust23THRUST_200600_302600_NS5tupleIblNS6_9null_typeES8_S8_S8_S8_S8_S8_S8_EEEEZNS1_11reduce_implILb1ES3_NS6_12zip_iteratorINS7_INS6_11hip_rocprim26transform_input_iterator_tIbNSD_35transform_pair_of_input_iterators_tIbNS6_6detail15normal_iteratorINS6_10device_ptrIKyEEEESL_NS6_8equal_toIyEEEENSG_9not_fun_tINSD_8identityEEEEENSD_19counting_iterator_tIlEES8_S8_S8_S8_S8_S8_S8_S8_EEEEPS9_S9_NSD_9__find_if7functorIS9_EEEE10hipError_tPvRmT1_T2_T3_mT4_P12ihipStream_tbEUlT_E0_NS1_11comp_targetILNS1_3genE9ELNS1_11target_archE1100ELNS1_3gpuE3ELNS1_3repE0EEENS1_30default_config_static_selectorELNS0_4arch9wavefront6targetE1EEEvS14_
	.p2align	8
	.type	_ZN7rocprim17ROCPRIM_400000_NS6detail17trampoline_kernelINS0_14default_configENS1_22reduce_config_selectorIN6thrust23THRUST_200600_302600_NS5tupleIblNS6_9null_typeES8_S8_S8_S8_S8_S8_S8_EEEEZNS1_11reduce_implILb1ES3_NS6_12zip_iteratorINS7_INS6_11hip_rocprim26transform_input_iterator_tIbNSD_35transform_pair_of_input_iterators_tIbNS6_6detail15normal_iteratorINS6_10device_ptrIKyEEEESL_NS6_8equal_toIyEEEENSG_9not_fun_tINSD_8identityEEEEENSD_19counting_iterator_tIlEES8_S8_S8_S8_S8_S8_S8_S8_EEEEPS9_S9_NSD_9__find_if7functorIS9_EEEE10hipError_tPvRmT1_T2_T3_mT4_P12ihipStream_tbEUlT_E0_NS1_11comp_targetILNS1_3genE9ELNS1_11target_archE1100ELNS1_3gpuE3ELNS1_3repE0EEENS1_30default_config_static_selectorELNS0_4arch9wavefront6targetE1EEEvS14_,@function
_ZN7rocprim17ROCPRIM_400000_NS6detail17trampoline_kernelINS0_14default_configENS1_22reduce_config_selectorIN6thrust23THRUST_200600_302600_NS5tupleIblNS6_9null_typeES8_S8_S8_S8_S8_S8_S8_EEEEZNS1_11reduce_implILb1ES3_NS6_12zip_iteratorINS7_INS6_11hip_rocprim26transform_input_iterator_tIbNSD_35transform_pair_of_input_iterators_tIbNS6_6detail15normal_iteratorINS6_10device_ptrIKyEEEESL_NS6_8equal_toIyEEEENSG_9not_fun_tINSD_8identityEEEEENSD_19counting_iterator_tIlEES8_S8_S8_S8_S8_S8_S8_S8_EEEEPS9_S9_NSD_9__find_if7functorIS9_EEEE10hipError_tPvRmT1_T2_T3_mT4_P12ihipStream_tbEUlT_E0_NS1_11comp_targetILNS1_3genE9ELNS1_11target_archE1100ELNS1_3gpuE3ELNS1_3repE0EEENS1_30default_config_static_selectorELNS0_4arch9wavefront6targetE1EEEvS14_: ; @_ZN7rocprim17ROCPRIM_400000_NS6detail17trampoline_kernelINS0_14default_configENS1_22reduce_config_selectorIN6thrust23THRUST_200600_302600_NS5tupleIblNS6_9null_typeES8_S8_S8_S8_S8_S8_S8_EEEEZNS1_11reduce_implILb1ES3_NS6_12zip_iteratorINS7_INS6_11hip_rocprim26transform_input_iterator_tIbNSD_35transform_pair_of_input_iterators_tIbNS6_6detail15normal_iteratorINS6_10device_ptrIKyEEEESL_NS6_8equal_toIyEEEENSG_9not_fun_tINSD_8identityEEEEENSD_19counting_iterator_tIlEES8_S8_S8_S8_S8_S8_S8_S8_EEEEPS9_S9_NSD_9__find_if7functorIS9_EEEE10hipError_tPvRmT1_T2_T3_mT4_P12ihipStream_tbEUlT_E0_NS1_11comp_targetILNS1_3genE9ELNS1_11target_archE1100ELNS1_3gpuE3ELNS1_3repE0EEENS1_30default_config_static_selectorELNS0_4arch9wavefront6targetE1EEEvS14_
; %bb.0:
	.section	.rodata,"a",@progbits
	.p2align	6, 0x0
	.amdhsa_kernel _ZN7rocprim17ROCPRIM_400000_NS6detail17trampoline_kernelINS0_14default_configENS1_22reduce_config_selectorIN6thrust23THRUST_200600_302600_NS5tupleIblNS6_9null_typeES8_S8_S8_S8_S8_S8_S8_EEEEZNS1_11reduce_implILb1ES3_NS6_12zip_iteratorINS7_INS6_11hip_rocprim26transform_input_iterator_tIbNSD_35transform_pair_of_input_iterators_tIbNS6_6detail15normal_iteratorINS6_10device_ptrIKyEEEESL_NS6_8equal_toIyEEEENSG_9not_fun_tINSD_8identityEEEEENSD_19counting_iterator_tIlEES8_S8_S8_S8_S8_S8_S8_S8_EEEEPS9_S9_NSD_9__find_if7functorIS9_EEEE10hipError_tPvRmT1_T2_T3_mT4_P12ihipStream_tbEUlT_E0_NS1_11comp_targetILNS1_3genE9ELNS1_11target_archE1100ELNS1_3gpuE3ELNS1_3repE0EEENS1_30default_config_static_selectorELNS0_4arch9wavefront6targetE1EEEvS14_
		.amdhsa_group_segment_fixed_size 0
		.amdhsa_private_segment_fixed_size 0
		.amdhsa_kernarg_size 104
		.amdhsa_user_sgpr_count 6
		.amdhsa_user_sgpr_private_segment_buffer 1
		.amdhsa_user_sgpr_dispatch_ptr 0
		.amdhsa_user_sgpr_queue_ptr 0
		.amdhsa_user_sgpr_kernarg_segment_ptr 1
		.amdhsa_user_sgpr_dispatch_id 0
		.amdhsa_user_sgpr_flat_scratch_init 0
		.amdhsa_user_sgpr_private_segment_size 0
		.amdhsa_uses_dynamic_stack 0
		.amdhsa_system_sgpr_private_segment_wavefront_offset 0
		.amdhsa_system_sgpr_workgroup_id_x 1
		.amdhsa_system_sgpr_workgroup_id_y 0
		.amdhsa_system_sgpr_workgroup_id_z 0
		.amdhsa_system_sgpr_workgroup_info 0
		.amdhsa_system_vgpr_workitem_id 0
		.amdhsa_next_free_vgpr 1
		.amdhsa_next_free_sgpr 0
		.amdhsa_reserve_vcc 0
		.amdhsa_reserve_flat_scratch 0
		.amdhsa_float_round_mode_32 0
		.amdhsa_float_round_mode_16_64 0
		.amdhsa_float_denorm_mode_32 3
		.amdhsa_float_denorm_mode_16_64 3
		.amdhsa_dx10_clamp 1
		.amdhsa_ieee_mode 1
		.amdhsa_fp16_overflow 0
		.amdhsa_exception_fp_ieee_invalid_op 0
		.amdhsa_exception_fp_denorm_src 0
		.amdhsa_exception_fp_ieee_div_zero 0
		.amdhsa_exception_fp_ieee_overflow 0
		.amdhsa_exception_fp_ieee_underflow 0
		.amdhsa_exception_fp_ieee_inexact 0
		.amdhsa_exception_int_div_zero 0
	.end_amdhsa_kernel
	.section	.text._ZN7rocprim17ROCPRIM_400000_NS6detail17trampoline_kernelINS0_14default_configENS1_22reduce_config_selectorIN6thrust23THRUST_200600_302600_NS5tupleIblNS6_9null_typeES8_S8_S8_S8_S8_S8_S8_EEEEZNS1_11reduce_implILb1ES3_NS6_12zip_iteratorINS7_INS6_11hip_rocprim26transform_input_iterator_tIbNSD_35transform_pair_of_input_iterators_tIbNS6_6detail15normal_iteratorINS6_10device_ptrIKyEEEESL_NS6_8equal_toIyEEEENSG_9not_fun_tINSD_8identityEEEEENSD_19counting_iterator_tIlEES8_S8_S8_S8_S8_S8_S8_S8_EEEEPS9_S9_NSD_9__find_if7functorIS9_EEEE10hipError_tPvRmT1_T2_T3_mT4_P12ihipStream_tbEUlT_E0_NS1_11comp_targetILNS1_3genE9ELNS1_11target_archE1100ELNS1_3gpuE3ELNS1_3repE0EEENS1_30default_config_static_selectorELNS0_4arch9wavefront6targetE1EEEvS14_,"axG",@progbits,_ZN7rocprim17ROCPRIM_400000_NS6detail17trampoline_kernelINS0_14default_configENS1_22reduce_config_selectorIN6thrust23THRUST_200600_302600_NS5tupleIblNS6_9null_typeES8_S8_S8_S8_S8_S8_S8_EEEEZNS1_11reduce_implILb1ES3_NS6_12zip_iteratorINS7_INS6_11hip_rocprim26transform_input_iterator_tIbNSD_35transform_pair_of_input_iterators_tIbNS6_6detail15normal_iteratorINS6_10device_ptrIKyEEEESL_NS6_8equal_toIyEEEENSG_9not_fun_tINSD_8identityEEEEENSD_19counting_iterator_tIlEES8_S8_S8_S8_S8_S8_S8_S8_EEEEPS9_S9_NSD_9__find_if7functorIS9_EEEE10hipError_tPvRmT1_T2_T3_mT4_P12ihipStream_tbEUlT_E0_NS1_11comp_targetILNS1_3genE9ELNS1_11target_archE1100ELNS1_3gpuE3ELNS1_3repE0EEENS1_30default_config_static_selectorELNS0_4arch9wavefront6targetE1EEEvS14_,comdat
.Lfunc_end472:
	.size	_ZN7rocprim17ROCPRIM_400000_NS6detail17trampoline_kernelINS0_14default_configENS1_22reduce_config_selectorIN6thrust23THRUST_200600_302600_NS5tupleIblNS6_9null_typeES8_S8_S8_S8_S8_S8_S8_EEEEZNS1_11reduce_implILb1ES3_NS6_12zip_iteratorINS7_INS6_11hip_rocprim26transform_input_iterator_tIbNSD_35transform_pair_of_input_iterators_tIbNS6_6detail15normal_iteratorINS6_10device_ptrIKyEEEESL_NS6_8equal_toIyEEEENSG_9not_fun_tINSD_8identityEEEEENSD_19counting_iterator_tIlEES8_S8_S8_S8_S8_S8_S8_S8_EEEEPS9_S9_NSD_9__find_if7functorIS9_EEEE10hipError_tPvRmT1_T2_T3_mT4_P12ihipStream_tbEUlT_E0_NS1_11comp_targetILNS1_3genE9ELNS1_11target_archE1100ELNS1_3gpuE3ELNS1_3repE0EEENS1_30default_config_static_selectorELNS0_4arch9wavefront6targetE1EEEvS14_, .Lfunc_end472-_ZN7rocprim17ROCPRIM_400000_NS6detail17trampoline_kernelINS0_14default_configENS1_22reduce_config_selectorIN6thrust23THRUST_200600_302600_NS5tupleIblNS6_9null_typeES8_S8_S8_S8_S8_S8_S8_EEEEZNS1_11reduce_implILb1ES3_NS6_12zip_iteratorINS7_INS6_11hip_rocprim26transform_input_iterator_tIbNSD_35transform_pair_of_input_iterators_tIbNS6_6detail15normal_iteratorINS6_10device_ptrIKyEEEESL_NS6_8equal_toIyEEEENSG_9not_fun_tINSD_8identityEEEEENSD_19counting_iterator_tIlEES8_S8_S8_S8_S8_S8_S8_S8_EEEEPS9_S9_NSD_9__find_if7functorIS9_EEEE10hipError_tPvRmT1_T2_T3_mT4_P12ihipStream_tbEUlT_E0_NS1_11comp_targetILNS1_3genE9ELNS1_11target_archE1100ELNS1_3gpuE3ELNS1_3repE0EEENS1_30default_config_static_selectorELNS0_4arch9wavefront6targetE1EEEvS14_
                                        ; -- End function
	.set _ZN7rocprim17ROCPRIM_400000_NS6detail17trampoline_kernelINS0_14default_configENS1_22reduce_config_selectorIN6thrust23THRUST_200600_302600_NS5tupleIblNS6_9null_typeES8_S8_S8_S8_S8_S8_S8_EEEEZNS1_11reduce_implILb1ES3_NS6_12zip_iteratorINS7_INS6_11hip_rocprim26transform_input_iterator_tIbNSD_35transform_pair_of_input_iterators_tIbNS6_6detail15normal_iteratorINS6_10device_ptrIKyEEEESL_NS6_8equal_toIyEEEENSG_9not_fun_tINSD_8identityEEEEENSD_19counting_iterator_tIlEES8_S8_S8_S8_S8_S8_S8_S8_EEEEPS9_S9_NSD_9__find_if7functorIS9_EEEE10hipError_tPvRmT1_T2_T3_mT4_P12ihipStream_tbEUlT_E0_NS1_11comp_targetILNS1_3genE9ELNS1_11target_archE1100ELNS1_3gpuE3ELNS1_3repE0EEENS1_30default_config_static_selectorELNS0_4arch9wavefront6targetE1EEEvS14_.num_vgpr, 0
	.set _ZN7rocprim17ROCPRIM_400000_NS6detail17trampoline_kernelINS0_14default_configENS1_22reduce_config_selectorIN6thrust23THRUST_200600_302600_NS5tupleIblNS6_9null_typeES8_S8_S8_S8_S8_S8_S8_EEEEZNS1_11reduce_implILb1ES3_NS6_12zip_iteratorINS7_INS6_11hip_rocprim26transform_input_iterator_tIbNSD_35transform_pair_of_input_iterators_tIbNS6_6detail15normal_iteratorINS6_10device_ptrIKyEEEESL_NS6_8equal_toIyEEEENSG_9not_fun_tINSD_8identityEEEEENSD_19counting_iterator_tIlEES8_S8_S8_S8_S8_S8_S8_S8_EEEEPS9_S9_NSD_9__find_if7functorIS9_EEEE10hipError_tPvRmT1_T2_T3_mT4_P12ihipStream_tbEUlT_E0_NS1_11comp_targetILNS1_3genE9ELNS1_11target_archE1100ELNS1_3gpuE3ELNS1_3repE0EEENS1_30default_config_static_selectorELNS0_4arch9wavefront6targetE1EEEvS14_.num_agpr, 0
	.set _ZN7rocprim17ROCPRIM_400000_NS6detail17trampoline_kernelINS0_14default_configENS1_22reduce_config_selectorIN6thrust23THRUST_200600_302600_NS5tupleIblNS6_9null_typeES8_S8_S8_S8_S8_S8_S8_EEEEZNS1_11reduce_implILb1ES3_NS6_12zip_iteratorINS7_INS6_11hip_rocprim26transform_input_iterator_tIbNSD_35transform_pair_of_input_iterators_tIbNS6_6detail15normal_iteratorINS6_10device_ptrIKyEEEESL_NS6_8equal_toIyEEEENSG_9not_fun_tINSD_8identityEEEEENSD_19counting_iterator_tIlEES8_S8_S8_S8_S8_S8_S8_S8_EEEEPS9_S9_NSD_9__find_if7functorIS9_EEEE10hipError_tPvRmT1_T2_T3_mT4_P12ihipStream_tbEUlT_E0_NS1_11comp_targetILNS1_3genE9ELNS1_11target_archE1100ELNS1_3gpuE3ELNS1_3repE0EEENS1_30default_config_static_selectorELNS0_4arch9wavefront6targetE1EEEvS14_.numbered_sgpr, 0
	.set _ZN7rocprim17ROCPRIM_400000_NS6detail17trampoline_kernelINS0_14default_configENS1_22reduce_config_selectorIN6thrust23THRUST_200600_302600_NS5tupleIblNS6_9null_typeES8_S8_S8_S8_S8_S8_S8_EEEEZNS1_11reduce_implILb1ES3_NS6_12zip_iteratorINS7_INS6_11hip_rocprim26transform_input_iterator_tIbNSD_35transform_pair_of_input_iterators_tIbNS6_6detail15normal_iteratorINS6_10device_ptrIKyEEEESL_NS6_8equal_toIyEEEENSG_9not_fun_tINSD_8identityEEEEENSD_19counting_iterator_tIlEES8_S8_S8_S8_S8_S8_S8_S8_EEEEPS9_S9_NSD_9__find_if7functorIS9_EEEE10hipError_tPvRmT1_T2_T3_mT4_P12ihipStream_tbEUlT_E0_NS1_11comp_targetILNS1_3genE9ELNS1_11target_archE1100ELNS1_3gpuE3ELNS1_3repE0EEENS1_30default_config_static_selectorELNS0_4arch9wavefront6targetE1EEEvS14_.num_named_barrier, 0
	.set _ZN7rocprim17ROCPRIM_400000_NS6detail17trampoline_kernelINS0_14default_configENS1_22reduce_config_selectorIN6thrust23THRUST_200600_302600_NS5tupleIblNS6_9null_typeES8_S8_S8_S8_S8_S8_S8_EEEEZNS1_11reduce_implILb1ES3_NS6_12zip_iteratorINS7_INS6_11hip_rocprim26transform_input_iterator_tIbNSD_35transform_pair_of_input_iterators_tIbNS6_6detail15normal_iteratorINS6_10device_ptrIKyEEEESL_NS6_8equal_toIyEEEENSG_9not_fun_tINSD_8identityEEEEENSD_19counting_iterator_tIlEES8_S8_S8_S8_S8_S8_S8_S8_EEEEPS9_S9_NSD_9__find_if7functorIS9_EEEE10hipError_tPvRmT1_T2_T3_mT4_P12ihipStream_tbEUlT_E0_NS1_11comp_targetILNS1_3genE9ELNS1_11target_archE1100ELNS1_3gpuE3ELNS1_3repE0EEENS1_30default_config_static_selectorELNS0_4arch9wavefront6targetE1EEEvS14_.private_seg_size, 0
	.set _ZN7rocprim17ROCPRIM_400000_NS6detail17trampoline_kernelINS0_14default_configENS1_22reduce_config_selectorIN6thrust23THRUST_200600_302600_NS5tupleIblNS6_9null_typeES8_S8_S8_S8_S8_S8_S8_EEEEZNS1_11reduce_implILb1ES3_NS6_12zip_iteratorINS7_INS6_11hip_rocprim26transform_input_iterator_tIbNSD_35transform_pair_of_input_iterators_tIbNS6_6detail15normal_iteratorINS6_10device_ptrIKyEEEESL_NS6_8equal_toIyEEEENSG_9not_fun_tINSD_8identityEEEEENSD_19counting_iterator_tIlEES8_S8_S8_S8_S8_S8_S8_S8_EEEEPS9_S9_NSD_9__find_if7functorIS9_EEEE10hipError_tPvRmT1_T2_T3_mT4_P12ihipStream_tbEUlT_E0_NS1_11comp_targetILNS1_3genE9ELNS1_11target_archE1100ELNS1_3gpuE3ELNS1_3repE0EEENS1_30default_config_static_selectorELNS0_4arch9wavefront6targetE1EEEvS14_.uses_vcc, 0
	.set _ZN7rocprim17ROCPRIM_400000_NS6detail17trampoline_kernelINS0_14default_configENS1_22reduce_config_selectorIN6thrust23THRUST_200600_302600_NS5tupleIblNS6_9null_typeES8_S8_S8_S8_S8_S8_S8_EEEEZNS1_11reduce_implILb1ES3_NS6_12zip_iteratorINS7_INS6_11hip_rocprim26transform_input_iterator_tIbNSD_35transform_pair_of_input_iterators_tIbNS6_6detail15normal_iteratorINS6_10device_ptrIKyEEEESL_NS6_8equal_toIyEEEENSG_9not_fun_tINSD_8identityEEEEENSD_19counting_iterator_tIlEES8_S8_S8_S8_S8_S8_S8_S8_EEEEPS9_S9_NSD_9__find_if7functorIS9_EEEE10hipError_tPvRmT1_T2_T3_mT4_P12ihipStream_tbEUlT_E0_NS1_11comp_targetILNS1_3genE9ELNS1_11target_archE1100ELNS1_3gpuE3ELNS1_3repE0EEENS1_30default_config_static_selectorELNS0_4arch9wavefront6targetE1EEEvS14_.uses_flat_scratch, 0
	.set _ZN7rocprim17ROCPRIM_400000_NS6detail17trampoline_kernelINS0_14default_configENS1_22reduce_config_selectorIN6thrust23THRUST_200600_302600_NS5tupleIblNS6_9null_typeES8_S8_S8_S8_S8_S8_S8_EEEEZNS1_11reduce_implILb1ES3_NS6_12zip_iteratorINS7_INS6_11hip_rocprim26transform_input_iterator_tIbNSD_35transform_pair_of_input_iterators_tIbNS6_6detail15normal_iteratorINS6_10device_ptrIKyEEEESL_NS6_8equal_toIyEEEENSG_9not_fun_tINSD_8identityEEEEENSD_19counting_iterator_tIlEES8_S8_S8_S8_S8_S8_S8_S8_EEEEPS9_S9_NSD_9__find_if7functorIS9_EEEE10hipError_tPvRmT1_T2_T3_mT4_P12ihipStream_tbEUlT_E0_NS1_11comp_targetILNS1_3genE9ELNS1_11target_archE1100ELNS1_3gpuE3ELNS1_3repE0EEENS1_30default_config_static_selectorELNS0_4arch9wavefront6targetE1EEEvS14_.has_dyn_sized_stack, 0
	.set _ZN7rocprim17ROCPRIM_400000_NS6detail17trampoline_kernelINS0_14default_configENS1_22reduce_config_selectorIN6thrust23THRUST_200600_302600_NS5tupleIblNS6_9null_typeES8_S8_S8_S8_S8_S8_S8_EEEEZNS1_11reduce_implILb1ES3_NS6_12zip_iteratorINS7_INS6_11hip_rocprim26transform_input_iterator_tIbNSD_35transform_pair_of_input_iterators_tIbNS6_6detail15normal_iteratorINS6_10device_ptrIKyEEEESL_NS6_8equal_toIyEEEENSG_9not_fun_tINSD_8identityEEEEENSD_19counting_iterator_tIlEES8_S8_S8_S8_S8_S8_S8_S8_EEEEPS9_S9_NSD_9__find_if7functorIS9_EEEE10hipError_tPvRmT1_T2_T3_mT4_P12ihipStream_tbEUlT_E0_NS1_11comp_targetILNS1_3genE9ELNS1_11target_archE1100ELNS1_3gpuE3ELNS1_3repE0EEENS1_30default_config_static_selectorELNS0_4arch9wavefront6targetE1EEEvS14_.has_recursion, 0
	.set _ZN7rocprim17ROCPRIM_400000_NS6detail17trampoline_kernelINS0_14default_configENS1_22reduce_config_selectorIN6thrust23THRUST_200600_302600_NS5tupleIblNS6_9null_typeES8_S8_S8_S8_S8_S8_S8_EEEEZNS1_11reduce_implILb1ES3_NS6_12zip_iteratorINS7_INS6_11hip_rocprim26transform_input_iterator_tIbNSD_35transform_pair_of_input_iterators_tIbNS6_6detail15normal_iteratorINS6_10device_ptrIKyEEEESL_NS6_8equal_toIyEEEENSG_9not_fun_tINSD_8identityEEEEENSD_19counting_iterator_tIlEES8_S8_S8_S8_S8_S8_S8_S8_EEEEPS9_S9_NSD_9__find_if7functorIS9_EEEE10hipError_tPvRmT1_T2_T3_mT4_P12ihipStream_tbEUlT_E0_NS1_11comp_targetILNS1_3genE9ELNS1_11target_archE1100ELNS1_3gpuE3ELNS1_3repE0EEENS1_30default_config_static_selectorELNS0_4arch9wavefront6targetE1EEEvS14_.has_indirect_call, 0
	.section	.AMDGPU.csdata,"",@progbits
; Kernel info:
; codeLenInByte = 0
; TotalNumSgprs: 4
; NumVgprs: 0
; ScratchSize: 0
; MemoryBound: 0
; FloatMode: 240
; IeeeMode: 1
; LDSByteSize: 0 bytes/workgroup (compile time only)
; SGPRBlocks: 0
; VGPRBlocks: 0
; NumSGPRsForWavesPerEU: 4
; NumVGPRsForWavesPerEU: 1
; Occupancy: 10
; WaveLimiterHint : 0
; COMPUTE_PGM_RSRC2:SCRATCH_EN: 0
; COMPUTE_PGM_RSRC2:USER_SGPR: 6
; COMPUTE_PGM_RSRC2:TRAP_HANDLER: 0
; COMPUTE_PGM_RSRC2:TGID_X_EN: 1
; COMPUTE_PGM_RSRC2:TGID_Y_EN: 0
; COMPUTE_PGM_RSRC2:TGID_Z_EN: 0
; COMPUTE_PGM_RSRC2:TIDIG_COMP_CNT: 0
	.section	.text._ZN7rocprim17ROCPRIM_400000_NS6detail17trampoline_kernelINS0_14default_configENS1_22reduce_config_selectorIN6thrust23THRUST_200600_302600_NS5tupleIblNS6_9null_typeES8_S8_S8_S8_S8_S8_S8_EEEEZNS1_11reduce_implILb1ES3_NS6_12zip_iteratorINS7_INS6_11hip_rocprim26transform_input_iterator_tIbNSD_35transform_pair_of_input_iterators_tIbNS6_6detail15normal_iteratorINS6_10device_ptrIKyEEEESL_NS6_8equal_toIyEEEENSG_9not_fun_tINSD_8identityEEEEENSD_19counting_iterator_tIlEES8_S8_S8_S8_S8_S8_S8_S8_EEEEPS9_S9_NSD_9__find_if7functorIS9_EEEE10hipError_tPvRmT1_T2_T3_mT4_P12ihipStream_tbEUlT_E0_NS1_11comp_targetILNS1_3genE8ELNS1_11target_archE1030ELNS1_3gpuE2ELNS1_3repE0EEENS1_30default_config_static_selectorELNS0_4arch9wavefront6targetE1EEEvS14_,"axG",@progbits,_ZN7rocprim17ROCPRIM_400000_NS6detail17trampoline_kernelINS0_14default_configENS1_22reduce_config_selectorIN6thrust23THRUST_200600_302600_NS5tupleIblNS6_9null_typeES8_S8_S8_S8_S8_S8_S8_EEEEZNS1_11reduce_implILb1ES3_NS6_12zip_iteratorINS7_INS6_11hip_rocprim26transform_input_iterator_tIbNSD_35transform_pair_of_input_iterators_tIbNS6_6detail15normal_iteratorINS6_10device_ptrIKyEEEESL_NS6_8equal_toIyEEEENSG_9not_fun_tINSD_8identityEEEEENSD_19counting_iterator_tIlEES8_S8_S8_S8_S8_S8_S8_S8_EEEEPS9_S9_NSD_9__find_if7functorIS9_EEEE10hipError_tPvRmT1_T2_T3_mT4_P12ihipStream_tbEUlT_E0_NS1_11comp_targetILNS1_3genE8ELNS1_11target_archE1030ELNS1_3gpuE2ELNS1_3repE0EEENS1_30default_config_static_selectorELNS0_4arch9wavefront6targetE1EEEvS14_,comdat
	.protected	_ZN7rocprim17ROCPRIM_400000_NS6detail17trampoline_kernelINS0_14default_configENS1_22reduce_config_selectorIN6thrust23THRUST_200600_302600_NS5tupleIblNS6_9null_typeES8_S8_S8_S8_S8_S8_S8_EEEEZNS1_11reduce_implILb1ES3_NS6_12zip_iteratorINS7_INS6_11hip_rocprim26transform_input_iterator_tIbNSD_35transform_pair_of_input_iterators_tIbNS6_6detail15normal_iteratorINS6_10device_ptrIKyEEEESL_NS6_8equal_toIyEEEENSG_9not_fun_tINSD_8identityEEEEENSD_19counting_iterator_tIlEES8_S8_S8_S8_S8_S8_S8_S8_EEEEPS9_S9_NSD_9__find_if7functorIS9_EEEE10hipError_tPvRmT1_T2_T3_mT4_P12ihipStream_tbEUlT_E0_NS1_11comp_targetILNS1_3genE8ELNS1_11target_archE1030ELNS1_3gpuE2ELNS1_3repE0EEENS1_30default_config_static_selectorELNS0_4arch9wavefront6targetE1EEEvS14_ ; -- Begin function _ZN7rocprim17ROCPRIM_400000_NS6detail17trampoline_kernelINS0_14default_configENS1_22reduce_config_selectorIN6thrust23THRUST_200600_302600_NS5tupleIblNS6_9null_typeES8_S8_S8_S8_S8_S8_S8_EEEEZNS1_11reduce_implILb1ES3_NS6_12zip_iteratorINS7_INS6_11hip_rocprim26transform_input_iterator_tIbNSD_35transform_pair_of_input_iterators_tIbNS6_6detail15normal_iteratorINS6_10device_ptrIKyEEEESL_NS6_8equal_toIyEEEENSG_9not_fun_tINSD_8identityEEEEENSD_19counting_iterator_tIlEES8_S8_S8_S8_S8_S8_S8_S8_EEEEPS9_S9_NSD_9__find_if7functorIS9_EEEE10hipError_tPvRmT1_T2_T3_mT4_P12ihipStream_tbEUlT_E0_NS1_11comp_targetILNS1_3genE8ELNS1_11target_archE1030ELNS1_3gpuE2ELNS1_3repE0EEENS1_30default_config_static_selectorELNS0_4arch9wavefront6targetE1EEEvS14_
	.globl	_ZN7rocprim17ROCPRIM_400000_NS6detail17trampoline_kernelINS0_14default_configENS1_22reduce_config_selectorIN6thrust23THRUST_200600_302600_NS5tupleIblNS6_9null_typeES8_S8_S8_S8_S8_S8_S8_EEEEZNS1_11reduce_implILb1ES3_NS6_12zip_iteratorINS7_INS6_11hip_rocprim26transform_input_iterator_tIbNSD_35transform_pair_of_input_iterators_tIbNS6_6detail15normal_iteratorINS6_10device_ptrIKyEEEESL_NS6_8equal_toIyEEEENSG_9not_fun_tINSD_8identityEEEEENSD_19counting_iterator_tIlEES8_S8_S8_S8_S8_S8_S8_S8_EEEEPS9_S9_NSD_9__find_if7functorIS9_EEEE10hipError_tPvRmT1_T2_T3_mT4_P12ihipStream_tbEUlT_E0_NS1_11comp_targetILNS1_3genE8ELNS1_11target_archE1030ELNS1_3gpuE2ELNS1_3repE0EEENS1_30default_config_static_selectorELNS0_4arch9wavefront6targetE1EEEvS14_
	.p2align	8
	.type	_ZN7rocprim17ROCPRIM_400000_NS6detail17trampoline_kernelINS0_14default_configENS1_22reduce_config_selectorIN6thrust23THRUST_200600_302600_NS5tupleIblNS6_9null_typeES8_S8_S8_S8_S8_S8_S8_EEEEZNS1_11reduce_implILb1ES3_NS6_12zip_iteratorINS7_INS6_11hip_rocprim26transform_input_iterator_tIbNSD_35transform_pair_of_input_iterators_tIbNS6_6detail15normal_iteratorINS6_10device_ptrIKyEEEESL_NS6_8equal_toIyEEEENSG_9not_fun_tINSD_8identityEEEEENSD_19counting_iterator_tIlEES8_S8_S8_S8_S8_S8_S8_S8_EEEEPS9_S9_NSD_9__find_if7functorIS9_EEEE10hipError_tPvRmT1_T2_T3_mT4_P12ihipStream_tbEUlT_E0_NS1_11comp_targetILNS1_3genE8ELNS1_11target_archE1030ELNS1_3gpuE2ELNS1_3repE0EEENS1_30default_config_static_selectorELNS0_4arch9wavefront6targetE1EEEvS14_,@function
_ZN7rocprim17ROCPRIM_400000_NS6detail17trampoline_kernelINS0_14default_configENS1_22reduce_config_selectorIN6thrust23THRUST_200600_302600_NS5tupleIblNS6_9null_typeES8_S8_S8_S8_S8_S8_S8_EEEEZNS1_11reduce_implILb1ES3_NS6_12zip_iteratorINS7_INS6_11hip_rocprim26transform_input_iterator_tIbNSD_35transform_pair_of_input_iterators_tIbNS6_6detail15normal_iteratorINS6_10device_ptrIKyEEEESL_NS6_8equal_toIyEEEENSG_9not_fun_tINSD_8identityEEEEENSD_19counting_iterator_tIlEES8_S8_S8_S8_S8_S8_S8_S8_EEEEPS9_S9_NSD_9__find_if7functorIS9_EEEE10hipError_tPvRmT1_T2_T3_mT4_P12ihipStream_tbEUlT_E0_NS1_11comp_targetILNS1_3genE8ELNS1_11target_archE1030ELNS1_3gpuE2ELNS1_3repE0EEENS1_30default_config_static_selectorELNS0_4arch9wavefront6targetE1EEEvS14_: ; @_ZN7rocprim17ROCPRIM_400000_NS6detail17trampoline_kernelINS0_14default_configENS1_22reduce_config_selectorIN6thrust23THRUST_200600_302600_NS5tupleIblNS6_9null_typeES8_S8_S8_S8_S8_S8_S8_EEEEZNS1_11reduce_implILb1ES3_NS6_12zip_iteratorINS7_INS6_11hip_rocprim26transform_input_iterator_tIbNSD_35transform_pair_of_input_iterators_tIbNS6_6detail15normal_iteratorINS6_10device_ptrIKyEEEESL_NS6_8equal_toIyEEEENSG_9not_fun_tINSD_8identityEEEEENSD_19counting_iterator_tIlEES8_S8_S8_S8_S8_S8_S8_S8_EEEEPS9_S9_NSD_9__find_if7functorIS9_EEEE10hipError_tPvRmT1_T2_T3_mT4_P12ihipStream_tbEUlT_E0_NS1_11comp_targetILNS1_3genE8ELNS1_11target_archE1030ELNS1_3gpuE2ELNS1_3repE0EEENS1_30default_config_static_selectorELNS0_4arch9wavefront6targetE1EEEvS14_
; %bb.0:
	.section	.rodata,"a",@progbits
	.p2align	6, 0x0
	.amdhsa_kernel _ZN7rocprim17ROCPRIM_400000_NS6detail17trampoline_kernelINS0_14default_configENS1_22reduce_config_selectorIN6thrust23THRUST_200600_302600_NS5tupleIblNS6_9null_typeES8_S8_S8_S8_S8_S8_S8_EEEEZNS1_11reduce_implILb1ES3_NS6_12zip_iteratorINS7_INS6_11hip_rocprim26transform_input_iterator_tIbNSD_35transform_pair_of_input_iterators_tIbNS6_6detail15normal_iteratorINS6_10device_ptrIKyEEEESL_NS6_8equal_toIyEEEENSG_9not_fun_tINSD_8identityEEEEENSD_19counting_iterator_tIlEES8_S8_S8_S8_S8_S8_S8_S8_EEEEPS9_S9_NSD_9__find_if7functorIS9_EEEE10hipError_tPvRmT1_T2_T3_mT4_P12ihipStream_tbEUlT_E0_NS1_11comp_targetILNS1_3genE8ELNS1_11target_archE1030ELNS1_3gpuE2ELNS1_3repE0EEENS1_30default_config_static_selectorELNS0_4arch9wavefront6targetE1EEEvS14_
		.amdhsa_group_segment_fixed_size 0
		.amdhsa_private_segment_fixed_size 0
		.amdhsa_kernarg_size 104
		.amdhsa_user_sgpr_count 6
		.amdhsa_user_sgpr_private_segment_buffer 1
		.amdhsa_user_sgpr_dispatch_ptr 0
		.amdhsa_user_sgpr_queue_ptr 0
		.amdhsa_user_sgpr_kernarg_segment_ptr 1
		.amdhsa_user_sgpr_dispatch_id 0
		.amdhsa_user_sgpr_flat_scratch_init 0
		.amdhsa_user_sgpr_private_segment_size 0
		.amdhsa_uses_dynamic_stack 0
		.amdhsa_system_sgpr_private_segment_wavefront_offset 0
		.amdhsa_system_sgpr_workgroup_id_x 1
		.amdhsa_system_sgpr_workgroup_id_y 0
		.amdhsa_system_sgpr_workgroup_id_z 0
		.amdhsa_system_sgpr_workgroup_info 0
		.amdhsa_system_vgpr_workitem_id 0
		.amdhsa_next_free_vgpr 1
		.amdhsa_next_free_sgpr 0
		.amdhsa_reserve_vcc 0
		.amdhsa_reserve_flat_scratch 0
		.amdhsa_float_round_mode_32 0
		.amdhsa_float_round_mode_16_64 0
		.amdhsa_float_denorm_mode_32 3
		.amdhsa_float_denorm_mode_16_64 3
		.amdhsa_dx10_clamp 1
		.amdhsa_ieee_mode 1
		.amdhsa_fp16_overflow 0
		.amdhsa_exception_fp_ieee_invalid_op 0
		.amdhsa_exception_fp_denorm_src 0
		.amdhsa_exception_fp_ieee_div_zero 0
		.amdhsa_exception_fp_ieee_overflow 0
		.amdhsa_exception_fp_ieee_underflow 0
		.amdhsa_exception_fp_ieee_inexact 0
		.amdhsa_exception_int_div_zero 0
	.end_amdhsa_kernel
	.section	.text._ZN7rocprim17ROCPRIM_400000_NS6detail17trampoline_kernelINS0_14default_configENS1_22reduce_config_selectorIN6thrust23THRUST_200600_302600_NS5tupleIblNS6_9null_typeES8_S8_S8_S8_S8_S8_S8_EEEEZNS1_11reduce_implILb1ES3_NS6_12zip_iteratorINS7_INS6_11hip_rocprim26transform_input_iterator_tIbNSD_35transform_pair_of_input_iterators_tIbNS6_6detail15normal_iteratorINS6_10device_ptrIKyEEEESL_NS6_8equal_toIyEEEENSG_9not_fun_tINSD_8identityEEEEENSD_19counting_iterator_tIlEES8_S8_S8_S8_S8_S8_S8_S8_EEEEPS9_S9_NSD_9__find_if7functorIS9_EEEE10hipError_tPvRmT1_T2_T3_mT4_P12ihipStream_tbEUlT_E0_NS1_11comp_targetILNS1_3genE8ELNS1_11target_archE1030ELNS1_3gpuE2ELNS1_3repE0EEENS1_30default_config_static_selectorELNS0_4arch9wavefront6targetE1EEEvS14_,"axG",@progbits,_ZN7rocprim17ROCPRIM_400000_NS6detail17trampoline_kernelINS0_14default_configENS1_22reduce_config_selectorIN6thrust23THRUST_200600_302600_NS5tupleIblNS6_9null_typeES8_S8_S8_S8_S8_S8_S8_EEEEZNS1_11reduce_implILb1ES3_NS6_12zip_iteratorINS7_INS6_11hip_rocprim26transform_input_iterator_tIbNSD_35transform_pair_of_input_iterators_tIbNS6_6detail15normal_iteratorINS6_10device_ptrIKyEEEESL_NS6_8equal_toIyEEEENSG_9not_fun_tINSD_8identityEEEEENSD_19counting_iterator_tIlEES8_S8_S8_S8_S8_S8_S8_S8_EEEEPS9_S9_NSD_9__find_if7functorIS9_EEEE10hipError_tPvRmT1_T2_T3_mT4_P12ihipStream_tbEUlT_E0_NS1_11comp_targetILNS1_3genE8ELNS1_11target_archE1030ELNS1_3gpuE2ELNS1_3repE0EEENS1_30default_config_static_selectorELNS0_4arch9wavefront6targetE1EEEvS14_,comdat
.Lfunc_end473:
	.size	_ZN7rocprim17ROCPRIM_400000_NS6detail17trampoline_kernelINS0_14default_configENS1_22reduce_config_selectorIN6thrust23THRUST_200600_302600_NS5tupleIblNS6_9null_typeES8_S8_S8_S8_S8_S8_S8_EEEEZNS1_11reduce_implILb1ES3_NS6_12zip_iteratorINS7_INS6_11hip_rocprim26transform_input_iterator_tIbNSD_35transform_pair_of_input_iterators_tIbNS6_6detail15normal_iteratorINS6_10device_ptrIKyEEEESL_NS6_8equal_toIyEEEENSG_9not_fun_tINSD_8identityEEEEENSD_19counting_iterator_tIlEES8_S8_S8_S8_S8_S8_S8_S8_EEEEPS9_S9_NSD_9__find_if7functorIS9_EEEE10hipError_tPvRmT1_T2_T3_mT4_P12ihipStream_tbEUlT_E0_NS1_11comp_targetILNS1_3genE8ELNS1_11target_archE1030ELNS1_3gpuE2ELNS1_3repE0EEENS1_30default_config_static_selectorELNS0_4arch9wavefront6targetE1EEEvS14_, .Lfunc_end473-_ZN7rocprim17ROCPRIM_400000_NS6detail17trampoline_kernelINS0_14default_configENS1_22reduce_config_selectorIN6thrust23THRUST_200600_302600_NS5tupleIblNS6_9null_typeES8_S8_S8_S8_S8_S8_S8_EEEEZNS1_11reduce_implILb1ES3_NS6_12zip_iteratorINS7_INS6_11hip_rocprim26transform_input_iterator_tIbNSD_35transform_pair_of_input_iterators_tIbNS6_6detail15normal_iteratorINS6_10device_ptrIKyEEEESL_NS6_8equal_toIyEEEENSG_9not_fun_tINSD_8identityEEEEENSD_19counting_iterator_tIlEES8_S8_S8_S8_S8_S8_S8_S8_EEEEPS9_S9_NSD_9__find_if7functorIS9_EEEE10hipError_tPvRmT1_T2_T3_mT4_P12ihipStream_tbEUlT_E0_NS1_11comp_targetILNS1_3genE8ELNS1_11target_archE1030ELNS1_3gpuE2ELNS1_3repE0EEENS1_30default_config_static_selectorELNS0_4arch9wavefront6targetE1EEEvS14_
                                        ; -- End function
	.set _ZN7rocprim17ROCPRIM_400000_NS6detail17trampoline_kernelINS0_14default_configENS1_22reduce_config_selectorIN6thrust23THRUST_200600_302600_NS5tupleIblNS6_9null_typeES8_S8_S8_S8_S8_S8_S8_EEEEZNS1_11reduce_implILb1ES3_NS6_12zip_iteratorINS7_INS6_11hip_rocprim26transform_input_iterator_tIbNSD_35transform_pair_of_input_iterators_tIbNS6_6detail15normal_iteratorINS6_10device_ptrIKyEEEESL_NS6_8equal_toIyEEEENSG_9not_fun_tINSD_8identityEEEEENSD_19counting_iterator_tIlEES8_S8_S8_S8_S8_S8_S8_S8_EEEEPS9_S9_NSD_9__find_if7functorIS9_EEEE10hipError_tPvRmT1_T2_T3_mT4_P12ihipStream_tbEUlT_E0_NS1_11comp_targetILNS1_3genE8ELNS1_11target_archE1030ELNS1_3gpuE2ELNS1_3repE0EEENS1_30default_config_static_selectorELNS0_4arch9wavefront6targetE1EEEvS14_.num_vgpr, 0
	.set _ZN7rocprim17ROCPRIM_400000_NS6detail17trampoline_kernelINS0_14default_configENS1_22reduce_config_selectorIN6thrust23THRUST_200600_302600_NS5tupleIblNS6_9null_typeES8_S8_S8_S8_S8_S8_S8_EEEEZNS1_11reduce_implILb1ES3_NS6_12zip_iteratorINS7_INS6_11hip_rocprim26transform_input_iterator_tIbNSD_35transform_pair_of_input_iterators_tIbNS6_6detail15normal_iteratorINS6_10device_ptrIKyEEEESL_NS6_8equal_toIyEEEENSG_9not_fun_tINSD_8identityEEEEENSD_19counting_iterator_tIlEES8_S8_S8_S8_S8_S8_S8_S8_EEEEPS9_S9_NSD_9__find_if7functorIS9_EEEE10hipError_tPvRmT1_T2_T3_mT4_P12ihipStream_tbEUlT_E0_NS1_11comp_targetILNS1_3genE8ELNS1_11target_archE1030ELNS1_3gpuE2ELNS1_3repE0EEENS1_30default_config_static_selectorELNS0_4arch9wavefront6targetE1EEEvS14_.num_agpr, 0
	.set _ZN7rocprim17ROCPRIM_400000_NS6detail17trampoline_kernelINS0_14default_configENS1_22reduce_config_selectorIN6thrust23THRUST_200600_302600_NS5tupleIblNS6_9null_typeES8_S8_S8_S8_S8_S8_S8_EEEEZNS1_11reduce_implILb1ES3_NS6_12zip_iteratorINS7_INS6_11hip_rocprim26transform_input_iterator_tIbNSD_35transform_pair_of_input_iterators_tIbNS6_6detail15normal_iteratorINS6_10device_ptrIKyEEEESL_NS6_8equal_toIyEEEENSG_9not_fun_tINSD_8identityEEEEENSD_19counting_iterator_tIlEES8_S8_S8_S8_S8_S8_S8_S8_EEEEPS9_S9_NSD_9__find_if7functorIS9_EEEE10hipError_tPvRmT1_T2_T3_mT4_P12ihipStream_tbEUlT_E0_NS1_11comp_targetILNS1_3genE8ELNS1_11target_archE1030ELNS1_3gpuE2ELNS1_3repE0EEENS1_30default_config_static_selectorELNS0_4arch9wavefront6targetE1EEEvS14_.numbered_sgpr, 0
	.set _ZN7rocprim17ROCPRIM_400000_NS6detail17trampoline_kernelINS0_14default_configENS1_22reduce_config_selectorIN6thrust23THRUST_200600_302600_NS5tupleIblNS6_9null_typeES8_S8_S8_S8_S8_S8_S8_EEEEZNS1_11reduce_implILb1ES3_NS6_12zip_iteratorINS7_INS6_11hip_rocprim26transform_input_iterator_tIbNSD_35transform_pair_of_input_iterators_tIbNS6_6detail15normal_iteratorINS6_10device_ptrIKyEEEESL_NS6_8equal_toIyEEEENSG_9not_fun_tINSD_8identityEEEEENSD_19counting_iterator_tIlEES8_S8_S8_S8_S8_S8_S8_S8_EEEEPS9_S9_NSD_9__find_if7functorIS9_EEEE10hipError_tPvRmT1_T2_T3_mT4_P12ihipStream_tbEUlT_E0_NS1_11comp_targetILNS1_3genE8ELNS1_11target_archE1030ELNS1_3gpuE2ELNS1_3repE0EEENS1_30default_config_static_selectorELNS0_4arch9wavefront6targetE1EEEvS14_.num_named_barrier, 0
	.set _ZN7rocprim17ROCPRIM_400000_NS6detail17trampoline_kernelINS0_14default_configENS1_22reduce_config_selectorIN6thrust23THRUST_200600_302600_NS5tupleIblNS6_9null_typeES8_S8_S8_S8_S8_S8_S8_EEEEZNS1_11reduce_implILb1ES3_NS6_12zip_iteratorINS7_INS6_11hip_rocprim26transform_input_iterator_tIbNSD_35transform_pair_of_input_iterators_tIbNS6_6detail15normal_iteratorINS6_10device_ptrIKyEEEESL_NS6_8equal_toIyEEEENSG_9not_fun_tINSD_8identityEEEEENSD_19counting_iterator_tIlEES8_S8_S8_S8_S8_S8_S8_S8_EEEEPS9_S9_NSD_9__find_if7functorIS9_EEEE10hipError_tPvRmT1_T2_T3_mT4_P12ihipStream_tbEUlT_E0_NS1_11comp_targetILNS1_3genE8ELNS1_11target_archE1030ELNS1_3gpuE2ELNS1_3repE0EEENS1_30default_config_static_selectorELNS0_4arch9wavefront6targetE1EEEvS14_.private_seg_size, 0
	.set _ZN7rocprim17ROCPRIM_400000_NS6detail17trampoline_kernelINS0_14default_configENS1_22reduce_config_selectorIN6thrust23THRUST_200600_302600_NS5tupleIblNS6_9null_typeES8_S8_S8_S8_S8_S8_S8_EEEEZNS1_11reduce_implILb1ES3_NS6_12zip_iteratorINS7_INS6_11hip_rocprim26transform_input_iterator_tIbNSD_35transform_pair_of_input_iterators_tIbNS6_6detail15normal_iteratorINS6_10device_ptrIKyEEEESL_NS6_8equal_toIyEEEENSG_9not_fun_tINSD_8identityEEEEENSD_19counting_iterator_tIlEES8_S8_S8_S8_S8_S8_S8_S8_EEEEPS9_S9_NSD_9__find_if7functorIS9_EEEE10hipError_tPvRmT1_T2_T3_mT4_P12ihipStream_tbEUlT_E0_NS1_11comp_targetILNS1_3genE8ELNS1_11target_archE1030ELNS1_3gpuE2ELNS1_3repE0EEENS1_30default_config_static_selectorELNS0_4arch9wavefront6targetE1EEEvS14_.uses_vcc, 0
	.set _ZN7rocprim17ROCPRIM_400000_NS6detail17trampoline_kernelINS0_14default_configENS1_22reduce_config_selectorIN6thrust23THRUST_200600_302600_NS5tupleIblNS6_9null_typeES8_S8_S8_S8_S8_S8_S8_EEEEZNS1_11reduce_implILb1ES3_NS6_12zip_iteratorINS7_INS6_11hip_rocprim26transform_input_iterator_tIbNSD_35transform_pair_of_input_iterators_tIbNS6_6detail15normal_iteratorINS6_10device_ptrIKyEEEESL_NS6_8equal_toIyEEEENSG_9not_fun_tINSD_8identityEEEEENSD_19counting_iterator_tIlEES8_S8_S8_S8_S8_S8_S8_S8_EEEEPS9_S9_NSD_9__find_if7functorIS9_EEEE10hipError_tPvRmT1_T2_T3_mT4_P12ihipStream_tbEUlT_E0_NS1_11comp_targetILNS1_3genE8ELNS1_11target_archE1030ELNS1_3gpuE2ELNS1_3repE0EEENS1_30default_config_static_selectorELNS0_4arch9wavefront6targetE1EEEvS14_.uses_flat_scratch, 0
	.set _ZN7rocprim17ROCPRIM_400000_NS6detail17trampoline_kernelINS0_14default_configENS1_22reduce_config_selectorIN6thrust23THRUST_200600_302600_NS5tupleIblNS6_9null_typeES8_S8_S8_S8_S8_S8_S8_EEEEZNS1_11reduce_implILb1ES3_NS6_12zip_iteratorINS7_INS6_11hip_rocprim26transform_input_iterator_tIbNSD_35transform_pair_of_input_iterators_tIbNS6_6detail15normal_iteratorINS6_10device_ptrIKyEEEESL_NS6_8equal_toIyEEEENSG_9not_fun_tINSD_8identityEEEEENSD_19counting_iterator_tIlEES8_S8_S8_S8_S8_S8_S8_S8_EEEEPS9_S9_NSD_9__find_if7functorIS9_EEEE10hipError_tPvRmT1_T2_T3_mT4_P12ihipStream_tbEUlT_E0_NS1_11comp_targetILNS1_3genE8ELNS1_11target_archE1030ELNS1_3gpuE2ELNS1_3repE0EEENS1_30default_config_static_selectorELNS0_4arch9wavefront6targetE1EEEvS14_.has_dyn_sized_stack, 0
	.set _ZN7rocprim17ROCPRIM_400000_NS6detail17trampoline_kernelINS0_14default_configENS1_22reduce_config_selectorIN6thrust23THRUST_200600_302600_NS5tupleIblNS6_9null_typeES8_S8_S8_S8_S8_S8_S8_EEEEZNS1_11reduce_implILb1ES3_NS6_12zip_iteratorINS7_INS6_11hip_rocprim26transform_input_iterator_tIbNSD_35transform_pair_of_input_iterators_tIbNS6_6detail15normal_iteratorINS6_10device_ptrIKyEEEESL_NS6_8equal_toIyEEEENSG_9not_fun_tINSD_8identityEEEEENSD_19counting_iterator_tIlEES8_S8_S8_S8_S8_S8_S8_S8_EEEEPS9_S9_NSD_9__find_if7functorIS9_EEEE10hipError_tPvRmT1_T2_T3_mT4_P12ihipStream_tbEUlT_E0_NS1_11comp_targetILNS1_3genE8ELNS1_11target_archE1030ELNS1_3gpuE2ELNS1_3repE0EEENS1_30default_config_static_selectorELNS0_4arch9wavefront6targetE1EEEvS14_.has_recursion, 0
	.set _ZN7rocprim17ROCPRIM_400000_NS6detail17trampoline_kernelINS0_14default_configENS1_22reduce_config_selectorIN6thrust23THRUST_200600_302600_NS5tupleIblNS6_9null_typeES8_S8_S8_S8_S8_S8_S8_EEEEZNS1_11reduce_implILb1ES3_NS6_12zip_iteratorINS7_INS6_11hip_rocprim26transform_input_iterator_tIbNSD_35transform_pair_of_input_iterators_tIbNS6_6detail15normal_iteratorINS6_10device_ptrIKyEEEESL_NS6_8equal_toIyEEEENSG_9not_fun_tINSD_8identityEEEEENSD_19counting_iterator_tIlEES8_S8_S8_S8_S8_S8_S8_S8_EEEEPS9_S9_NSD_9__find_if7functorIS9_EEEE10hipError_tPvRmT1_T2_T3_mT4_P12ihipStream_tbEUlT_E0_NS1_11comp_targetILNS1_3genE8ELNS1_11target_archE1030ELNS1_3gpuE2ELNS1_3repE0EEENS1_30default_config_static_selectorELNS0_4arch9wavefront6targetE1EEEvS14_.has_indirect_call, 0
	.section	.AMDGPU.csdata,"",@progbits
; Kernel info:
; codeLenInByte = 0
; TotalNumSgprs: 4
; NumVgprs: 0
; ScratchSize: 0
; MemoryBound: 0
; FloatMode: 240
; IeeeMode: 1
; LDSByteSize: 0 bytes/workgroup (compile time only)
; SGPRBlocks: 0
; VGPRBlocks: 0
; NumSGPRsForWavesPerEU: 4
; NumVGPRsForWavesPerEU: 1
; Occupancy: 10
; WaveLimiterHint : 0
; COMPUTE_PGM_RSRC2:SCRATCH_EN: 0
; COMPUTE_PGM_RSRC2:USER_SGPR: 6
; COMPUTE_PGM_RSRC2:TRAP_HANDLER: 0
; COMPUTE_PGM_RSRC2:TGID_X_EN: 1
; COMPUTE_PGM_RSRC2:TGID_Y_EN: 0
; COMPUTE_PGM_RSRC2:TGID_Z_EN: 0
; COMPUTE_PGM_RSRC2:TIDIG_COMP_CNT: 0
	.section	.text._ZN7rocprim17ROCPRIM_400000_NS6detail17trampoline_kernelINS0_14default_configENS1_22reduce_config_selectorIN6thrust23THRUST_200600_302600_NS5tupleIblNS6_9null_typeES8_S8_S8_S8_S8_S8_S8_EEEEZNS1_11reduce_implILb1ES3_NS6_12zip_iteratorINS7_INS6_11hip_rocprim26transform_input_iterator_tIbNSD_35transform_pair_of_input_iterators_tIbNS6_6detail15normal_iteratorINS6_10device_ptrIKyEEEESL_NS6_8equal_toIyEEEENSG_9not_fun_tINSD_8identityEEEEENSD_19counting_iterator_tIlEES8_S8_S8_S8_S8_S8_S8_S8_EEEEPS9_S9_NSD_9__find_if7functorIS9_EEEE10hipError_tPvRmT1_T2_T3_mT4_P12ihipStream_tbEUlT_E1_NS1_11comp_targetILNS1_3genE0ELNS1_11target_archE4294967295ELNS1_3gpuE0ELNS1_3repE0EEENS1_30default_config_static_selectorELNS0_4arch9wavefront6targetE1EEEvS14_,"axG",@progbits,_ZN7rocprim17ROCPRIM_400000_NS6detail17trampoline_kernelINS0_14default_configENS1_22reduce_config_selectorIN6thrust23THRUST_200600_302600_NS5tupleIblNS6_9null_typeES8_S8_S8_S8_S8_S8_S8_EEEEZNS1_11reduce_implILb1ES3_NS6_12zip_iteratorINS7_INS6_11hip_rocprim26transform_input_iterator_tIbNSD_35transform_pair_of_input_iterators_tIbNS6_6detail15normal_iteratorINS6_10device_ptrIKyEEEESL_NS6_8equal_toIyEEEENSG_9not_fun_tINSD_8identityEEEEENSD_19counting_iterator_tIlEES8_S8_S8_S8_S8_S8_S8_S8_EEEEPS9_S9_NSD_9__find_if7functorIS9_EEEE10hipError_tPvRmT1_T2_T3_mT4_P12ihipStream_tbEUlT_E1_NS1_11comp_targetILNS1_3genE0ELNS1_11target_archE4294967295ELNS1_3gpuE0ELNS1_3repE0EEENS1_30default_config_static_selectorELNS0_4arch9wavefront6targetE1EEEvS14_,comdat
	.protected	_ZN7rocprim17ROCPRIM_400000_NS6detail17trampoline_kernelINS0_14default_configENS1_22reduce_config_selectorIN6thrust23THRUST_200600_302600_NS5tupleIblNS6_9null_typeES8_S8_S8_S8_S8_S8_S8_EEEEZNS1_11reduce_implILb1ES3_NS6_12zip_iteratorINS7_INS6_11hip_rocprim26transform_input_iterator_tIbNSD_35transform_pair_of_input_iterators_tIbNS6_6detail15normal_iteratorINS6_10device_ptrIKyEEEESL_NS6_8equal_toIyEEEENSG_9not_fun_tINSD_8identityEEEEENSD_19counting_iterator_tIlEES8_S8_S8_S8_S8_S8_S8_S8_EEEEPS9_S9_NSD_9__find_if7functorIS9_EEEE10hipError_tPvRmT1_T2_T3_mT4_P12ihipStream_tbEUlT_E1_NS1_11comp_targetILNS1_3genE0ELNS1_11target_archE4294967295ELNS1_3gpuE0ELNS1_3repE0EEENS1_30default_config_static_selectorELNS0_4arch9wavefront6targetE1EEEvS14_ ; -- Begin function _ZN7rocprim17ROCPRIM_400000_NS6detail17trampoline_kernelINS0_14default_configENS1_22reduce_config_selectorIN6thrust23THRUST_200600_302600_NS5tupleIblNS6_9null_typeES8_S8_S8_S8_S8_S8_S8_EEEEZNS1_11reduce_implILb1ES3_NS6_12zip_iteratorINS7_INS6_11hip_rocprim26transform_input_iterator_tIbNSD_35transform_pair_of_input_iterators_tIbNS6_6detail15normal_iteratorINS6_10device_ptrIKyEEEESL_NS6_8equal_toIyEEEENSG_9not_fun_tINSD_8identityEEEEENSD_19counting_iterator_tIlEES8_S8_S8_S8_S8_S8_S8_S8_EEEEPS9_S9_NSD_9__find_if7functorIS9_EEEE10hipError_tPvRmT1_T2_T3_mT4_P12ihipStream_tbEUlT_E1_NS1_11comp_targetILNS1_3genE0ELNS1_11target_archE4294967295ELNS1_3gpuE0ELNS1_3repE0EEENS1_30default_config_static_selectorELNS0_4arch9wavefront6targetE1EEEvS14_
	.globl	_ZN7rocprim17ROCPRIM_400000_NS6detail17trampoline_kernelINS0_14default_configENS1_22reduce_config_selectorIN6thrust23THRUST_200600_302600_NS5tupleIblNS6_9null_typeES8_S8_S8_S8_S8_S8_S8_EEEEZNS1_11reduce_implILb1ES3_NS6_12zip_iteratorINS7_INS6_11hip_rocprim26transform_input_iterator_tIbNSD_35transform_pair_of_input_iterators_tIbNS6_6detail15normal_iteratorINS6_10device_ptrIKyEEEESL_NS6_8equal_toIyEEEENSG_9not_fun_tINSD_8identityEEEEENSD_19counting_iterator_tIlEES8_S8_S8_S8_S8_S8_S8_S8_EEEEPS9_S9_NSD_9__find_if7functorIS9_EEEE10hipError_tPvRmT1_T2_T3_mT4_P12ihipStream_tbEUlT_E1_NS1_11comp_targetILNS1_3genE0ELNS1_11target_archE4294967295ELNS1_3gpuE0ELNS1_3repE0EEENS1_30default_config_static_selectorELNS0_4arch9wavefront6targetE1EEEvS14_
	.p2align	8
	.type	_ZN7rocprim17ROCPRIM_400000_NS6detail17trampoline_kernelINS0_14default_configENS1_22reduce_config_selectorIN6thrust23THRUST_200600_302600_NS5tupleIblNS6_9null_typeES8_S8_S8_S8_S8_S8_S8_EEEEZNS1_11reduce_implILb1ES3_NS6_12zip_iteratorINS7_INS6_11hip_rocprim26transform_input_iterator_tIbNSD_35transform_pair_of_input_iterators_tIbNS6_6detail15normal_iteratorINS6_10device_ptrIKyEEEESL_NS6_8equal_toIyEEEENSG_9not_fun_tINSD_8identityEEEEENSD_19counting_iterator_tIlEES8_S8_S8_S8_S8_S8_S8_S8_EEEEPS9_S9_NSD_9__find_if7functorIS9_EEEE10hipError_tPvRmT1_T2_T3_mT4_P12ihipStream_tbEUlT_E1_NS1_11comp_targetILNS1_3genE0ELNS1_11target_archE4294967295ELNS1_3gpuE0ELNS1_3repE0EEENS1_30default_config_static_selectorELNS0_4arch9wavefront6targetE1EEEvS14_,@function
_ZN7rocprim17ROCPRIM_400000_NS6detail17trampoline_kernelINS0_14default_configENS1_22reduce_config_selectorIN6thrust23THRUST_200600_302600_NS5tupleIblNS6_9null_typeES8_S8_S8_S8_S8_S8_S8_EEEEZNS1_11reduce_implILb1ES3_NS6_12zip_iteratorINS7_INS6_11hip_rocprim26transform_input_iterator_tIbNSD_35transform_pair_of_input_iterators_tIbNS6_6detail15normal_iteratorINS6_10device_ptrIKyEEEESL_NS6_8equal_toIyEEEENSG_9not_fun_tINSD_8identityEEEEENSD_19counting_iterator_tIlEES8_S8_S8_S8_S8_S8_S8_S8_EEEEPS9_S9_NSD_9__find_if7functorIS9_EEEE10hipError_tPvRmT1_T2_T3_mT4_P12ihipStream_tbEUlT_E1_NS1_11comp_targetILNS1_3genE0ELNS1_11target_archE4294967295ELNS1_3gpuE0ELNS1_3repE0EEENS1_30default_config_static_selectorELNS0_4arch9wavefront6targetE1EEEvS14_: ; @_ZN7rocprim17ROCPRIM_400000_NS6detail17trampoline_kernelINS0_14default_configENS1_22reduce_config_selectorIN6thrust23THRUST_200600_302600_NS5tupleIblNS6_9null_typeES8_S8_S8_S8_S8_S8_S8_EEEEZNS1_11reduce_implILb1ES3_NS6_12zip_iteratorINS7_INS6_11hip_rocprim26transform_input_iterator_tIbNSD_35transform_pair_of_input_iterators_tIbNS6_6detail15normal_iteratorINS6_10device_ptrIKyEEEESL_NS6_8equal_toIyEEEENSG_9not_fun_tINSD_8identityEEEEENSD_19counting_iterator_tIlEES8_S8_S8_S8_S8_S8_S8_S8_EEEEPS9_S9_NSD_9__find_if7functorIS9_EEEE10hipError_tPvRmT1_T2_T3_mT4_P12ihipStream_tbEUlT_E1_NS1_11comp_targetILNS1_3genE0ELNS1_11target_archE4294967295ELNS1_3gpuE0ELNS1_3repE0EEENS1_30default_config_static_selectorELNS0_4arch9wavefront6targetE1EEEvS14_
; %bb.0:
	.section	.rodata,"a",@progbits
	.p2align	6, 0x0
	.amdhsa_kernel _ZN7rocprim17ROCPRIM_400000_NS6detail17trampoline_kernelINS0_14default_configENS1_22reduce_config_selectorIN6thrust23THRUST_200600_302600_NS5tupleIblNS6_9null_typeES8_S8_S8_S8_S8_S8_S8_EEEEZNS1_11reduce_implILb1ES3_NS6_12zip_iteratorINS7_INS6_11hip_rocprim26transform_input_iterator_tIbNSD_35transform_pair_of_input_iterators_tIbNS6_6detail15normal_iteratorINS6_10device_ptrIKyEEEESL_NS6_8equal_toIyEEEENSG_9not_fun_tINSD_8identityEEEEENSD_19counting_iterator_tIlEES8_S8_S8_S8_S8_S8_S8_S8_EEEEPS9_S9_NSD_9__find_if7functorIS9_EEEE10hipError_tPvRmT1_T2_T3_mT4_P12ihipStream_tbEUlT_E1_NS1_11comp_targetILNS1_3genE0ELNS1_11target_archE4294967295ELNS1_3gpuE0ELNS1_3repE0EEENS1_30default_config_static_selectorELNS0_4arch9wavefront6targetE1EEEvS14_
		.amdhsa_group_segment_fixed_size 0
		.amdhsa_private_segment_fixed_size 0
		.amdhsa_kernarg_size 88
		.amdhsa_user_sgpr_count 6
		.amdhsa_user_sgpr_private_segment_buffer 1
		.amdhsa_user_sgpr_dispatch_ptr 0
		.amdhsa_user_sgpr_queue_ptr 0
		.amdhsa_user_sgpr_kernarg_segment_ptr 1
		.amdhsa_user_sgpr_dispatch_id 0
		.amdhsa_user_sgpr_flat_scratch_init 0
		.amdhsa_user_sgpr_private_segment_size 0
		.amdhsa_uses_dynamic_stack 0
		.amdhsa_system_sgpr_private_segment_wavefront_offset 0
		.amdhsa_system_sgpr_workgroup_id_x 1
		.amdhsa_system_sgpr_workgroup_id_y 0
		.amdhsa_system_sgpr_workgroup_id_z 0
		.amdhsa_system_sgpr_workgroup_info 0
		.amdhsa_system_vgpr_workitem_id 0
		.amdhsa_next_free_vgpr 1
		.amdhsa_next_free_sgpr 0
		.amdhsa_reserve_vcc 0
		.amdhsa_reserve_flat_scratch 0
		.amdhsa_float_round_mode_32 0
		.amdhsa_float_round_mode_16_64 0
		.amdhsa_float_denorm_mode_32 3
		.amdhsa_float_denorm_mode_16_64 3
		.amdhsa_dx10_clamp 1
		.amdhsa_ieee_mode 1
		.amdhsa_fp16_overflow 0
		.amdhsa_exception_fp_ieee_invalid_op 0
		.amdhsa_exception_fp_denorm_src 0
		.amdhsa_exception_fp_ieee_div_zero 0
		.amdhsa_exception_fp_ieee_overflow 0
		.amdhsa_exception_fp_ieee_underflow 0
		.amdhsa_exception_fp_ieee_inexact 0
		.amdhsa_exception_int_div_zero 0
	.end_amdhsa_kernel
	.section	.text._ZN7rocprim17ROCPRIM_400000_NS6detail17trampoline_kernelINS0_14default_configENS1_22reduce_config_selectorIN6thrust23THRUST_200600_302600_NS5tupleIblNS6_9null_typeES8_S8_S8_S8_S8_S8_S8_EEEEZNS1_11reduce_implILb1ES3_NS6_12zip_iteratorINS7_INS6_11hip_rocprim26transform_input_iterator_tIbNSD_35transform_pair_of_input_iterators_tIbNS6_6detail15normal_iteratorINS6_10device_ptrIKyEEEESL_NS6_8equal_toIyEEEENSG_9not_fun_tINSD_8identityEEEEENSD_19counting_iterator_tIlEES8_S8_S8_S8_S8_S8_S8_S8_EEEEPS9_S9_NSD_9__find_if7functorIS9_EEEE10hipError_tPvRmT1_T2_T3_mT4_P12ihipStream_tbEUlT_E1_NS1_11comp_targetILNS1_3genE0ELNS1_11target_archE4294967295ELNS1_3gpuE0ELNS1_3repE0EEENS1_30default_config_static_selectorELNS0_4arch9wavefront6targetE1EEEvS14_,"axG",@progbits,_ZN7rocprim17ROCPRIM_400000_NS6detail17trampoline_kernelINS0_14default_configENS1_22reduce_config_selectorIN6thrust23THRUST_200600_302600_NS5tupleIblNS6_9null_typeES8_S8_S8_S8_S8_S8_S8_EEEEZNS1_11reduce_implILb1ES3_NS6_12zip_iteratorINS7_INS6_11hip_rocprim26transform_input_iterator_tIbNSD_35transform_pair_of_input_iterators_tIbNS6_6detail15normal_iteratorINS6_10device_ptrIKyEEEESL_NS6_8equal_toIyEEEENSG_9not_fun_tINSD_8identityEEEEENSD_19counting_iterator_tIlEES8_S8_S8_S8_S8_S8_S8_S8_EEEEPS9_S9_NSD_9__find_if7functorIS9_EEEE10hipError_tPvRmT1_T2_T3_mT4_P12ihipStream_tbEUlT_E1_NS1_11comp_targetILNS1_3genE0ELNS1_11target_archE4294967295ELNS1_3gpuE0ELNS1_3repE0EEENS1_30default_config_static_selectorELNS0_4arch9wavefront6targetE1EEEvS14_,comdat
.Lfunc_end474:
	.size	_ZN7rocprim17ROCPRIM_400000_NS6detail17trampoline_kernelINS0_14default_configENS1_22reduce_config_selectorIN6thrust23THRUST_200600_302600_NS5tupleIblNS6_9null_typeES8_S8_S8_S8_S8_S8_S8_EEEEZNS1_11reduce_implILb1ES3_NS6_12zip_iteratorINS7_INS6_11hip_rocprim26transform_input_iterator_tIbNSD_35transform_pair_of_input_iterators_tIbNS6_6detail15normal_iteratorINS6_10device_ptrIKyEEEESL_NS6_8equal_toIyEEEENSG_9not_fun_tINSD_8identityEEEEENSD_19counting_iterator_tIlEES8_S8_S8_S8_S8_S8_S8_S8_EEEEPS9_S9_NSD_9__find_if7functorIS9_EEEE10hipError_tPvRmT1_T2_T3_mT4_P12ihipStream_tbEUlT_E1_NS1_11comp_targetILNS1_3genE0ELNS1_11target_archE4294967295ELNS1_3gpuE0ELNS1_3repE0EEENS1_30default_config_static_selectorELNS0_4arch9wavefront6targetE1EEEvS14_, .Lfunc_end474-_ZN7rocprim17ROCPRIM_400000_NS6detail17trampoline_kernelINS0_14default_configENS1_22reduce_config_selectorIN6thrust23THRUST_200600_302600_NS5tupleIblNS6_9null_typeES8_S8_S8_S8_S8_S8_S8_EEEEZNS1_11reduce_implILb1ES3_NS6_12zip_iteratorINS7_INS6_11hip_rocprim26transform_input_iterator_tIbNSD_35transform_pair_of_input_iterators_tIbNS6_6detail15normal_iteratorINS6_10device_ptrIKyEEEESL_NS6_8equal_toIyEEEENSG_9not_fun_tINSD_8identityEEEEENSD_19counting_iterator_tIlEES8_S8_S8_S8_S8_S8_S8_S8_EEEEPS9_S9_NSD_9__find_if7functorIS9_EEEE10hipError_tPvRmT1_T2_T3_mT4_P12ihipStream_tbEUlT_E1_NS1_11comp_targetILNS1_3genE0ELNS1_11target_archE4294967295ELNS1_3gpuE0ELNS1_3repE0EEENS1_30default_config_static_selectorELNS0_4arch9wavefront6targetE1EEEvS14_
                                        ; -- End function
	.set _ZN7rocprim17ROCPRIM_400000_NS6detail17trampoline_kernelINS0_14default_configENS1_22reduce_config_selectorIN6thrust23THRUST_200600_302600_NS5tupleIblNS6_9null_typeES8_S8_S8_S8_S8_S8_S8_EEEEZNS1_11reduce_implILb1ES3_NS6_12zip_iteratorINS7_INS6_11hip_rocprim26transform_input_iterator_tIbNSD_35transform_pair_of_input_iterators_tIbNS6_6detail15normal_iteratorINS6_10device_ptrIKyEEEESL_NS6_8equal_toIyEEEENSG_9not_fun_tINSD_8identityEEEEENSD_19counting_iterator_tIlEES8_S8_S8_S8_S8_S8_S8_S8_EEEEPS9_S9_NSD_9__find_if7functorIS9_EEEE10hipError_tPvRmT1_T2_T3_mT4_P12ihipStream_tbEUlT_E1_NS1_11comp_targetILNS1_3genE0ELNS1_11target_archE4294967295ELNS1_3gpuE0ELNS1_3repE0EEENS1_30default_config_static_selectorELNS0_4arch9wavefront6targetE1EEEvS14_.num_vgpr, 0
	.set _ZN7rocprim17ROCPRIM_400000_NS6detail17trampoline_kernelINS0_14default_configENS1_22reduce_config_selectorIN6thrust23THRUST_200600_302600_NS5tupleIblNS6_9null_typeES8_S8_S8_S8_S8_S8_S8_EEEEZNS1_11reduce_implILb1ES3_NS6_12zip_iteratorINS7_INS6_11hip_rocprim26transform_input_iterator_tIbNSD_35transform_pair_of_input_iterators_tIbNS6_6detail15normal_iteratorINS6_10device_ptrIKyEEEESL_NS6_8equal_toIyEEEENSG_9not_fun_tINSD_8identityEEEEENSD_19counting_iterator_tIlEES8_S8_S8_S8_S8_S8_S8_S8_EEEEPS9_S9_NSD_9__find_if7functorIS9_EEEE10hipError_tPvRmT1_T2_T3_mT4_P12ihipStream_tbEUlT_E1_NS1_11comp_targetILNS1_3genE0ELNS1_11target_archE4294967295ELNS1_3gpuE0ELNS1_3repE0EEENS1_30default_config_static_selectorELNS0_4arch9wavefront6targetE1EEEvS14_.num_agpr, 0
	.set _ZN7rocprim17ROCPRIM_400000_NS6detail17trampoline_kernelINS0_14default_configENS1_22reduce_config_selectorIN6thrust23THRUST_200600_302600_NS5tupleIblNS6_9null_typeES8_S8_S8_S8_S8_S8_S8_EEEEZNS1_11reduce_implILb1ES3_NS6_12zip_iteratorINS7_INS6_11hip_rocprim26transform_input_iterator_tIbNSD_35transform_pair_of_input_iterators_tIbNS6_6detail15normal_iteratorINS6_10device_ptrIKyEEEESL_NS6_8equal_toIyEEEENSG_9not_fun_tINSD_8identityEEEEENSD_19counting_iterator_tIlEES8_S8_S8_S8_S8_S8_S8_S8_EEEEPS9_S9_NSD_9__find_if7functorIS9_EEEE10hipError_tPvRmT1_T2_T3_mT4_P12ihipStream_tbEUlT_E1_NS1_11comp_targetILNS1_3genE0ELNS1_11target_archE4294967295ELNS1_3gpuE0ELNS1_3repE0EEENS1_30default_config_static_selectorELNS0_4arch9wavefront6targetE1EEEvS14_.numbered_sgpr, 0
	.set _ZN7rocprim17ROCPRIM_400000_NS6detail17trampoline_kernelINS0_14default_configENS1_22reduce_config_selectorIN6thrust23THRUST_200600_302600_NS5tupleIblNS6_9null_typeES8_S8_S8_S8_S8_S8_S8_EEEEZNS1_11reduce_implILb1ES3_NS6_12zip_iteratorINS7_INS6_11hip_rocprim26transform_input_iterator_tIbNSD_35transform_pair_of_input_iterators_tIbNS6_6detail15normal_iteratorINS6_10device_ptrIKyEEEESL_NS6_8equal_toIyEEEENSG_9not_fun_tINSD_8identityEEEEENSD_19counting_iterator_tIlEES8_S8_S8_S8_S8_S8_S8_S8_EEEEPS9_S9_NSD_9__find_if7functorIS9_EEEE10hipError_tPvRmT1_T2_T3_mT4_P12ihipStream_tbEUlT_E1_NS1_11comp_targetILNS1_3genE0ELNS1_11target_archE4294967295ELNS1_3gpuE0ELNS1_3repE0EEENS1_30default_config_static_selectorELNS0_4arch9wavefront6targetE1EEEvS14_.num_named_barrier, 0
	.set _ZN7rocprim17ROCPRIM_400000_NS6detail17trampoline_kernelINS0_14default_configENS1_22reduce_config_selectorIN6thrust23THRUST_200600_302600_NS5tupleIblNS6_9null_typeES8_S8_S8_S8_S8_S8_S8_EEEEZNS1_11reduce_implILb1ES3_NS6_12zip_iteratorINS7_INS6_11hip_rocprim26transform_input_iterator_tIbNSD_35transform_pair_of_input_iterators_tIbNS6_6detail15normal_iteratorINS6_10device_ptrIKyEEEESL_NS6_8equal_toIyEEEENSG_9not_fun_tINSD_8identityEEEEENSD_19counting_iterator_tIlEES8_S8_S8_S8_S8_S8_S8_S8_EEEEPS9_S9_NSD_9__find_if7functorIS9_EEEE10hipError_tPvRmT1_T2_T3_mT4_P12ihipStream_tbEUlT_E1_NS1_11comp_targetILNS1_3genE0ELNS1_11target_archE4294967295ELNS1_3gpuE0ELNS1_3repE0EEENS1_30default_config_static_selectorELNS0_4arch9wavefront6targetE1EEEvS14_.private_seg_size, 0
	.set _ZN7rocprim17ROCPRIM_400000_NS6detail17trampoline_kernelINS0_14default_configENS1_22reduce_config_selectorIN6thrust23THRUST_200600_302600_NS5tupleIblNS6_9null_typeES8_S8_S8_S8_S8_S8_S8_EEEEZNS1_11reduce_implILb1ES3_NS6_12zip_iteratorINS7_INS6_11hip_rocprim26transform_input_iterator_tIbNSD_35transform_pair_of_input_iterators_tIbNS6_6detail15normal_iteratorINS6_10device_ptrIKyEEEESL_NS6_8equal_toIyEEEENSG_9not_fun_tINSD_8identityEEEEENSD_19counting_iterator_tIlEES8_S8_S8_S8_S8_S8_S8_S8_EEEEPS9_S9_NSD_9__find_if7functorIS9_EEEE10hipError_tPvRmT1_T2_T3_mT4_P12ihipStream_tbEUlT_E1_NS1_11comp_targetILNS1_3genE0ELNS1_11target_archE4294967295ELNS1_3gpuE0ELNS1_3repE0EEENS1_30default_config_static_selectorELNS0_4arch9wavefront6targetE1EEEvS14_.uses_vcc, 0
	.set _ZN7rocprim17ROCPRIM_400000_NS6detail17trampoline_kernelINS0_14default_configENS1_22reduce_config_selectorIN6thrust23THRUST_200600_302600_NS5tupleIblNS6_9null_typeES8_S8_S8_S8_S8_S8_S8_EEEEZNS1_11reduce_implILb1ES3_NS6_12zip_iteratorINS7_INS6_11hip_rocprim26transform_input_iterator_tIbNSD_35transform_pair_of_input_iterators_tIbNS6_6detail15normal_iteratorINS6_10device_ptrIKyEEEESL_NS6_8equal_toIyEEEENSG_9not_fun_tINSD_8identityEEEEENSD_19counting_iterator_tIlEES8_S8_S8_S8_S8_S8_S8_S8_EEEEPS9_S9_NSD_9__find_if7functorIS9_EEEE10hipError_tPvRmT1_T2_T3_mT4_P12ihipStream_tbEUlT_E1_NS1_11comp_targetILNS1_3genE0ELNS1_11target_archE4294967295ELNS1_3gpuE0ELNS1_3repE0EEENS1_30default_config_static_selectorELNS0_4arch9wavefront6targetE1EEEvS14_.uses_flat_scratch, 0
	.set _ZN7rocprim17ROCPRIM_400000_NS6detail17trampoline_kernelINS0_14default_configENS1_22reduce_config_selectorIN6thrust23THRUST_200600_302600_NS5tupleIblNS6_9null_typeES8_S8_S8_S8_S8_S8_S8_EEEEZNS1_11reduce_implILb1ES3_NS6_12zip_iteratorINS7_INS6_11hip_rocprim26transform_input_iterator_tIbNSD_35transform_pair_of_input_iterators_tIbNS6_6detail15normal_iteratorINS6_10device_ptrIKyEEEESL_NS6_8equal_toIyEEEENSG_9not_fun_tINSD_8identityEEEEENSD_19counting_iterator_tIlEES8_S8_S8_S8_S8_S8_S8_S8_EEEEPS9_S9_NSD_9__find_if7functorIS9_EEEE10hipError_tPvRmT1_T2_T3_mT4_P12ihipStream_tbEUlT_E1_NS1_11comp_targetILNS1_3genE0ELNS1_11target_archE4294967295ELNS1_3gpuE0ELNS1_3repE0EEENS1_30default_config_static_selectorELNS0_4arch9wavefront6targetE1EEEvS14_.has_dyn_sized_stack, 0
	.set _ZN7rocprim17ROCPRIM_400000_NS6detail17trampoline_kernelINS0_14default_configENS1_22reduce_config_selectorIN6thrust23THRUST_200600_302600_NS5tupleIblNS6_9null_typeES8_S8_S8_S8_S8_S8_S8_EEEEZNS1_11reduce_implILb1ES3_NS6_12zip_iteratorINS7_INS6_11hip_rocprim26transform_input_iterator_tIbNSD_35transform_pair_of_input_iterators_tIbNS6_6detail15normal_iteratorINS6_10device_ptrIKyEEEESL_NS6_8equal_toIyEEEENSG_9not_fun_tINSD_8identityEEEEENSD_19counting_iterator_tIlEES8_S8_S8_S8_S8_S8_S8_S8_EEEEPS9_S9_NSD_9__find_if7functorIS9_EEEE10hipError_tPvRmT1_T2_T3_mT4_P12ihipStream_tbEUlT_E1_NS1_11comp_targetILNS1_3genE0ELNS1_11target_archE4294967295ELNS1_3gpuE0ELNS1_3repE0EEENS1_30default_config_static_selectorELNS0_4arch9wavefront6targetE1EEEvS14_.has_recursion, 0
	.set _ZN7rocprim17ROCPRIM_400000_NS6detail17trampoline_kernelINS0_14default_configENS1_22reduce_config_selectorIN6thrust23THRUST_200600_302600_NS5tupleIblNS6_9null_typeES8_S8_S8_S8_S8_S8_S8_EEEEZNS1_11reduce_implILb1ES3_NS6_12zip_iteratorINS7_INS6_11hip_rocprim26transform_input_iterator_tIbNSD_35transform_pair_of_input_iterators_tIbNS6_6detail15normal_iteratorINS6_10device_ptrIKyEEEESL_NS6_8equal_toIyEEEENSG_9not_fun_tINSD_8identityEEEEENSD_19counting_iterator_tIlEES8_S8_S8_S8_S8_S8_S8_S8_EEEEPS9_S9_NSD_9__find_if7functorIS9_EEEE10hipError_tPvRmT1_T2_T3_mT4_P12ihipStream_tbEUlT_E1_NS1_11comp_targetILNS1_3genE0ELNS1_11target_archE4294967295ELNS1_3gpuE0ELNS1_3repE0EEENS1_30default_config_static_selectorELNS0_4arch9wavefront6targetE1EEEvS14_.has_indirect_call, 0
	.section	.AMDGPU.csdata,"",@progbits
; Kernel info:
; codeLenInByte = 0
; TotalNumSgprs: 4
; NumVgprs: 0
; ScratchSize: 0
; MemoryBound: 0
; FloatMode: 240
; IeeeMode: 1
; LDSByteSize: 0 bytes/workgroup (compile time only)
; SGPRBlocks: 0
; VGPRBlocks: 0
; NumSGPRsForWavesPerEU: 4
; NumVGPRsForWavesPerEU: 1
; Occupancy: 10
; WaveLimiterHint : 0
; COMPUTE_PGM_RSRC2:SCRATCH_EN: 0
; COMPUTE_PGM_RSRC2:USER_SGPR: 6
; COMPUTE_PGM_RSRC2:TRAP_HANDLER: 0
; COMPUTE_PGM_RSRC2:TGID_X_EN: 1
; COMPUTE_PGM_RSRC2:TGID_Y_EN: 0
; COMPUTE_PGM_RSRC2:TGID_Z_EN: 0
; COMPUTE_PGM_RSRC2:TIDIG_COMP_CNT: 0
	.section	.text._ZN7rocprim17ROCPRIM_400000_NS6detail17trampoline_kernelINS0_14default_configENS1_22reduce_config_selectorIN6thrust23THRUST_200600_302600_NS5tupleIblNS6_9null_typeES8_S8_S8_S8_S8_S8_S8_EEEEZNS1_11reduce_implILb1ES3_NS6_12zip_iteratorINS7_INS6_11hip_rocprim26transform_input_iterator_tIbNSD_35transform_pair_of_input_iterators_tIbNS6_6detail15normal_iteratorINS6_10device_ptrIKyEEEESL_NS6_8equal_toIyEEEENSG_9not_fun_tINSD_8identityEEEEENSD_19counting_iterator_tIlEES8_S8_S8_S8_S8_S8_S8_S8_EEEEPS9_S9_NSD_9__find_if7functorIS9_EEEE10hipError_tPvRmT1_T2_T3_mT4_P12ihipStream_tbEUlT_E1_NS1_11comp_targetILNS1_3genE5ELNS1_11target_archE942ELNS1_3gpuE9ELNS1_3repE0EEENS1_30default_config_static_selectorELNS0_4arch9wavefront6targetE1EEEvS14_,"axG",@progbits,_ZN7rocprim17ROCPRIM_400000_NS6detail17trampoline_kernelINS0_14default_configENS1_22reduce_config_selectorIN6thrust23THRUST_200600_302600_NS5tupleIblNS6_9null_typeES8_S8_S8_S8_S8_S8_S8_EEEEZNS1_11reduce_implILb1ES3_NS6_12zip_iteratorINS7_INS6_11hip_rocprim26transform_input_iterator_tIbNSD_35transform_pair_of_input_iterators_tIbNS6_6detail15normal_iteratorINS6_10device_ptrIKyEEEESL_NS6_8equal_toIyEEEENSG_9not_fun_tINSD_8identityEEEEENSD_19counting_iterator_tIlEES8_S8_S8_S8_S8_S8_S8_S8_EEEEPS9_S9_NSD_9__find_if7functorIS9_EEEE10hipError_tPvRmT1_T2_T3_mT4_P12ihipStream_tbEUlT_E1_NS1_11comp_targetILNS1_3genE5ELNS1_11target_archE942ELNS1_3gpuE9ELNS1_3repE0EEENS1_30default_config_static_selectorELNS0_4arch9wavefront6targetE1EEEvS14_,comdat
	.protected	_ZN7rocprim17ROCPRIM_400000_NS6detail17trampoline_kernelINS0_14default_configENS1_22reduce_config_selectorIN6thrust23THRUST_200600_302600_NS5tupleIblNS6_9null_typeES8_S8_S8_S8_S8_S8_S8_EEEEZNS1_11reduce_implILb1ES3_NS6_12zip_iteratorINS7_INS6_11hip_rocprim26transform_input_iterator_tIbNSD_35transform_pair_of_input_iterators_tIbNS6_6detail15normal_iteratorINS6_10device_ptrIKyEEEESL_NS6_8equal_toIyEEEENSG_9not_fun_tINSD_8identityEEEEENSD_19counting_iterator_tIlEES8_S8_S8_S8_S8_S8_S8_S8_EEEEPS9_S9_NSD_9__find_if7functorIS9_EEEE10hipError_tPvRmT1_T2_T3_mT4_P12ihipStream_tbEUlT_E1_NS1_11comp_targetILNS1_3genE5ELNS1_11target_archE942ELNS1_3gpuE9ELNS1_3repE0EEENS1_30default_config_static_selectorELNS0_4arch9wavefront6targetE1EEEvS14_ ; -- Begin function _ZN7rocprim17ROCPRIM_400000_NS6detail17trampoline_kernelINS0_14default_configENS1_22reduce_config_selectorIN6thrust23THRUST_200600_302600_NS5tupleIblNS6_9null_typeES8_S8_S8_S8_S8_S8_S8_EEEEZNS1_11reduce_implILb1ES3_NS6_12zip_iteratorINS7_INS6_11hip_rocprim26transform_input_iterator_tIbNSD_35transform_pair_of_input_iterators_tIbNS6_6detail15normal_iteratorINS6_10device_ptrIKyEEEESL_NS6_8equal_toIyEEEENSG_9not_fun_tINSD_8identityEEEEENSD_19counting_iterator_tIlEES8_S8_S8_S8_S8_S8_S8_S8_EEEEPS9_S9_NSD_9__find_if7functorIS9_EEEE10hipError_tPvRmT1_T2_T3_mT4_P12ihipStream_tbEUlT_E1_NS1_11comp_targetILNS1_3genE5ELNS1_11target_archE942ELNS1_3gpuE9ELNS1_3repE0EEENS1_30default_config_static_selectorELNS0_4arch9wavefront6targetE1EEEvS14_
	.globl	_ZN7rocprim17ROCPRIM_400000_NS6detail17trampoline_kernelINS0_14default_configENS1_22reduce_config_selectorIN6thrust23THRUST_200600_302600_NS5tupleIblNS6_9null_typeES8_S8_S8_S8_S8_S8_S8_EEEEZNS1_11reduce_implILb1ES3_NS6_12zip_iteratorINS7_INS6_11hip_rocprim26transform_input_iterator_tIbNSD_35transform_pair_of_input_iterators_tIbNS6_6detail15normal_iteratorINS6_10device_ptrIKyEEEESL_NS6_8equal_toIyEEEENSG_9not_fun_tINSD_8identityEEEEENSD_19counting_iterator_tIlEES8_S8_S8_S8_S8_S8_S8_S8_EEEEPS9_S9_NSD_9__find_if7functorIS9_EEEE10hipError_tPvRmT1_T2_T3_mT4_P12ihipStream_tbEUlT_E1_NS1_11comp_targetILNS1_3genE5ELNS1_11target_archE942ELNS1_3gpuE9ELNS1_3repE0EEENS1_30default_config_static_selectorELNS0_4arch9wavefront6targetE1EEEvS14_
	.p2align	8
	.type	_ZN7rocprim17ROCPRIM_400000_NS6detail17trampoline_kernelINS0_14default_configENS1_22reduce_config_selectorIN6thrust23THRUST_200600_302600_NS5tupleIblNS6_9null_typeES8_S8_S8_S8_S8_S8_S8_EEEEZNS1_11reduce_implILb1ES3_NS6_12zip_iteratorINS7_INS6_11hip_rocprim26transform_input_iterator_tIbNSD_35transform_pair_of_input_iterators_tIbNS6_6detail15normal_iteratorINS6_10device_ptrIKyEEEESL_NS6_8equal_toIyEEEENSG_9not_fun_tINSD_8identityEEEEENSD_19counting_iterator_tIlEES8_S8_S8_S8_S8_S8_S8_S8_EEEEPS9_S9_NSD_9__find_if7functorIS9_EEEE10hipError_tPvRmT1_T2_T3_mT4_P12ihipStream_tbEUlT_E1_NS1_11comp_targetILNS1_3genE5ELNS1_11target_archE942ELNS1_3gpuE9ELNS1_3repE0EEENS1_30default_config_static_selectorELNS0_4arch9wavefront6targetE1EEEvS14_,@function
_ZN7rocprim17ROCPRIM_400000_NS6detail17trampoline_kernelINS0_14default_configENS1_22reduce_config_selectorIN6thrust23THRUST_200600_302600_NS5tupleIblNS6_9null_typeES8_S8_S8_S8_S8_S8_S8_EEEEZNS1_11reduce_implILb1ES3_NS6_12zip_iteratorINS7_INS6_11hip_rocprim26transform_input_iterator_tIbNSD_35transform_pair_of_input_iterators_tIbNS6_6detail15normal_iteratorINS6_10device_ptrIKyEEEESL_NS6_8equal_toIyEEEENSG_9not_fun_tINSD_8identityEEEEENSD_19counting_iterator_tIlEES8_S8_S8_S8_S8_S8_S8_S8_EEEEPS9_S9_NSD_9__find_if7functorIS9_EEEE10hipError_tPvRmT1_T2_T3_mT4_P12ihipStream_tbEUlT_E1_NS1_11comp_targetILNS1_3genE5ELNS1_11target_archE942ELNS1_3gpuE9ELNS1_3repE0EEENS1_30default_config_static_selectorELNS0_4arch9wavefront6targetE1EEEvS14_: ; @_ZN7rocprim17ROCPRIM_400000_NS6detail17trampoline_kernelINS0_14default_configENS1_22reduce_config_selectorIN6thrust23THRUST_200600_302600_NS5tupleIblNS6_9null_typeES8_S8_S8_S8_S8_S8_S8_EEEEZNS1_11reduce_implILb1ES3_NS6_12zip_iteratorINS7_INS6_11hip_rocprim26transform_input_iterator_tIbNSD_35transform_pair_of_input_iterators_tIbNS6_6detail15normal_iteratorINS6_10device_ptrIKyEEEESL_NS6_8equal_toIyEEEENSG_9not_fun_tINSD_8identityEEEEENSD_19counting_iterator_tIlEES8_S8_S8_S8_S8_S8_S8_S8_EEEEPS9_S9_NSD_9__find_if7functorIS9_EEEE10hipError_tPvRmT1_T2_T3_mT4_P12ihipStream_tbEUlT_E1_NS1_11comp_targetILNS1_3genE5ELNS1_11target_archE942ELNS1_3gpuE9ELNS1_3repE0EEENS1_30default_config_static_selectorELNS0_4arch9wavefront6targetE1EEEvS14_
; %bb.0:
	.section	.rodata,"a",@progbits
	.p2align	6, 0x0
	.amdhsa_kernel _ZN7rocprim17ROCPRIM_400000_NS6detail17trampoline_kernelINS0_14default_configENS1_22reduce_config_selectorIN6thrust23THRUST_200600_302600_NS5tupleIblNS6_9null_typeES8_S8_S8_S8_S8_S8_S8_EEEEZNS1_11reduce_implILb1ES3_NS6_12zip_iteratorINS7_INS6_11hip_rocprim26transform_input_iterator_tIbNSD_35transform_pair_of_input_iterators_tIbNS6_6detail15normal_iteratorINS6_10device_ptrIKyEEEESL_NS6_8equal_toIyEEEENSG_9not_fun_tINSD_8identityEEEEENSD_19counting_iterator_tIlEES8_S8_S8_S8_S8_S8_S8_S8_EEEEPS9_S9_NSD_9__find_if7functorIS9_EEEE10hipError_tPvRmT1_T2_T3_mT4_P12ihipStream_tbEUlT_E1_NS1_11comp_targetILNS1_3genE5ELNS1_11target_archE942ELNS1_3gpuE9ELNS1_3repE0EEENS1_30default_config_static_selectorELNS0_4arch9wavefront6targetE1EEEvS14_
		.amdhsa_group_segment_fixed_size 0
		.amdhsa_private_segment_fixed_size 0
		.amdhsa_kernarg_size 88
		.amdhsa_user_sgpr_count 6
		.amdhsa_user_sgpr_private_segment_buffer 1
		.amdhsa_user_sgpr_dispatch_ptr 0
		.amdhsa_user_sgpr_queue_ptr 0
		.amdhsa_user_sgpr_kernarg_segment_ptr 1
		.amdhsa_user_sgpr_dispatch_id 0
		.amdhsa_user_sgpr_flat_scratch_init 0
		.amdhsa_user_sgpr_private_segment_size 0
		.amdhsa_uses_dynamic_stack 0
		.amdhsa_system_sgpr_private_segment_wavefront_offset 0
		.amdhsa_system_sgpr_workgroup_id_x 1
		.amdhsa_system_sgpr_workgroup_id_y 0
		.amdhsa_system_sgpr_workgroup_id_z 0
		.amdhsa_system_sgpr_workgroup_info 0
		.amdhsa_system_vgpr_workitem_id 0
		.amdhsa_next_free_vgpr 1
		.amdhsa_next_free_sgpr 0
		.amdhsa_reserve_vcc 0
		.amdhsa_reserve_flat_scratch 0
		.amdhsa_float_round_mode_32 0
		.amdhsa_float_round_mode_16_64 0
		.amdhsa_float_denorm_mode_32 3
		.amdhsa_float_denorm_mode_16_64 3
		.amdhsa_dx10_clamp 1
		.amdhsa_ieee_mode 1
		.amdhsa_fp16_overflow 0
		.amdhsa_exception_fp_ieee_invalid_op 0
		.amdhsa_exception_fp_denorm_src 0
		.amdhsa_exception_fp_ieee_div_zero 0
		.amdhsa_exception_fp_ieee_overflow 0
		.amdhsa_exception_fp_ieee_underflow 0
		.amdhsa_exception_fp_ieee_inexact 0
		.amdhsa_exception_int_div_zero 0
	.end_amdhsa_kernel
	.section	.text._ZN7rocprim17ROCPRIM_400000_NS6detail17trampoline_kernelINS0_14default_configENS1_22reduce_config_selectorIN6thrust23THRUST_200600_302600_NS5tupleIblNS6_9null_typeES8_S8_S8_S8_S8_S8_S8_EEEEZNS1_11reduce_implILb1ES3_NS6_12zip_iteratorINS7_INS6_11hip_rocprim26transform_input_iterator_tIbNSD_35transform_pair_of_input_iterators_tIbNS6_6detail15normal_iteratorINS6_10device_ptrIKyEEEESL_NS6_8equal_toIyEEEENSG_9not_fun_tINSD_8identityEEEEENSD_19counting_iterator_tIlEES8_S8_S8_S8_S8_S8_S8_S8_EEEEPS9_S9_NSD_9__find_if7functorIS9_EEEE10hipError_tPvRmT1_T2_T3_mT4_P12ihipStream_tbEUlT_E1_NS1_11comp_targetILNS1_3genE5ELNS1_11target_archE942ELNS1_3gpuE9ELNS1_3repE0EEENS1_30default_config_static_selectorELNS0_4arch9wavefront6targetE1EEEvS14_,"axG",@progbits,_ZN7rocprim17ROCPRIM_400000_NS6detail17trampoline_kernelINS0_14default_configENS1_22reduce_config_selectorIN6thrust23THRUST_200600_302600_NS5tupleIblNS6_9null_typeES8_S8_S8_S8_S8_S8_S8_EEEEZNS1_11reduce_implILb1ES3_NS6_12zip_iteratorINS7_INS6_11hip_rocprim26transform_input_iterator_tIbNSD_35transform_pair_of_input_iterators_tIbNS6_6detail15normal_iteratorINS6_10device_ptrIKyEEEESL_NS6_8equal_toIyEEEENSG_9not_fun_tINSD_8identityEEEEENSD_19counting_iterator_tIlEES8_S8_S8_S8_S8_S8_S8_S8_EEEEPS9_S9_NSD_9__find_if7functorIS9_EEEE10hipError_tPvRmT1_T2_T3_mT4_P12ihipStream_tbEUlT_E1_NS1_11comp_targetILNS1_3genE5ELNS1_11target_archE942ELNS1_3gpuE9ELNS1_3repE0EEENS1_30default_config_static_selectorELNS0_4arch9wavefront6targetE1EEEvS14_,comdat
.Lfunc_end475:
	.size	_ZN7rocprim17ROCPRIM_400000_NS6detail17trampoline_kernelINS0_14default_configENS1_22reduce_config_selectorIN6thrust23THRUST_200600_302600_NS5tupleIblNS6_9null_typeES8_S8_S8_S8_S8_S8_S8_EEEEZNS1_11reduce_implILb1ES3_NS6_12zip_iteratorINS7_INS6_11hip_rocprim26transform_input_iterator_tIbNSD_35transform_pair_of_input_iterators_tIbNS6_6detail15normal_iteratorINS6_10device_ptrIKyEEEESL_NS6_8equal_toIyEEEENSG_9not_fun_tINSD_8identityEEEEENSD_19counting_iterator_tIlEES8_S8_S8_S8_S8_S8_S8_S8_EEEEPS9_S9_NSD_9__find_if7functorIS9_EEEE10hipError_tPvRmT1_T2_T3_mT4_P12ihipStream_tbEUlT_E1_NS1_11comp_targetILNS1_3genE5ELNS1_11target_archE942ELNS1_3gpuE9ELNS1_3repE0EEENS1_30default_config_static_selectorELNS0_4arch9wavefront6targetE1EEEvS14_, .Lfunc_end475-_ZN7rocprim17ROCPRIM_400000_NS6detail17trampoline_kernelINS0_14default_configENS1_22reduce_config_selectorIN6thrust23THRUST_200600_302600_NS5tupleIblNS6_9null_typeES8_S8_S8_S8_S8_S8_S8_EEEEZNS1_11reduce_implILb1ES3_NS6_12zip_iteratorINS7_INS6_11hip_rocprim26transform_input_iterator_tIbNSD_35transform_pair_of_input_iterators_tIbNS6_6detail15normal_iteratorINS6_10device_ptrIKyEEEESL_NS6_8equal_toIyEEEENSG_9not_fun_tINSD_8identityEEEEENSD_19counting_iterator_tIlEES8_S8_S8_S8_S8_S8_S8_S8_EEEEPS9_S9_NSD_9__find_if7functorIS9_EEEE10hipError_tPvRmT1_T2_T3_mT4_P12ihipStream_tbEUlT_E1_NS1_11comp_targetILNS1_3genE5ELNS1_11target_archE942ELNS1_3gpuE9ELNS1_3repE0EEENS1_30default_config_static_selectorELNS0_4arch9wavefront6targetE1EEEvS14_
                                        ; -- End function
	.set _ZN7rocprim17ROCPRIM_400000_NS6detail17trampoline_kernelINS0_14default_configENS1_22reduce_config_selectorIN6thrust23THRUST_200600_302600_NS5tupleIblNS6_9null_typeES8_S8_S8_S8_S8_S8_S8_EEEEZNS1_11reduce_implILb1ES3_NS6_12zip_iteratorINS7_INS6_11hip_rocprim26transform_input_iterator_tIbNSD_35transform_pair_of_input_iterators_tIbNS6_6detail15normal_iteratorINS6_10device_ptrIKyEEEESL_NS6_8equal_toIyEEEENSG_9not_fun_tINSD_8identityEEEEENSD_19counting_iterator_tIlEES8_S8_S8_S8_S8_S8_S8_S8_EEEEPS9_S9_NSD_9__find_if7functorIS9_EEEE10hipError_tPvRmT1_T2_T3_mT4_P12ihipStream_tbEUlT_E1_NS1_11comp_targetILNS1_3genE5ELNS1_11target_archE942ELNS1_3gpuE9ELNS1_3repE0EEENS1_30default_config_static_selectorELNS0_4arch9wavefront6targetE1EEEvS14_.num_vgpr, 0
	.set _ZN7rocprim17ROCPRIM_400000_NS6detail17trampoline_kernelINS0_14default_configENS1_22reduce_config_selectorIN6thrust23THRUST_200600_302600_NS5tupleIblNS6_9null_typeES8_S8_S8_S8_S8_S8_S8_EEEEZNS1_11reduce_implILb1ES3_NS6_12zip_iteratorINS7_INS6_11hip_rocprim26transform_input_iterator_tIbNSD_35transform_pair_of_input_iterators_tIbNS6_6detail15normal_iteratorINS6_10device_ptrIKyEEEESL_NS6_8equal_toIyEEEENSG_9not_fun_tINSD_8identityEEEEENSD_19counting_iterator_tIlEES8_S8_S8_S8_S8_S8_S8_S8_EEEEPS9_S9_NSD_9__find_if7functorIS9_EEEE10hipError_tPvRmT1_T2_T3_mT4_P12ihipStream_tbEUlT_E1_NS1_11comp_targetILNS1_3genE5ELNS1_11target_archE942ELNS1_3gpuE9ELNS1_3repE0EEENS1_30default_config_static_selectorELNS0_4arch9wavefront6targetE1EEEvS14_.num_agpr, 0
	.set _ZN7rocprim17ROCPRIM_400000_NS6detail17trampoline_kernelINS0_14default_configENS1_22reduce_config_selectorIN6thrust23THRUST_200600_302600_NS5tupleIblNS6_9null_typeES8_S8_S8_S8_S8_S8_S8_EEEEZNS1_11reduce_implILb1ES3_NS6_12zip_iteratorINS7_INS6_11hip_rocprim26transform_input_iterator_tIbNSD_35transform_pair_of_input_iterators_tIbNS6_6detail15normal_iteratorINS6_10device_ptrIKyEEEESL_NS6_8equal_toIyEEEENSG_9not_fun_tINSD_8identityEEEEENSD_19counting_iterator_tIlEES8_S8_S8_S8_S8_S8_S8_S8_EEEEPS9_S9_NSD_9__find_if7functorIS9_EEEE10hipError_tPvRmT1_T2_T3_mT4_P12ihipStream_tbEUlT_E1_NS1_11comp_targetILNS1_3genE5ELNS1_11target_archE942ELNS1_3gpuE9ELNS1_3repE0EEENS1_30default_config_static_selectorELNS0_4arch9wavefront6targetE1EEEvS14_.numbered_sgpr, 0
	.set _ZN7rocprim17ROCPRIM_400000_NS6detail17trampoline_kernelINS0_14default_configENS1_22reduce_config_selectorIN6thrust23THRUST_200600_302600_NS5tupleIblNS6_9null_typeES8_S8_S8_S8_S8_S8_S8_EEEEZNS1_11reduce_implILb1ES3_NS6_12zip_iteratorINS7_INS6_11hip_rocprim26transform_input_iterator_tIbNSD_35transform_pair_of_input_iterators_tIbNS6_6detail15normal_iteratorINS6_10device_ptrIKyEEEESL_NS6_8equal_toIyEEEENSG_9not_fun_tINSD_8identityEEEEENSD_19counting_iterator_tIlEES8_S8_S8_S8_S8_S8_S8_S8_EEEEPS9_S9_NSD_9__find_if7functorIS9_EEEE10hipError_tPvRmT1_T2_T3_mT4_P12ihipStream_tbEUlT_E1_NS1_11comp_targetILNS1_3genE5ELNS1_11target_archE942ELNS1_3gpuE9ELNS1_3repE0EEENS1_30default_config_static_selectorELNS0_4arch9wavefront6targetE1EEEvS14_.num_named_barrier, 0
	.set _ZN7rocprim17ROCPRIM_400000_NS6detail17trampoline_kernelINS0_14default_configENS1_22reduce_config_selectorIN6thrust23THRUST_200600_302600_NS5tupleIblNS6_9null_typeES8_S8_S8_S8_S8_S8_S8_EEEEZNS1_11reduce_implILb1ES3_NS6_12zip_iteratorINS7_INS6_11hip_rocprim26transform_input_iterator_tIbNSD_35transform_pair_of_input_iterators_tIbNS6_6detail15normal_iteratorINS6_10device_ptrIKyEEEESL_NS6_8equal_toIyEEEENSG_9not_fun_tINSD_8identityEEEEENSD_19counting_iterator_tIlEES8_S8_S8_S8_S8_S8_S8_S8_EEEEPS9_S9_NSD_9__find_if7functorIS9_EEEE10hipError_tPvRmT1_T2_T3_mT4_P12ihipStream_tbEUlT_E1_NS1_11comp_targetILNS1_3genE5ELNS1_11target_archE942ELNS1_3gpuE9ELNS1_3repE0EEENS1_30default_config_static_selectorELNS0_4arch9wavefront6targetE1EEEvS14_.private_seg_size, 0
	.set _ZN7rocprim17ROCPRIM_400000_NS6detail17trampoline_kernelINS0_14default_configENS1_22reduce_config_selectorIN6thrust23THRUST_200600_302600_NS5tupleIblNS6_9null_typeES8_S8_S8_S8_S8_S8_S8_EEEEZNS1_11reduce_implILb1ES3_NS6_12zip_iteratorINS7_INS6_11hip_rocprim26transform_input_iterator_tIbNSD_35transform_pair_of_input_iterators_tIbNS6_6detail15normal_iteratorINS6_10device_ptrIKyEEEESL_NS6_8equal_toIyEEEENSG_9not_fun_tINSD_8identityEEEEENSD_19counting_iterator_tIlEES8_S8_S8_S8_S8_S8_S8_S8_EEEEPS9_S9_NSD_9__find_if7functorIS9_EEEE10hipError_tPvRmT1_T2_T3_mT4_P12ihipStream_tbEUlT_E1_NS1_11comp_targetILNS1_3genE5ELNS1_11target_archE942ELNS1_3gpuE9ELNS1_3repE0EEENS1_30default_config_static_selectorELNS0_4arch9wavefront6targetE1EEEvS14_.uses_vcc, 0
	.set _ZN7rocprim17ROCPRIM_400000_NS6detail17trampoline_kernelINS0_14default_configENS1_22reduce_config_selectorIN6thrust23THRUST_200600_302600_NS5tupleIblNS6_9null_typeES8_S8_S8_S8_S8_S8_S8_EEEEZNS1_11reduce_implILb1ES3_NS6_12zip_iteratorINS7_INS6_11hip_rocprim26transform_input_iterator_tIbNSD_35transform_pair_of_input_iterators_tIbNS6_6detail15normal_iteratorINS6_10device_ptrIKyEEEESL_NS6_8equal_toIyEEEENSG_9not_fun_tINSD_8identityEEEEENSD_19counting_iterator_tIlEES8_S8_S8_S8_S8_S8_S8_S8_EEEEPS9_S9_NSD_9__find_if7functorIS9_EEEE10hipError_tPvRmT1_T2_T3_mT4_P12ihipStream_tbEUlT_E1_NS1_11comp_targetILNS1_3genE5ELNS1_11target_archE942ELNS1_3gpuE9ELNS1_3repE0EEENS1_30default_config_static_selectorELNS0_4arch9wavefront6targetE1EEEvS14_.uses_flat_scratch, 0
	.set _ZN7rocprim17ROCPRIM_400000_NS6detail17trampoline_kernelINS0_14default_configENS1_22reduce_config_selectorIN6thrust23THRUST_200600_302600_NS5tupleIblNS6_9null_typeES8_S8_S8_S8_S8_S8_S8_EEEEZNS1_11reduce_implILb1ES3_NS6_12zip_iteratorINS7_INS6_11hip_rocprim26transform_input_iterator_tIbNSD_35transform_pair_of_input_iterators_tIbNS6_6detail15normal_iteratorINS6_10device_ptrIKyEEEESL_NS6_8equal_toIyEEEENSG_9not_fun_tINSD_8identityEEEEENSD_19counting_iterator_tIlEES8_S8_S8_S8_S8_S8_S8_S8_EEEEPS9_S9_NSD_9__find_if7functorIS9_EEEE10hipError_tPvRmT1_T2_T3_mT4_P12ihipStream_tbEUlT_E1_NS1_11comp_targetILNS1_3genE5ELNS1_11target_archE942ELNS1_3gpuE9ELNS1_3repE0EEENS1_30default_config_static_selectorELNS0_4arch9wavefront6targetE1EEEvS14_.has_dyn_sized_stack, 0
	.set _ZN7rocprim17ROCPRIM_400000_NS6detail17trampoline_kernelINS0_14default_configENS1_22reduce_config_selectorIN6thrust23THRUST_200600_302600_NS5tupleIblNS6_9null_typeES8_S8_S8_S8_S8_S8_S8_EEEEZNS1_11reduce_implILb1ES3_NS6_12zip_iteratorINS7_INS6_11hip_rocprim26transform_input_iterator_tIbNSD_35transform_pair_of_input_iterators_tIbNS6_6detail15normal_iteratorINS6_10device_ptrIKyEEEESL_NS6_8equal_toIyEEEENSG_9not_fun_tINSD_8identityEEEEENSD_19counting_iterator_tIlEES8_S8_S8_S8_S8_S8_S8_S8_EEEEPS9_S9_NSD_9__find_if7functorIS9_EEEE10hipError_tPvRmT1_T2_T3_mT4_P12ihipStream_tbEUlT_E1_NS1_11comp_targetILNS1_3genE5ELNS1_11target_archE942ELNS1_3gpuE9ELNS1_3repE0EEENS1_30default_config_static_selectorELNS0_4arch9wavefront6targetE1EEEvS14_.has_recursion, 0
	.set _ZN7rocprim17ROCPRIM_400000_NS6detail17trampoline_kernelINS0_14default_configENS1_22reduce_config_selectorIN6thrust23THRUST_200600_302600_NS5tupleIblNS6_9null_typeES8_S8_S8_S8_S8_S8_S8_EEEEZNS1_11reduce_implILb1ES3_NS6_12zip_iteratorINS7_INS6_11hip_rocprim26transform_input_iterator_tIbNSD_35transform_pair_of_input_iterators_tIbNS6_6detail15normal_iteratorINS6_10device_ptrIKyEEEESL_NS6_8equal_toIyEEEENSG_9not_fun_tINSD_8identityEEEEENSD_19counting_iterator_tIlEES8_S8_S8_S8_S8_S8_S8_S8_EEEEPS9_S9_NSD_9__find_if7functorIS9_EEEE10hipError_tPvRmT1_T2_T3_mT4_P12ihipStream_tbEUlT_E1_NS1_11comp_targetILNS1_3genE5ELNS1_11target_archE942ELNS1_3gpuE9ELNS1_3repE0EEENS1_30default_config_static_selectorELNS0_4arch9wavefront6targetE1EEEvS14_.has_indirect_call, 0
	.section	.AMDGPU.csdata,"",@progbits
; Kernel info:
; codeLenInByte = 0
; TotalNumSgprs: 4
; NumVgprs: 0
; ScratchSize: 0
; MemoryBound: 0
; FloatMode: 240
; IeeeMode: 1
; LDSByteSize: 0 bytes/workgroup (compile time only)
; SGPRBlocks: 0
; VGPRBlocks: 0
; NumSGPRsForWavesPerEU: 4
; NumVGPRsForWavesPerEU: 1
; Occupancy: 10
; WaveLimiterHint : 0
; COMPUTE_PGM_RSRC2:SCRATCH_EN: 0
; COMPUTE_PGM_RSRC2:USER_SGPR: 6
; COMPUTE_PGM_RSRC2:TRAP_HANDLER: 0
; COMPUTE_PGM_RSRC2:TGID_X_EN: 1
; COMPUTE_PGM_RSRC2:TGID_Y_EN: 0
; COMPUTE_PGM_RSRC2:TGID_Z_EN: 0
; COMPUTE_PGM_RSRC2:TIDIG_COMP_CNT: 0
	.section	.text._ZN7rocprim17ROCPRIM_400000_NS6detail17trampoline_kernelINS0_14default_configENS1_22reduce_config_selectorIN6thrust23THRUST_200600_302600_NS5tupleIblNS6_9null_typeES8_S8_S8_S8_S8_S8_S8_EEEEZNS1_11reduce_implILb1ES3_NS6_12zip_iteratorINS7_INS6_11hip_rocprim26transform_input_iterator_tIbNSD_35transform_pair_of_input_iterators_tIbNS6_6detail15normal_iteratorINS6_10device_ptrIKyEEEESL_NS6_8equal_toIyEEEENSG_9not_fun_tINSD_8identityEEEEENSD_19counting_iterator_tIlEES8_S8_S8_S8_S8_S8_S8_S8_EEEEPS9_S9_NSD_9__find_if7functorIS9_EEEE10hipError_tPvRmT1_T2_T3_mT4_P12ihipStream_tbEUlT_E1_NS1_11comp_targetILNS1_3genE4ELNS1_11target_archE910ELNS1_3gpuE8ELNS1_3repE0EEENS1_30default_config_static_selectorELNS0_4arch9wavefront6targetE1EEEvS14_,"axG",@progbits,_ZN7rocprim17ROCPRIM_400000_NS6detail17trampoline_kernelINS0_14default_configENS1_22reduce_config_selectorIN6thrust23THRUST_200600_302600_NS5tupleIblNS6_9null_typeES8_S8_S8_S8_S8_S8_S8_EEEEZNS1_11reduce_implILb1ES3_NS6_12zip_iteratorINS7_INS6_11hip_rocprim26transform_input_iterator_tIbNSD_35transform_pair_of_input_iterators_tIbNS6_6detail15normal_iteratorINS6_10device_ptrIKyEEEESL_NS6_8equal_toIyEEEENSG_9not_fun_tINSD_8identityEEEEENSD_19counting_iterator_tIlEES8_S8_S8_S8_S8_S8_S8_S8_EEEEPS9_S9_NSD_9__find_if7functorIS9_EEEE10hipError_tPvRmT1_T2_T3_mT4_P12ihipStream_tbEUlT_E1_NS1_11comp_targetILNS1_3genE4ELNS1_11target_archE910ELNS1_3gpuE8ELNS1_3repE0EEENS1_30default_config_static_selectorELNS0_4arch9wavefront6targetE1EEEvS14_,comdat
	.protected	_ZN7rocprim17ROCPRIM_400000_NS6detail17trampoline_kernelINS0_14default_configENS1_22reduce_config_selectorIN6thrust23THRUST_200600_302600_NS5tupleIblNS6_9null_typeES8_S8_S8_S8_S8_S8_S8_EEEEZNS1_11reduce_implILb1ES3_NS6_12zip_iteratorINS7_INS6_11hip_rocprim26transform_input_iterator_tIbNSD_35transform_pair_of_input_iterators_tIbNS6_6detail15normal_iteratorINS6_10device_ptrIKyEEEESL_NS6_8equal_toIyEEEENSG_9not_fun_tINSD_8identityEEEEENSD_19counting_iterator_tIlEES8_S8_S8_S8_S8_S8_S8_S8_EEEEPS9_S9_NSD_9__find_if7functorIS9_EEEE10hipError_tPvRmT1_T2_T3_mT4_P12ihipStream_tbEUlT_E1_NS1_11comp_targetILNS1_3genE4ELNS1_11target_archE910ELNS1_3gpuE8ELNS1_3repE0EEENS1_30default_config_static_selectorELNS0_4arch9wavefront6targetE1EEEvS14_ ; -- Begin function _ZN7rocprim17ROCPRIM_400000_NS6detail17trampoline_kernelINS0_14default_configENS1_22reduce_config_selectorIN6thrust23THRUST_200600_302600_NS5tupleIblNS6_9null_typeES8_S8_S8_S8_S8_S8_S8_EEEEZNS1_11reduce_implILb1ES3_NS6_12zip_iteratorINS7_INS6_11hip_rocprim26transform_input_iterator_tIbNSD_35transform_pair_of_input_iterators_tIbNS6_6detail15normal_iteratorINS6_10device_ptrIKyEEEESL_NS6_8equal_toIyEEEENSG_9not_fun_tINSD_8identityEEEEENSD_19counting_iterator_tIlEES8_S8_S8_S8_S8_S8_S8_S8_EEEEPS9_S9_NSD_9__find_if7functorIS9_EEEE10hipError_tPvRmT1_T2_T3_mT4_P12ihipStream_tbEUlT_E1_NS1_11comp_targetILNS1_3genE4ELNS1_11target_archE910ELNS1_3gpuE8ELNS1_3repE0EEENS1_30default_config_static_selectorELNS0_4arch9wavefront6targetE1EEEvS14_
	.globl	_ZN7rocprim17ROCPRIM_400000_NS6detail17trampoline_kernelINS0_14default_configENS1_22reduce_config_selectorIN6thrust23THRUST_200600_302600_NS5tupleIblNS6_9null_typeES8_S8_S8_S8_S8_S8_S8_EEEEZNS1_11reduce_implILb1ES3_NS6_12zip_iteratorINS7_INS6_11hip_rocprim26transform_input_iterator_tIbNSD_35transform_pair_of_input_iterators_tIbNS6_6detail15normal_iteratorINS6_10device_ptrIKyEEEESL_NS6_8equal_toIyEEEENSG_9not_fun_tINSD_8identityEEEEENSD_19counting_iterator_tIlEES8_S8_S8_S8_S8_S8_S8_S8_EEEEPS9_S9_NSD_9__find_if7functorIS9_EEEE10hipError_tPvRmT1_T2_T3_mT4_P12ihipStream_tbEUlT_E1_NS1_11comp_targetILNS1_3genE4ELNS1_11target_archE910ELNS1_3gpuE8ELNS1_3repE0EEENS1_30default_config_static_selectorELNS0_4arch9wavefront6targetE1EEEvS14_
	.p2align	8
	.type	_ZN7rocprim17ROCPRIM_400000_NS6detail17trampoline_kernelINS0_14default_configENS1_22reduce_config_selectorIN6thrust23THRUST_200600_302600_NS5tupleIblNS6_9null_typeES8_S8_S8_S8_S8_S8_S8_EEEEZNS1_11reduce_implILb1ES3_NS6_12zip_iteratorINS7_INS6_11hip_rocprim26transform_input_iterator_tIbNSD_35transform_pair_of_input_iterators_tIbNS6_6detail15normal_iteratorINS6_10device_ptrIKyEEEESL_NS6_8equal_toIyEEEENSG_9not_fun_tINSD_8identityEEEEENSD_19counting_iterator_tIlEES8_S8_S8_S8_S8_S8_S8_S8_EEEEPS9_S9_NSD_9__find_if7functorIS9_EEEE10hipError_tPvRmT1_T2_T3_mT4_P12ihipStream_tbEUlT_E1_NS1_11comp_targetILNS1_3genE4ELNS1_11target_archE910ELNS1_3gpuE8ELNS1_3repE0EEENS1_30default_config_static_selectorELNS0_4arch9wavefront6targetE1EEEvS14_,@function
_ZN7rocprim17ROCPRIM_400000_NS6detail17trampoline_kernelINS0_14default_configENS1_22reduce_config_selectorIN6thrust23THRUST_200600_302600_NS5tupleIblNS6_9null_typeES8_S8_S8_S8_S8_S8_S8_EEEEZNS1_11reduce_implILb1ES3_NS6_12zip_iteratorINS7_INS6_11hip_rocprim26transform_input_iterator_tIbNSD_35transform_pair_of_input_iterators_tIbNS6_6detail15normal_iteratorINS6_10device_ptrIKyEEEESL_NS6_8equal_toIyEEEENSG_9not_fun_tINSD_8identityEEEEENSD_19counting_iterator_tIlEES8_S8_S8_S8_S8_S8_S8_S8_EEEEPS9_S9_NSD_9__find_if7functorIS9_EEEE10hipError_tPvRmT1_T2_T3_mT4_P12ihipStream_tbEUlT_E1_NS1_11comp_targetILNS1_3genE4ELNS1_11target_archE910ELNS1_3gpuE8ELNS1_3repE0EEENS1_30default_config_static_selectorELNS0_4arch9wavefront6targetE1EEEvS14_: ; @_ZN7rocprim17ROCPRIM_400000_NS6detail17trampoline_kernelINS0_14default_configENS1_22reduce_config_selectorIN6thrust23THRUST_200600_302600_NS5tupleIblNS6_9null_typeES8_S8_S8_S8_S8_S8_S8_EEEEZNS1_11reduce_implILb1ES3_NS6_12zip_iteratorINS7_INS6_11hip_rocprim26transform_input_iterator_tIbNSD_35transform_pair_of_input_iterators_tIbNS6_6detail15normal_iteratorINS6_10device_ptrIKyEEEESL_NS6_8equal_toIyEEEENSG_9not_fun_tINSD_8identityEEEEENSD_19counting_iterator_tIlEES8_S8_S8_S8_S8_S8_S8_S8_EEEEPS9_S9_NSD_9__find_if7functorIS9_EEEE10hipError_tPvRmT1_T2_T3_mT4_P12ihipStream_tbEUlT_E1_NS1_11comp_targetILNS1_3genE4ELNS1_11target_archE910ELNS1_3gpuE8ELNS1_3repE0EEENS1_30default_config_static_selectorELNS0_4arch9wavefront6targetE1EEEvS14_
; %bb.0:
	.section	.rodata,"a",@progbits
	.p2align	6, 0x0
	.amdhsa_kernel _ZN7rocprim17ROCPRIM_400000_NS6detail17trampoline_kernelINS0_14default_configENS1_22reduce_config_selectorIN6thrust23THRUST_200600_302600_NS5tupleIblNS6_9null_typeES8_S8_S8_S8_S8_S8_S8_EEEEZNS1_11reduce_implILb1ES3_NS6_12zip_iteratorINS7_INS6_11hip_rocprim26transform_input_iterator_tIbNSD_35transform_pair_of_input_iterators_tIbNS6_6detail15normal_iteratorINS6_10device_ptrIKyEEEESL_NS6_8equal_toIyEEEENSG_9not_fun_tINSD_8identityEEEEENSD_19counting_iterator_tIlEES8_S8_S8_S8_S8_S8_S8_S8_EEEEPS9_S9_NSD_9__find_if7functorIS9_EEEE10hipError_tPvRmT1_T2_T3_mT4_P12ihipStream_tbEUlT_E1_NS1_11comp_targetILNS1_3genE4ELNS1_11target_archE910ELNS1_3gpuE8ELNS1_3repE0EEENS1_30default_config_static_selectorELNS0_4arch9wavefront6targetE1EEEvS14_
		.amdhsa_group_segment_fixed_size 0
		.amdhsa_private_segment_fixed_size 0
		.amdhsa_kernarg_size 88
		.amdhsa_user_sgpr_count 6
		.amdhsa_user_sgpr_private_segment_buffer 1
		.amdhsa_user_sgpr_dispatch_ptr 0
		.amdhsa_user_sgpr_queue_ptr 0
		.amdhsa_user_sgpr_kernarg_segment_ptr 1
		.amdhsa_user_sgpr_dispatch_id 0
		.amdhsa_user_sgpr_flat_scratch_init 0
		.amdhsa_user_sgpr_private_segment_size 0
		.amdhsa_uses_dynamic_stack 0
		.amdhsa_system_sgpr_private_segment_wavefront_offset 0
		.amdhsa_system_sgpr_workgroup_id_x 1
		.amdhsa_system_sgpr_workgroup_id_y 0
		.amdhsa_system_sgpr_workgroup_id_z 0
		.amdhsa_system_sgpr_workgroup_info 0
		.amdhsa_system_vgpr_workitem_id 0
		.amdhsa_next_free_vgpr 1
		.amdhsa_next_free_sgpr 0
		.amdhsa_reserve_vcc 0
		.amdhsa_reserve_flat_scratch 0
		.amdhsa_float_round_mode_32 0
		.amdhsa_float_round_mode_16_64 0
		.amdhsa_float_denorm_mode_32 3
		.amdhsa_float_denorm_mode_16_64 3
		.amdhsa_dx10_clamp 1
		.amdhsa_ieee_mode 1
		.amdhsa_fp16_overflow 0
		.amdhsa_exception_fp_ieee_invalid_op 0
		.amdhsa_exception_fp_denorm_src 0
		.amdhsa_exception_fp_ieee_div_zero 0
		.amdhsa_exception_fp_ieee_overflow 0
		.amdhsa_exception_fp_ieee_underflow 0
		.amdhsa_exception_fp_ieee_inexact 0
		.amdhsa_exception_int_div_zero 0
	.end_amdhsa_kernel
	.section	.text._ZN7rocprim17ROCPRIM_400000_NS6detail17trampoline_kernelINS0_14default_configENS1_22reduce_config_selectorIN6thrust23THRUST_200600_302600_NS5tupleIblNS6_9null_typeES8_S8_S8_S8_S8_S8_S8_EEEEZNS1_11reduce_implILb1ES3_NS6_12zip_iteratorINS7_INS6_11hip_rocprim26transform_input_iterator_tIbNSD_35transform_pair_of_input_iterators_tIbNS6_6detail15normal_iteratorINS6_10device_ptrIKyEEEESL_NS6_8equal_toIyEEEENSG_9not_fun_tINSD_8identityEEEEENSD_19counting_iterator_tIlEES8_S8_S8_S8_S8_S8_S8_S8_EEEEPS9_S9_NSD_9__find_if7functorIS9_EEEE10hipError_tPvRmT1_T2_T3_mT4_P12ihipStream_tbEUlT_E1_NS1_11comp_targetILNS1_3genE4ELNS1_11target_archE910ELNS1_3gpuE8ELNS1_3repE0EEENS1_30default_config_static_selectorELNS0_4arch9wavefront6targetE1EEEvS14_,"axG",@progbits,_ZN7rocprim17ROCPRIM_400000_NS6detail17trampoline_kernelINS0_14default_configENS1_22reduce_config_selectorIN6thrust23THRUST_200600_302600_NS5tupleIblNS6_9null_typeES8_S8_S8_S8_S8_S8_S8_EEEEZNS1_11reduce_implILb1ES3_NS6_12zip_iteratorINS7_INS6_11hip_rocprim26transform_input_iterator_tIbNSD_35transform_pair_of_input_iterators_tIbNS6_6detail15normal_iteratorINS6_10device_ptrIKyEEEESL_NS6_8equal_toIyEEEENSG_9not_fun_tINSD_8identityEEEEENSD_19counting_iterator_tIlEES8_S8_S8_S8_S8_S8_S8_S8_EEEEPS9_S9_NSD_9__find_if7functorIS9_EEEE10hipError_tPvRmT1_T2_T3_mT4_P12ihipStream_tbEUlT_E1_NS1_11comp_targetILNS1_3genE4ELNS1_11target_archE910ELNS1_3gpuE8ELNS1_3repE0EEENS1_30default_config_static_selectorELNS0_4arch9wavefront6targetE1EEEvS14_,comdat
.Lfunc_end476:
	.size	_ZN7rocprim17ROCPRIM_400000_NS6detail17trampoline_kernelINS0_14default_configENS1_22reduce_config_selectorIN6thrust23THRUST_200600_302600_NS5tupleIblNS6_9null_typeES8_S8_S8_S8_S8_S8_S8_EEEEZNS1_11reduce_implILb1ES3_NS6_12zip_iteratorINS7_INS6_11hip_rocprim26transform_input_iterator_tIbNSD_35transform_pair_of_input_iterators_tIbNS6_6detail15normal_iteratorINS6_10device_ptrIKyEEEESL_NS6_8equal_toIyEEEENSG_9not_fun_tINSD_8identityEEEEENSD_19counting_iterator_tIlEES8_S8_S8_S8_S8_S8_S8_S8_EEEEPS9_S9_NSD_9__find_if7functorIS9_EEEE10hipError_tPvRmT1_T2_T3_mT4_P12ihipStream_tbEUlT_E1_NS1_11comp_targetILNS1_3genE4ELNS1_11target_archE910ELNS1_3gpuE8ELNS1_3repE0EEENS1_30default_config_static_selectorELNS0_4arch9wavefront6targetE1EEEvS14_, .Lfunc_end476-_ZN7rocprim17ROCPRIM_400000_NS6detail17trampoline_kernelINS0_14default_configENS1_22reduce_config_selectorIN6thrust23THRUST_200600_302600_NS5tupleIblNS6_9null_typeES8_S8_S8_S8_S8_S8_S8_EEEEZNS1_11reduce_implILb1ES3_NS6_12zip_iteratorINS7_INS6_11hip_rocprim26transform_input_iterator_tIbNSD_35transform_pair_of_input_iterators_tIbNS6_6detail15normal_iteratorINS6_10device_ptrIKyEEEESL_NS6_8equal_toIyEEEENSG_9not_fun_tINSD_8identityEEEEENSD_19counting_iterator_tIlEES8_S8_S8_S8_S8_S8_S8_S8_EEEEPS9_S9_NSD_9__find_if7functorIS9_EEEE10hipError_tPvRmT1_T2_T3_mT4_P12ihipStream_tbEUlT_E1_NS1_11comp_targetILNS1_3genE4ELNS1_11target_archE910ELNS1_3gpuE8ELNS1_3repE0EEENS1_30default_config_static_selectorELNS0_4arch9wavefront6targetE1EEEvS14_
                                        ; -- End function
	.set _ZN7rocprim17ROCPRIM_400000_NS6detail17trampoline_kernelINS0_14default_configENS1_22reduce_config_selectorIN6thrust23THRUST_200600_302600_NS5tupleIblNS6_9null_typeES8_S8_S8_S8_S8_S8_S8_EEEEZNS1_11reduce_implILb1ES3_NS6_12zip_iteratorINS7_INS6_11hip_rocprim26transform_input_iterator_tIbNSD_35transform_pair_of_input_iterators_tIbNS6_6detail15normal_iteratorINS6_10device_ptrIKyEEEESL_NS6_8equal_toIyEEEENSG_9not_fun_tINSD_8identityEEEEENSD_19counting_iterator_tIlEES8_S8_S8_S8_S8_S8_S8_S8_EEEEPS9_S9_NSD_9__find_if7functorIS9_EEEE10hipError_tPvRmT1_T2_T3_mT4_P12ihipStream_tbEUlT_E1_NS1_11comp_targetILNS1_3genE4ELNS1_11target_archE910ELNS1_3gpuE8ELNS1_3repE0EEENS1_30default_config_static_selectorELNS0_4arch9wavefront6targetE1EEEvS14_.num_vgpr, 0
	.set _ZN7rocprim17ROCPRIM_400000_NS6detail17trampoline_kernelINS0_14default_configENS1_22reduce_config_selectorIN6thrust23THRUST_200600_302600_NS5tupleIblNS6_9null_typeES8_S8_S8_S8_S8_S8_S8_EEEEZNS1_11reduce_implILb1ES3_NS6_12zip_iteratorINS7_INS6_11hip_rocprim26transform_input_iterator_tIbNSD_35transform_pair_of_input_iterators_tIbNS6_6detail15normal_iteratorINS6_10device_ptrIKyEEEESL_NS6_8equal_toIyEEEENSG_9not_fun_tINSD_8identityEEEEENSD_19counting_iterator_tIlEES8_S8_S8_S8_S8_S8_S8_S8_EEEEPS9_S9_NSD_9__find_if7functorIS9_EEEE10hipError_tPvRmT1_T2_T3_mT4_P12ihipStream_tbEUlT_E1_NS1_11comp_targetILNS1_3genE4ELNS1_11target_archE910ELNS1_3gpuE8ELNS1_3repE0EEENS1_30default_config_static_selectorELNS0_4arch9wavefront6targetE1EEEvS14_.num_agpr, 0
	.set _ZN7rocprim17ROCPRIM_400000_NS6detail17trampoline_kernelINS0_14default_configENS1_22reduce_config_selectorIN6thrust23THRUST_200600_302600_NS5tupleIblNS6_9null_typeES8_S8_S8_S8_S8_S8_S8_EEEEZNS1_11reduce_implILb1ES3_NS6_12zip_iteratorINS7_INS6_11hip_rocprim26transform_input_iterator_tIbNSD_35transform_pair_of_input_iterators_tIbNS6_6detail15normal_iteratorINS6_10device_ptrIKyEEEESL_NS6_8equal_toIyEEEENSG_9not_fun_tINSD_8identityEEEEENSD_19counting_iterator_tIlEES8_S8_S8_S8_S8_S8_S8_S8_EEEEPS9_S9_NSD_9__find_if7functorIS9_EEEE10hipError_tPvRmT1_T2_T3_mT4_P12ihipStream_tbEUlT_E1_NS1_11comp_targetILNS1_3genE4ELNS1_11target_archE910ELNS1_3gpuE8ELNS1_3repE0EEENS1_30default_config_static_selectorELNS0_4arch9wavefront6targetE1EEEvS14_.numbered_sgpr, 0
	.set _ZN7rocprim17ROCPRIM_400000_NS6detail17trampoline_kernelINS0_14default_configENS1_22reduce_config_selectorIN6thrust23THRUST_200600_302600_NS5tupleIblNS6_9null_typeES8_S8_S8_S8_S8_S8_S8_EEEEZNS1_11reduce_implILb1ES3_NS6_12zip_iteratorINS7_INS6_11hip_rocprim26transform_input_iterator_tIbNSD_35transform_pair_of_input_iterators_tIbNS6_6detail15normal_iteratorINS6_10device_ptrIKyEEEESL_NS6_8equal_toIyEEEENSG_9not_fun_tINSD_8identityEEEEENSD_19counting_iterator_tIlEES8_S8_S8_S8_S8_S8_S8_S8_EEEEPS9_S9_NSD_9__find_if7functorIS9_EEEE10hipError_tPvRmT1_T2_T3_mT4_P12ihipStream_tbEUlT_E1_NS1_11comp_targetILNS1_3genE4ELNS1_11target_archE910ELNS1_3gpuE8ELNS1_3repE0EEENS1_30default_config_static_selectorELNS0_4arch9wavefront6targetE1EEEvS14_.num_named_barrier, 0
	.set _ZN7rocprim17ROCPRIM_400000_NS6detail17trampoline_kernelINS0_14default_configENS1_22reduce_config_selectorIN6thrust23THRUST_200600_302600_NS5tupleIblNS6_9null_typeES8_S8_S8_S8_S8_S8_S8_EEEEZNS1_11reduce_implILb1ES3_NS6_12zip_iteratorINS7_INS6_11hip_rocprim26transform_input_iterator_tIbNSD_35transform_pair_of_input_iterators_tIbNS6_6detail15normal_iteratorINS6_10device_ptrIKyEEEESL_NS6_8equal_toIyEEEENSG_9not_fun_tINSD_8identityEEEEENSD_19counting_iterator_tIlEES8_S8_S8_S8_S8_S8_S8_S8_EEEEPS9_S9_NSD_9__find_if7functorIS9_EEEE10hipError_tPvRmT1_T2_T3_mT4_P12ihipStream_tbEUlT_E1_NS1_11comp_targetILNS1_3genE4ELNS1_11target_archE910ELNS1_3gpuE8ELNS1_3repE0EEENS1_30default_config_static_selectorELNS0_4arch9wavefront6targetE1EEEvS14_.private_seg_size, 0
	.set _ZN7rocprim17ROCPRIM_400000_NS6detail17trampoline_kernelINS0_14default_configENS1_22reduce_config_selectorIN6thrust23THRUST_200600_302600_NS5tupleIblNS6_9null_typeES8_S8_S8_S8_S8_S8_S8_EEEEZNS1_11reduce_implILb1ES3_NS6_12zip_iteratorINS7_INS6_11hip_rocprim26transform_input_iterator_tIbNSD_35transform_pair_of_input_iterators_tIbNS6_6detail15normal_iteratorINS6_10device_ptrIKyEEEESL_NS6_8equal_toIyEEEENSG_9not_fun_tINSD_8identityEEEEENSD_19counting_iterator_tIlEES8_S8_S8_S8_S8_S8_S8_S8_EEEEPS9_S9_NSD_9__find_if7functorIS9_EEEE10hipError_tPvRmT1_T2_T3_mT4_P12ihipStream_tbEUlT_E1_NS1_11comp_targetILNS1_3genE4ELNS1_11target_archE910ELNS1_3gpuE8ELNS1_3repE0EEENS1_30default_config_static_selectorELNS0_4arch9wavefront6targetE1EEEvS14_.uses_vcc, 0
	.set _ZN7rocprim17ROCPRIM_400000_NS6detail17trampoline_kernelINS0_14default_configENS1_22reduce_config_selectorIN6thrust23THRUST_200600_302600_NS5tupleIblNS6_9null_typeES8_S8_S8_S8_S8_S8_S8_EEEEZNS1_11reduce_implILb1ES3_NS6_12zip_iteratorINS7_INS6_11hip_rocprim26transform_input_iterator_tIbNSD_35transform_pair_of_input_iterators_tIbNS6_6detail15normal_iteratorINS6_10device_ptrIKyEEEESL_NS6_8equal_toIyEEEENSG_9not_fun_tINSD_8identityEEEEENSD_19counting_iterator_tIlEES8_S8_S8_S8_S8_S8_S8_S8_EEEEPS9_S9_NSD_9__find_if7functorIS9_EEEE10hipError_tPvRmT1_T2_T3_mT4_P12ihipStream_tbEUlT_E1_NS1_11comp_targetILNS1_3genE4ELNS1_11target_archE910ELNS1_3gpuE8ELNS1_3repE0EEENS1_30default_config_static_selectorELNS0_4arch9wavefront6targetE1EEEvS14_.uses_flat_scratch, 0
	.set _ZN7rocprim17ROCPRIM_400000_NS6detail17trampoline_kernelINS0_14default_configENS1_22reduce_config_selectorIN6thrust23THRUST_200600_302600_NS5tupleIblNS6_9null_typeES8_S8_S8_S8_S8_S8_S8_EEEEZNS1_11reduce_implILb1ES3_NS6_12zip_iteratorINS7_INS6_11hip_rocprim26transform_input_iterator_tIbNSD_35transform_pair_of_input_iterators_tIbNS6_6detail15normal_iteratorINS6_10device_ptrIKyEEEESL_NS6_8equal_toIyEEEENSG_9not_fun_tINSD_8identityEEEEENSD_19counting_iterator_tIlEES8_S8_S8_S8_S8_S8_S8_S8_EEEEPS9_S9_NSD_9__find_if7functorIS9_EEEE10hipError_tPvRmT1_T2_T3_mT4_P12ihipStream_tbEUlT_E1_NS1_11comp_targetILNS1_3genE4ELNS1_11target_archE910ELNS1_3gpuE8ELNS1_3repE0EEENS1_30default_config_static_selectorELNS0_4arch9wavefront6targetE1EEEvS14_.has_dyn_sized_stack, 0
	.set _ZN7rocprim17ROCPRIM_400000_NS6detail17trampoline_kernelINS0_14default_configENS1_22reduce_config_selectorIN6thrust23THRUST_200600_302600_NS5tupleIblNS6_9null_typeES8_S8_S8_S8_S8_S8_S8_EEEEZNS1_11reduce_implILb1ES3_NS6_12zip_iteratorINS7_INS6_11hip_rocprim26transform_input_iterator_tIbNSD_35transform_pair_of_input_iterators_tIbNS6_6detail15normal_iteratorINS6_10device_ptrIKyEEEESL_NS6_8equal_toIyEEEENSG_9not_fun_tINSD_8identityEEEEENSD_19counting_iterator_tIlEES8_S8_S8_S8_S8_S8_S8_S8_EEEEPS9_S9_NSD_9__find_if7functorIS9_EEEE10hipError_tPvRmT1_T2_T3_mT4_P12ihipStream_tbEUlT_E1_NS1_11comp_targetILNS1_3genE4ELNS1_11target_archE910ELNS1_3gpuE8ELNS1_3repE0EEENS1_30default_config_static_selectorELNS0_4arch9wavefront6targetE1EEEvS14_.has_recursion, 0
	.set _ZN7rocprim17ROCPRIM_400000_NS6detail17trampoline_kernelINS0_14default_configENS1_22reduce_config_selectorIN6thrust23THRUST_200600_302600_NS5tupleIblNS6_9null_typeES8_S8_S8_S8_S8_S8_S8_EEEEZNS1_11reduce_implILb1ES3_NS6_12zip_iteratorINS7_INS6_11hip_rocprim26transform_input_iterator_tIbNSD_35transform_pair_of_input_iterators_tIbNS6_6detail15normal_iteratorINS6_10device_ptrIKyEEEESL_NS6_8equal_toIyEEEENSG_9not_fun_tINSD_8identityEEEEENSD_19counting_iterator_tIlEES8_S8_S8_S8_S8_S8_S8_S8_EEEEPS9_S9_NSD_9__find_if7functorIS9_EEEE10hipError_tPvRmT1_T2_T3_mT4_P12ihipStream_tbEUlT_E1_NS1_11comp_targetILNS1_3genE4ELNS1_11target_archE910ELNS1_3gpuE8ELNS1_3repE0EEENS1_30default_config_static_selectorELNS0_4arch9wavefront6targetE1EEEvS14_.has_indirect_call, 0
	.section	.AMDGPU.csdata,"",@progbits
; Kernel info:
; codeLenInByte = 0
; TotalNumSgprs: 4
; NumVgprs: 0
; ScratchSize: 0
; MemoryBound: 0
; FloatMode: 240
; IeeeMode: 1
; LDSByteSize: 0 bytes/workgroup (compile time only)
; SGPRBlocks: 0
; VGPRBlocks: 0
; NumSGPRsForWavesPerEU: 4
; NumVGPRsForWavesPerEU: 1
; Occupancy: 10
; WaveLimiterHint : 0
; COMPUTE_PGM_RSRC2:SCRATCH_EN: 0
; COMPUTE_PGM_RSRC2:USER_SGPR: 6
; COMPUTE_PGM_RSRC2:TRAP_HANDLER: 0
; COMPUTE_PGM_RSRC2:TGID_X_EN: 1
; COMPUTE_PGM_RSRC2:TGID_Y_EN: 0
; COMPUTE_PGM_RSRC2:TGID_Z_EN: 0
; COMPUTE_PGM_RSRC2:TIDIG_COMP_CNT: 0
	.section	.text._ZN7rocprim17ROCPRIM_400000_NS6detail17trampoline_kernelINS0_14default_configENS1_22reduce_config_selectorIN6thrust23THRUST_200600_302600_NS5tupleIblNS6_9null_typeES8_S8_S8_S8_S8_S8_S8_EEEEZNS1_11reduce_implILb1ES3_NS6_12zip_iteratorINS7_INS6_11hip_rocprim26transform_input_iterator_tIbNSD_35transform_pair_of_input_iterators_tIbNS6_6detail15normal_iteratorINS6_10device_ptrIKyEEEESL_NS6_8equal_toIyEEEENSG_9not_fun_tINSD_8identityEEEEENSD_19counting_iterator_tIlEES8_S8_S8_S8_S8_S8_S8_S8_EEEEPS9_S9_NSD_9__find_if7functorIS9_EEEE10hipError_tPvRmT1_T2_T3_mT4_P12ihipStream_tbEUlT_E1_NS1_11comp_targetILNS1_3genE3ELNS1_11target_archE908ELNS1_3gpuE7ELNS1_3repE0EEENS1_30default_config_static_selectorELNS0_4arch9wavefront6targetE1EEEvS14_,"axG",@progbits,_ZN7rocprim17ROCPRIM_400000_NS6detail17trampoline_kernelINS0_14default_configENS1_22reduce_config_selectorIN6thrust23THRUST_200600_302600_NS5tupleIblNS6_9null_typeES8_S8_S8_S8_S8_S8_S8_EEEEZNS1_11reduce_implILb1ES3_NS6_12zip_iteratorINS7_INS6_11hip_rocprim26transform_input_iterator_tIbNSD_35transform_pair_of_input_iterators_tIbNS6_6detail15normal_iteratorINS6_10device_ptrIKyEEEESL_NS6_8equal_toIyEEEENSG_9not_fun_tINSD_8identityEEEEENSD_19counting_iterator_tIlEES8_S8_S8_S8_S8_S8_S8_S8_EEEEPS9_S9_NSD_9__find_if7functorIS9_EEEE10hipError_tPvRmT1_T2_T3_mT4_P12ihipStream_tbEUlT_E1_NS1_11comp_targetILNS1_3genE3ELNS1_11target_archE908ELNS1_3gpuE7ELNS1_3repE0EEENS1_30default_config_static_selectorELNS0_4arch9wavefront6targetE1EEEvS14_,comdat
	.protected	_ZN7rocprim17ROCPRIM_400000_NS6detail17trampoline_kernelINS0_14default_configENS1_22reduce_config_selectorIN6thrust23THRUST_200600_302600_NS5tupleIblNS6_9null_typeES8_S8_S8_S8_S8_S8_S8_EEEEZNS1_11reduce_implILb1ES3_NS6_12zip_iteratorINS7_INS6_11hip_rocprim26transform_input_iterator_tIbNSD_35transform_pair_of_input_iterators_tIbNS6_6detail15normal_iteratorINS6_10device_ptrIKyEEEESL_NS6_8equal_toIyEEEENSG_9not_fun_tINSD_8identityEEEEENSD_19counting_iterator_tIlEES8_S8_S8_S8_S8_S8_S8_S8_EEEEPS9_S9_NSD_9__find_if7functorIS9_EEEE10hipError_tPvRmT1_T2_T3_mT4_P12ihipStream_tbEUlT_E1_NS1_11comp_targetILNS1_3genE3ELNS1_11target_archE908ELNS1_3gpuE7ELNS1_3repE0EEENS1_30default_config_static_selectorELNS0_4arch9wavefront6targetE1EEEvS14_ ; -- Begin function _ZN7rocprim17ROCPRIM_400000_NS6detail17trampoline_kernelINS0_14default_configENS1_22reduce_config_selectorIN6thrust23THRUST_200600_302600_NS5tupleIblNS6_9null_typeES8_S8_S8_S8_S8_S8_S8_EEEEZNS1_11reduce_implILb1ES3_NS6_12zip_iteratorINS7_INS6_11hip_rocprim26transform_input_iterator_tIbNSD_35transform_pair_of_input_iterators_tIbNS6_6detail15normal_iteratorINS6_10device_ptrIKyEEEESL_NS6_8equal_toIyEEEENSG_9not_fun_tINSD_8identityEEEEENSD_19counting_iterator_tIlEES8_S8_S8_S8_S8_S8_S8_S8_EEEEPS9_S9_NSD_9__find_if7functorIS9_EEEE10hipError_tPvRmT1_T2_T3_mT4_P12ihipStream_tbEUlT_E1_NS1_11comp_targetILNS1_3genE3ELNS1_11target_archE908ELNS1_3gpuE7ELNS1_3repE0EEENS1_30default_config_static_selectorELNS0_4arch9wavefront6targetE1EEEvS14_
	.globl	_ZN7rocprim17ROCPRIM_400000_NS6detail17trampoline_kernelINS0_14default_configENS1_22reduce_config_selectorIN6thrust23THRUST_200600_302600_NS5tupleIblNS6_9null_typeES8_S8_S8_S8_S8_S8_S8_EEEEZNS1_11reduce_implILb1ES3_NS6_12zip_iteratorINS7_INS6_11hip_rocprim26transform_input_iterator_tIbNSD_35transform_pair_of_input_iterators_tIbNS6_6detail15normal_iteratorINS6_10device_ptrIKyEEEESL_NS6_8equal_toIyEEEENSG_9not_fun_tINSD_8identityEEEEENSD_19counting_iterator_tIlEES8_S8_S8_S8_S8_S8_S8_S8_EEEEPS9_S9_NSD_9__find_if7functorIS9_EEEE10hipError_tPvRmT1_T2_T3_mT4_P12ihipStream_tbEUlT_E1_NS1_11comp_targetILNS1_3genE3ELNS1_11target_archE908ELNS1_3gpuE7ELNS1_3repE0EEENS1_30default_config_static_selectorELNS0_4arch9wavefront6targetE1EEEvS14_
	.p2align	8
	.type	_ZN7rocprim17ROCPRIM_400000_NS6detail17trampoline_kernelINS0_14default_configENS1_22reduce_config_selectorIN6thrust23THRUST_200600_302600_NS5tupleIblNS6_9null_typeES8_S8_S8_S8_S8_S8_S8_EEEEZNS1_11reduce_implILb1ES3_NS6_12zip_iteratorINS7_INS6_11hip_rocprim26transform_input_iterator_tIbNSD_35transform_pair_of_input_iterators_tIbNS6_6detail15normal_iteratorINS6_10device_ptrIKyEEEESL_NS6_8equal_toIyEEEENSG_9not_fun_tINSD_8identityEEEEENSD_19counting_iterator_tIlEES8_S8_S8_S8_S8_S8_S8_S8_EEEEPS9_S9_NSD_9__find_if7functorIS9_EEEE10hipError_tPvRmT1_T2_T3_mT4_P12ihipStream_tbEUlT_E1_NS1_11comp_targetILNS1_3genE3ELNS1_11target_archE908ELNS1_3gpuE7ELNS1_3repE0EEENS1_30default_config_static_selectorELNS0_4arch9wavefront6targetE1EEEvS14_,@function
_ZN7rocprim17ROCPRIM_400000_NS6detail17trampoline_kernelINS0_14default_configENS1_22reduce_config_selectorIN6thrust23THRUST_200600_302600_NS5tupleIblNS6_9null_typeES8_S8_S8_S8_S8_S8_S8_EEEEZNS1_11reduce_implILb1ES3_NS6_12zip_iteratorINS7_INS6_11hip_rocprim26transform_input_iterator_tIbNSD_35transform_pair_of_input_iterators_tIbNS6_6detail15normal_iteratorINS6_10device_ptrIKyEEEESL_NS6_8equal_toIyEEEENSG_9not_fun_tINSD_8identityEEEEENSD_19counting_iterator_tIlEES8_S8_S8_S8_S8_S8_S8_S8_EEEEPS9_S9_NSD_9__find_if7functorIS9_EEEE10hipError_tPvRmT1_T2_T3_mT4_P12ihipStream_tbEUlT_E1_NS1_11comp_targetILNS1_3genE3ELNS1_11target_archE908ELNS1_3gpuE7ELNS1_3repE0EEENS1_30default_config_static_selectorELNS0_4arch9wavefront6targetE1EEEvS14_: ; @_ZN7rocprim17ROCPRIM_400000_NS6detail17trampoline_kernelINS0_14default_configENS1_22reduce_config_selectorIN6thrust23THRUST_200600_302600_NS5tupleIblNS6_9null_typeES8_S8_S8_S8_S8_S8_S8_EEEEZNS1_11reduce_implILb1ES3_NS6_12zip_iteratorINS7_INS6_11hip_rocprim26transform_input_iterator_tIbNSD_35transform_pair_of_input_iterators_tIbNS6_6detail15normal_iteratorINS6_10device_ptrIKyEEEESL_NS6_8equal_toIyEEEENSG_9not_fun_tINSD_8identityEEEEENSD_19counting_iterator_tIlEES8_S8_S8_S8_S8_S8_S8_S8_EEEEPS9_S9_NSD_9__find_if7functorIS9_EEEE10hipError_tPvRmT1_T2_T3_mT4_P12ihipStream_tbEUlT_E1_NS1_11comp_targetILNS1_3genE3ELNS1_11target_archE908ELNS1_3gpuE7ELNS1_3repE0EEENS1_30default_config_static_selectorELNS0_4arch9wavefront6targetE1EEEvS14_
; %bb.0:
	.section	.rodata,"a",@progbits
	.p2align	6, 0x0
	.amdhsa_kernel _ZN7rocprim17ROCPRIM_400000_NS6detail17trampoline_kernelINS0_14default_configENS1_22reduce_config_selectorIN6thrust23THRUST_200600_302600_NS5tupleIblNS6_9null_typeES8_S8_S8_S8_S8_S8_S8_EEEEZNS1_11reduce_implILb1ES3_NS6_12zip_iteratorINS7_INS6_11hip_rocprim26transform_input_iterator_tIbNSD_35transform_pair_of_input_iterators_tIbNS6_6detail15normal_iteratorINS6_10device_ptrIKyEEEESL_NS6_8equal_toIyEEEENSG_9not_fun_tINSD_8identityEEEEENSD_19counting_iterator_tIlEES8_S8_S8_S8_S8_S8_S8_S8_EEEEPS9_S9_NSD_9__find_if7functorIS9_EEEE10hipError_tPvRmT1_T2_T3_mT4_P12ihipStream_tbEUlT_E1_NS1_11comp_targetILNS1_3genE3ELNS1_11target_archE908ELNS1_3gpuE7ELNS1_3repE0EEENS1_30default_config_static_selectorELNS0_4arch9wavefront6targetE1EEEvS14_
		.amdhsa_group_segment_fixed_size 0
		.amdhsa_private_segment_fixed_size 0
		.amdhsa_kernarg_size 88
		.amdhsa_user_sgpr_count 6
		.amdhsa_user_sgpr_private_segment_buffer 1
		.amdhsa_user_sgpr_dispatch_ptr 0
		.amdhsa_user_sgpr_queue_ptr 0
		.amdhsa_user_sgpr_kernarg_segment_ptr 1
		.amdhsa_user_sgpr_dispatch_id 0
		.amdhsa_user_sgpr_flat_scratch_init 0
		.amdhsa_user_sgpr_private_segment_size 0
		.amdhsa_uses_dynamic_stack 0
		.amdhsa_system_sgpr_private_segment_wavefront_offset 0
		.amdhsa_system_sgpr_workgroup_id_x 1
		.amdhsa_system_sgpr_workgroup_id_y 0
		.amdhsa_system_sgpr_workgroup_id_z 0
		.amdhsa_system_sgpr_workgroup_info 0
		.amdhsa_system_vgpr_workitem_id 0
		.amdhsa_next_free_vgpr 1
		.amdhsa_next_free_sgpr 0
		.amdhsa_reserve_vcc 0
		.amdhsa_reserve_flat_scratch 0
		.amdhsa_float_round_mode_32 0
		.amdhsa_float_round_mode_16_64 0
		.amdhsa_float_denorm_mode_32 3
		.amdhsa_float_denorm_mode_16_64 3
		.amdhsa_dx10_clamp 1
		.amdhsa_ieee_mode 1
		.amdhsa_fp16_overflow 0
		.amdhsa_exception_fp_ieee_invalid_op 0
		.amdhsa_exception_fp_denorm_src 0
		.amdhsa_exception_fp_ieee_div_zero 0
		.amdhsa_exception_fp_ieee_overflow 0
		.amdhsa_exception_fp_ieee_underflow 0
		.amdhsa_exception_fp_ieee_inexact 0
		.amdhsa_exception_int_div_zero 0
	.end_amdhsa_kernel
	.section	.text._ZN7rocprim17ROCPRIM_400000_NS6detail17trampoline_kernelINS0_14default_configENS1_22reduce_config_selectorIN6thrust23THRUST_200600_302600_NS5tupleIblNS6_9null_typeES8_S8_S8_S8_S8_S8_S8_EEEEZNS1_11reduce_implILb1ES3_NS6_12zip_iteratorINS7_INS6_11hip_rocprim26transform_input_iterator_tIbNSD_35transform_pair_of_input_iterators_tIbNS6_6detail15normal_iteratorINS6_10device_ptrIKyEEEESL_NS6_8equal_toIyEEEENSG_9not_fun_tINSD_8identityEEEEENSD_19counting_iterator_tIlEES8_S8_S8_S8_S8_S8_S8_S8_EEEEPS9_S9_NSD_9__find_if7functorIS9_EEEE10hipError_tPvRmT1_T2_T3_mT4_P12ihipStream_tbEUlT_E1_NS1_11comp_targetILNS1_3genE3ELNS1_11target_archE908ELNS1_3gpuE7ELNS1_3repE0EEENS1_30default_config_static_selectorELNS0_4arch9wavefront6targetE1EEEvS14_,"axG",@progbits,_ZN7rocprim17ROCPRIM_400000_NS6detail17trampoline_kernelINS0_14default_configENS1_22reduce_config_selectorIN6thrust23THRUST_200600_302600_NS5tupleIblNS6_9null_typeES8_S8_S8_S8_S8_S8_S8_EEEEZNS1_11reduce_implILb1ES3_NS6_12zip_iteratorINS7_INS6_11hip_rocprim26transform_input_iterator_tIbNSD_35transform_pair_of_input_iterators_tIbNS6_6detail15normal_iteratorINS6_10device_ptrIKyEEEESL_NS6_8equal_toIyEEEENSG_9not_fun_tINSD_8identityEEEEENSD_19counting_iterator_tIlEES8_S8_S8_S8_S8_S8_S8_S8_EEEEPS9_S9_NSD_9__find_if7functorIS9_EEEE10hipError_tPvRmT1_T2_T3_mT4_P12ihipStream_tbEUlT_E1_NS1_11comp_targetILNS1_3genE3ELNS1_11target_archE908ELNS1_3gpuE7ELNS1_3repE0EEENS1_30default_config_static_selectorELNS0_4arch9wavefront6targetE1EEEvS14_,comdat
.Lfunc_end477:
	.size	_ZN7rocprim17ROCPRIM_400000_NS6detail17trampoline_kernelINS0_14default_configENS1_22reduce_config_selectorIN6thrust23THRUST_200600_302600_NS5tupleIblNS6_9null_typeES8_S8_S8_S8_S8_S8_S8_EEEEZNS1_11reduce_implILb1ES3_NS6_12zip_iteratorINS7_INS6_11hip_rocprim26transform_input_iterator_tIbNSD_35transform_pair_of_input_iterators_tIbNS6_6detail15normal_iteratorINS6_10device_ptrIKyEEEESL_NS6_8equal_toIyEEEENSG_9not_fun_tINSD_8identityEEEEENSD_19counting_iterator_tIlEES8_S8_S8_S8_S8_S8_S8_S8_EEEEPS9_S9_NSD_9__find_if7functorIS9_EEEE10hipError_tPvRmT1_T2_T3_mT4_P12ihipStream_tbEUlT_E1_NS1_11comp_targetILNS1_3genE3ELNS1_11target_archE908ELNS1_3gpuE7ELNS1_3repE0EEENS1_30default_config_static_selectorELNS0_4arch9wavefront6targetE1EEEvS14_, .Lfunc_end477-_ZN7rocprim17ROCPRIM_400000_NS6detail17trampoline_kernelINS0_14default_configENS1_22reduce_config_selectorIN6thrust23THRUST_200600_302600_NS5tupleIblNS6_9null_typeES8_S8_S8_S8_S8_S8_S8_EEEEZNS1_11reduce_implILb1ES3_NS6_12zip_iteratorINS7_INS6_11hip_rocprim26transform_input_iterator_tIbNSD_35transform_pair_of_input_iterators_tIbNS6_6detail15normal_iteratorINS6_10device_ptrIKyEEEESL_NS6_8equal_toIyEEEENSG_9not_fun_tINSD_8identityEEEEENSD_19counting_iterator_tIlEES8_S8_S8_S8_S8_S8_S8_S8_EEEEPS9_S9_NSD_9__find_if7functorIS9_EEEE10hipError_tPvRmT1_T2_T3_mT4_P12ihipStream_tbEUlT_E1_NS1_11comp_targetILNS1_3genE3ELNS1_11target_archE908ELNS1_3gpuE7ELNS1_3repE0EEENS1_30default_config_static_selectorELNS0_4arch9wavefront6targetE1EEEvS14_
                                        ; -- End function
	.set _ZN7rocprim17ROCPRIM_400000_NS6detail17trampoline_kernelINS0_14default_configENS1_22reduce_config_selectorIN6thrust23THRUST_200600_302600_NS5tupleIblNS6_9null_typeES8_S8_S8_S8_S8_S8_S8_EEEEZNS1_11reduce_implILb1ES3_NS6_12zip_iteratorINS7_INS6_11hip_rocprim26transform_input_iterator_tIbNSD_35transform_pair_of_input_iterators_tIbNS6_6detail15normal_iteratorINS6_10device_ptrIKyEEEESL_NS6_8equal_toIyEEEENSG_9not_fun_tINSD_8identityEEEEENSD_19counting_iterator_tIlEES8_S8_S8_S8_S8_S8_S8_S8_EEEEPS9_S9_NSD_9__find_if7functorIS9_EEEE10hipError_tPvRmT1_T2_T3_mT4_P12ihipStream_tbEUlT_E1_NS1_11comp_targetILNS1_3genE3ELNS1_11target_archE908ELNS1_3gpuE7ELNS1_3repE0EEENS1_30default_config_static_selectorELNS0_4arch9wavefront6targetE1EEEvS14_.num_vgpr, 0
	.set _ZN7rocprim17ROCPRIM_400000_NS6detail17trampoline_kernelINS0_14default_configENS1_22reduce_config_selectorIN6thrust23THRUST_200600_302600_NS5tupleIblNS6_9null_typeES8_S8_S8_S8_S8_S8_S8_EEEEZNS1_11reduce_implILb1ES3_NS6_12zip_iteratorINS7_INS6_11hip_rocprim26transform_input_iterator_tIbNSD_35transform_pair_of_input_iterators_tIbNS6_6detail15normal_iteratorINS6_10device_ptrIKyEEEESL_NS6_8equal_toIyEEEENSG_9not_fun_tINSD_8identityEEEEENSD_19counting_iterator_tIlEES8_S8_S8_S8_S8_S8_S8_S8_EEEEPS9_S9_NSD_9__find_if7functorIS9_EEEE10hipError_tPvRmT1_T2_T3_mT4_P12ihipStream_tbEUlT_E1_NS1_11comp_targetILNS1_3genE3ELNS1_11target_archE908ELNS1_3gpuE7ELNS1_3repE0EEENS1_30default_config_static_selectorELNS0_4arch9wavefront6targetE1EEEvS14_.num_agpr, 0
	.set _ZN7rocprim17ROCPRIM_400000_NS6detail17trampoline_kernelINS0_14default_configENS1_22reduce_config_selectorIN6thrust23THRUST_200600_302600_NS5tupleIblNS6_9null_typeES8_S8_S8_S8_S8_S8_S8_EEEEZNS1_11reduce_implILb1ES3_NS6_12zip_iteratorINS7_INS6_11hip_rocprim26transform_input_iterator_tIbNSD_35transform_pair_of_input_iterators_tIbNS6_6detail15normal_iteratorINS6_10device_ptrIKyEEEESL_NS6_8equal_toIyEEEENSG_9not_fun_tINSD_8identityEEEEENSD_19counting_iterator_tIlEES8_S8_S8_S8_S8_S8_S8_S8_EEEEPS9_S9_NSD_9__find_if7functorIS9_EEEE10hipError_tPvRmT1_T2_T3_mT4_P12ihipStream_tbEUlT_E1_NS1_11comp_targetILNS1_3genE3ELNS1_11target_archE908ELNS1_3gpuE7ELNS1_3repE0EEENS1_30default_config_static_selectorELNS0_4arch9wavefront6targetE1EEEvS14_.numbered_sgpr, 0
	.set _ZN7rocprim17ROCPRIM_400000_NS6detail17trampoline_kernelINS0_14default_configENS1_22reduce_config_selectorIN6thrust23THRUST_200600_302600_NS5tupleIblNS6_9null_typeES8_S8_S8_S8_S8_S8_S8_EEEEZNS1_11reduce_implILb1ES3_NS6_12zip_iteratorINS7_INS6_11hip_rocprim26transform_input_iterator_tIbNSD_35transform_pair_of_input_iterators_tIbNS6_6detail15normal_iteratorINS6_10device_ptrIKyEEEESL_NS6_8equal_toIyEEEENSG_9not_fun_tINSD_8identityEEEEENSD_19counting_iterator_tIlEES8_S8_S8_S8_S8_S8_S8_S8_EEEEPS9_S9_NSD_9__find_if7functorIS9_EEEE10hipError_tPvRmT1_T2_T3_mT4_P12ihipStream_tbEUlT_E1_NS1_11comp_targetILNS1_3genE3ELNS1_11target_archE908ELNS1_3gpuE7ELNS1_3repE0EEENS1_30default_config_static_selectorELNS0_4arch9wavefront6targetE1EEEvS14_.num_named_barrier, 0
	.set _ZN7rocprim17ROCPRIM_400000_NS6detail17trampoline_kernelINS0_14default_configENS1_22reduce_config_selectorIN6thrust23THRUST_200600_302600_NS5tupleIblNS6_9null_typeES8_S8_S8_S8_S8_S8_S8_EEEEZNS1_11reduce_implILb1ES3_NS6_12zip_iteratorINS7_INS6_11hip_rocprim26transform_input_iterator_tIbNSD_35transform_pair_of_input_iterators_tIbNS6_6detail15normal_iteratorINS6_10device_ptrIKyEEEESL_NS6_8equal_toIyEEEENSG_9not_fun_tINSD_8identityEEEEENSD_19counting_iterator_tIlEES8_S8_S8_S8_S8_S8_S8_S8_EEEEPS9_S9_NSD_9__find_if7functorIS9_EEEE10hipError_tPvRmT1_T2_T3_mT4_P12ihipStream_tbEUlT_E1_NS1_11comp_targetILNS1_3genE3ELNS1_11target_archE908ELNS1_3gpuE7ELNS1_3repE0EEENS1_30default_config_static_selectorELNS0_4arch9wavefront6targetE1EEEvS14_.private_seg_size, 0
	.set _ZN7rocprim17ROCPRIM_400000_NS6detail17trampoline_kernelINS0_14default_configENS1_22reduce_config_selectorIN6thrust23THRUST_200600_302600_NS5tupleIblNS6_9null_typeES8_S8_S8_S8_S8_S8_S8_EEEEZNS1_11reduce_implILb1ES3_NS6_12zip_iteratorINS7_INS6_11hip_rocprim26transform_input_iterator_tIbNSD_35transform_pair_of_input_iterators_tIbNS6_6detail15normal_iteratorINS6_10device_ptrIKyEEEESL_NS6_8equal_toIyEEEENSG_9not_fun_tINSD_8identityEEEEENSD_19counting_iterator_tIlEES8_S8_S8_S8_S8_S8_S8_S8_EEEEPS9_S9_NSD_9__find_if7functorIS9_EEEE10hipError_tPvRmT1_T2_T3_mT4_P12ihipStream_tbEUlT_E1_NS1_11comp_targetILNS1_3genE3ELNS1_11target_archE908ELNS1_3gpuE7ELNS1_3repE0EEENS1_30default_config_static_selectorELNS0_4arch9wavefront6targetE1EEEvS14_.uses_vcc, 0
	.set _ZN7rocprim17ROCPRIM_400000_NS6detail17trampoline_kernelINS0_14default_configENS1_22reduce_config_selectorIN6thrust23THRUST_200600_302600_NS5tupleIblNS6_9null_typeES8_S8_S8_S8_S8_S8_S8_EEEEZNS1_11reduce_implILb1ES3_NS6_12zip_iteratorINS7_INS6_11hip_rocprim26transform_input_iterator_tIbNSD_35transform_pair_of_input_iterators_tIbNS6_6detail15normal_iteratorINS6_10device_ptrIKyEEEESL_NS6_8equal_toIyEEEENSG_9not_fun_tINSD_8identityEEEEENSD_19counting_iterator_tIlEES8_S8_S8_S8_S8_S8_S8_S8_EEEEPS9_S9_NSD_9__find_if7functorIS9_EEEE10hipError_tPvRmT1_T2_T3_mT4_P12ihipStream_tbEUlT_E1_NS1_11comp_targetILNS1_3genE3ELNS1_11target_archE908ELNS1_3gpuE7ELNS1_3repE0EEENS1_30default_config_static_selectorELNS0_4arch9wavefront6targetE1EEEvS14_.uses_flat_scratch, 0
	.set _ZN7rocprim17ROCPRIM_400000_NS6detail17trampoline_kernelINS0_14default_configENS1_22reduce_config_selectorIN6thrust23THRUST_200600_302600_NS5tupleIblNS6_9null_typeES8_S8_S8_S8_S8_S8_S8_EEEEZNS1_11reduce_implILb1ES3_NS6_12zip_iteratorINS7_INS6_11hip_rocprim26transform_input_iterator_tIbNSD_35transform_pair_of_input_iterators_tIbNS6_6detail15normal_iteratorINS6_10device_ptrIKyEEEESL_NS6_8equal_toIyEEEENSG_9not_fun_tINSD_8identityEEEEENSD_19counting_iterator_tIlEES8_S8_S8_S8_S8_S8_S8_S8_EEEEPS9_S9_NSD_9__find_if7functorIS9_EEEE10hipError_tPvRmT1_T2_T3_mT4_P12ihipStream_tbEUlT_E1_NS1_11comp_targetILNS1_3genE3ELNS1_11target_archE908ELNS1_3gpuE7ELNS1_3repE0EEENS1_30default_config_static_selectorELNS0_4arch9wavefront6targetE1EEEvS14_.has_dyn_sized_stack, 0
	.set _ZN7rocprim17ROCPRIM_400000_NS6detail17trampoline_kernelINS0_14default_configENS1_22reduce_config_selectorIN6thrust23THRUST_200600_302600_NS5tupleIblNS6_9null_typeES8_S8_S8_S8_S8_S8_S8_EEEEZNS1_11reduce_implILb1ES3_NS6_12zip_iteratorINS7_INS6_11hip_rocprim26transform_input_iterator_tIbNSD_35transform_pair_of_input_iterators_tIbNS6_6detail15normal_iteratorINS6_10device_ptrIKyEEEESL_NS6_8equal_toIyEEEENSG_9not_fun_tINSD_8identityEEEEENSD_19counting_iterator_tIlEES8_S8_S8_S8_S8_S8_S8_S8_EEEEPS9_S9_NSD_9__find_if7functorIS9_EEEE10hipError_tPvRmT1_T2_T3_mT4_P12ihipStream_tbEUlT_E1_NS1_11comp_targetILNS1_3genE3ELNS1_11target_archE908ELNS1_3gpuE7ELNS1_3repE0EEENS1_30default_config_static_selectorELNS0_4arch9wavefront6targetE1EEEvS14_.has_recursion, 0
	.set _ZN7rocprim17ROCPRIM_400000_NS6detail17trampoline_kernelINS0_14default_configENS1_22reduce_config_selectorIN6thrust23THRUST_200600_302600_NS5tupleIblNS6_9null_typeES8_S8_S8_S8_S8_S8_S8_EEEEZNS1_11reduce_implILb1ES3_NS6_12zip_iteratorINS7_INS6_11hip_rocprim26transform_input_iterator_tIbNSD_35transform_pair_of_input_iterators_tIbNS6_6detail15normal_iteratorINS6_10device_ptrIKyEEEESL_NS6_8equal_toIyEEEENSG_9not_fun_tINSD_8identityEEEEENSD_19counting_iterator_tIlEES8_S8_S8_S8_S8_S8_S8_S8_EEEEPS9_S9_NSD_9__find_if7functorIS9_EEEE10hipError_tPvRmT1_T2_T3_mT4_P12ihipStream_tbEUlT_E1_NS1_11comp_targetILNS1_3genE3ELNS1_11target_archE908ELNS1_3gpuE7ELNS1_3repE0EEENS1_30default_config_static_selectorELNS0_4arch9wavefront6targetE1EEEvS14_.has_indirect_call, 0
	.section	.AMDGPU.csdata,"",@progbits
; Kernel info:
; codeLenInByte = 0
; TotalNumSgprs: 4
; NumVgprs: 0
; ScratchSize: 0
; MemoryBound: 0
; FloatMode: 240
; IeeeMode: 1
; LDSByteSize: 0 bytes/workgroup (compile time only)
; SGPRBlocks: 0
; VGPRBlocks: 0
; NumSGPRsForWavesPerEU: 4
; NumVGPRsForWavesPerEU: 1
; Occupancy: 10
; WaveLimiterHint : 0
; COMPUTE_PGM_RSRC2:SCRATCH_EN: 0
; COMPUTE_PGM_RSRC2:USER_SGPR: 6
; COMPUTE_PGM_RSRC2:TRAP_HANDLER: 0
; COMPUTE_PGM_RSRC2:TGID_X_EN: 1
; COMPUTE_PGM_RSRC2:TGID_Y_EN: 0
; COMPUTE_PGM_RSRC2:TGID_Z_EN: 0
; COMPUTE_PGM_RSRC2:TIDIG_COMP_CNT: 0
	.section	.text._ZN7rocprim17ROCPRIM_400000_NS6detail17trampoline_kernelINS0_14default_configENS1_22reduce_config_selectorIN6thrust23THRUST_200600_302600_NS5tupleIblNS6_9null_typeES8_S8_S8_S8_S8_S8_S8_EEEEZNS1_11reduce_implILb1ES3_NS6_12zip_iteratorINS7_INS6_11hip_rocprim26transform_input_iterator_tIbNSD_35transform_pair_of_input_iterators_tIbNS6_6detail15normal_iteratorINS6_10device_ptrIKyEEEESL_NS6_8equal_toIyEEEENSG_9not_fun_tINSD_8identityEEEEENSD_19counting_iterator_tIlEES8_S8_S8_S8_S8_S8_S8_S8_EEEEPS9_S9_NSD_9__find_if7functorIS9_EEEE10hipError_tPvRmT1_T2_T3_mT4_P12ihipStream_tbEUlT_E1_NS1_11comp_targetILNS1_3genE2ELNS1_11target_archE906ELNS1_3gpuE6ELNS1_3repE0EEENS1_30default_config_static_selectorELNS0_4arch9wavefront6targetE1EEEvS14_,"axG",@progbits,_ZN7rocprim17ROCPRIM_400000_NS6detail17trampoline_kernelINS0_14default_configENS1_22reduce_config_selectorIN6thrust23THRUST_200600_302600_NS5tupleIblNS6_9null_typeES8_S8_S8_S8_S8_S8_S8_EEEEZNS1_11reduce_implILb1ES3_NS6_12zip_iteratorINS7_INS6_11hip_rocprim26transform_input_iterator_tIbNSD_35transform_pair_of_input_iterators_tIbNS6_6detail15normal_iteratorINS6_10device_ptrIKyEEEESL_NS6_8equal_toIyEEEENSG_9not_fun_tINSD_8identityEEEEENSD_19counting_iterator_tIlEES8_S8_S8_S8_S8_S8_S8_S8_EEEEPS9_S9_NSD_9__find_if7functorIS9_EEEE10hipError_tPvRmT1_T2_T3_mT4_P12ihipStream_tbEUlT_E1_NS1_11comp_targetILNS1_3genE2ELNS1_11target_archE906ELNS1_3gpuE6ELNS1_3repE0EEENS1_30default_config_static_selectorELNS0_4arch9wavefront6targetE1EEEvS14_,comdat
	.protected	_ZN7rocprim17ROCPRIM_400000_NS6detail17trampoline_kernelINS0_14default_configENS1_22reduce_config_selectorIN6thrust23THRUST_200600_302600_NS5tupleIblNS6_9null_typeES8_S8_S8_S8_S8_S8_S8_EEEEZNS1_11reduce_implILb1ES3_NS6_12zip_iteratorINS7_INS6_11hip_rocprim26transform_input_iterator_tIbNSD_35transform_pair_of_input_iterators_tIbNS6_6detail15normal_iteratorINS6_10device_ptrIKyEEEESL_NS6_8equal_toIyEEEENSG_9not_fun_tINSD_8identityEEEEENSD_19counting_iterator_tIlEES8_S8_S8_S8_S8_S8_S8_S8_EEEEPS9_S9_NSD_9__find_if7functorIS9_EEEE10hipError_tPvRmT1_T2_T3_mT4_P12ihipStream_tbEUlT_E1_NS1_11comp_targetILNS1_3genE2ELNS1_11target_archE906ELNS1_3gpuE6ELNS1_3repE0EEENS1_30default_config_static_selectorELNS0_4arch9wavefront6targetE1EEEvS14_ ; -- Begin function _ZN7rocprim17ROCPRIM_400000_NS6detail17trampoline_kernelINS0_14default_configENS1_22reduce_config_selectorIN6thrust23THRUST_200600_302600_NS5tupleIblNS6_9null_typeES8_S8_S8_S8_S8_S8_S8_EEEEZNS1_11reduce_implILb1ES3_NS6_12zip_iteratorINS7_INS6_11hip_rocprim26transform_input_iterator_tIbNSD_35transform_pair_of_input_iterators_tIbNS6_6detail15normal_iteratorINS6_10device_ptrIKyEEEESL_NS6_8equal_toIyEEEENSG_9not_fun_tINSD_8identityEEEEENSD_19counting_iterator_tIlEES8_S8_S8_S8_S8_S8_S8_S8_EEEEPS9_S9_NSD_9__find_if7functorIS9_EEEE10hipError_tPvRmT1_T2_T3_mT4_P12ihipStream_tbEUlT_E1_NS1_11comp_targetILNS1_3genE2ELNS1_11target_archE906ELNS1_3gpuE6ELNS1_3repE0EEENS1_30default_config_static_selectorELNS0_4arch9wavefront6targetE1EEEvS14_
	.globl	_ZN7rocprim17ROCPRIM_400000_NS6detail17trampoline_kernelINS0_14default_configENS1_22reduce_config_selectorIN6thrust23THRUST_200600_302600_NS5tupleIblNS6_9null_typeES8_S8_S8_S8_S8_S8_S8_EEEEZNS1_11reduce_implILb1ES3_NS6_12zip_iteratorINS7_INS6_11hip_rocprim26transform_input_iterator_tIbNSD_35transform_pair_of_input_iterators_tIbNS6_6detail15normal_iteratorINS6_10device_ptrIKyEEEESL_NS6_8equal_toIyEEEENSG_9not_fun_tINSD_8identityEEEEENSD_19counting_iterator_tIlEES8_S8_S8_S8_S8_S8_S8_S8_EEEEPS9_S9_NSD_9__find_if7functorIS9_EEEE10hipError_tPvRmT1_T2_T3_mT4_P12ihipStream_tbEUlT_E1_NS1_11comp_targetILNS1_3genE2ELNS1_11target_archE906ELNS1_3gpuE6ELNS1_3repE0EEENS1_30default_config_static_selectorELNS0_4arch9wavefront6targetE1EEEvS14_
	.p2align	8
	.type	_ZN7rocprim17ROCPRIM_400000_NS6detail17trampoline_kernelINS0_14default_configENS1_22reduce_config_selectorIN6thrust23THRUST_200600_302600_NS5tupleIblNS6_9null_typeES8_S8_S8_S8_S8_S8_S8_EEEEZNS1_11reduce_implILb1ES3_NS6_12zip_iteratorINS7_INS6_11hip_rocprim26transform_input_iterator_tIbNSD_35transform_pair_of_input_iterators_tIbNS6_6detail15normal_iteratorINS6_10device_ptrIKyEEEESL_NS6_8equal_toIyEEEENSG_9not_fun_tINSD_8identityEEEEENSD_19counting_iterator_tIlEES8_S8_S8_S8_S8_S8_S8_S8_EEEEPS9_S9_NSD_9__find_if7functorIS9_EEEE10hipError_tPvRmT1_T2_T3_mT4_P12ihipStream_tbEUlT_E1_NS1_11comp_targetILNS1_3genE2ELNS1_11target_archE906ELNS1_3gpuE6ELNS1_3repE0EEENS1_30default_config_static_selectorELNS0_4arch9wavefront6targetE1EEEvS14_,@function
_ZN7rocprim17ROCPRIM_400000_NS6detail17trampoline_kernelINS0_14default_configENS1_22reduce_config_selectorIN6thrust23THRUST_200600_302600_NS5tupleIblNS6_9null_typeES8_S8_S8_S8_S8_S8_S8_EEEEZNS1_11reduce_implILb1ES3_NS6_12zip_iteratorINS7_INS6_11hip_rocprim26transform_input_iterator_tIbNSD_35transform_pair_of_input_iterators_tIbNS6_6detail15normal_iteratorINS6_10device_ptrIKyEEEESL_NS6_8equal_toIyEEEENSG_9not_fun_tINSD_8identityEEEEENSD_19counting_iterator_tIlEES8_S8_S8_S8_S8_S8_S8_S8_EEEEPS9_S9_NSD_9__find_if7functorIS9_EEEE10hipError_tPvRmT1_T2_T3_mT4_P12ihipStream_tbEUlT_E1_NS1_11comp_targetILNS1_3genE2ELNS1_11target_archE906ELNS1_3gpuE6ELNS1_3repE0EEENS1_30default_config_static_selectorELNS0_4arch9wavefront6targetE1EEEvS14_: ; @_ZN7rocprim17ROCPRIM_400000_NS6detail17trampoline_kernelINS0_14default_configENS1_22reduce_config_selectorIN6thrust23THRUST_200600_302600_NS5tupleIblNS6_9null_typeES8_S8_S8_S8_S8_S8_S8_EEEEZNS1_11reduce_implILb1ES3_NS6_12zip_iteratorINS7_INS6_11hip_rocprim26transform_input_iterator_tIbNSD_35transform_pair_of_input_iterators_tIbNS6_6detail15normal_iteratorINS6_10device_ptrIKyEEEESL_NS6_8equal_toIyEEEENSG_9not_fun_tINSD_8identityEEEEENSD_19counting_iterator_tIlEES8_S8_S8_S8_S8_S8_S8_S8_EEEEPS9_S9_NSD_9__find_if7functorIS9_EEEE10hipError_tPvRmT1_T2_T3_mT4_P12ihipStream_tbEUlT_E1_NS1_11comp_targetILNS1_3genE2ELNS1_11target_archE906ELNS1_3gpuE6ELNS1_3repE0EEENS1_30default_config_static_selectorELNS0_4arch9wavefront6targetE1EEEvS14_
; %bb.0:
	s_load_dword s38, s[4:5], 0x4
	s_load_dwordx4 s[24:27], s[4:5], 0x8
	s_load_dwordx4 s[20:23], s[4:5], 0x28
	s_load_dword s33, s[4:5], 0x40
	s_load_dwordx2 s[18:19], s[4:5], 0x48
	s_waitcnt lgkmcnt(0)
	s_cmp_lt_i32 s38, 4
	s_cbranch_scc1 .LBB478_13
; %bb.1:
	s_cmp_gt_i32 s38, 7
	s_cbranch_scc0 .LBB478_14
; %bb.2:
	s_cmp_eq_u32 s38, 8
	s_mov_b64 s[28:29], 0
	s_cbranch_scc0 .LBB478_15
; %bb.3:
	s_mov_b32 s7, 0
	s_lshl_b32 s16, s6, 10
	s_mov_b32 s17, s7
	s_lshr_b64 s[0:1], s[22:23], 10
	s_lshl_b64 s[2:3], s[16:17], 3
	s_add_u32 s30, s24, s2
	s_addc_u32 s31, s25, s3
	s_add_u32 s34, s26, s2
	s_addc_u32 s35, s27, s3
	;; [unrolled: 2-line block ×3, first 2 shown]
	s_cmp_lg_u64 s[0:1], s[6:7]
	s_cbranch_scc0 .LBB478_28
; %bb.4:
	v_lshlrev_b32_e32 v17, 3, v0
	global_load_dwordx2 v[1:2], v17, s[34:35] offset:1024
	global_load_dwordx2 v[3:4], v17, s[30:31] offset:1024
	;; [unrolled: 1-line block ×4, first 2 shown]
	global_load_dwordx2 v[9:10], v17, s[30:31]
	global_load_dwordx2 v[11:12], v17, s[34:35] offset:2048
	global_load_dwordx2 v[13:14], v17, s[34:35] offset:3072
	global_load_dwordx2 v[15:16], v17, s[34:35]
	v_mov_b32_e32 v18, s31
	v_add_co_u32_e32 v20, vcc, s30, v17
	v_addc_co_u32_e32 v18, vcc, 0, v18, vcc
	v_mov_b32_e32 v19, s35
	v_add_co_u32_e32 v21, vcc, s34, v17
	s_movk_i32 s0, 0x1000
	v_addc_co_u32_e32 v22, vcc, 0, v19, vcc
	v_add_co_u32_e32 v17, vcc, s0, v20
	v_addc_co_u32_e32 v18, vcc, 0, v18, vcc
	v_add_co_u32_e32 v19, vcc, s0, v21
	v_addc_co_u32_e32 v20, vcc, 0, v22, vcc
	v_mov_b32_e32 v25, 0x100
	v_mov_b32_e32 v26, 0x80
	s_waitcnt vmcnt(6)
	v_cmp_ne_u64_e32 vcc, v[3:4], v[1:2]
	global_load_dwordx2 v[1:2], v[19:20], off
	global_load_dwordx2 v[21:22], v[19:20], off offset:2048
	global_load_dwordx2 v[23:24], v[19:20], off offset:3072
	v_cndmask_b32_e32 v4, v25, v26, vcc
	v_mov_b32_e32 v3, s41
	s_waitcnt vmcnt(5)
	v_cmp_ne_u64_e64 s[2:3], v[5:6], v[11:12]
	s_waitcnt vmcnt(4)
	v_cmp_ne_u64_e64 s[8:9], v[7:8], v[13:14]
	s_waitcnt vmcnt(3)
	v_cmp_ne_u64_e64 s[0:1], v[9:10], v[15:16]
	global_load_dwordx2 v[9:10], v[17:18], off
	global_load_dwordx2 v[15:16], v[17:18], off offset:2048
	global_load_dwordx2 v[25:26], v[17:18], off offset:3072
	;; [unrolled: 1-line block ×4, first 2 shown]
	v_add_co_u32_e64 v8, s[10:11], s40, v0
	v_mov_b32_e32 v17, 0x200
	v_mov_b32_e32 v5, 0x180
	v_addc_co_u32_e64 v13, s[10:11], 0, v3, s[10:11]
	v_cndmask_b32_e64 v4, v4, 0, s[0:1]
	s_or_b64 s[0:1], s[0:1], vcc
	v_cndmask_b32_e64 v5, v17, v5, s[8:9]
	s_or_b64 s[0:1], s[0:1], s[2:3]
	v_mov_b32_e32 v6, 0x300
	v_mov_b32_e32 v11, 0x280
	;; [unrolled: 1-line block ×3, first 2 shown]
	v_mbcnt_lo_u32_b32 v7, -1, 0
	v_mbcnt_hi_u32_b32 v3, -1, v7
	s_waitcnt vmcnt(4)
	v_cmp_ne_u64_e64 s[10:11], v[9:10], v[1:2]
	v_cndmask_b32_e64 v2, v5, v4, s[0:1]
	s_or_b64 s[0:1], s[0:1], s[8:9]
	s_waitcnt vmcnt(3)
	v_cmp_ne_u64_e64 s[12:13], v[15:16], v[21:22]
	s_waitcnt vmcnt(0)
	v_cmp_ne_u64_e32 vcc, v[27:28], v[29:30]
	s_or_b64 s[0:1], s[0:1], s[10:11]
	v_cndmask_b32_e32 v1, v6, v11, vcc
	v_cndmask_b32_e64 v1, v1, v2, s[0:1]
	s_or_b64 s[0:1], s[0:1], vcc
	s_or_b64 vcc, s[0:1], s[12:13]
	v_cndmask_b32_e32 v1, v12, v1, vcc
	v_cmp_ne_u64_e64 s[14:15], v[25:26], v[23:24]
	v_add_co_u32_e64 v1, s[0:1], v8, v1
	v_addc_co_u32_e64 v2, s[0:1], 0, v13, s[0:1]
	s_or_b64 s[0:1], vcc, s[14:15]
	v_mov_b32_dpp v4, v1 quad_perm:[1,0,3,2] row_mask:0xf bank_mask:0xf bound_ctrl:1
	v_mov_b32_dpp v5, v2 quad_perm:[1,0,3,2] row_mask:0xf bank_mask:0xf bound_ctrl:1
	v_cndmask_b32_e64 v6, 0, 1, s[0:1]
	v_cmp_lt_i64_e32 vcc, v[1:2], v[4:5]
	s_and_b64 vcc, s[0:1], vcc
	v_mov_b32_dpp v7, v6 quad_perm:[1,0,3,2] row_mask:0xf bank_mask:0xf bound_ctrl:1
	v_and_b32_e32 v7, 1, v7
	v_cndmask_b32_e32 v4, v4, v1, vcc
	v_cndmask_b32_e32 v5, v5, v2, vcc
	v_cmp_eq_u32_e32 vcc, 1, v7
	v_cndmask_b32_e32 v2, v2, v5, vcc
	v_cndmask_b32_e32 v1, v1, v4, vcc
	v_cndmask_b32_e64 v6, v6, 1, vcc
	v_mov_b32_dpp v5, v2 quad_perm:[2,3,0,1] row_mask:0xf bank_mask:0xf bound_ctrl:1
	v_mov_b32_dpp v4, v1 quad_perm:[2,3,0,1] row_mask:0xf bank_mask:0xf bound_ctrl:1
	v_and_b32_e32 v8, 1, v6
	v_cmp_lt_i64_e64 s[0:1], v[1:2], v[4:5]
	v_mov_b32_dpp v7, v6 quad_perm:[2,3,0,1] row_mask:0xf bank_mask:0xf bound_ctrl:1
	v_cmp_eq_u32_e32 vcc, 1, v8
	v_and_b32_e32 v7, 1, v7
	s_and_b64 vcc, vcc, s[0:1]
	v_cmp_eq_u32_e64 s[2:3], 1, v7
	v_cndmask_b32_e32 v4, v4, v1, vcc
	v_cndmask_b32_e32 v5, v5, v2, vcc
	v_cndmask_b32_e64 v2, v2, v5, s[2:3]
	v_cndmask_b32_e64 v1, v1, v4, s[2:3]
	;; [unrolled: 1-line block ×3, first 2 shown]
	v_mov_b32_dpp v5, v2 row_ror:4 row_mask:0xf bank_mask:0xf bound_ctrl:1
	v_mov_b32_dpp v4, v1 row_ror:4 row_mask:0xf bank_mask:0xf bound_ctrl:1
	v_and_b32_e32 v8, 1, v6
	v_cmp_lt_i64_e64 s[0:1], v[1:2], v[4:5]
	v_mov_b32_dpp v7, v6 row_ror:4 row_mask:0xf bank_mask:0xf bound_ctrl:1
	v_cmp_eq_u32_e32 vcc, 1, v8
	v_and_b32_e32 v7, 1, v7
	s_and_b64 vcc, vcc, s[0:1]
	v_cmp_eq_u32_e64 s[2:3], 1, v7
	v_cndmask_b32_e32 v4, v4, v1, vcc
	v_cndmask_b32_e32 v5, v5, v2, vcc
	v_cndmask_b32_e64 v2, v2, v5, s[2:3]
	v_cndmask_b32_e64 v1, v1, v4, s[2:3]
	;; [unrolled: 1-line block ×3, first 2 shown]
	v_mov_b32_dpp v5, v2 row_ror:8 row_mask:0xf bank_mask:0xf bound_ctrl:1
	v_mov_b32_dpp v4, v1 row_ror:8 row_mask:0xf bank_mask:0xf bound_ctrl:1
	v_and_b32_e32 v8, 1, v6
	v_cmp_lt_i64_e64 s[0:1], v[1:2], v[4:5]
	v_mov_b32_dpp v7, v6 row_ror:8 row_mask:0xf bank_mask:0xf bound_ctrl:1
	v_cmp_eq_u32_e32 vcc, 1, v8
	v_and_b32_e32 v7, 1, v7
	s_and_b64 vcc, vcc, s[0:1]
	v_cmp_eq_u32_e64 s[2:3], 1, v7
	v_cndmask_b32_e32 v4, v4, v1, vcc
	v_cndmask_b32_e32 v5, v5, v2, vcc
	v_cndmask_b32_e64 v2, v2, v5, s[2:3]
	v_cndmask_b32_e64 v1, v1, v4, s[2:3]
	;; [unrolled: 1-line block ×3, first 2 shown]
	v_mov_b32_dpp v5, v2 row_bcast:15 row_mask:0xf bank_mask:0xf bound_ctrl:1
	v_mov_b32_dpp v4, v1 row_bcast:15 row_mask:0xf bank_mask:0xf bound_ctrl:1
	v_and_b32_e32 v8, 1, v6
	v_cmp_lt_i64_e64 s[0:1], v[1:2], v[4:5]
	v_mov_b32_dpp v7, v6 row_bcast:15 row_mask:0xf bank_mask:0xf bound_ctrl:1
	v_cmp_eq_u32_e32 vcc, 1, v8
	v_and_b32_e32 v7, 1, v7
	s_and_b64 vcc, vcc, s[0:1]
	v_cmp_eq_u32_e64 s[2:3], 1, v7
	v_cndmask_b32_e32 v4, v4, v1, vcc
	v_cndmask_b32_e32 v5, v5, v2, vcc
	v_cndmask_b32_e64 v2, v2, v5, s[2:3]
	v_cndmask_b32_e64 v1, v1, v4, s[2:3]
	;; [unrolled: 1-line block ×3, first 2 shown]
	v_mov_b32_dpp v5, v2 row_bcast:31 row_mask:0xf bank_mask:0xf bound_ctrl:1
	v_mov_b32_dpp v4, v1 row_bcast:31 row_mask:0xf bank_mask:0xf bound_ctrl:1
	v_and_b32_e32 v8, 1, v6
	v_cmp_lt_i64_e64 s[0:1], v[1:2], v[4:5]
	v_mov_b32_dpp v7, v6 row_bcast:31 row_mask:0xf bank_mask:0xf bound_ctrl:1
	v_cmp_eq_u32_e32 vcc, 1, v8
	v_and_b32_e32 v7, 1, v7
	s_and_b64 vcc, vcc, s[0:1]
	v_cmp_eq_u32_e64 s[2:3], 1, v7
	v_cndmask_b32_e32 v5, v5, v2, vcc
	v_cndmask_b32_e32 v4, v4, v1, vcc
	v_cndmask_b32_e64 v2, v2, v5, s[2:3]
	v_lshlrev_b32_e32 v5, 2, v3
	v_cndmask_b32_e64 v6, v6, 1, s[2:3]
	v_cndmask_b32_e64 v1, v1, v4, s[2:3]
	v_or_b32_e32 v4, 0xfc, v5
	ds_bpermute_b32 v17, v4, v6
	ds_bpermute_b32 v1, v4, v1
	;; [unrolled: 1-line block ×3, first 2 shown]
	v_cmp_eq_u32_e32 vcc, 0, v3
	s_and_saveexec_b64 s[0:1], vcc
	s_cbranch_execz .LBB478_6
; %bb.5:
	v_lshrrev_b32_e32 v4, 2, v0
	v_and_b32_e32 v4, 16, v4
	s_waitcnt lgkmcnt(2)
	ds_write_b8 v4, v17 offset:96
	s_waitcnt lgkmcnt(1)
	ds_write_b64 v4, v[1:2] offset:104
.LBB478_6:
	s_or_b64 exec, exec, s[0:1]
	v_cmp_gt_u32_e32 vcc, 64, v0
	s_waitcnt lgkmcnt(0)
	s_barrier
	s_and_saveexec_b64 s[0:1], vcc
	s_cbranch_execz .LBB478_12
; %bb.7:
	v_and_b32_e32 v1, 1, v3
	v_lshlrev_b32_e32 v1, 4, v1
	ds_read_u8 v7, v1 offset:96
	ds_read_b64 v[3:4], v1 offset:104
	v_or_b32_e32 v2, 4, v5
	s_waitcnt lgkmcnt(1)
	v_and_b32_e32 v1, 0xff, v7
	ds_bpermute_b32 v8, v2, v1
	s_waitcnt lgkmcnt(1)
	ds_bpermute_b32 v5, v2, v3
	ds_bpermute_b32 v6, v2, v4
	s_waitcnt lgkmcnt(2)
	v_and_b32_e32 v1, v7, v8
	v_and_b32_e32 v1, 1, v1
	v_cmp_eq_u32_e32 vcc, 1, v1
                                        ; implicit-def: $vgpr1_vgpr2
	s_and_saveexec_b64 s[2:3], vcc
	s_xor_b64 s[2:3], exec, s[2:3]
	s_cbranch_execz .LBB478_9
; %bb.8:
	s_waitcnt lgkmcnt(0)
	v_cmp_lt_i64_e32 vcc, v[5:6], v[3:4]
                                        ; implicit-def: $vgpr7
                                        ; implicit-def: $vgpr8
	v_cndmask_b32_e32 v2, v4, v6, vcc
	v_cndmask_b32_e32 v1, v3, v5, vcc
                                        ; implicit-def: $vgpr5_vgpr6
                                        ; implicit-def: $vgpr3_vgpr4
.LBB478_9:
	s_or_saveexec_b64 s[2:3], s[2:3]
	v_mov_b32_e32 v17, 1
	s_xor_b64 exec, exec, s[2:3]
	s_cbranch_execz .LBB478_11
; %bb.10:
	v_and_b32_e32 v1, 1, v7
	v_cmp_eq_u32_e32 vcc, 1, v1
	s_waitcnt lgkmcnt(0)
	v_cndmask_b32_e32 v2, v6, v4, vcc
	v_cndmask_b32_e32 v1, v5, v3, vcc
	v_cndmask_b32_e64 v17, v8, 1, vcc
.LBB478_11:
	s_or_b64 exec, exec, s[2:3]
.LBB478_12:
	s_or_b64 exec, exec, s[0:1]
	s_branch .LBB478_145
.LBB478_13:
	s_mov_b64 s[14:15], 0
                                        ; implicit-def: $vgpr3_vgpr4
                                        ; implicit-def: $vgpr5
                                        ; implicit-def: $vgpr1_vgpr2
	s_cbranch_execnz .LBB478_219
	s_branch .LBB478_306
.LBB478_14:
	s_mov_b64 s[28:29], -1
.LBB478_15:
	s_mov_b64 s[14:15], 0
                                        ; implicit-def: $vgpr3_vgpr4
                                        ; implicit-def: $vgpr5
                                        ; implicit-def: $vgpr1_vgpr2
	s_and_b64 vcc, exec, s[28:29]
	s_cbranch_vccz .LBB478_150
.LBB478_16:
	s_cmp_eq_u32 s38, 4
	s_cbranch_scc0 .LBB478_27
; %bb.17:
	s_mov_b32 s7, 0
	s_lshl_b32 s30, s6, 9
	s_mov_b32 s31, s7
	s_lshr_b64 s[0:1], s[22:23], 9
	s_lshl_b64 s[2:3], s[30:31], 3
	s_add_u32 s16, s24, s2
	s_addc_u32 s17, s25, s3
	s_add_u32 s28, s26, s2
	s_addc_u32 s29, s27, s3
	;; [unrolled: 2-line block ×3, first 2 shown]
	s_cmp_lg_u64 s[0:1], s[6:7]
	s_cbranch_scc0 .LBB478_51
; %bb.18:
	s_waitcnt lgkmcnt(2)
	v_lshlrev_b32_e32 v3, 3, v0
	global_load_dwordx2 v[1:2], v3, s[28:29] offset:2048
	s_waitcnt lgkmcnt(0)
	global_load_dwordx2 v[6:7], v3, s[28:29] offset:3072
	global_load_dwordx2 v[8:9], v3, s[28:29] offset:1024
	global_load_dwordx2 v[10:11], v3, s[16:17] offset:2048
	global_load_dwordx2 v[12:13], v3, s[16:17] offset:3072
	global_load_dwordx2 v[14:15], v3, s[16:17] offset:1024
	global_load_dwordx2 v[16:17], v3, s[16:17]
	global_load_dwordx2 v[18:19], v3, s[28:29]
	v_mov_b32_e32 v3, s34
	v_add_co_u32_e32 v22, vcc, s31, v0
	v_addc_co_u32_e32 v23, vcc, 0, v3, vcc
	v_mov_b32_e32 v4, 0x100
	v_mov_b32_e32 v20, 0x80
	;; [unrolled: 1-line block ×3, first 2 shown]
	v_mbcnt_lo_u32_b32 v5, -1, 0
	v_mbcnt_hi_u32_b32 v3, -1, v5
	v_lshlrev_b32_e32 v5, 2, v3
	v_or_b32_e32 v24, 0xfc, v5
	s_waitcnt vmcnt(4)
	v_cmp_ne_u64_e32 vcc, v[10:11], v[1:2]
	s_waitcnt vmcnt(3)
	v_cmp_ne_u64_e64 s[0:1], v[12:13], v[6:7]
	s_waitcnt vmcnt(2)
	v_cmp_ne_u64_e64 s[2:3], v[14:15], v[8:9]
	;; [unrolled: 2-line block ×3, first 2 shown]
	v_cndmask_b32_e64 v1, v4, v20, s[2:3]
	s_or_b64 s[2:3], s[8:9], s[2:3]
	v_cndmask_b32_e64 v1, v1, 0, s[8:9]
	s_or_b64 vcc, s[2:3], vcc
	v_cndmask_b32_e32 v1, v21, v1, vcc
	v_add_co_u32_e64 v1, s[2:3], v22, v1
	v_addc_co_u32_e64 v2, s[2:3], 0, v23, s[2:3]
	s_or_b64 s[0:1], vcc, s[0:1]
	v_mov_b32_dpp v6, v1 quad_perm:[1,0,3,2] row_mask:0xf bank_mask:0xf bound_ctrl:1
	v_mov_b32_dpp v7, v2 quad_perm:[1,0,3,2] row_mask:0xf bank_mask:0xf bound_ctrl:1
	v_cndmask_b32_e64 v4, 0, 1, s[0:1]
	v_cmp_lt_i64_e32 vcc, v[1:2], v[6:7]
	s_and_b64 vcc, s[0:1], vcc
	v_mov_b32_dpp v8, v4 quad_perm:[1,0,3,2] row_mask:0xf bank_mask:0xf bound_ctrl:1
	v_and_b32_e32 v8, 1, v8
	v_cndmask_b32_e32 v6, v6, v1, vcc
	v_cndmask_b32_e32 v7, v7, v2, vcc
	v_cmp_eq_u32_e32 vcc, 1, v8
	v_cndmask_b32_e32 v2, v2, v7, vcc
	v_cndmask_b32_e32 v1, v1, v6, vcc
	v_cndmask_b32_e64 v4, v4, 1, vcc
	v_mov_b32_dpp v7, v2 quad_perm:[2,3,0,1] row_mask:0xf bank_mask:0xf bound_ctrl:1
	v_mov_b32_dpp v6, v1 quad_perm:[2,3,0,1] row_mask:0xf bank_mask:0xf bound_ctrl:1
	v_and_b32_e32 v9, 1, v4
	v_cmp_lt_i64_e64 s[0:1], v[1:2], v[6:7]
	v_mov_b32_dpp v8, v4 quad_perm:[2,3,0,1] row_mask:0xf bank_mask:0xf bound_ctrl:1
	v_cmp_eq_u32_e32 vcc, 1, v9
	v_and_b32_e32 v8, 1, v8
	s_and_b64 vcc, vcc, s[0:1]
	v_cmp_eq_u32_e64 s[2:3], 1, v8
	v_cndmask_b32_e32 v6, v6, v1, vcc
	v_cndmask_b32_e32 v7, v7, v2, vcc
	v_cndmask_b32_e64 v1, v1, v6, s[2:3]
	v_cndmask_b32_e64 v2, v2, v7, s[2:3]
	;; [unrolled: 1-line block ×3, first 2 shown]
	v_mov_b32_dpp v6, v1 row_ror:4 row_mask:0xf bank_mask:0xf bound_ctrl:1
	v_mov_b32_dpp v7, v2 row_ror:4 row_mask:0xf bank_mask:0xf bound_ctrl:1
	v_and_b32_e32 v9, 1, v4
	v_cmp_lt_i64_e64 s[2:3], v[1:2], v[6:7]
	v_mov_b32_dpp v8, v4 row_ror:4 row_mask:0xf bank_mask:0xf bound_ctrl:1
	v_cmp_eq_u32_e32 vcc, 1, v9
	v_and_b32_e32 v8, 1, v8
	s_and_b64 vcc, vcc, s[2:3]
	v_cmp_eq_u32_e64 s[0:1], 1, v8
	v_cndmask_b32_e32 v6, v6, v1, vcc
	v_cndmask_b32_e32 v7, v7, v2, vcc
	v_cndmask_b32_e64 v1, v1, v6, s[0:1]
	v_cndmask_b32_e64 v2, v2, v7, s[0:1]
	;; [unrolled: 1-line block ×3, first 2 shown]
	v_mov_b32_dpp v6, v1 row_ror:8 row_mask:0xf bank_mask:0xf bound_ctrl:1
	v_mov_b32_dpp v7, v2 row_ror:8 row_mask:0xf bank_mask:0xf bound_ctrl:1
	v_and_b32_e32 v9, 1, v4
	v_cmp_lt_i64_e64 s[2:3], v[1:2], v[6:7]
	v_mov_b32_dpp v8, v4 row_ror:8 row_mask:0xf bank_mask:0xf bound_ctrl:1
	v_cmp_eq_u32_e64 s[8:9], 1, v9
	v_and_b32_e32 v8, 1, v8
	s_and_b64 s[2:3], s[8:9], s[2:3]
	v_cmp_eq_u32_e64 s[10:11], 1, v8
	v_cndmask_b32_e64 v6, v6, v1, s[2:3]
	v_cndmask_b32_e64 v7, v7, v2, s[2:3]
	;; [unrolled: 1-line block ×5, first 2 shown]
	v_mov_b32_dpp v6, v1 row_bcast:15 row_mask:0xf bank_mask:0xf bound_ctrl:1
	v_mov_b32_dpp v7, v2 row_bcast:15 row_mask:0xf bank_mask:0xf bound_ctrl:1
	v_and_b32_e32 v9, 1, v4
	v_cmp_lt_i64_e64 s[2:3], v[1:2], v[6:7]
	v_mov_b32_dpp v8, v4 row_bcast:15 row_mask:0xf bank_mask:0xf bound_ctrl:1
	v_cmp_eq_u32_e32 vcc, 1, v9
	v_and_b32_e32 v8, 1, v8
	s_and_b64 vcc, vcc, s[2:3]
	v_cmp_eq_u32_e64 s[0:1], 1, v8
	v_cndmask_b32_e32 v6, v6, v1, vcc
	v_cndmask_b32_e32 v7, v7, v2, vcc
	v_cndmask_b32_e64 v4, v4, 1, s[0:1]
	v_cndmask_b32_e64 v1, v1, v6, s[0:1]
	;; [unrolled: 1-line block ×3, first 2 shown]
	v_mov_b32_dpp v8, v4 row_bcast:31 row_mask:0xf bank_mask:0xf bound_ctrl:1
	v_mov_b32_dpp v6, v1 row_bcast:31 row_mask:0xf bank_mask:0xf bound_ctrl:1
	;; [unrolled: 1-line block ×3, first 2 shown]
	v_and_b32_e32 v9, 1, v4
	v_and_b32_e32 v8, 1, v8
	v_cmp_lt_i64_e32 vcc, v[1:2], v[6:7]
	v_cmp_eq_u32_e64 s[12:13], 1, v9
	v_cmp_eq_u32_e64 s[8:9], 1, v8
	v_cndmask_b32_e64 v4, v4, 1, s[8:9]
	s_and_b64 vcc, s[12:13], vcc
	ds_bpermute_b32 v9, v24, v4
	v_cndmask_b32_e32 v4, v6, v1, vcc
	v_cndmask_b32_e32 v6, v7, v2, vcc
	v_cndmask_b32_e64 v1, v1, v4, s[8:9]
	v_cndmask_b32_e64 v2, v2, v6, s[8:9]
	ds_bpermute_b32 v1, v24, v1
	ds_bpermute_b32 v2, v24, v2
	v_cmp_eq_u32_e32 vcc, 0, v3
	s_and_saveexec_b64 s[0:1], vcc
	s_cbranch_execz .LBB478_20
; %bb.19:
	v_lshrrev_b32_e32 v4, 2, v0
	v_and_b32_e32 v4, 16, v4
	s_waitcnt lgkmcnt(2)
	ds_write_b8 v4, v9 offset:64
	s_waitcnt lgkmcnt(1)
	ds_write_b64 v4, v[1:2] offset:72
.LBB478_20:
	s_or_b64 exec, exec, s[0:1]
	v_cmp_gt_u32_e32 vcc, 64, v0
	s_waitcnt lgkmcnt(0)
	s_barrier
	s_and_saveexec_b64 s[0:1], vcc
	s_cbranch_execz .LBB478_26
; %bb.21:
	v_and_b32_e32 v1, 1, v3
	v_lshlrev_b32_e32 v1, 4, v1
	ds_read_u8 v7, v1 offset:64
	ds_read_b64 v[3:4], v1 offset:72
	v_or_b32_e32 v2, 4, v5
	s_waitcnt lgkmcnt(1)
	v_and_b32_e32 v1, 0xff, v7
	ds_bpermute_b32 v8, v2, v1
	s_waitcnt lgkmcnt(1)
	ds_bpermute_b32 v5, v2, v3
	ds_bpermute_b32 v6, v2, v4
	s_waitcnt lgkmcnt(2)
	v_and_b32_e32 v1, v7, v8
	v_and_b32_e32 v1, 1, v1
	v_cmp_eq_u32_e32 vcc, 1, v1
                                        ; implicit-def: $vgpr1_vgpr2
	s_and_saveexec_b64 s[2:3], vcc
	s_xor_b64 s[2:3], exec, s[2:3]
	s_cbranch_execz .LBB478_23
; %bb.22:
	s_waitcnt lgkmcnt(0)
	v_cmp_lt_i64_e32 vcc, v[5:6], v[3:4]
                                        ; implicit-def: $vgpr7
                                        ; implicit-def: $vgpr8
	v_cndmask_b32_e32 v2, v4, v6, vcc
	v_cndmask_b32_e32 v1, v3, v5, vcc
                                        ; implicit-def: $vgpr5_vgpr6
                                        ; implicit-def: $vgpr3_vgpr4
.LBB478_23:
	s_or_saveexec_b64 s[2:3], s[2:3]
	v_mov_b32_e32 v9, 1
	s_xor_b64 exec, exec, s[2:3]
	s_cbranch_execz .LBB478_25
; %bb.24:
	v_and_b32_e32 v1, 1, v7
	v_cmp_eq_u32_e32 vcc, 1, v1
	s_waitcnt lgkmcnt(0)
	v_cndmask_b32_e32 v2, v6, v4, vcc
	v_cndmask_b32_e32 v1, v5, v3, vcc
	v_cndmask_b32_e64 v9, v8, 1, vcc
.LBB478_25:
	s_or_b64 exec, exec, s[2:3]
.LBB478_26:
	s_or_b64 exec, exec, s[0:1]
	s_branch .LBB478_214
.LBB478_27:
                                        ; implicit-def: $vgpr3_vgpr4
                                        ; implicit-def: $vgpr5
                                        ; implicit-def: $vgpr1_vgpr2
	s_branch .LBB478_306
.LBB478_28:
                                        ; implicit-def: $vgpr1_vgpr2
                                        ; implicit-def: $vgpr17
	s_cbranch_execz .LBB478_145
; %bb.29:
	s_sub_i32 s39, s22, s16
	v_mov_b32_e32 v15, 0
	v_mov_b32_e32 v1, 0
	v_cmp_gt_u32_e32 vcc, s39, v0
	v_mov_b32_e32 v24, 0
	v_mov_b32_e32 v16, 0
	;; [unrolled: 1-line block ×4, first 2 shown]
	s_and_saveexec_b64 s[0:1], vcc
	s_cbranch_execz .LBB478_31
; %bb.30:
	v_lshlrev_b32_e32 v1, 3, v0
	global_load_dwordx2 v[3:4], v1, s[30:31]
	s_waitcnt lgkmcnt(0)
	global_load_dwordx2 v[5:6], v1, s[34:35]
	v_mov_b32_e32 v2, s41
	v_add_co_u32_e32 v1, vcc, s40, v0
	v_addc_co_u32_e32 v2, vcc, 0, v2, vcc
	s_waitcnt vmcnt(0)
	v_cmp_ne_u64_e32 vcc, v[3:4], v[5:6]
	v_cndmask_b32_e64 v17, 0, 1, vcc
.LBB478_31:
	s_or_b64 exec, exec, s[0:1]
	v_or_b32_e32 v3, 0x80, v0
	v_cmp_gt_u32_e64 s[14:15], s39, v3
	s_and_saveexec_b64 s[0:1], s[14:15]
	s_cbranch_execz .LBB478_33
; %bb.32:
	v_lshlrev_b32_e32 v8, 3, v0
	s_waitcnt lgkmcnt(1)
	global_load_dwordx2 v[4:5], v8, s[30:31] offset:1024
	s_waitcnt lgkmcnt(0)
	global_load_dwordx2 v[6:7], v8, s[34:35] offset:1024
	v_mov_b32_e32 v8, s41
	v_add_co_u32_e32 v15, vcc, s40, v3
	v_addc_co_u32_e32 v16, vcc, 0, v8, vcc
	s_waitcnt vmcnt(0)
	v_cmp_ne_u64_e32 vcc, v[4:5], v[6:7]
	v_cndmask_b32_e64 v24, 0, 1, vcc
.LBB478_33:
	s_or_b64 exec, exec, s[0:1]
	v_or_b32_e32 v3, 0x100, v0
	v_mov_b32_e32 v11, 0
	v_mov_b32_e32 v13, 0
	v_cmp_gt_u32_e64 s[12:13], s39, v3
	v_mov_b32_e32 v22, 0
	v_mov_b32_e32 v12, 0
	;; [unrolled: 1-line block ×4, first 2 shown]
	s_and_saveexec_b64 s[0:1], s[12:13]
	s_cbranch_execz .LBB478_35
; %bb.34:
	v_lshlrev_b32_e32 v8, 3, v0
	s_waitcnt lgkmcnt(1)
	global_load_dwordx2 v[4:5], v8, s[30:31] offset:2048
	s_waitcnt lgkmcnt(0)
	global_load_dwordx2 v[6:7], v8, s[34:35] offset:2048
	v_mov_b32_e32 v8, s41
	v_add_co_u32_e32 v13, vcc, s40, v3
	v_addc_co_u32_e32 v14, vcc, 0, v8, vcc
	s_waitcnt vmcnt(0)
	v_cmp_ne_u64_e32 vcc, v[4:5], v[6:7]
	v_cndmask_b32_e64 v23, 0, 1, vcc
.LBB478_35:
	s_or_b64 exec, exec, s[0:1]
	v_or_b32_e32 v3, 0x180, v0
	v_cmp_gt_u32_e64 s[10:11], s39, v3
	s_and_saveexec_b64 s[0:1], s[10:11]
	s_cbranch_execz .LBB478_37
; %bb.36:
	v_lshlrev_b32_e32 v8, 3, v0
	s_waitcnt lgkmcnt(1)
	global_load_dwordx2 v[4:5], v8, s[30:31] offset:3072
	s_waitcnt lgkmcnt(0)
	global_load_dwordx2 v[6:7], v8, s[34:35] offset:3072
	v_mov_b32_e32 v8, s41
	v_add_co_u32_e32 v11, vcc, s40, v3
	v_addc_co_u32_e32 v12, vcc, 0, v8, vcc
	s_waitcnt vmcnt(0)
	v_cmp_ne_u64_e32 vcc, v[4:5], v[6:7]
	v_cndmask_b32_e64 v22, 0, 1, vcc
.LBB478_37:
	s_or_b64 exec, exec, s[0:1]
	v_or_b32_e32 v3, 0x200, v0
	v_mov_b32_e32 v7, 0
	v_mov_b32_e32 v9, 0
	v_cmp_gt_u32_e64 s[8:9], s39, v3
	v_mov_b32_e32 v20, 0
	v_mov_b32_e32 v8, 0
	;; [unrolled: 1-line block ×4, first 2 shown]
	s_and_saveexec_b64 s[0:1], s[8:9]
	s_cbranch_execz .LBB478_39
; %bb.38:
	s_waitcnt lgkmcnt(0)
	v_lshlrev_b32_e32 v6, 3, v3
	global_load_dwordx2 v[4:5], v6, s[30:31]
	global_load_dwordx2 v[18:19], v6, s[34:35]
	v_mov_b32_e32 v6, s41
	v_add_co_u32_e32 v9, vcc, s40, v3
	v_addc_co_u32_e32 v10, vcc, 0, v6, vcc
	s_waitcnt vmcnt(0)
	v_cmp_ne_u64_e32 vcc, v[4:5], v[18:19]
	v_cndmask_b32_e64 v21, 0, 1, vcc
.LBB478_39:
	s_or_b64 exec, exec, s[0:1]
	v_or_b32_e32 v3, 0x280, v0
	v_cmp_gt_u32_e64 s[2:3], s39, v3
	s_and_saveexec_b64 s[0:1], s[2:3]
	s_cbranch_execz .LBB478_41
; %bb.40:
	s_waitcnt lgkmcnt(0)
	v_lshlrev_b32_e32 v6, 3, v3
	global_load_dwordx2 v[4:5], v6, s[30:31]
	global_load_dwordx2 v[18:19], v6, s[34:35]
	v_mov_b32_e32 v6, s41
	v_add_co_u32_e32 v7, vcc, s40, v3
	v_addc_co_u32_e32 v8, vcc, 0, v6, vcc
	s_waitcnt vmcnt(0)
	v_cmp_ne_u64_e32 vcc, v[4:5], v[18:19]
	v_cndmask_b32_e64 v20, 0, 1, vcc
.LBB478_41:
	s_or_b64 exec, exec, s[0:1]
	v_or_b32_e32 v25, 0x300, v0
	v_mov_b32_e32 v3, 0
	s_waitcnt lgkmcnt(0)
	v_mov_b32_e32 v5, 0
	v_cmp_gt_u32_e64 s[0:1], s39, v25
	v_mov_b32_e32 v4, 0
	v_mov_b32_e32 v18, 0
	;; [unrolled: 1-line block ×4, first 2 shown]
	s_and_saveexec_b64 s[36:37], s[0:1]
	s_cbranch_execz .LBB478_43
; %bb.42:
	v_lshlrev_b32_e32 v5, 3, v25
	global_load_dwordx2 v[26:27], v5, s[30:31]
	global_load_dwordx2 v[28:29], v5, s[34:35]
	v_mov_b32_e32 v6, s41
	v_add_co_u32_e32 v5, vcc, s40, v25
	v_addc_co_u32_e32 v6, vcc, 0, v6, vcc
	s_waitcnt vmcnt(0)
	v_cmp_ne_u64_e64 s[16:17], v[26:27], v[28:29]
	v_cndmask_b32_e64 v19, 0, 1, s[16:17]
.LBB478_43:
	s_or_b64 exec, exec, s[36:37]
	v_or_b32_e32 v25, 0x380, v0
	v_cmp_gt_u32_e32 vcc, s39, v25
	s_and_saveexec_b64 s[36:37], vcc
	s_cbranch_execnz .LBB478_62
; %bb.44:
	s_or_b64 exec, exec, s[36:37]
	s_and_saveexec_b64 s[30:31], s[14:15]
	s_cbranch_execnz .LBB478_63
.LBB478_45:
	s_or_b64 exec, exec, s[30:31]
	s_and_saveexec_b64 s[16:17], s[12:13]
	s_cbranch_execnz .LBB478_68
.LBB478_46:
	s_or_b64 exec, exec, s[16:17]
	s_and_saveexec_b64 s[14:15], s[10:11]
	s_cbranch_execnz .LBB478_73
.LBB478_47:
	s_or_b64 exec, exec, s[14:15]
	s_and_saveexec_b64 s[12:13], s[8:9]
	s_cbranch_execnz .LBB478_78
.LBB478_48:
	s_or_b64 exec, exec, s[12:13]
	s_and_saveexec_b64 s[10:11], s[2:3]
	s_cbranch_execnz .LBB478_83
.LBB478_49:
	s_or_b64 exec, exec, s[10:11]
	s_and_saveexec_b64 s[8:9], s[0:1]
	s_cbranch_execnz .LBB478_88
.LBB478_50:
	s_or_b64 exec, exec, s[8:9]
	s_and_saveexec_b64 s[2:3], vcc
	s_cbranch_execnz .LBB478_93
	s_branch .LBB478_98
.LBB478_51:
                                        ; implicit-def: $vgpr1_vgpr2
                                        ; implicit-def: $vgpr9
	s_cbranch_execz .LBB478_214
; %bb.52:
	s_sub_i32 s12, s22, s30
	s_waitcnt lgkmcnt(1)
	v_mov_b32_e32 v7, 0
	v_mov_b32_e32 v1, 0
	v_cmp_gt_u32_e32 vcc, s12, v0
	v_mov_b32_e32 v12, 0
	v_mov_b32_e32 v8, 0
	;; [unrolled: 1-line block ×4, first 2 shown]
	s_and_saveexec_b64 s[0:1], vcc
	s_cbranch_execz .LBB478_54
; %bb.53:
	v_lshlrev_b32_e32 v1, 3, v0
	s_waitcnt lgkmcnt(0)
	global_load_dwordx2 v[3:4], v1, s[16:17]
	global_load_dwordx2 v[5:6], v1, s[28:29]
	v_mov_b32_e32 v2, s34
	v_add_co_u32_e32 v1, vcc, s31, v0
	v_addc_co_u32_e32 v2, vcc, 0, v2, vcc
	s_waitcnt vmcnt(0)
	v_cmp_ne_u64_e32 vcc, v[3:4], v[5:6]
	v_cndmask_b32_e64 v9, 0, 1, vcc
.LBB478_54:
	s_or_b64 exec, exec, s[0:1]
	v_or_b32_e32 v3, 0x80, v0
	v_cmp_gt_u32_e64 s[2:3], s12, v3
	s_and_saveexec_b64 s[0:1], s[2:3]
	s_cbranch_execz .LBB478_56
; %bb.55:
	s_waitcnt lgkmcnt(0)
	v_lshlrev_b32_e32 v6, 3, v0
	global_load_dwordx2 v[4:5], v6, s[16:17] offset:1024
	global_load_dwordx2 v[10:11], v6, s[28:29] offset:1024
	v_mov_b32_e32 v6, s34
	v_add_co_u32_e32 v7, vcc, s31, v3
	v_addc_co_u32_e32 v8, vcc, 0, v6, vcc
	s_waitcnt vmcnt(0)
	v_cmp_ne_u64_e32 vcc, v[4:5], v[10:11]
	v_cndmask_b32_e64 v12, 0, 1, vcc
.LBB478_56:
	s_or_b64 exec, exec, s[0:1]
	v_or_b32_e32 v13, 0x100, v0
	s_waitcnt lgkmcnt(0)
	v_mov_b32_e32 v3, 0
	v_mov_b32_e32 v5, 0
	v_cmp_gt_u32_e64 s[0:1], s12, v13
	v_mov_b32_e32 v10, 0
	v_mov_b32_e32 v4, 0
	;; [unrolled: 1-line block ×4, first 2 shown]
	s_and_saveexec_b64 s[8:9], s[0:1]
	s_cbranch_execz .LBB478_58
; %bb.57:
	v_lshlrev_b32_e32 v5, 3, v0
	global_load_dwordx2 v[14:15], v5, s[16:17] offset:2048
	global_load_dwordx2 v[16:17], v5, s[28:29] offset:2048
	v_mov_b32_e32 v6, s34
	v_add_co_u32_e32 v5, vcc, s31, v13
	v_addc_co_u32_e32 v6, vcc, 0, v6, vcc
	s_waitcnt vmcnt(0)
	v_cmp_ne_u64_e32 vcc, v[14:15], v[16:17]
	v_cndmask_b32_e64 v11, 0, 1, vcc
.LBB478_58:
	s_or_b64 exec, exec, s[8:9]
	v_or_b32_e32 v13, 0x180, v0
	v_cmp_gt_u32_e32 vcc, s12, v13
	s_and_saveexec_b64 s[10:11], vcc
	s_cbranch_execnz .LBB478_151
; %bb.59:
	s_or_b64 exec, exec, s[10:11]
	s_and_saveexec_b64 s[10:11], s[2:3]
	s_cbranch_execnz .LBB478_152
.LBB478_60:
	s_or_b64 exec, exec, s[10:11]
	s_and_saveexec_b64 s[8:9], s[0:1]
	s_cbranch_execnz .LBB478_157
.LBB478_61:
	s_or_b64 exec, exec, s[8:9]
	s_and_saveexec_b64 s[2:3], vcc
	s_cbranch_execnz .LBB478_162
	s_branch .LBB478_167
.LBB478_62:
	v_lshlrev_b32_e32 v3, 3, v25
	global_load_dwordx2 v[26:27], v3, s[30:31]
	global_load_dwordx2 v[28:29], v3, s[34:35]
	v_mov_b32_e32 v4, s41
	v_add_co_u32_e64 v3, s[16:17], s40, v25
	v_addc_co_u32_e64 v4, s[16:17], 0, v4, s[16:17]
	s_waitcnt vmcnt(0)
	v_cmp_ne_u64_e64 s[16:17], v[26:27], v[28:29]
	v_cndmask_b32_e64 v18, 0, 1, s[16:17]
	s_or_b64 exec, exec, s[36:37]
	s_and_saveexec_b64 s[30:31], s[14:15]
	s_cbranch_execz .LBB478_45
.LBB478_63:
	v_and_b32_e32 v17, 1, v17
	v_cmp_eq_u32_e64 s[14:15], 1, v17
	v_and_b32_e32 v17, 1, v24
	v_cmp_eq_u32_e64 s[16:17], 1, v17
	s_and_b64 s[16:17], s[14:15], s[16:17]
	s_xor_b64 s[16:17], s[16:17], -1
                                        ; implicit-def: $vgpr17
	s_and_saveexec_b64 s[34:35], s[16:17]
	s_xor_b64 s[16:17], exec, s[34:35]
; %bb.64:
	v_and_b32_e32 v17, 0xffff, v24
	v_cndmask_b32_e64 v17, v17, 1, s[14:15]
	v_cndmask_b32_e64 v2, v16, v2, s[14:15]
	v_cndmask_b32_e64 v1, v15, v1, s[14:15]
                                        ; implicit-def: $vgpr15_vgpr16
; %bb.65:
	s_andn2_saveexec_b64 s[16:17], s[16:17]
; %bb.66:
	v_cmp_lt_i64_e64 s[14:15], v[15:16], v[1:2]
	v_mov_b32_e32 v17, 1
	v_cndmask_b32_e64 v2, v2, v16, s[14:15]
	v_cndmask_b32_e64 v1, v1, v15, s[14:15]
; %bb.67:
	s_or_b64 exec, exec, s[16:17]
	s_or_b64 exec, exec, s[30:31]
	s_and_saveexec_b64 s[16:17], s[12:13]
	s_cbranch_execz .LBB478_46
.LBB478_68:
	v_and_b32_e32 v15, 1, v17
	v_cmp_eq_u32_e64 s[12:13], 1, v15
	v_and_b32_e32 v15, 1, v23
	v_cmp_eq_u32_e64 s[14:15], 1, v15
	s_and_b64 s[14:15], s[12:13], s[14:15]
	s_xor_b64 s[14:15], s[14:15], -1
                                        ; implicit-def: $vgpr17
	s_and_saveexec_b64 s[30:31], s[14:15]
	s_xor_b64 s[14:15], exec, s[30:31]
; %bb.69:
	v_and_b32_e32 v15, 0xffff, v23
	v_cndmask_b32_e64 v17, v15, 1, s[12:13]
	v_cndmask_b32_e64 v2, v14, v2, s[12:13]
	;; [unrolled: 1-line block ×3, first 2 shown]
                                        ; implicit-def: $vgpr13_vgpr14
; %bb.70:
	s_andn2_saveexec_b64 s[14:15], s[14:15]
; %bb.71:
	v_cmp_lt_i64_e64 s[12:13], v[13:14], v[1:2]
	v_mov_b32_e32 v17, 1
	v_cndmask_b32_e64 v2, v2, v14, s[12:13]
	v_cndmask_b32_e64 v1, v1, v13, s[12:13]
; %bb.72:
	s_or_b64 exec, exec, s[14:15]
	s_or_b64 exec, exec, s[16:17]
	s_and_saveexec_b64 s[14:15], s[10:11]
	s_cbranch_execz .LBB478_47
.LBB478_73:
	v_and_b32_e32 v13, 1, v17
	v_cmp_eq_u32_e64 s[10:11], 1, v13
	v_and_b32_e32 v13, 1, v22
	v_cmp_eq_u32_e64 s[12:13], 1, v13
	s_and_b64 s[12:13], s[10:11], s[12:13]
	s_xor_b64 s[12:13], s[12:13], -1
                                        ; implicit-def: $vgpr17
	s_and_saveexec_b64 s[16:17], s[12:13]
	s_xor_b64 s[12:13], exec, s[16:17]
; %bb.74:
	v_and_b32_e32 v13, 0xffff, v22
	v_cndmask_b32_e64 v17, v13, 1, s[10:11]
	v_cndmask_b32_e64 v2, v12, v2, s[10:11]
	v_cndmask_b32_e64 v1, v11, v1, s[10:11]
                                        ; implicit-def: $vgpr11_vgpr12
; %bb.75:
	s_andn2_saveexec_b64 s[12:13], s[12:13]
; %bb.76:
	v_cmp_lt_i64_e64 s[10:11], v[11:12], v[1:2]
	v_mov_b32_e32 v17, 1
	v_cndmask_b32_e64 v2, v2, v12, s[10:11]
	v_cndmask_b32_e64 v1, v1, v11, s[10:11]
; %bb.77:
	s_or_b64 exec, exec, s[12:13]
	s_or_b64 exec, exec, s[14:15]
	s_and_saveexec_b64 s[12:13], s[8:9]
	s_cbranch_execz .LBB478_48
.LBB478_78:
	v_and_b32_e32 v11, 1, v17
	v_cmp_eq_u32_e64 s[8:9], 1, v11
	v_and_b32_e32 v11, 1, v21
	v_cmp_eq_u32_e64 s[10:11], 1, v11
	s_and_b64 s[10:11], s[8:9], s[10:11]
	s_xor_b64 s[10:11], s[10:11], -1
                                        ; implicit-def: $vgpr17
	s_and_saveexec_b64 s[14:15], s[10:11]
	s_xor_b64 s[10:11], exec, s[14:15]
; %bb.79:
	v_and_b32_e32 v11, 0xffff, v21
	v_cndmask_b32_e64 v17, v11, 1, s[8:9]
	v_cndmask_b32_e64 v2, v10, v2, s[8:9]
	;; [unrolled: 1-line block ×3, first 2 shown]
                                        ; implicit-def: $vgpr9_vgpr10
; %bb.80:
	s_andn2_saveexec_b64 s[10:11], s[10:11]
; %bb.81:
	v_cmp_lt_i64_e64 s[8:9], v[9:10], v[1:2]
	v_mov_b32_e32 v17, 1
	v_cndmask_b32_e64 v2, v2, v10, s[8:9]
	v_cndmask_b32_e64 v1, v1, v9, s[8:9]
; %bb.82:
	s_or_b64 exec, exec, s[10:11]
	s_or_b64 exec, exec, s[12:13]
	s_and_saveexec_b64 s[10:11], s[2:3]
	s_cbranch_execz .LBB478_49
.LBB478_83:
	v_and_b32_e32 v9, 1, v17
	v_cmp_eq_u32_e64 s[2:3], 1, v9
	v_and_b32_e32 v9, 1, v20
	v_cmp_eq_u32_e64 s[8:9], 1, v9
	s_and_b64 s[8:9], s[2:3], s[8:9]
	s_xor_b64 s[8:9], s[8:9], -1
                                        ; implicit-def: $vgpr17
	s_and_saveexec_b64 s[12:13], s[8:9]
	s_xor_b64 s[8:9], exec, s[12:13]
; %bb.84:
	v_and_b32_e32 v9, 0xffff, v20
	v_cndmask_b32_e64 v17, v9, 1, s[2:3]
	v_cndmask_b32_e64 v2, v8, v2, s[2:3]
	;; [unrolled: 1-line block ×3, first 2 shown]
                                        ; implicit-def: $vgpr7_vgpr8
; %bb.85:
	s_andn2_saveexec_b64 s[8:9], s[8:9]
; %bb.86:
	v_cmp_lt_i64_e64 s[2:3], v[7:8], v[1:2]
	v_mov_b32_e32 v17, 1
	v_cndmask_b32_e64 v2, v2, v8, s[2:3]
	v_cndmask_b32_e64 v1, v1, v7, s[2:3]
; %bb.87:
	s_or_b64 exec, exec, s[8:9]
	s_or_b64 exec, exec, s[10:11]
	s_and_saveexec_b64 s[8:9], s[0:1]
	s_cbranch_execz .LBB478_50
.LBB478_88:
	v_and_b32_e32 v7, 1, v17
	v_cmp_eq_u32_e64 s[0:1], 1, v7
	v_and_b32_e32 v7, 1, v19
	v_cmp_eq_u32_e64 s[2:3], 1, v7
	s_and_b64 s[2:3], s[0:1], s[2:3]
	s_xor_b64 s[2:3], s[2:3], -1
                                        ; implicit-def: $vgpr17
	s_and_saveexec_b64 s[10:11], s[2:3]
	s_xor_b64 s[2:3], exec, s[10:11]
; %bb.89:
	v_and_b32_e32 v7, 0xffff, v19
	v_cndmask_b32_e64 v17, v7, 1, s[0:1]
	v_cndmask_b32_e64 v2, v6, v2, s[0:1]
	;; [unrolled: 1-line block ×3, first 2 shown]
                                        ; implicit-def: $vgpr5_vgpr6
; %bb.90:
	s_andn2_saveexec_b64 s[2:3], s[2:3]
; %bb.91:
	v_cmp_lt_i64_e64 s[0:1], v[5:6], v[1:2]
	v_mov_b32_e32 v17, 1
	v_cndmask_b32_e64 v2, v2, v6, s[0:1]
	v_cndmask_b32_e64 v1, v1, v5, s[0:1]
; %bb.92:
	s_or_b64 exec, exec, s[2:3]
	s_or_b64 exec, exec, s[8:9]
	s_and_saveexec_b64 s[2:3], vcc
	s_cbranch_execz .LBB478_98
.LBB478_93:
	v_and_b32_e32 v5, 1, v17
	v_cmp_eq_u32_e32 vcc, 1, v5
	v_and_b32_e32 v5, 1, v18
	v_cmp_eq_u32_e64 s[0:1], 1, v5
	s_and_b64 s[0:1], vcc, s[0:1]
	s_xor_b64 s[0:1], s[0:1], -1
                                        ; implicit-def: $vgpr17
	s_and_saveexec_b64 s[8:9], s[0:1]
	s_xor_b64 s[0:1], exec, s[8:9]
; %bb.94:
	v_and_b32_e32 v5, 0xffff, v18
	v_cndmask_b32_e64 v17, v5, 1, vcc
	v_cndmask_b32_e32 v2, v4, v2, vcc
	v_cndmask_b32_e32 v1, v3, v1, vcc
                                        ; implicit-def: $vgpr3_vgpr4
; %bb.95:
	s_andn2_saveexec_b64 s[0:1], s[0:1]
; %bb.96:
	v_cmp_lt_i64_e32 vcc, v[3:4], v[1:2]
	v_mov_b32_e32 v17, 1
	v_cndmask_b32_e32 v2, v2, v4, vcc
	v_cndmask_b32_e32 v1, v1, v3, vcc
; %bb.97:
	s_or_b64 exec, exec, s[0:1]
.LBB478_98:
	s_or_b64 exec, exec, s[2:3]
	v_mbcnt_lo_u32_b32 v3, -1, 0
	v_mbcnt_hi_u32_b32 v5, -1, v3
	v_and_b32_e32 v6, 63, v5
	v_cmp_ne_u32_e32 vcc, 63, v6
	v_addc_co_u32_e32 v3, vcc, 0, v5, vcc
	v_lshlrev_b32_e32 v4, 2, v3
	ds_bpermute_b32 v8, v4, v17
	ds_bpermute_b32 v3, v4, v1
	;; [unrolled: 1-line block ×3, first 2 shown]
	s_min_u32 s8, s39, 0x80
	v_and_b32_e32 v7, 64, v0
	v_sub_u32_e64 v7, s8, v7 clamp
	v_add_u32_e32 v9, 1, v6
	v_cmp_lt_u32_e32 vcc, v9, v7
	s_and_saveexec_b64 s[0:1], vcc
	s_xor_b64 s[0:1], exec, s[0:1]
	s_cbranch_execz .LBB478_104
; %bb.99:
	s_waitcnt lgkmcnt(2)
	v_and_b32_e32 v9, v8, v17
	v_cmp_ne_u32_e32 vcc, 0, v9
	s_and_saveexec_b64 s[2:3], vcc
	s_xor_b64 s[2:3], exec, s[2:3]
	s_cbranch_execz .LBB478_101
; %bb.100:
	s_waitcnt lgkmcnt(0)
	v_cmp_lt_i64_e32 vcc, v[3:4], v[1:2]
                                        ; implicit-def: $vgpr17
                                        ; implicit-def: $vgpr8
	v_cndmask_b32_e32 v2, v2, v4, vcc
	v_cndmask_b32_e32 v1, v1, v3, vcc
                                        ; implicit-def: $vgpr3_vgpr4
.LBB478_101:
	s_or_saveexec_b64 s[2:3], s[2:3]
	v_mov_b32_e32 v9, 1
	s_xor_b64 exec, exec, s[2:3]
	s_cbranch_execz .LBB478_103
; %bb.102:
	v_and_b32_e32 v9, 1, v17
	v_cmp_eq_u32_e32 vcc, 1, v9
	s_waitcnt lgkmcnt(1)
	v_cndmask_b32_e32 v1, v3, v1, vcc
	v_and_b32_e32 v3, 0xff, v8
	s_waitcnt lgkmcnt(0)
	v_cndmask_b32_e32 v2, v4, v2, vcc
	v_cndmask_b32_e64 v9, v3, 1, vcc
.LBB478_103:
	s_or_b64 exec, exec, s[2:3]
	v_mov_b32_e32 v17, v9
.LBB478_104:
	s_or_b64 exec, exec, s[0:1]
	v_cmp_gt_u32_e32 vcc, 62, v6
	s_waitcnt lgkmcnt(1)
	v_cndmask_b32_e64 v3, 0, 2, vcc
	s_waitcnt lgkmcnt(0)
	v_add_lshl_u32 v4, v3, v5, 2
	ds_bpermute_b32 v8, v4, v17
	ds_bpermute_b32 v3, v4, v1
	ds_bpermute_b32 v4, v4, v2
	v_add_u32_e32 v9, 2, v6
	v_cmp_lt_u32_e32 vcc, v9, v7
	s_and_saveexec_b64 s[0:1], vcc
	s_cbranch_execz .LBB478_110
; %bb.105:
	s_waitcnt lgkmcnt(2)
	v_and_b32_e32 v9, v17, v8
	v_and_b32_e32 v9, 1, v9
	v_cmp_eq_u32_e32 vcc, 1, v9
	s_and_saveexec_b64 s[2:3], vcc
	s_xor_b64 s[2:3], exec, s[2:3]
	s_cbranch_execz .LBB478_107
; %bb.106:
	s_waitcnt lgkmcnt(0)
	v_cmp_lt_i64_e32 vcc, v[3:4], v[1:2]
                                        ; implicit-def: $vgpr17
                                        ; implicit-def: $vgpr8
	v_cndmask_b32_e32 v2, v2, v4, vcc
	v_cndmask_b32_e32 v1, v1, v3, vcc
                                        ; implicit-def: $vgpr3_vgpr4
.LBB478_107:
	s_or_saveexec_b64 s[2:3], s[2:3]
	v_mov_b32_e32 v9, 1
	s_xor_b64 exec, exec, s[2:3]
	s_cbranch_execz .LBB478_109
; %bb.108:
	v_and_b32_e32 v9, 1, v17
	v_cmp_eq_u32_e32 vcc, 1, v9
	s_waitcnt lgkmcnt(1)
	v_cndmask_b32_e32 v1, v3, v1, vcc
	v_and_b32_e32 v3, 0xff, v8
	s_waitcnt lgkmcnt(0)
	v_cndmask_b32_e32 v2, v4, v2, vcc
	v_cndmask_b32_e64 v9, v3, 1, vcc
.LBB478_109:
	s_or_b64 exec, exec, s[2:3]
	v_mov_b32_e32 v17, v9
.LBB478_110:
	s_or_b64 exec, exec, s[0:1]
	v_cmp_gt_u32_e32 vcc, 60, v6
	s_waitcnt lgkmcnt(1)
	v_cndmask_b32_e64 v3, 0, 4, vcc
	s_waitcnt lgkmcnt(0)
	v_add_lshl_u32 v4, v3, v5, 2
	ds_bpermute_b32 v8, v4, v17
	ds_bpermute_b32 v3, v4, v1
	ds_bpermute_b32 v4, v4, v2
	v_add_u32_e32 v9, 4, v6
	v_cmp_lt_u32_e32 vcc, v9, v7
	s_and_saveexec_b64 s[0:1], vcc
	s_cbranch_execz .LBB478_116
; %bb.111:
	s_waitcnt lgkmcnt(2)
	v_and_b32_e32 v9, v17, v8
	v_and_b32_e32 v9, 1, v9
	v_cmp_eq_u32_e32 vcc, 1, v9
	s_and_saveexec_b64 s[2:3], vcc
	s_xor_b64 s[2:3], exec, s[2:3]
	s_cbranch_execz .LBB478_113
; %bb.112:
	s_waitcnt lgkmcnt(0)
	v_cmp_lt_i64_e32 vcc, v[3:4], v[1:2]
                                        ; implicit-def: $vgpr17
                                        ; implicit-def: $vgpr8
	v_cndmask_b32_e32 v2, v2, v4, vcc
	v_cndmask_b32_e32 v1, v1, v3, vcc
                                        ; implicit-def: $vgpr3_vgpr4
.LBB478_113:
	s_or_saveexec_b64 s[2:3], s[2:3]
	v_mov_b32_e32 v9, 1
	s_xor_b64 exec, exec, s[2:3]
	s_cbranch_execz .LBB478_115
; %bb.114:
	v_and_b32_e32 v9, 1, v17
	v_cmp_eq_u32_e32 vcc, 1, v9
	s_waitcnt lgkmcnt(1)
	v_cndmask_b32_e32 v1, v3, v1, vcc
	v_and_b32_e32 v3, 0xff, v8
	s_waitcnt lgkmcnt(0)
	v_cndmask_b32_e32 v2, v4, v2, vcc
	v_cndmask_b32_e64 v9, v3, 1, vcc
.LBB478_115:
	s_or_b64 exec, exec, s[2:3]
	v_mov_b32_e32 v17, v9
.LBB478_116:
	;; [unrolled: 47-line block ×4, first 2 shown]
	s_or_b64 exec, exec, s[0:1]
	s_waitcnt lgkmcnt(2)
	v_lshlrev_b32_e32 v8, 2, v5
	s_waitcnt lgkmcnt(0)
	v_or_b32_e32 v4, 0x80, v8
	ds_bpermute_b32 v9, v4, v17
	ds_bpermute_b32 v3, v4, v1
	;; [unrolled: 1-line block ×3, first 2 shown]
	v_add_u32_e32 v6, 32, v6
	v_cmp_lt_u32_e32 vcc, v6, v7
	v_mov_b32_e32 v6, v17
	s_and_saveexec_b64 s[0:1], vcc
	s_cbranch_execz .LBB478_134
; %bb.129:
	s_waitcnt lgkmcnt(2)
	v_and_b32_e32 v6, v17, v9
	v_and_b32_e32 v6, 1, v6
	v_cmp_eq_u32_e32 vcc, 1, v6
	s_and_saveexec_b64 s[2:3], vcc
	s_xor_b64 s[2:3], exec, s[2:3]
	s_cbranch_execz .LBB478_131
; %bb.130:
	s_waitcnt lgkmcnt(0)
	v_cmp_lt_i64_e32 vcc, v[3:4], v[1:2]
                                        ; implicit-def: $vgpr17
                                        ; implicit-def: $vgpr9
	v_cndmask_b32_e32 v2, v2, v4, vcc
	v_cndmask_b32_e32 v1, v1, v3, vcc
                                        ; implicit-def: $vgpr3_vgpr4
.LBB478_131:
	s_or_saveexec_b64 s[2:3], s[2:3]
	v_mov_b32_e32 v6, 1
	s_xor_b64 exec, exec, s[2:3]
	s_cbranch_execz .LBB478_133
; %bb.132:
	v_and_b32_e32 v6, 1, v17
	v_cmp_eq_u32_e32 vcc, 1, v6
	v_cndmask_b32_e64 v6, v9, 1, vcc
	s_waitcnt lgkmcnt(0)
	v_cndmask_b32_e32 v2, v4, v2, vcc
	v_cndmask_b32_e32 v1, v3, v1, vcc
.LBB478_133:
	s_or_b64 exec, exec, s[2:3]
	v_and_b32_e32 v17, 0xff, v6
.LBB478_134:
	s_or_b64 exec, exec, s[0:1]
	v_cmp_eq_u32_e32 vcc, 0, v5
	s_and_saveexec_b64 s[0:1], vcc
	s_cbranch_execz .LBB478_136
; %bb.135:
	s_waitcnt lgkmcnt(1)
	v_lshrrev_b32_e32 v3, 2, v0
	v_and_b32_e32 v3, 16, v3
	ds_write_b8 v3, v6 offset:128
	ds_write_b64 v3, v[1:2] offset:136
.LBB478_136:
	s_or_b64 exec, exec, s[0:1]
	v_cmp_gt_u32_e32 vcc, 2, v0
	s_waitcnt lgkmcnt(0)
	s_barrier
	s_and_saveexec_b64 s[0:1], vcc
	s_cbranch_execz .LBB478_144
; %bb.137:
	v_lshlrev_b32_e32 v1, 4, v5
	ds_read_u8 v6, v1 offset:128
	ds_read_b64 v[1:2], v1 offset:136
	v_or_b32_e32 v4, 4, v8
	s_add_i32 s8, s8, 63
	v_and_b32_e32 v5, 1, v5
	s_waitcnt lgkmcnt(1)
	v_and_b32_e32 v17, 0xff, v6
	s_waitcnt lgkmcnt(0)
	ds_bpermute_b32 v3, v4, v1
	ds_bpermute_b32 v7, v4, v17
	;; [unrolled: 1-line block ×3, first 2 shown]
	s_lshr_b32 s2, s8, 6
	v_add_u32_e32 v5, 1, v5
	v_cmp_gt_u32_e32 vcc, s2, v5
	s_and_saveexec_b64 s[2:3], vcc
	s_cbranch_execz .LBB478_143
; %bb.138:
	s_waitcnt lgkmcnt(1)
	v_and_b32_e32 v5, v17, v7
	v_and_b32_e32 v5, 1, v5
	v_cmp_eq_u32_e32 vcc, 1, v5
	s_and_saveexec_b64 s[8:9], vcc
	s_xor_b64 s[8:9], exec, s[8:9]
	s_cbranch_execz .LBB478_140
; %bb.139:
	s_waitcnt lgkmcnt(0)
	v_cmp_lt_i64_e32 vcc, v[3:4], v[1:2]
                                        ; implicit-def: $vgpr6
                                        ; implicit-def: $vgpr7
	v_cndmask_b32_e32 v2, v2, v4, vcc
	v_cndmask_b32_e32 v1, v1, v3, vcc
                                        ; implicit-def: $vgpr3_vgpr4
.LBB478_140:
	s_or_saveexec_b64 s[8:9], s[8:9]
	v_mov_b32_e32 v17, 1
	s_xor_b64 exec, exec, s[8:9]
	s_cbranch_execz .LBB478_142
; %bb.141:
	v_and_b32_e32 v5, 1, v6
	v_cmp_eq_u32_e32 vcc, 1, v5
	s_waitcnt lgkmcnt(0)
	v_cndmask_b32_e32 v2, v4, v2, vcc
	v_cndmask_b32_e32 v1, v3, v1, vcc
	v_cndmask_b32_e64 v17, v7, 1, vcc
.LBB478_142:
	s_or_b64 exec, exec, s[8:9]
.LBB478_143:
	s_or_b64 exec, exec, s[2:3]
.LBB478_144:
	s_or_b64 exec, exec, s[0:1]
.LBB478_145:
	v_cmp_eq_u32_e32 vcc, 0, v0
	s_mov_b64 s[14:15], 0
                                        ; implicit-def: $vgpr3_vgpr4
                                        ; implicit-def: $vgpr5
	s_and_saveexec_b64 s[0:1], vcc
	s_xor_b64 s[8:9], exec, s[0:1]
	s_cbranch_execz .LBB478_149
; %bb.146:
	s_waitcnt lgkmcnt(0)
	v_mov_b32_e32 v3, s18
	s_cmp_eq_u64 s[22:23], 0
	v_mov_b32_e32 v4, s19
	v_mov_b32_e32 v5, s33
	s_cbranch_scc1 .LBB478_148
; %bb.147:
	v_and_b32_e32 v3, 1, v17
	v_cmp_gt_i64_e64 s[0:1], s[18:19], v[1:2]
	s_bitcmp1_b32 s33, 0
	v_cmp_eq_u32_e32 vcc, 1, v3
	s_cselect_b64 s[2:3], -1, 0
	v_mov_b32_e32 v3, s18
	s_and_b64 vcc, vcc, s[0:1]
	v_mov_b32_e32 v4, s19
	v_cndmask_b32_e32 v3, v3, v1, vcc
	v_cndmask_b32_e32 v4, v4, v2, vcc
	v_cndmask_b32_e64 v5, v17, 1, s[2:3]
	v_cndmask_b32_e64 v4, v2, v4, s[2:3]
	;; [unrolled: 1-line block ×3, first 2 shown]
.LBB478_148:
	s_mov_b64 s[14:15], exec
.LBB478_149:
	s_or_b64 exec, exec, s[8:9]
	v_mov_b32_e32 v1, s6
	v_mov_b32_e32 v2, s7
	s_and_b64 vcc, exec, s[28:29]
	s_cbranch_vccnz .LBB478_16
.LBB478_150:
	s_branch .LBB478_306
.LBB478_151:
	v_lshlrev_b32_e32 v3, 3, v0
	global_load_dwordx2 v[14:15], v3, s[16:17] offset:3072
	global_load_dwordx2 v[16:17], v3, s[28:29] offset:3072
	v_mov_b32_e32 v4, s34
	v_add_co_u32_e64 v3, s[8:9], s31, v13
	v_addc_co_u32_e64 v4, s[8:9], 0, v4, s[8:9]
	s_waitcnt vmcnt(0)
	v_cmp_ne_u64_e64 s[8:9], v[14:15], v[16:17]
	v_cndmask_b32_e64 v10, 0, 1, s[8:9]
	s_or_b64 exec, exec, s[10:11]
	s_and_saveexec_b64 s[10:11], s[2:3]
	s_cbranch_execz .LBB478_60
.LBB478_152:
	v_and_b32_e32 v9, 1, v9
	v_cmp_eq_u32_e64 s[2:3], 1, v9
	v_and_b32_e32 v9, 1, v12
	v_cmp_eq_u32_e64 s[8:9], 1, v9
	s_and_b64 s[8:9], s[2:3], s[8:9]
	s_xor_b64 s[8:9], s[8:9], -1
                                        ; implicit-def: $vgpr9
	s_and_saveexec_b64 s[16:17], s[8:9]
	s_xor_b64 s[8:9], exec, s[16:17]
; %bb.153:
	v_and_b32_e32 v9, 0xffff, v12
	v_cndmask_b32_e64 v9, v9, 1, s[2:3]
	v_cndmask_b32_e64 v2, v8, v2, s[2:3]
	;; [unrolled: 1-line block ×3, first 2 shown]
                                        ; implicit-def: $vgpr7_vgpr8
; %bb.154:
	s_andn2_saveexec_b64 s[8:9], s[8:9]
; %bb.155:
	v_cmp_lt_i64_e64 s[2:3], v[7:8], v[1:2]
	v_mov_b32_e32 v9, 1
	v_cndmask_b32_e64 v2, v2, v8, s[2:3]
	v_cndmask_b32_e64 v1, v1, v7, s[2:3]
; %bb.156:
	s_or_b64 exec, exec, s[8:9]
	s_or_b64 exec, exec, s[10:11]
	s_and_saveexec_b64 s[8:9], s[0:1]
	s_cbranch_execz .LBB478_61
.LBB478_157:
	v_and_b32_e32 v7, 1, v9
	v_cmp_eq_u32_e64 s[0:1], 1, v7
	v_and_b32_e32 v7, 1, v11
	v_cmp_eq_u32_e64 s[2:3], 1, v7
	s_and_b64 s[2:3], s[0:1], s[2:3]
	s_xor_b64 s[2:3], s[2:3], -1
                                        ; implicit-def: $vgpr9
	s_and_saveexec_b64 s[10:11], s[2:3]
	s_xor_b64 s[2:3], exec, s[10:11]
; %bb.158:
	v_and_b32_e32 v7, 0xffff, v11
	v_cndmask_b32_e64 v9, v7, 1, s[0:1]
	v_cndmask_b32_e64 v2, v6, v2, s[0:1]
	v_cndmask_b32_e64 v1, v5, v1, s[0:1]
                                        ; implicit-def: $vgpr5_vgpr6
; %bb.159:
	s_andn2_saveexec_b64 s[2:3], s[2:3]
; %bb.160:
	v_cmp_lt_i64_e64 s[0:1], v[5:6], v[1:2]
	v_mov_b32_e32 v9, 1
	v_cndmask_b32_e64 v2, v2, v6, s[0:1]
	v_cndmask_b32_e64 v1, v1, v5, s[0:1]
; %bb.161:
	s_or_b64 exec, exec, s[2:3]
	s_or_b64 exec, exec, s[8:9]
	s_and_saveexec_b64 s[2:3], vcc
	s_cbranch_execz .LBB478_167
.LBB478_162:
	v_and_b32_e32 v5, 1, v9
	v_cmp_eq_u32_e32 vcc, 1, v5
	v_and_b32_e32 v5, 1, v10
	v_cmp_eq_u32_e64 s[0:1], 1, v5
	s_and_b64 s[0:1], vcc, s[0:1]
	s_xor_b64 s[0:1], s[0:1], -1
                                        ; implicit-def: $vgpr9
	s_and_saveexec_b64 s[8:9], s[0:1]
	s_xor_b64 s[0:1], exec, s[8:9]
; %bb.163:
	v_and_b32_e32 v5, 0xffff, v10
	v_cndmask_b32_e64 v9, v5, 1, vcc
	v_cndmask_b32_e32 v2, v4, v2, vcc
	v_cndmask_b32_e32 v1, v3, v1, vcc
                                        ; implicit-def: $vgpr3_vgpr4
; %bb.164:
	s_andn2_saveexec_b64 s[0:1], s[0:1]
; %bb.165:
	v_cmp_lt_i64_e32 vcc, v[3:4], v[1:2]
	v_mov_b32_e32 v9, 1
	v_cndmask_b32_e32 v2, v2, v4, vcc
	v_cndmask_b32_e32 v1, v1, v3, vcc
; %bb.166:
	s_or_b64 exec, exec, s[0:1]
.LBB478_167:
	s_or_b64 exec, exec, s[2:3]
	v_mbcnt_lo_u32_b32 v3, -1, 0
	v_mbcnt_hi_u32_b32 v5, -1, v3
	v_and_b32_e32 v6, 63, v5
	v_cmp_ne_u32_e32 vcc, 63, v6
	v_addc_co_u32_e32 v3, vcc, 0, v5, vcc
	v_lshlrev_b32_e32 v4, 2, v3
	ds_bpermute_b32 v8, v4, v9
	ds_bpermute_b32 v3, v4, v1
	ds_bpermute_b32 v4, v4, v2
	s_min_u32 s8, s12, 0x80
	v_and_b32_e32 v7, 64, v0
	v_sub_u32_e64 v7, s8, v7 clamp
	v_add_u32_e32 v10, 1, v6
	v_cmp_lt_u32_e32 vcc, v10, v7
	s_and_saveexec_b64 s[0:1], vcc
	s_xor_b64 s[0:1], exec, s[0:1]
	s_cbranch_execz .LBB478_173
; %bb.168:
	s_waitcnt lgkmcnt(2)
	v_and_b32_e32 v10, v8, v9
	v_cmp_ne_u32_e32 vcc, 0, v10
	s_and_saveexec_b64 s[2:3], vcc
	s_xor_b64 s[2:3], exec, s[2:3]
	s_cbranch_execz .LBB478_170
; %bb.169:
	s_waitcnt lgkmcnt(0)
	v_cmp_lt_i64_e32 vcc, v[3:4], v[1:2]
                                        ; implicit-def: $vgpr9
                                        ; implicit-def: $vgpr8
	v_cndmask_b32_e32 v2, v2, v4, vcc
	v_cndmask_b32_e32 v1, v1, v3, vcc
                                        ; implicit-def: $vgpr3_vgpr4
.LBB478_170:
	s_or_saveexec_b64 s[2:3], s[2:3]
	v_mov_b32_e32 v10, 1
	s_xor_b64 exec, exec, s[2:3]
	s_cbranch_execz .LBB478_172
; %bb.171:
	v_and_b32_e32 v9, 1, v9
	v_cmp_eq_u32_e32 vcc, 1, v9
	s_waitcnt lgkmcnt(1)
	v_cndmask_b32_e32 v1, v3, v1, vcc
	v_and_b32_e32 v3, 0xff, v8
	s_waitcnt lgkmcnt(0)
	v_cndmask_b32_e32 v2, v4, v2, vcc
	v_cndmask_b32_e64 v10, v3, 1, vcc
.LBB478_172:
	s_or_b64 exec, exec, s[2:3]
	v_mov_b32_e32 v9, v10
.LBB478_173:
	s_or_b64 exec, exec, s[0:1]
	v_cmp_gt_u32_e32 vcc, 62, v6
	s_waitcnt lgkmcnt(1)
	v_cndmask_b32_e64 v3, 0, 2, vcc
	s_waitcnt lgkmcnt(0)
	v_add_lshl_u32 v4, v3, v5, 2
	ds_bpermute_b32 v8, v4, v9
	ds_bpermute_b32 v3, v4, v1
	ds_bpermute_b32 v4, v4, v2
	v_add_u32_e32 v10, 2, v6
	v_cmp_lt_u32_e32 vcc, v10, v7
	s_and_saveexec_b64 s[0:1], vcc
	s_cbranch_execz .LBB478_179
; %bb.174:
	s_waitcnt lgkmcnt(2)
	v_and_b32_e32 v10, v9, v8
	v_and_b32_e32 v10, 1, v10
	v_cmp_eq_u32_e32 vcc, 1, v10
	s_and_saveexec_b64 s[2:3], vcc
	s_xor_b64 s[2:3], exec, s[2:3]
	s_cbranch_execz .LBB478_176
; %bb.175:
	s_waitcnt lgkmcnt(0)
	v_cmp_lt_i64_e32 vcc, v[3:4], v[1:2]
                                        ; implicit-def: $vgpr9
                                        ; implicit-def: $vgpr8
	v_cndmask_b32_e32 v2, v2, v4, vcc
	v_cndmask_b32_e32 v1, v1, v3, vcc
                                        ; implicit-def: $vgpr3_vgpr4
.LBB478_176:
	s_or_saveexec_b64 s[2:3], s[2:3]
	v_mov_b32_e32 v10, 1
	s_xor_b64 exec, exec, s[2:3]
	s_cbranch_execz .LBB478_178
; %bb.177:
	v_and_b32_e32 v9, 1, v9
	v_cmp_eq_u32_e32 vcc, 1, v9
	s_waitcnt lgkmcnt(1)
	v_cndmask_b32_e32 v1, v3, v1, vcc
	v_and_b32_e32 v3, 0xff, v8
	s_waitcnt lgkmcnt(0)
	v_cndmask_b32_e32 v2, v4, v2, vcc
	v_cndmask_b32_e64 v10, v3, 1, vcc
.LBB478_178:
	s_or_b64 exec, exec, s[2:3]
	v_mov_b32_e32 v9, v10
.LBB478_179:
	s_or_b64 exec, exec, s[0:1]
	v_cmp_gt_u32_e32 vcc, 60, v6
	s_waitcnt lgkmcnt(1)
	v_cndmask_b32_e64 v3, 0, 4, vcc
	s_waitcnt lgkmcnt(0)
	v_add_lshl_u32 v4, v3, v5, 2
	ds_bpermute_b32 v8, v4, v9
	ds_bpermute_b32 v3, v4, v1
	ds_bpermute_b32 v4, v4, v2
	v_add_u32_e32 v10, 4, v6
	v_cmp_lt_u32_e32 vcc, v10, v7
	s_and_saveexec_b64 s[0:1], vcc
	s_cbranch_execz .LBB478_185
; %bb.180:
	s_waitcnt lgkmcnt(2)
	v_and_b32_e32 v10, v9, v8
	v_and_b32_e32 v10, 1, v10
	v_cmp_eq_u32_e32 vcc, 1, v10
	s_and_saveexec_b64 s[2:3], vcc
	s_xor_b64 s[2:3], exec, s[2:3]
	s_cbranch_execz .LBB478_182
; %bb.181:
	s_waitcnt lgkmcnt(0)
	v_cmp_lt_i64_e32 vcc, v[3:4], v[1:2]
                                        ; implicit-def: $vgpr9
                                        ; implicit-def: $vgpr8
	v_cndmask_b32_e32 v2, v2, v4, vcc
	v_cndmask_b32_e32 v1, v1, v3, vcc
                                        ; implicit-def: $vgpr3_vgpr4
.LBB478_182:
	s_or_saveexec_b64 s[2:3], s[2:3]
	v_mov_b32_e32 v10, 1
	s_xor_b64 exec, exec, s[2:3]
	s_cbranch_execz .LBB478_184
; %bb.183:
	v_and_b32_e32 v9, 1, v9
	v_cmp_eq_u32_e32 vcc, 1, v9
	s_waitcnt lgkmcnt(1)
	v_cndmask_b32_e32 v1, v3, v1, vcc
	v_and_b32_e32 v3, 0xff, v8
	s_waitcnt lgkmcnt(0)
	v_cndmask_b32_e32 v2, v4, v2, vcc
	v_cndmask_b32_e64 v10, v3, 1, vcc
.LBB478_184:
	s_or_b64 exec, exec, s[2:3]
	v_mov_b32_e32 v9, v10
.LBB478_185:
	;; [unrolled: 47-line block ×4, first 2 shown]
	s_or_b64 exec, exec, s[0:1]
	s_waitcnt lgkmcnt(2)
	v_lshlrev_b32_e32 v8, 2, v5
	s_waitcnt lgkmcnt(0)
	v_or_b32_e32 v4, 0x80, v8
	ds_bpermute_b32 v10, v4, v9
	ds_bpermute_b32 v3, v4, v1
	;; [unrolled: 1-line block ×3, first 2 shown]
	v_add_u32_e32 v6, 32, v6
	v_cmp_lt_u32_e32 vcc, v6, v7
	v_mov_b32_e32 v6, v9
	s_and_saveexec_b64 s[0:1], vcc
	s_cbranch_execz .LBB478_203
; %bb.198:
	s_waitcnt lgkmcnt(2)
	v_and_b32_e32 v6, v9, v10
	v_and_b32_e32 v6, 1, v6
	v_cmp_eq_u32_e32 vcc, 1, v6
	s_and_saveexec_b64 s[2:3], vcc
	s_xor_b64 s[2:3], exec, s[2:3]
	s_cbranch_execz .LBB478_200
; %bb.199:
	s_waitcnt lgkmcnt(0)
	v_cmp_lt_i64_e32 vcc, v[3:4], v[1:2]
                                        ; implicit-def: $vgpr9
                                        ; implicit-def: $vgpr10
	v_cndmask_b32_e32 v2, v2, v4, vcc
	v_cndmask_b32_e32 v1, v1, v3, vcc
                                        ; implicit-def: $vgpr3_vgpr4
.LBB478_200:
	s_or_saveexec_b64 s[2:3], s[2:3]
	v_mov_b32_e32 v6, 1
	s_xor_b64 exec, exec, s[2:3]
	s_cbranch_execz .LBB478_202
; %bb.201:
	v_and_b32_e32 v6, 1, v9
	v_cmp_eq_u32_e32 vcc, 1, v6
	v_cndmask_b32_e64 v6, v10, 1, vcc
	s_waitcnt lgkmcnt(0)
	v_cndmask_b32_e32 v2, v4, v2, vcc
	v_cndmask_b32_e32 v1, v3, v1, vcc
.LBB478_202:
	s_or_b64 exec, exec, s[2:3]
	v_and_b32_e32 v9, 0xff, v6
.LBB478_203:
	s_or_b64 exec, exec, s[0:1]
	v_cmp_eq_u32_e32 vcc, 0, v5
	s_and_saveexec_b64 s[0:1], vcc
	s_cbranch_execz .LBB478_205
; %bb.204:
	s_waitcnt lgkmcnt(1)
	v_lshrrev_b32_e32 v3, 2, v0
	v_and_b32_e32 v3, 16, v3
	ds_write_b8 v3, v6 offset:128
	ds_write_b64 v3, v[1:2] offset:136
.LBB478_205:
	s_or_b64 exec, exec, s[0:1]
	v_cmp_gt_u32_e32 vcc, 2, v0
	s_waitcnt lgkmcnt(0)
	s_barrier
	s_and_saveexec_b64 s[0:1], vcc
	s_cbranch_execz .LBB478_213
; %bb.206:
	v_lshlrev_b32_e32 v1, 4, v5
	ds_read_u8 v6, v1 offset:128
	ds_read_b64 v[1:2], v1 offset:136
	v_or_b32_e32 v4, 4, v8
	s_add_i32 s8, s8, 63
	v_and_b32_e32 v5, 1, v5
	s_waitcnt lgkmcnt(1)
	v_and_b32_e32 v9, 0xff, v6
	s_waitcnt lgkmcnt(0)
	ds_bpermute_b32 v3, v4, v1
	ds_bpermute_b32 v7, v4, v9
	;; [unrolled: 1-line block ×3, first 2 shown]
	s_lshr_b32 s2, s8, 6
	v_add_u32_e32 v5, 1, v5
	v_cmp_gt_u32_e32 vcc, s2, v5
	s_and_saveexec_b64 s[2:3], vcc
	s_cbranch_execz .LBB478_212
; %bb.207:
	s_waitcnt lgkmcnt(1)
	v_and_b32_e32 v5, v9, v7
	v_and_b32_e32 v5, 1, v5
	v_cmp_eq_u32_e32 vcc, 1, v5
	s_and_saveexec_b64 s[8:9], vcc
	s_xor_b64 s[8:9], exec, s[8:9]
	s_cbranch_execz .LBB478_209
; %bb.208:
	s_waitcnt lgkmcnt(0)
	v_cmp_lt_i64_e32 vcc, v[3:4], v[1:2]
                                        ; implicit-def: $vgpr6
                                        ; implicit-def: $vgpr7
	v_cndmask_b32_e32 v2, v2, v4, vcc
	v_cndmask_b32_e32 v1, v1, v3, vcc
                                        ; implicit-def: $vgpr3_vgpr4
.LBB478_209:
	s_or_saveexec_b64 s[8:9], s[8:9]
	v_mov_b32_e32 v9, 1
	s_xor_b64 exec, exec, s[8:9]
	s_cbranch_execz .LBB478_211
; %bb.210:
	v_and_b32_e32 v5, 1, v6
	v_cmp_eq_u32_e32 vcc, 1, v5
	s_waitcnt lgkmcnt(0)
	v_cndmask_b32_e32 v2, v4, v2, vcc
	v_cndmask_b32_e32 v1, v3, v1, vcc
	v_cndmask_b32_e64 v9, v7, 1, vcc
.LBB478_211:
	s_or_b64 exec, exec, s[8:9]
.LBB478_212:
	s_or_b64 exec, exec, s[2:3]
.LBB478_213:
	s_or_b64 exec, exec, s[0:1]
.LBB478_214:
	v_cmp_eq_u32_e32 vcc, 0, v0
                                        ; implicit-def: $vgpr3_vgpr4
                                        ; implicit-def: $vgpr5
	s_and_saveexec_b64 s[0:1], vcc
	s_xor_b64 s[8:9], exec, s[0:1]
	s_cbranch_execz .LBB478_218
; %bb.215:
	s_waitcnt lgkmcnt(0)
	v_mov_b32_e32 v3, s18
	s_cmp_eq_u64 s[22:23], 0
	v_mov_b32_e32 v4, s19
	v_mov_b32_e32 v5, s33
	s_cbranch_scc1 .LBB478_217
; %bb.216:
	v_and_b32_e32 v3, 1, v9
	v_cmp_gt_i64_e64 s[0:1], s[18:19], v[1:2]
	s_bitcmp1_b32 s33, 0
	v_cmp_eq_u32_e32 vcc, 1, v3
	s_cselect_b64 s[2:3], -1, 0
	v_mov_b32_e32 v3, s18
	s_and_b64 vcc, vcc, s[0:1]
	v_mov_b32_e32 v4, s19
	v_cndmask_b32_e32 v3, v3, v1, vcc
	v_cndmask_b32_e32 v4, v4, v2, vcc
	v_cndmask_b32_e64 v5, v9, 1, s[2:3]
	v_cndmask_b32_e64 v4, v2, v4, s[2:3]
	;; [unrolled: 1-line block ×3, first 2 shown]
.LBB478_217:
	s_or_b64 s[14:15], s[14:15], exec
.LBB478_218:
	s_or_b64 exec, exec, s[8:9]
	v_mov_b32_e32 v1, s6
	v_mov_b32_e32 v2, s7
	s_branch .LBB478_306
.LBB478_219:
	s_cmp_gt_i32 s38, 1
	s_cbranch_scc0 .LBB478_231
; %bb.220:
	s_cmp_eq_u32 s38, 2
	s_cbranch_scc0 .LBB478_232
; %bb.221:
	s_mov_b32 s7, 0
	s_lshl_b32 s30, s6, 8
	s_mov_b32 s31, s7
	s_lshr_b64 s[0:1], s[22:23], 8
	s_lshl_b64 s[2:3], s[30:31], 3
	s_add_u32 s16, s24, s2
	s_addc_u32 s17, s25, s3
	s_add_u32 s28, s26, s2
	s_addc_u32 s29, s27, s3
	;; [unrolled: 2-line block ×3, first 2 shown]
	s_cmp_lg_u64 s[0:1], s[6:7]
	s_cbranch_scc0 .LBB478_233
; %bb.222:
	s_waitcnt lgkmcnt(2)
	v_lshlrev_b32_e32 v3, 3, v0
	global_load_dwordx2 v[1:2], v3, s[28:29]
	s_waitcnt lgkmcnt(0)
	global_load_dwordx2 v[6:7], v3, s[28:29] offset:1024
	global_load_dwordx2 v[8:9], v3, s[16:17] offset:1024
	global_load_dwordx2 v[10:11], v3, s[16:17]
	v_mov_b32_e32 v3, s34
	v_add_co_u32_e32 v12, vcc, s31, v0
	v_addc_co_u32_e32 v13, vcc, 0, v3, vcc
	v_mbcnt_lo_u32_b32 v4, -1, 0
	v_add_co_u32_e32 v14, vcc, 0x80, v12
	v_mbcnt_hi_u32_b32 v3, -1, v4
	v_addc_co_u32_e32 v4, vcc, 0, v13, vcc
	v_lshlrev_b32_e32 v5, 2, v3
	v_or_b32_e32 v15, 0xfc, v5
	s_waitcnt vmcnt(1)
	v_cmp_ne_u64_e32 vcc, v[8:9], v[6:7]
	s_waitcnt vmcnt(0)
	v_cmp_ne_u64_e64 s[0:1], v[10:11], v[1:2]
	v_cndmask_b32_e64 v2, v4, v13, s[0:1]
	v_cndmask_b32_e64 v1, v14, v12, s[0:1]
	s_nop 0
	v_mov_b32_dpp v7, v2 quad_perm:[1,0,3,2] row_mask:0xf bank_mask:0xf bound_ctrl:1
	s_or_b64 s[0:1], s[0:1], vcc
	v_mov_b32_dpp v6, v1 quad_perm:[1,0,3,2] row_mask:0xf bank_mask:0xf bound_ctrl:1
	v_cndmask_b32_e64 v4, 0, 1, s[0:1]
	v_cmp_lt_i64_e32 vcc, v[1:2], v[6:7]
	s_and_b64 vcc, s[0:1], vcc
	v_mov_b32_dpp v8, v4 quad_perm:[1,0,3,2] row_mask:0xf bank_mask:0xf bound_ctrl:1
	v_and_b32_e32 v8, 1, v8
	v_cndmask_b32_e32 v6, v6, v1, vcc
	v_cndmask_b32_e32 v7, v7, v2, vcc
	v_cmp_eq_u32_e32 vcc, 1, v8
	v_cndmask_b32_e32 v2, v2, v7, vcc
	v_cndmask_b32_e32 v1, v1, v6, vcc
	v_cndmask_b32_e64 v4, v4, 1, vcc
	v_mov_b32_dpp v7, v2 quad_perm:[2,3,0,1] row_mask:0xf bank_mask:0xf bound_ctrl:1
	v_mov_b32_dpp v6, v1 quad_perm:[2,3,0,1] row_mask:0xf bank_mask:0xf bound_ctrl:1
	v_and_b32_e32 v9, 1, v4
	v_cmp_lt_i64_e64 s[0:1], v[1:2], v[6:7]
	v_mov_b32_dpp v8, v4 quad_perm:[2,3,0,1] row_mask:0xf bank_mask:0xf bound_ctrl:1
	v_cmp_eq_u32_e32 vcc, 1, v9
	v_and_b32_e32 v8, 1, v8
	s_and_b64 vcc, vcc, s[0:1]
	v_cmp_eq_u32_e64 s[2:3], 1, v8
	v_cndmask_b32_e32 v6, v6, v1, vcc
	v_cndmask_b32_e32 v7, v7, v2, vcc
	v_cndmask_b32_e64 v1, v1, v6, s[2:3]
	v_cndmask_b32_e64 v2, v2, v7, s[2:3]
	;; [unrolled: 1-line block ×3, first 2 shown]
	v_mov_b32_dpp v6, v1 row_ror:4 row_mask:0xf bank_mask:0xf bound_ctrl:1
	v_mov_b32_dpp v7, v2 row_ror:4 row_mask:0xf bank_mask:0xf bound_ctrl:1
	v_and_b32_e32 v9, 1, v4
	v_cmp_lt_i64_e64 s[2:3], v[1:2], v[6:7]
	v_mov_b32_dpp v8, v4 row_ror:4 row_mask:0xf bank_mask:0xf bound_ctrl:1
	v_cmp_eq_u32_e32 vcc, 1, v9
	v_and_b32_e32 v8, 1, v8
	s_and_b64 vcc, vcc, s[2:3]
	v_cmp_eq_u32_e64 s[0:1], 1, v8
	v_cndmask_b32_e32 v6, v6, v1, vcc
	v_cndmask_b32_e32 v7, v7, v2, vcc
	v_cndmask_b32_e64 v1, v1, v6, s[0:1]
	v_cndmask_b32_e64 v2, v2, v7, s[0:1]
	;; [unrolled: 1-line block ×3, first 2 shown]
	v_mov_b32_dpp v6, v1 row_ror:8 row_mask:0xf bank_mask:0xf bound_ctrl:1
	v_mov_b32_dpp v7, v2 row_ror:8 row_mask:0xf bank_mask:0xf bound_ctrl:1
	v_and_b32_e32 v9, 1, v4
	v_cmp_lt_i64_e64 s[2:3], v[1:2], v[6:7]
	v_mov_b32_dpp v8, v4 row_ror:8 row_mask:0xf bank_mask:0xf bound_ctrl:1
	v_cmp_eq_u32_e64 s[8:9], 1, v9
	v_and_b32_e32 v8, 1, v8
	s_and_b64 s[2:3], s[8:9], s[2:3]
	v_cmp_eq_u32_e64 s[10:11], 1, v8
	v_cndmask_b32_e64 v6, v6, v1, s[2:3]
	v_cndmask_b32_e64 v7, v7, v2, s[2:3]
	;; [unrolled: 1-line block ×5, first 2 shown]
	v_mov_b32_dpp v8, v4 row_bcast:15 row_mask:0xf bank_mask:0xf bound_ctrl:1
	v_mov_b32_dpp v6, v1 row_bcast:15 row_mask:0xf bank_mask:0xf bound_ctrl:1
	;; [unrolled: 1-line block ×3, first 2 shown]
	v_and_b32_e32 v9, 1, v4
	v_and_b32_e32 v8, 1, v8
	v_cmp_lt_i64_e64 s[2:3], v[1:2], v[6:7]
	v_cmp_eq_u32_e32 vcc, 1, v9
	v_cmp_eq_u32_e64 s[0:1], 1, v8
	v_cndmask_b32_e64 v4, v4, 1, s[0:1]
	s_and_b64 vcc, vcc, s[2:3]
	v_cndmask_b32_e32 v6, v6, v1, vcc
	v_mov_b32_dpp v8, v4 row_bcast:31 row_mask:0xf bank_mask:0xf bound_ctrl:1
	v_cndmask_b32_e32 v7, v7, v2, vcc
	v_and_b32_e32 v9, 1, v4
	v_and_b32_e32 v8, 1, v8
	v_cndmask_b32_e64 v1, v1, v6, s[0:1]
	v_cndmask_b32_e64 v2, v2, v7, s[0:1]
	v_cmp_eq_u32_e64 s[12:13], 1, v9
	v_cmp_eq_u32_e64 s[8:9], 1, v8
	v_mov_b32_dpp v8, v1 row_bcast:31 row_mask:0xf bank_mask:0xf bound_ctrl:1
	v_mov_b32_dpp v9, v2 row_bcast:31 row_mask:0xf bank_mask:0xf bound_ctrl:1
	v_cmp_lt_i64_e32 vcc, v[1:2], v[8:9]
	v_cndmask_b32_e64 v4, v4, 1, s[8:9]
	s_and_b64 vcc, s[12:13], vcc
	ds_bpermute_b32 v7, v15, v4
	v_cndmask_b32_e32 v4, v8, v1, vcc
	v_cndmask_b32_e32 v6, v9, v2, vcc
	v_cndmask_b32_e64 v1, v1, v4, s[8:9]
	v_cndmask_b32_e64 v2, v2, v6, s[8:9]
	ds_bpermute_b32 v1, v15, v1
	ds_bpermute_b32 v2, v15, v2
	v_cmp_eq_u32_e32 vcc, 0, v3
	s_and_saveexec_b64 s[0:1], vcc
	s_cbranch_execz .LBB478_224
; %bb.223:
	v_lshrrev_b32_e32 v4, 2, v0
	v_and_b32_e32 v4, 16, v4
	s_waitcnt lgkmcnt(2)
	ds_write_b8 v4, v7 offset:32
	s_waitcnt lgkmcnt(1)
	ds_write_b64 v4, v[1:2] offset:40
.LBB478_224:
	s_or_b64 exec, exec, s[0:1]
	v_cmp_gt_u32_e32 vcc, 64, v0
	s_waitcnt lgkmcnt(0)
	s_barrier
	s_and_saveexec_b64 s[0:1], vcc
	s_cbranch_execz .LBB478_230
; %bb.225:
	v_and_b32_e32 v1, 1, v3
	v_lshlrev_b32_e32 v1, 4, v1
	ds_read_u8 v8, v1 offset:32
	ds_read_b64 v[3:4], v1 offset:40
	v_or_b32_e32 v2, 4, v5
	s_waitcnt lgkmcnt(1)
	v_and_b32_e32 v1, 0xff, v8
	ds_bpermute_b32 v9, v2, v1
	s_waitcnt lgkmcnt(1)
	ds_bpermute_b32 v5, v2, v3
	ds_bpermute_b32 v6, v2, v4
	s_waitcnt lgkmcnt(2)
	v_and_b32_e32 v1, v8, v9
	v_and_b32_e32 v1, 1, v1
	v_cmp_eq_u32_e32 vcc, 1, v1
                                        ; implicit-def: $vgpr1_vgpr2
	s_and_saveexec_b64 s[2:3], vcc
	s_xor_b64 s[2:3], exec, s[2:3]
	s_cbranch_execz .LBB478_227
; %bb.226:
	s_waitcnt lgkmcnt(0)
	v_cmp_lt_i64_e32 vcc, v[5:6], v[3:4]
                                        ; implicit-def: $vgpr8
                                        ; implicit-def: $vgpr9
	v_cndmask_b32_e32 v2, v4, v6, vcc
	v_cndmask_b32_e32 v1, v3, v5, vcc
                                        ; implicit-def: $vgpr5_vgpr6
                                        ; implicit-def: $vgpr3_vgpr4
.LBB478_227:
	s_or_saveexec_b64 s[2:3], s[2:3]
	v_mov_b32_e32 v7, 1
	s_xor_b64 exec, exec, s[2:3]
	s_cbranch_execz .LBB478_229
; %bb.228:
	v_and_b32_e32 v1, 1, v8
	v_cmp_eq_u32_e32 vcc, 1, v1
	s_waitcnt lgkmcnt(0)
	v_cndmask_b32_e32 v2, v6, v4, vcc
	v_cndmask_b32_e32 v1, v5, v3, vcc
	v_cndmask_b32_e64 v7, v9, 1, vcc
.LBB478_229:
	s_or_b64 exec, exec, s[2:3]
.LBB478_230:
	s_or_b64 exec, exec, s[0:1]
	s_branch .LBB478_285
.LBB478_231:
                                        ; implicit-def: $vgpr3_vgpr4
                                        ; implicit-def: $vgpr5
                                        ; implicit-def: $vgpr1_vgpr2
	s_cbranch_execnz .LBB478_290
	s_branch .LBB478_306
.LBB478_232:
                                        ; implicit-def: $vgpr3_vgpr4
                                        ; implicit-def: $vgpr5
                                        ; implicit-def: $vgpr1_vgpr2
	s_branch .LBB478_306
.LBB478_233:
                                        ; implicit-def: $vgpr1_vgpr2
                                        ; implicit-def: $vgpr7
	s_cbranch_execz .LBB478_285
; %bb.234:
	s_sub_i32 s10, s22, s30
	s_waitcnt lgkmcnt(0)
	v_mov_b32_e32 v3, 0
	v_mov_b32_e32 v1, 0
	v_cmp_gt_u32_e32 vcc, s10, v0
	v_mov_b32_e32 v6, 0
	v_mov_b32_e32 v4, 0
	;; [unrolled: 1-line block ×4, first 2 shown]
	s_and_saveexec_b64 s[0:1], vcc
	s_cbranch_execz .LBB478_236
; %bb.235:
	v_lshlrev_b32_e32 v1, 3, v0
	global_load_dwordx2 v[7:8], v1, s[16:17]
	global_load_dwordx2 v[9:10], v1, s[28:29]
	v_mov_b32_e32 v2, s34
	v_add_co_u32_e32 v1, vcc, s31, v0
	v_addc_co_u32_e32 v2, vcc, 0, v2, vcc
	s_waitcnt vmcnt(0)
	v_cmp_ne_u64_e32 vcc, v[7:8], v[9:10]
	v_cndmask_b32_e64 v5, 0, 1, vcc
.LBB478_236:
	s_or_b64 exec, exec, s[0:1]
	v_or_b32_e32 v7, 0x80, v0
	v_cmp_gt_u32_e32 vcc, s10, v7
	s_and_saveexec_b64 s[2:3], vcc
	s_cbranch_execz .LBB478_238
; %bb.237:
	v_lshlrev_b32_e32 v3, 3, v0
	global_load_dwordx2 v[8:9], v3, s[16:17] offset:1024
	global_load_dwordx2 v[10:11], v3, s[28:29] offset:1024
	v_mov_b32_e32 v4, s34
	v_add_co_u32_e64 v3, s[0:1], s31, v7
	v_addc_co_u32_e64 v4, s[0:1], 0, v4, s[0:1]
	s_waitcnt vmcnt(0)
	v_cmp_ne_u64_e64 s[0:1], v[8:9], v[10:11]
	v_cndmask_b32_e64 v6, 0, 1, s[0:1]
.LBB478_238:
	s_or_b64 exec, exec, s[2:3]
	v_and_b32_e32 v8, 0xffff, v6
	v_and_b32_e32 v6, 1, v6
	v_cmp_lt_i64_e64 s[2:3], v[3:4], v[1:2]
	v_and_b32_e32 v7, 0xffff, v5
	v_cmp_eq_u32_e64 s[0:1], 1, v6
	v_and_b32_e32 v5, 1, v5
	v_cmp_eq_u32_e64 s[8:9], 1, v5
	s_and_b64 s[0:1], s[0:1], s[2:3]
	v_cndmask_b32_e64 v5, v8, 1, s[8:9]
	v_cndmask_b32_e64 v8, v1, v3, s[0:1]
	;; [unrolled: 1-line block ×3, first 2 shown]
	v_cndmask_b32_e32 v1, v1, v3, vcc
	v_mbcnt_lo_u32_b32 v3, -1, 0
	v_cndmask_b32_e64 v6, v2, v4, s[0:1]
	v_cndmask_b32_e32 v7, v7, v5, vcc
	v_mbcnt_hi_u32_b32 v5, -1, v3
	v_cndmask_b32_e64 v4, v4, v6, s[8:9]
	v_and_b32_e32 v6, 63, v5
	v_cndmask_b32_e32 v2, v2, v4, vcc
	v_cmp_ne_u32_e32 vcc, 63, v6
	v_addc_co_u32_e32 v3, vcc, 0, v5, vcc
	v_lshlrev_b32_e32 v4, 2, v3
	ds_bpermute_b32 v9, v4, v7
	ds_bpermute_b32 v3, v4, v1
	;; [unrolled: 1-line block ×3, first 2 shown]
	s_min_u32 s8, s10, 0x80
	v_and_b32_e32 v8, 64, v0
	v_sub_u32_e64 v8, s8, v8 clamp
	v_add_u32_e32 v10, 1, v6
	v_cmp_lt_u32_e32 vcc, v10, v8
	s_and_saveexec_b64 s[0:1], vcc
	s_cbranch_execz .LBB478_244
; %bb.239:
	s_waitcnt lgkmcnt(2)
	v_and_b32_e32 v10, v9, v7
	v_cmp_ne_u32_e32 vcc, 0, v10
	s_and_saveexec_b64 s[2:3], vcc
	s_xor_b64 s[2:3], exec, s[2:3]
	s_cbranch_execz .LBB478_241
; %bb.240:
	s_waitcnt lgkmcnt(0)
	v_cmp_lt_i64_e32 vcc, v[3:4], v[1:2]
                                        ; implicit-def: $vgpr7
                                        ; implicit-def: $vgpr9
	v_cndmask_b32_e32 v2, v2, v4, vcc
	v_cndmask_b32_e32 v1, v1, v3, vcc
                                        ; implicit-def: $vgpr3_vgpr4
.LBB478_241:
	s_or_saveexec_b64 s[2:3], s[2:3]
	v_mov_b32_e32 v10, 1
	s_xor_b64 exec, exec, s[2:3]
	s_cbranch_execz .LBB478_243
; %bb.242:
	v_and_b32_e32 v7, 1, v7
	v_cmp_eq_u32_e32 vcc, 1, v7
	s_waitcnt lgkmcnt(1)
	v_cndmask_b32_e32 v1, v3, v1, vcc
	v_and_b32_e32 v3, 0xff, v9
	s_waitcnt lgkmcnt(0)
	v_cndmask_b32_e32 v2, v4, v2, vcc
	v_cndmask_b32_e64 v10, v3, 1, vcc
.LBB478_243:
	s_or_b64 exec, exec, s[2:3]
	v_mov_b32_e32 v7, v10
.LBB478_244:
	s_or_b64 exec, exec, s[0:1]
	v_cmp_gt_u32_e32 vcc, 62, v6
	s_waitcnt lgkmcnt(1)
	v_cndmask_b32_e64 v3, 0, 2, vcc
	s_waitcnt lgkmcnt(0)
	v_add_lshl_u32 v4, v3, v5, 2
	ds_bpermute_b32 v9, v4, v7
	ds_bpermute_b32 v3, v4, v1
	ds_bpermute_b32 v4, v4, v2
	v_add_u32_e32 v10, 2, v6
	v_cmp_lt_u32_e32 vcc, v10, v8
	s_and_saveexec_b64 s[0:1], vcc
	s_cbranch_execz .LBB478_250
; %bb.245:
	s_waitcnt lgkmcnt(2)
	v_and_b32_e32 v10, v7, v9
	v_and_b32_e32 v10, 1, v10
	v_cmp_eq_u32_e32 vcc, 1, v10
	s_and_saveexec_b64 s[2:3], vcc
	s_xor_b64 s[2:3], exec, s[2:3]
	s_cbranch_execz .LBB478_247
; %bb.246:
	s_waitcnt lgkmcnt(0)
	v_cmp_lt_i64_e32 vcc, v[3:4], v[1:2]
                                        ; implicit-def: $vgpr7
                                        ; implicit-def: $vgpr9
	v_cndmask_b32_e32 v2, v2, v4, vcc
	v_cndmask_b32_e32 v1, v1, v3, vcc
                                        ; implicit-def: $vgpr3_vgpr4
.LBB478_247:
	s_or_saveexec_b64 s[2:3], s[2:3]
	v_mov_b32_e32 v10, 1
	s_xor_b64 exec, exec, s[2:3]
	s_cbranch_execz .LBB478_249
; %bb.248:
	v_and_b32_e32 v7, 1, v7
	v_cmp_eq_u32_e32 vcc, 1, v7
	s_waitcnt lgkmcnt(1)
	v_cndmask_b32_e32 v1, v3, v1, vcc
	v_and_b32_e32 v3, 0xff, v9
	s_waitcnt lgkmcnt(0)
	v_cndmask_b32_e32 v2, v4, v2, vcc
	v_cndmask_b32_e64 v10, v3, 1, vcc
.LBB478_249:
	s_or_b64 exec, exec, s[2:3]
	v_mov_b32_e32 v7, v10
.LBB478_250:
	s_or_b64 exec, exec, s[0:1]
	v_cmp_gt_u32_e32 vcc, 60, v6
	s_waitcnt lgkmcnt(1)
	v_cndmask_b32_e64 v3, 0, 4, vcc
	s_waitcnt lgkmcnt(0)
	v_add_lshl_u32 v4, v3, v5, 2
	ds_bpermute_b32 v9, v4, v7
	ds_bpermute_b32 v3, v4, v1
	ds_bpermute_b32 v4, v4, v2
	v_add_u32_e32 v10, 4, v6
	v_cmp_lt_u32_e32 vcc, v10, v8
	s_and_saveexec_b64 s[0:1], vcc
	s_cbranch_execz .LBB478_256
; %bb.251:
	s_waitcnt lgkmcnt(2)
	v_and_b32_e32 v10, v7, v9
	v_and_b32_e32 v10, 1, v10
	v_cmp_eq_u32_e32 vcc, 1, v10
	s_and_saveexec_b64 s[2:3], vcc
	s_xor_b64 s[2:3], exec, s[2:3]
	s_cbranch_execz .LBB478_253
; %bb.252:
	s_waitcnt lgkmcnt(0)
	v_cmp_lt_i64_e32 vcc, v[3:4], v[1:2]
                                        ; implicit-def: $vgpr7
                                        ; implicit-def: $vgpr9
	v_cndmask_b32_e32 v2, v2, v4, vcc
	v_cndmask_b32_e32 v1, v1, v3, vcc
                                        ; implicit-def: $vgpr3_vgpr4
.LBB478_253:
	s_or_saveexec_b64 s[2:3], s[2:3]
	v_mov_b32_e32 v10, 1
	s_xor_b64 exec, exec, s[2:3]
	s_cbranch_execz .LBB478_255
; %bb.254:
	v_and_b32_e32 v7, 1, v7
	v_cmp_eq_u32_e32 vcc, 1, v7
	s_waitcnt lgkmcnt(1)
	v_cndmask_b32_e32 v1, v3, v1, vcc
	v_and_b32_e32 v3, 0xff, v9
	s_waitcnt lgkmcnt(0)
	v_cndmask_b32_e32 v2, v4, v2, vcc
	v_cndmask_b32_e64 v10, v3, 1, vcc
.LBB478_255:
	s_or_b64 exec, exec, s[2:3]
	v_mov_b32_e32 v7, v10
.LBB478_256:
	s_or_b64 exec, exec, s[0:1]
	v_cmp_gt_u32_e32 vcc, 56, v6
	s_waitcnt lgkmcnt(1)
	v_cndmask_b32_e64 v3, 0, 8, vcc
	s_waitcnt lgkmcnt(0)
	v_add_lshl_u32 v4, v3, v5, 2
	ds_bpermute_b32 v9, v4, v7
	ds_bpermute_b32 v3, v4, v1
	ds_bpermute_b32 v4, v4, v2
	v_add_u32_e32 v10, 8, v6
	v_cmp_lt_u32_e32 vcc, v10, v8
	s_and_saveexec_b64 s[0:1], vcc
	s_cbranch_execz .LBB478_262
; %bb.257:
	s_waitcnt lgkmcnt(2)
	v_and_b32_e32 v10, v7, v9
	v_and_b32_e32 v10, 1, v10
	v_cmp_eq_u32_e32 vcc, 1, v10
	s_and_saveexec_b64 s[2:3], vcc
	s_xor_b64 s[2:3], exec, s[2:3]
	s_cbranch_execz .LBB478_259
; %bb.258:
	s_waitcnt lgkmcnt(0)
	v_cmp_lt_i64_e32 vcc, v[3:4], v[1:2]
                                        ; implicit-def: $vgpr7
                                        ; implicit-def: $vgpr9
	v_cndmask_b32_e32 v2, v2, v4, vcc
	v_cndmask_b32_e32 v1, v1, v3, vcc
                                        ; implicit-def: $vgpr3_vgpr4
.LBB478_259:
	s_or_saveexec_b64 s[2:3], s[2:3]
	v_mov_b32_e32 v10, 1
	s_xor_b64 exec, exec, s[2:3]
	s_cbranch_execz .LBB478_261
; %bb.260:
	v_and_b32_e32 v7, 1, v7
	v_cmp_eq_u32_e32 vcc, 1, v7
	s_waitcnt lgkmcnt(1)
	v_cndmask_b32_e32 v1, v3, v1, vcc
	v_and_b32_e32 v3, 0xff, v9
	s_waitcnt lgkmcnt(0)
	v_cndmask_b32_e32 v2, v4, v2, vcc
	v_cndmask_b32_e64 v10, v3, 1, vcc
.LBB478_261:
	s_or_b64 exec, exec, s[2:3]
	v_mov_b32_e32 v7, v10
.LBB478_262:
	s_or_b64 exec, exec, s[0:1]
	v_cmp_gt_u32_e32 vcc, 48, v6
	s_waitcnt lgkmcnt(1)
	v_cndmask_b32_e64 v3, 0, 16, vcc
	s_waitcnt lgkmcnt(0)
	v_add_lshl_u32 v4, v3, v5, 2
	ds_bpermute_b32 v9, v4, v7
	ds_bpermute_b32 v3, v4, v1
	ds_bpermute_b32 v4, v4, v2
	v_add_u32_e32 v10, 16, v6
	v_cmp_lt_u32_e32 vcc, v10, v8
	s_and_saveexec_b64 s[0:1], vcc
	s_cbranch_execz .LBB478_268
; %bb.263:
	s_waitcnt lgkmcnt(2)
	v_and_b32_e32 v10, v7, v9
	v_and_b32_e32 v10, 1, v10
	v_cmp_eq_u32_e32 vcc, 1, v10
	s_and_saveexec_b64 s[2:3], vcc
	s_xor_b64 s[2:3], exec, s[2:3]
	s_cbranch_execz .LBB478_265
; %bb.264:
	s_waitcnt lgkmcnt(0)
	v_cmp_lt_i64_e32 vcc, v[3:4], v[1:2]
                                        ; implicit-def: $vgpr7
                                        ; implicit-def: $vgpr9
	v_cndmask_b32_e32 v2, v2, v4, vcc
	v_cndmask_b32_e32 v1, v1, v3, vcc
                                        ; implicit-def: $vgpr3_vgpr4
.LBB478_265:
	s_or_saveexec_b64 s[2:3], s[2:3]
	v_mov_b32_e32 v10, 1
	s_xor_b64 exec, exec, s[2:3]
	s_cbranch_execz .LBB478_267
; %bb.266:
	v_and_b32_e32 v7, 1, v7
	v_cmp_eq_u32_e32 vcc, 1, v7
	s_waitcnt lgkmcnt(1)
	v_cndmask_b32_e32 v1, v3, v1, vcc
	v_and_b32_e32 v3, 0xff, v9
	s_waitcnt lgkmcnt(0)
	v_cndmask_b32_e32 v2, v4, v2, vcc
	v_cndmask_b32_e64 v10, v3, 1, vcc
.LBB478_267:
	s_or_b64 exec, exec, s[2:3]
	v_mov_b32_e32 v7, v10
.LBB478_268:
	s_or_b64 exec, exec, s[0:1]
	s_waitcnt lgkmcnt(2)
	v_lshlrev_b32_e32 v9, 2, v5
	s_waitcnt lgkmcnt(0)
	v_or_b32_e32 v4, 0x80, v9
	ds_bpermute_b32 v10, v4, v7
	ds_bpermute_b32 v3, v4, v1
	;; [unrolled: 1-line block ×3, first 2 shown]
	v_add_u32_e32 v6, 32, v6
	v_cmp_lt_u32_e32 vcc, v6, v8
	v_mov_b32_e32 v6, v7
	s_and_saveexec_b64 s[0:1], vcc
	s_cbranch_execz .LBB478_274
; %bb.269:
	s_waitcnt lgkmcnt(2)
	v_and_b32_e32 v6, v7, v10
	v_and_b32_e32 v6, 1, v6
	v_cmp_eq_u32_e32 vcc, 1, v6
	s_and_saveexec_b64 s[2:3], vcc
	s_xor_b64 s[2:3], exec, s[2:3]
	s_cbranch_execz .LBB478_271
; %bb.270:
	s_waitcnt lgkmcnt(0)
	v_cmp_lt_i64_e32 vcc, v[3:4], v[1:2]
                                        ; implicit-def: $vgpr7
                                        ; implicit-def: $vgpr10
	v_cndmask_b32_e32 v2, v2, v4, vcc
	v_cndmask_b32_e32 v1, v1, v3, vcc
                                        ; implicit-def: $vgpr3_vgpr4
.LBB478_271:
	s_or_saveexec_b64 s[2:3], s[2:3]
	v_mov_b32_e32 v6, 1
	s_xor_b64 exec, exec, s[2:3]
	s_cbranch_execz .LBB478_273
; %bb.272:
	v_and_b32_e32 v6, 1, v7
	v_cmp_eq_u32_e32 vcc, 1, v6
	v_cndmask_b32_e64 v6, v10, 1, vcc
	s_waitcnt lgkmcnt(0)
	v_cndmask_b32_e32 v2, v4, v2, vcc
	v_cndmask_b32_e32 v1, v3, v1, vcc
.LBB478_273:
	s_or_b64 exec, exec, s[2:3]
	v_and_b32_e32 v7, 0xff, v6
.LBB478_274:
	s_or_b64 exec, exec, s[0:1]
	v_cmp_eq_u32_e32 vcc, 0, v5
	s_and_saveexec_b64 s[0:1], vcc
	s_cbranch_execz .LBB478_276
; %bb.275:
	s_waitcnt lgkmcnt(1)
	v_lshrrev_b32_e32 v3, 2, v0
	v_and_b32_e32 v3, 16, v3
	ds_write_b8 v3, v6 offset:128
	ds_write_b64 v3, v[1:2] offset:136
.LBB478_276:
	s_or_b64 exec, exec, s[0:1]
	v_cmp_gt_u32_e32 vcc, 2, v0
	s_waitcnt lgkmcnt(0)
	s_barrier
	s_and_saveexec_b64 s[0:1], vcc
	s_cbranch_execz .LBB478_284
; %bb.277:
	v_lshlrev_b32_e32 v1, 4, v5
	ds_read_u8 v6, v1 offset:128
	ds_read_b64 v[1:2], v1 offset:136
	v_or_b32_e32 v4, 4, v9
	s_add_i32 s8, s8, 63
	v_and_b32_e32 v5, 1, v5
	s_waitcnt lgkmcnt(1)
	v_and_b32_e32 v7, 0xff, v6
	s_waitcnt lgkmcnt(0)
	ds_bpermute_b32 v3, v4, v1
	ds_bpermute_b32 v8, v4, v7
	;; [unrolled: 1-line block ×3, first 2 shown]
	s_lshr_b32 s2, s8, 6
	v_add_u32_e32 v5, 1, v5
	v_cmp_gt_u32_e32 vcc, s2, v5
	s_and_saveexec_b64 s[2:3], vcc
	s_cbranch_execz .LBB478_283
; %bb.278:
	s_waitcnt lgkmcnt(1)
	v_and_b32_e32 v5, v7, v8
	v_and_b32_e32 v5, 1, v5
	v_cmp_eq_u32_e32 vcc, 1, v5
	s_and_saveexec_b64 s[8:9], vcc
	s_xor_b64 s[8:9], exec, s[8:9]
	s_cbranch_execz .LBB478_280
; %bb.279:
	s_waitcnt lgkmcnt(0)
	v_cmp_lt_i64_e32 vcc, v[3:4], v[1:2]
                                        ; implicit-def: $vgpr6
                                        ; implicit-def: $vgpr8
	v_cndmask_b32_e32 v2, v2, v4, vcc
	v_cndmask_b32_e32 v1, v1, v3, vcc
                                        ; implicit-def: $vgpr3_vgpr4
.LBB478_280:
	s_or_saveexec_b64 s[8:9], s[8:9]
	v_mov_b32_e32 v7, 1
	s_xor_b64 exec, exec, s[8:9]
	s_cbranch_execz .LBB478_282
; %bb.281:
	v_and_b32_e32 v5, 1, v6
	v_cmp_eq_u32_e32 vcc, 1, v5
	s_waitcnt lgkmcnt(0)
	v_cndmask_b32_e32 v2, v4, v2, vcc
	v_cndmask_b32_e32 v1, v3, v1, vcc
	v_cndmask_b32_e64 v7, v8, 1, vcc
.LBB478_282:
	s_or_b64 exec, exec, s[8:9]
.LBB478_283:
	s_or_b64 exec, exec, s[2:3]
.LBB478_284:
	s_or_b64 exec, exec, s[0:1]
.LBB478_285:
	v_cmp_eq_u32_e32 vcc, 0, v0
                                        ; implicit-def: $vgpr3_vgpr4
                                        ; implicit-def: $vgpr5
	s_and_saveexec_b64 s[0:1], vcc
	s_xor_b64 s[8:9], exec, s[0:1]
	s_cbranch_execz .LBB478_289
; %bb.286:
	s_waitcnt lgkmcnt(0)
	v_mov_b32_e32 v3, s18
	s_cmp_eq_u64 s[22:23], 0
	v_mov_b32_e32 v4, s19
	v_mov_b32_e32 v5, s33
	s_cbranch_scc1 .LBB478_288
; %bb.287:
	v_and_b32_e32 v3, 1, v7
	v_cmp_gt_i64_e64 s[0:1], s[18:19], v[1:2]
	s_bitcmp1_b32 s33, 0
	v_cmp_eq_u32_e32 vcc, 1, v3
	s_cselect_b64 s[2:3], -1, 0
	v_mov_b32_e32 v3, s18
	s_and_b64 vcc, vcc, s[0:1]
	v_mov_b32_e32 v4, s19
	v_cndmask_b32_e32 v3, v3, v1, vcc
	v_cndmask_b32_e32 v4, v4, v2, vcc
	v_cndmask_b32_e64 v5, v7, 1, s[2:3]
	v_cndmask_b32_e64 v4, v2, v4, s[2:3]
	;; [unrolled: 1-line block ×3, first 2 shown]
.LBB478_288:
	s_or_b64 s[14:15], s[14:15], exec
.LBB478_289:
	s_or_b64 exec, exec, s[8:9]
	v_mov_b32_e32 v1, s6
	v_mov_b32_e32 v2, s7
	s_branch .LBB478_306
.LBB478_290:
	s_cmp_eq_u32 s38, 1
	s_cbranch_scc0 .LBB478_305
; %bb.291:
	s_mov_b32 s9, 0
	s_lshl_b32 s8, s6, 7
	s_mov_b32 s7, s9
	s_lshr_b64 s[0:1], s[22:23], 7
	s_cmp_lg_u64 s[0:1], s[6:7]
	s_cbranch_scc0 .LBB478_309
; %bb.292:
	s_lshl_b64 s[0:1], s[8:9], 3
	s_add_u32 s2, s24, s0
	s_addc_u32 s3, s25, s1
	s_add_u32 s0, s26, s0
	s_waitcnt lgkmcnt(1)
	v_lshlrev_b32_e32 v5, 3, v0
	s_addc_u32 s1, s27, s1
	global_load_dwordx2 v[1:2], v5, s[2:3]
	s_waitcnt lgkmcnt(0)
	global_load_dwordx2 v[3:4], v5, s[0:1]
	s_add_u32 s0, s20, s8
	s_addc_u32 s1, s21, 0
	v_mov_b32_e32 v6, s1
	v_add_co_u32_e32 v5, vcc, s0, v0
	v_addc_co_u32_e32 v6, vcc, 0, v6, vcc
	s_nop 0
	v_mov_b32_dpp v7, v5 quad_perm:[1,0,3,2] row_mask:0xf bank_mask:0xf bound_ctrl:1
	v_mov_b32_dpp v8, v6 quad_perm:[1,0,3,2] row_mask:0xf bank_mask:0xf bound_ctrl:1
	v_cmp_lt_i64_e32 vcc, v[5:6], v[7:8]
	s_waitcnt vmcnt(0)
	v_cmp_ne_u64_e64 s[0:1], v[1:2], v[3:4]
	v_cndmask_b32_e64 v1, 0, 1, s[0:1]
	s_and_b64 vcc, s[0:1], vcc
	s_nop 0
	v_mov_b32_dpp v1, v1 quad_perm:[1,0,3,2] row_mask:0xf bank_mask:0xf bound_ctrl:1
	v_and_b32_e32 v1, 1, v1
	v_cndmask_b32_e32 v2, v7, v5, vcc
	v_cndmask_b32_e32 v3, v8, v6, vcc
	v_cmp_eq_u32_e32 vcc, 1, v1
	s_or_b64 s[0:1], vcc, s[0:1]
	v_cndmask_b32_e64 v1, 0, 1, s[0:1]
	v_cndmask_b32_e32 v4, v6, v3, vcc
	v_cndmask_b32_e32 v3, v5, v2, vcc
	v_mov_b32_dpp v1, v1 quad_perm:[2,3,0,1] row_mask:0xf bank_mask:0xf bound_ctrl:1
	v_and_b32_e32 v1, 1, v1
	v_cmp_eq_u32_e32 vcc, 1, v1
	s_and_b64 s[2:3], vcc, s[0:1]
	v_mov_b32_dpp v5, v3 quad_perm:[2,3,0,1] row_mask:0xf bank_mask:0xf bound_ctrl:1
	v_mov_b32_dpp v6, v4 quad_perm:[2,3,0,1] row_mask:0xf bank_mask:0xf bound_ctrl:1
	s_xor_b64 s[2:3], s[2:3], -1
                                        ; implicit-def: $vgpr1_vgpr2
                                        ; implicit-def: $vgpr7
	s_and_saveexec_b64 s[10:11], s[2:3]
	s_xor_b64 s[2:3], exec, s[10:11]
; %bb.293:
	s_or_b64 s[0:1], vcc, s[0:1]
	v_cndmask_b32_e32 v2, v4, v6, vcc
	v_cndmask_b32_e32 v1, v3, v5, vcc
	v_cndmask_b32_e64 v7, 0, 1, s[0:1]
                                        ; implicit-def: $vgpr3_vgpr4
                                        ; implicit-def: $vgpr5_vgpr6
; %bb.294:
	s_andn2_saveexec_b64 s[0:1], s[2:3]
; %bb.295:
	v_cmp_lt_i64_e32 vcc, v[3:4], v[5:6]
	v_mov_b32_e32 v7, 1
	v_cndmask_b32_e32 v2, v6, v4, vcc
	v_cndmask_b32_e32 v1, v5, v3, vcc
; %bb.296:
	s_or_b64 exec, exec, s[0:1]
	s_nop 0
	v_mov_b32_dpp v4, v1 row_ror:4 row_mask:0xf bank_mask:0xf bound_ctrl:1
	v_mov_b32_dpp v5, v2 row_ror:4 row_mask:0xf bank_mask:0xf bound_ctrl:1
	v_and_b32_e32 v8, 1, v7
	v_cmp_lt_i64_e64 s[0:1], v[1:2], v[4:5]
	v_mov_b32_dpp v6, v7 row_ror:4 row_mask:0xf bank_mask:0xf bound_ctrl:1
	v_cmp_eq_u32_e32 vcc, 1, v8
	v_and_b32_e32 v6, 1, v6
	s_and_b64 vcc, vcc, s[0:1]
	v_cmp_eq_u32_e64 s[2:3], 1, v6
	v_cndmask_b32_e32 v4, v4, v1, vcc
	v_cndmask_b32_e32 v5, v5, v2, vcc
	v_cndmask_b32_e64 v2, v2, v5, s[2:3]
	v_cndmask_b32_e64 v1, v1, v4, s[2:3]
	;; [unrolled: 1-line block ×3, first 2 shown]
	v_mov_b32_dpp v5, v2 row_ror:8 row_mask:0xf bank_mask:0xf bound_ctrl:1
	v_mov_b32_dpp v4, v1 row_ror:8 row_mask:0xf bank_mask:0xf bound_ctrl:1
	v_and_b32_e32 v8, 1, v6
	v_cmp_lt_i64_e64 s[0:1], v[1:2], v[4:5]
	v_mov_b32_dpp v7, v6 row_ror:8 row_mask:0xf bank_mask:0xf bound_ctrl:1
	v_cmp_eq_u32_e32 vcc, 1, v8
	v_and_b32_e32 v7, 1, v7
	s_and_b64 vcc, vcc, s[0:1]
	v_cmp_eq_u32_e64 s[2:3], 1, v7
	v_cndmask_b32_e32 v4, v4, v1, vcc
	v_cndmask_b32_e32 v5, v5, v2, vcc
	v_cndmask_b32_e64 v2, v2, v5, s[2:3]
	v_cndmask_b32_e64 v1, v1, v4, s[2:3]
	;; [unrolled: 1-line block ×3, first 2 shown]
	v_mov_b32_dpp v5, v2 row_bcast:15 row_mask:0xf bank_mask:0xf bound_ctrl:1
	v_mov_b32_dpp v4, v1 row_bcast:15 row_mask:0xf bank_mask:0xf bound_ctrl:1
	v_and_b32_e32 v8, 1, v6
	v_cmp_lt_i64_e64 s[0:1], v[1:2], v[4:5]
	v_mov_b32_dpp v7, v6 row_bcast:15 row_mask:0xf bank_mask:0xf bound_ctrl:1
	v_cmp_eq_u32_e32 vcc, 1, v8
	v_and_b32_e32 v7, 1, v7
	s_and_b64 vcc, vcc, s[0:1]
	v_cmp_eq_u32_e64 s[2:3], 1, v7
	v_cndmask_b32_e32 v4, v4, v1, vcc
	v_cndmask_b32_e32 v5, v5, v2, vcc
	v_cndmask_b32_e64 v2, v2, v5, s[2:3]
	v_cndmask_b32_e64 v1, v1, v4, s[2:3]
	v_cndmask_b32_e64 v6, v6, 1, s[2:3]
	v_mov_b32_dpp v5, v2 row_bcast:31 row_mask:0xf bank_mask:0xf bound_ctrl:1
	v_mov_b32_dpp v4, v1 row_bcast:31 row_mask:0xf bank_mask:0xf bound_ctrl:1
	v_and_b32_e32 v8, 1, v6
	v_cmp_lt_i64_e64 s[0:1], v[1:2], v[4:5]
	v_mov_b32_dpp v7, v6 row_bcast:31 row_mask:0xf bank_mask:0xf bound_ctrl:1
	v_cmp_eq_u32_e32 vcc, 1, v8
	v_mbcnt_lo_u32_b32 v3, -1, 0
	v_and_b32_e32 v7, 1, v7
	s_and_b64 vcc, vcc, s[0:1]
	v_mbcnt_hi_u32_b32 v3, -1, v3
	v_cmp_eq_u32_e64 s[2:3], 1, v7
	v_cndmask_b32_e32 v5, v5, v2, vcc
	v_cndmask_b32_e32 v4, v4, v1, vcc
	v_cndmask_b32_e64 v2, v2, v5, s[2:3]
	v_lshlrev_b32_e32 v5, 2, v3
	v_cndmask_b32_e64 v6, v6, 1, s[2:3]
	v_cndmask_b32_e64 v1, v1, v4, s[2:3]
	v_or_b32_e32 v4, 0xfc, v5
	ds_bpermute_b32 v7, v4, v6
	ds_bpermute_b32 v1, v4, v1
	;; [unrolled: 1-line block ×3, first 2 shown]
	v_cmp_eq_u32_e32 vcc, 0, v3
	s_and_saveexec_b64 s[0:1], vcc
	s_cbranch_execz .LBB478_298
; %bb.297:
	v_lshrrev_b32_e32 v4, 2, v0
	v_and_b32_e32 v4, 16, v4
	s_waitcnt lgkmcnt(2)
	ds_write_b8 v4, v7
	s_waitcnt lgkmcnt(1)
	ds_write_b64 v4, v[1:2] offset:8
.LBB478_298:
	s_or_b64 exec, exec, s[0:1]
	v_cmp_gt_u32_e32 vcc, 64, v0
	s_waitcnt lgkmcnt(0)
	s_barrier
	s_and_saveexec_b64 s[0:1], vcc
	s_cbranch_execz .LBB478_304
; %bb.299:
	v_and_b32_e32 v1, 1, v3
	v_lshlrev_b32_e32 v1, 4, v1
	ds_read_u8 v8, v1
	ds_read_b64 v[3:4], v1 offset:8
	v_or_b32_e32 v2, 4, v5
	s_waitcnt lgkmcnt(1)
	v_and_b32_e32 v1, 0xff, v8
	ds_bpermute_b32 v9, v2, v1
	s_waitcnt lgkmcnt(1)
	ds_bpermute_b32 v5, v2, v3
	ds_bpermute_b32 v6, v2, v4
	s_waitcnt lgkmcnt(2)
	v_and_b32_e32 v1, v8, v9
	v_and_b32_e32 v1, 1, v1
	v_cmp_eq_u32_e32 vcc, 1, v1
                                        ; implicit-def: $vgpr1_vgpr2
	s_and_saveexec_b64 s[2:3], vcc
	s_xor_b64 s[2:3], exec, s[2:3]
	s_cbranch_execz .LBB478_301
; %bb.300:
	s_waitcnt lgkmcnt(0)
	v_cmp_lt_i64_e32 vcc, v[5:6], v[3:4]
                                        ; implicit-def: $vgpr8
                                        ; implicit-def: $vgpr9
	v_cndmask_b32_e32 v2, v4, v6, vcc
	v_cndmask_b32_e32 v1, v3, v5, vcc
                                        ; implicit-def: $vgpr5_vgpr6
                                        ; implicit-def: $vgpr3_vgpr4
.LBB478_301:
	s_or_saveexec_b64 s[2:3], s[2:3]
	v_mov_b32_e32 v7, 1
	s_xor_b64 exec, exec, s[2:3]
	s_cbranch_execz .LBB478_303
; %bb.302:
	v_and_b32_e32 v1, 1, v8
	v_cmp_eq_u32_e32 vcc, 1, v1
	s_waitcnt lgkmcnt(0)
	v_cndmask_b32_e32 v2, v6, v4, vcc
	v_cndmask_b32_e32 v1, v5, v3, vcc
	v_cndmask_b32_e64 v7, v9, 1, vcc
.LBB478_303:
	s_or_b64 exec, exec, s[2:3]
.LBB478_304:
	s_or_b64 exec, exec, s[0:1]
	s_branch .LBB478_359
.LBB478_305:
                                        ; implicit-def: $vgpr3_vgpr4
                                        ; implicit-def: $vgpr5
                                        ; implicit-def: $vgpr1_vgpr2
.LBB478_306:
	s_and_saveexec_b64 s[0:1], s[14:15]
	s_cbranch_execz .LBB478_308
.LBB478_307:
	s_load_dwordx2 s[0:1], s[4:5], 0x38
	v_lshlrev_b64 v[0:1], 4, v[1:2]
	s_waitcnt lgkmcnt(0)
	v_mov_b32_e32 v2, s1
	v_add_co_u32_e32 v0, vcc, s0, v0
	v_addc_co_u32_e32 v1, vcc, v2, v1, vcc
	global_store_byte v[0:1], v5, off
	global_store_dwordx2 v[0:1], v[3:4], off offset:8
.LBB478_308:
	s_endpgm
.LBB478_309:
                                        ; implicit-def: $vgpr1_vgpr2
                                        ; implicit-def: $vgpr7
	s_cbranch_execz .LBB478_359
; %bb.310:
	s_sub_i32 s2, s22, s8
	v_mov_b32_e32 v1, 0
	v_cmp_gt_u32_e32 vcc, s2, v0
	v_mov_b32_e32 v2, 0
	v_mov_b32_e32 v9, 0
	s_and_saveexec_b64 s[0:1], vcc
	s_cbranch_execz .LBB478_312
; %bb.311:
	s_lshl_b64 s[10:11], s[8:9], 3
	s_add_u32 s12, s26, s10
	s_addc_u32 s13, s27, s11
	s_add_u32 s10, s24, s10
	s_addc_u32 s11, s25, s11
	v_lshlrev_b32_e32 v1, 3, v0
	s_waitcnt lgkmcnt(0)
	global_load_dwordx2 v[3:4], v1, s[10:11]
	global_load_dwordx2 v[5:6], v1, s[12:13]
	s_add_u32 s3, s20, s8
	s_addc_u32 s8, s21, 0
	v_mov_b32_e32 v2, s8
	v_add_co_u32_e32 v1, vcc, s3, v0
	v_addc_co_u32_e32 v2, vcc, 0, v2, vcc
	s_waitcnt vmcnt(0)
	v_cmp_ne_u64_e32 vcc, v[3:4], v[5:6]
	v_cndmask_b32_e64 v9, 0, 1, vcc
.LBB478_312:
	s_or_b64 exec, exec, s[0:1]
	s_waitcnt lgkmcnt(2)
	v_mbcnt_lo_u32_b32 v3, -1, 0
	s_waitcnt lgkmcnt(1)
	v_mbcnt_hi_u32_b32 v5, -1, v3
	s_waitcnt lgkmcnt(0)
	v_and_b32_e32 v6, 63, v5
	v_cmp_ne_u32_e32 vcc, 63, v6
	v_addc_co_u32_e32 v3, vcc, 0, v5, vcc
	v_and_b32_e32 v7, 0xffff, v9
	v_lshlrev_b32_e32 v4, 2, v3
	ds_bpermute_b32 v10, v4, v7
	ds_bpermute_b32 v3, v4, v1
	;; [unrolled: 1-line block ×3, first 2 shown]
	s_min_u32 s8, s2, 0x80
	v_and_b32_e32 v8, 64, v0
	v_sub_u32_e64 v8, s8, v8 clamp
	v_add_u32_e32 v11, 1, v6
	v_cmp_lt_u32_e32 vcc, v11, v8
	s_and_saveexec_b64 s[0:1], vcc
	s_cbranch_execz .LBB478_318
; %bb.313:
	s_waitcnt lgkmcnt(2)
	v_and_b32_e32 v7, v10, v7
	v_and_b32_e32 v7, 1, v7
	v_cmp_eq_u32_e32 vcc, 1, v7
	s_and_saveexec_b64 s[2:3], vcc
	s_xor_b64 s[2:3], exec, s[2:3]
	s_cbranch_execz .LBB478_315
; %bb.314:
	s_waitcnt lgkmcnt(0)
	v_cmp_lt_i64_e32 vcc, v[3:4], v[1:2]
                                        ; implicit-def: $vgpr9
                                        ; implicit-def: $vgpr10
	v_cndmask_b32_e32 v2, v2, v4, vcc
	v_cndmask_b32_e32 v1, v1, v3, vcc
                                        ; implicit-def: $vgpr3_vgpr4
.LBB478_315:
	s_or_saveexec_b64 s[2:3], s[2:3]
	v_mov_b32_e32 v7, 1
	s_xor_b64 exec, exec, s[2:3]
	s_cbranch_execz .LBB478_317
; %bb.316:
	v_and_b32_e32 v7, 1, v9
	v_cmp_eq_u32_e32 vcc, 1, v7
	s_waitcnt lgkmcnt(1)
	v_cndmask_b32_e32 v1, v3, v1, vcc
	v_and_b32_e32 v3, 0xff, v10
	s_waitcnt lgkmcnt(0)
	v_cndmask_b32_e32 v2, v4, v2, vcc
	v_cndmask_b32_e64 v7, v3, 1, vcc
.LBB478_317:
	s_or_b64 exec, exec, s[2:3]
.LBB478_318:
	s_or_b64 exec, exec, s[0:1]
	v_cmp_gt_u32_e32 vcc, 62, v6
	s_waitcnt lgkmcnt(1)
	v_cndmask_b32_e64 v3, 0, 2, vcc
	s_waitcnt lgkmcnt(0)
	v_add_lshl_u32 v4, v3, v5, 2
	ds_bpermute_b32 v9, v4, v7
	ds_bpermute_b32 v3, v4, v1
	ds_bpermute_b32 v4, v4, v2
	v_add_u32_e32 v10, 2, v6
	v_cmp_lt_u32_e32 vcc, v10, v8
	s_and_saveexec_b64 s[0:1], vcc
	s_cbranch_execz .LBB478_324
; %bb.319:
	s_waitcnt lgkmcnt(2)
	v_and_b32_e32 v10, v7, v9
	v_and_b32_e32 v10, 1, v10
	v_cmp_eq_u32_e32 vcc, 1, v10
	s_and_saveexec_b64 s[2:3], vcc
	s_xor_b64 s[2:3], exec, s[2:3]
	s_cbranch_execz .LBB478_321
; %bb.320:
	s_waitcnt lgkmcnt(0)
	v_cmp_lt_i64_e32 vcc, v[3:4], v[1:2]
                                        ; implicit-def: $vgpr7
                                        ; implicit-def: $vgpr9
	v_cndmask_b32_e32 v2, v2, v4, vcc
	v_cndmask_b32_e32 v1, v1, v3, vcc
                                        ; implicit-def: $vgpr3_vgpr4
.LBB478_321:
	s_or_saveexec_b64 s[2:3], s[2:3]
	v_mov_b32_e32 v10, 1
	s_xor_b64 exec, exec, s[2:3]
	s_cbranch_execz .LBB478_323
; %bb.322:
	v_and_b32_e32 v7, 1, v7
	v_cmp_eq_u32_e32 vcc, 1, v7
	s_waitcnt lgkmcnt(1)
	v_cndmask_b32_e32 v1, v3, v1, vcc
	v_and_b32_e32 v3, 0xff, v9
	s_waitcnt lgkmcnt(0)
	v_cndmask_b32_e32 v2, v4, v2, vcc
	v_cndmask_b32_e64 v10, v3, 1, vcc
.LBB478_323:
	s_or_b64 exec, exec, s[2:3]
	v_mov_b32_e32 v7, v10
.LBB478_324:
	s_or_b64 exec, exec, s[0:1]
	v_cmp_gt_u32_e32 vcc, 60, v6
	s_waitcnt lgkmcnt(1)
	v_cndmask_b32_e64 v3, 0, 4, vcc
	s_waitcnt lgkmcnt(0)
	v_add_lshl_u32 v4, v3, v5, 2
	ds_bpermute_b32 v9, v4, v7
	ds_bpermute_b32 v3, v4, v1
	ds_bpermute_b32 v4, v4, v2
	v_add_u32_e32 v10, 4, v6
	v_cmp_lt_u32_e32 vcc, v10, v8
	s_and_saveexec_b64 s[0:1], vcc
	s_cbranch_execz .LBB478_330
; %bb.325:
	s_waitcnt lgkmcnt(2)
	v_and_b32_e32 v10, v7, v9
	v_and_b32_e32 v10, 1, v10
	v_cmp_eq_u32_e32 vcc, 1, v10
	s_and_saveexec_b64 s[2:3], vcc
	s_xor_b64 s[2:3], exec, s[2:3]
	s_cbranch_execz .LBB478_327
; %bb.326:
	s_waitcnt lgkmcnt(0)
	v_cmp_lt_i64_e32 vcc, v[3:4], v[1:2]
                                        ; implicit-def: $vgpr7
                                        ; implicit-def: $vgpr9
	v_cndmask_b32_e32 v2, v2, v4, vcc
	v_cndmask_b32_e32 v1, v1, v3, vcc
                                        ; implicit-def: $vgpr3_vgpr4
.LBB478_327:
	s_or_saveexec_b64 s[2:3], s[2:3]
	v_mov_b32_e32 v10, 1
	s_xor_b64 exec, exec, s[2:3]
	s_cbranch_execz .LBB478_329
; %bb.328:
	v_and_b32_e32 v7, 1, v7
	v_cmp_eq_u32_e32 vcc, 1, v7
	s_waitcnt lgkmcnt(1)
	v_cndmask_b32_e32 v1, v3, v1, vcc
	v_and_b32_e32 v3, 0xff, v9
	s_waitcnt lgkmcnt(0)
	v_cndmask_b32_e32 v2, v4, v2, vcc
	v_cndmask_b32_e64 v10, v3, 1, vcc
.LBB478_329:
	s_or_b64 exec, exec, s[2:3]
	v_mov_b32_e32 v7, v10
.LBB478_330:
	;; [unrolled: 47-line block ×4, first 2 shown]
	s_or_b64 exec, exec, s[0:1]
	s_waitcnt lgkmcnt(2)
	v_lshlrev_b32_e32 v9, 2, v5
	s_waitcnt lgkmcnt(0)
	v_or_b32_e32 v4, 0x80, v9
	ds_bpermute_b32 v10, v4, v7
	ds_bpermute_b32 v3, v4, v1
	;; [unrolled: 1-line block ×3, first 2 shown]
	v_add_u32_e32 v6, 32, v6
	v_cmp_lt_u32_e32 vcc, v6, v8
	v_mov_b32_e32 v6, v7
	s_and_saveexec_b64 s[0:1], vcc
	s_cbranch_execz .LBB478_348
; %bb.343:
	s_waitcnt lgkmcnt(2)
	v_and_b32_e32 v6, v7, v10
	v_and_b32_e32 v6, 1, v6
	v_cmp_eq_u32_e32 vcc, 1, v6
	s_and_saveexec_b64 s[2:3], vcc
	s_xor_b64 s[2:3], exec, s[2:3]
	s_cbranch_execz .LBB478_345
; %bb.344:
	s_waitcnt lgkmcnt(0)
	v_cmp_lt_i64_e32 vcc, v[3:4], v[1:2]
                                        ; implicit-def: $vgpr7
                                        ; implicit-def: $vgpr10
	v_cndmask_b32_e32 v2, v2, v4, vcc
	v_cndmask_b32_e32 v1, v1, v3, vcc
                                        ; implicit-def: $vgpr3_vgpr4
.LBB478_345:
	s_or_saveexec_b64 s[2:3], s[2:3]
	v_mov_b32_e32 v6, 1
	s_xor_b64 exec, exec, s[2:3]
	s_cbranch_execz .LBB478_347
; %bb.346:
	v_and_b32_e32 v6, 1, v7
	v_cmp_eq_u32_e32 vcc, 1, v6
	v_cndmask_b32_e64 v6, v10, 1, vcc
	s_waitcnt lgkmcnt(0)
	v_cndmask_b32_e32 v2, v4, v2, vcc
	v_cndmask_b32_e32 v1, v3, v1, vcc
.LBB478_347:
	s_or_b64 exec, exec, s[2:3]
	v_and_b32_e32 v7, 0xff, v6
.LBB478_348:
	s_or_b64 exec, exec, s[0:1]
	v_cmp_eq_u32_e32 vcc, 0, v5
	s_and_saveexec_b64 s[0:1], vcc
	s_cbranch_execz .LBB478_350
; %bb.349:
	s_waitcnt lgkmcnt(1)
	v_lshrrev_b32_e32 v3, 2, v0
	v_and_b32_e32 v3, 16, v3
	ds_write_b8 v3, v6 offset:128
	ds_write_b64 v3, v[1:2] offset:136
.LBB478_350:
	s_or_b64 exec, exec, s[0:1]
	v_cmp_gt_u32_e32 vcc, 2, v0
	s_waitcnt lgkmcnt(0)
	s_barrier
	s_and_saveexec_b64 s[0:1], vcc
	s_cbranch_execz .LBB478_358
; %bb.351:
	v_lshlrev_b32_e32 v1, 4, v5
	ds_read_u8 v6, v1 offset:128
	ds_read_b64 v[1:2], v1 offset:136
	v_or_b32_e32 v4, 4, v9
	s_add_i32 s8, s8, 63
	v_and_b32_e32 v5, 1, v5
	s_waitcnt lgkmcnt(1)
	v_and_b32_e32 v7, 0xff, v6
	s_waitcnt lgkmcnt(0)
	ds_bpermute_b32 v3, v4, v1
	ds_bpermute_b32 v8, v4, v7
	;; [unrolled: 1-line block ×3, first 2 shown]
	s_lshr_b32 s2, s8, 6
	v_add_u32_e32 v5, 1, v5
	v_cmp_gt_u32_e32 vcc, s2, v5
	s_and_saveexec_b64 s[2:3], vcc
	s_cbranch_execz .LBB478_357
; %bb.352:
	s_waitcnt lgkmcnt(1)
	v_and_b32_e32 v5, v7, v8
	v_and_b32_e32 v5, 1, v5
	v_cmp_eq_u32_e32 vcc, 1, v5
	s_and_saveexec_b64 s[8:9], vcc
	s_xor_b64 s[8:9], exec, s[8:9]
	s_cbranch_execz .LBB478_354
; %bb.353:
	s_waitcnt lgkmcnt(0)
	v_cmp_lt_i64_e32 vcc, v[3:4], v[1:2]
                                        ; implicit-def: $vgpr6
                                        ; implicit-def: $vgpr8
	v_cndmask_b32_e32 v2, v2, v4, vcc
	v_cndmask_b32_e32 v1, v1, v3, vcc
                                        ; implicit-def: $vgpr3_vgpr4
.LBB478_354:
	s_or_saveexec_b64 s[8:9], s[8:9]
	v_mov_b32_e32 v7, 1
	s_xor_b64 exec, exec, s[8:9]
	s_cbranch_execz .LBB478_356
; %bb.355:
	v_and_b32_e32 v5, 1, v6
	v_cmp_eq_u32_e32 vcc, 1, v5
	s_waitcnt lgkmcnt(0)
	v_cndmask_b32_e32 v2, v4, v2, vcc
	v_cndmask_b32_e32 v1, v3, v1, vcc
	v_cndmask_b32_e64 v7, v8, 1, vcc
.LBB478_356:
	s_or_b64 exec, exec, s[8:9]
.LBB478_357:
	s_or_b64 exec, exec, s[2:3]
.LBB478_358:
	s_or_b64 exec, exec, s[0:1]
.LBB478_359:
	v_cmp_eq_u32_e32 vcc, 0, v0
                                        ; implicit-def: $vgpr3_vgpr4
                                        ; implicit-def: $vgpr5
	s_and_saveexec_b64 s[8:9], vcc
	s_cbranch_execz .LBB478_363
; %bb.360:
	s_waitcnt lgkmcnt(0)
	v_mov_b32_e32 v3, s18
	s_cmp_eq_u64 s[22:23], 0
	v_mov_b32_e32 v4, s19
	v_mov_b32_e32 v5, s33
	s_cbranch_scc1 .LBB478_362
; %bb.361:
	v_and_b32_e32 v0, 1, v7
	v_cmp_gt_i64_e64 s[0:1], s[18:19], v[1:2]
	s_bitcmp1_b32 s33, 0
	v_cmp_eq_u32_e32 vcc, 1, v0
	s_cselect_b64 s[2:3], -1, 0
	v_mov_b32_e32 v0, s18
	s_and_b64 vcc, vcc, s[0:1]
	v_mov_b32_e32 v3, s19
	v_cndmask_b32_e32 v0, v0, v1, vcc
	v_cndmask_b32_e32 v3, v3, v2, vcc
	v_cndmask_b32_e64 v5, v7, 1, s[2:3]
	v_cndmask_b32_e64 v4, v2, v3, s[2:3]
	;; [unrolled: 1-line block ×3, first 2 shown]
.LBB478_362:
	s_or_b64 s[14:15], s[14:15], exec
.LBB478_363:
	s_or_b64 exec, exec, s[8:9]
	v_mov_b32_e32 v1, s6
	v_mov_b32_e32 v2, s7
	s_and_saveexec_b64 s[0:1], s[14:15]
	s_cbranch_execnz .LBB478_307
	s_branch .LBB478_308
	.section	.rodata,"a",@progbits
	.p2align	6, 0x0
	.amdhsa_kernel _ZN7rocprim17ROCPRIM_400000_NS6detail17trampoline_kernelINS0_14default_configENS1_22reduce_config_selectorIN6thrust23THRUST_200600_302600_NS5tupleIblNS6_9null_typeES8_S8_S8_S8_S8_S8_S8_EEEEZNS1_11reduce_implILb1ES3_NS6_12zip_iteratorINS7_INS6_11hip_rocprim26transform_input_iterator_tIbNSD_35transform_pair_of_input_iterators_tIbNS6_6detail15normal_iteratorINS6_10device_ptrIKyEEEESL_NS6_8equal_toIyEEEENSG_9not_fun_tINSD_8identityEEEEENSD_19counting_iterator_tIlEES8_S8_S8_S8_S8_S8_S8_S8_EEEEPS9_S9_NSD_9__find_if7functorIS9_EEEE10hipError_tPvRmT1_T2_T3_mT4_P12ihipStream_tbEUlT_E1_NS1_11comp_targetILNS1_3genE2ELNS1_11target_archE906ELNS1_3gpuE6ELNS1_3repE0EEENS1_30default_config_static_selectorELNS0_4arch9wavefront6targetE1EEEvS14_
		.amdhsa_group_segment_fixed_size 160
		.amdhsa_private_segment_fixed_size 0
		.amdhsa_kernarg_size 88
		.amdhsa_user_sgpr_count 6
		.amdhsa_user_sgpr_private_segment_buffer 1
		.amdhsa_user_sgpr_dispatch_ptr 0
		.amdhsa_user_sgpr_queue_ptr 0
		.amdhsa_user_sgpr_kernarg_segment_ptr 1
		.amdhsa_user_sgpr_dispatch_id 0
		.amdhsa_user_sgpr_flat_scratch_init 0
		.amdhsa_user_sgpr_private_segment_size 0
		.amdhsa_uses_dynamic_stack 0
		.amdhsa_system_sgpr_private_segment_wavefront_offset 0
		.amdhsa_system_sgpr_workgroup_id_x 1
		.amdhsa_system_sgpr_workgroup_id_y 0
		.amdhsa_system_sgpr_workgroup_id_z 0
		.amdhsa_system_sgpr_workgroup_info 0
		.amdhsa_system_vgpr_workitem_id 0
		.amdhsa_next_free_vgpr 31
		.amdhsa_next_free_sgpr 42
		.amdhsa_reserve_vcc 1
		.amdhsa_reserve_flat_scratch 0
		.amdhsa_float_round_mode_32 0
		.amdhsa_float_round_mode_16_64 0
		.amdhsa_float_denorm_mode_32 3
		.amdhsa_float_denorm_mode_16_64 3
		.amdhsa_dx10_clamp 1
		.amdhsa_ieee_mode 1
		.amdhsa_fp16_overflow 0
		.amdhsa_exception_fp_ieee_invalid_op 0
		.amdhsa_exception_fp_denorm_src 0
		.amdhsa_exception_fp_ieee_div_zero 0
		.amdhsa_exception_fp_ieee_overflow 0
		.amdhsa_exception_fp_ieee_underflow 0
		.amdhsa_exception_fp_ieee_inexact 0
		.amdhsa_exception_int_div_zero 0
	.end_amdhsa_kernel
	.section	.text._ZN7rocprim17ROCPRIM_400000_NS6detail17trampoline_kernelINS0_14default_configENS1_22reduce_config_selectorIN6thrust23THRUST_200600_302600_NS5tupleIblNS6_9null_typeES8_S8_S8_S8_S8_S8_S8_EEEEZNS1_11reduce_implILb1ES3_NS6_12zip_iteratorINS7_INS6_11hip_rocprim26transform_input_iterator_tIbNSD_35transform_pair_of_input_iterators_tIbNS6_6detail15normal_iteratorINS6_10device_ptrIKyEEEESL_NS6_8equal_toIyEEEENSG_9not_fun_tINSD_8identityEEEEENSD_19counting_iterator_tIlEES8_S8_S8_S8_S8_S8_S8_S8_EEEEPS9_S9_NSD_9__find_if7functorIS9_EEEE10hipError_tPvRmT1_T2_T3_mT4_P12ihipStream_tbEUlT_E1_NS1_11comp_targetILNS1_3genE2ELNS1_11target_archE906ELNS1_3gpuE6ELNS1_3repE0EEENS1_30default_config_static_selectorELNS0_4arch9wavefront6targetE1EEEvS14_,"axG",@progbits,_ZN7rocprim17ROCPRIM_400000_NS6detail17trampoline_kernelINS0_14default_configENS1_22reduce_config_selectorIN6thrust23THRUST_200600_302600_NS5tupleIblNS6_9null_typeES8_S8_S8_S8_S8_S8_S8_EEEEZNS1_11reduce_implILb1ES3_NS6_12zip_iteratorINS7_INS6_11hip_rocprim26transform_input_iterator_tIbNSD_35transform_pair_of_input_iterators_tIbNS6_6detail15normal_iteratorINS6_10device_ptrIKyEEEESL_NS6_8equal_toIyEEEENSG_9not_fun_tINSD_8identityEEEEENSD_19counting_iterator_tIlEES8_S8_S8_S8_S8_S8_S8_S8_EEEEPS9_S9_NSD_9__find_if7functorIS9_EEEE10hipError_tPvRmT1_T2_T3_mT4_P12ihipStream_tbEUlT_E1_NS1_11comp_targetILNS1_3genE2ELNS1_11target_archE906ELNS1_3gpuE6ELNS1_3repE0EEENS1_30default_config_static_selectorELNS0_4arch9wavefront6targetE1EEEvS14_,comdat
.Lfunc_end478:
	.size	_ZN7rocprim17ROCPRIM_400000_NS6detail17trampoline_kernelINS0_14default_configENS1_22reduce_config_selectorIN6thrust23THRUST_200600_302600_NS5tupleIblNS6_9null_typeES8_S8_S8_S8_S8_S8_S8_EEEEZNS1_11reduce_implILb1ES3_NS6_12zip_iteratorINS7_INS6_11hip_rocprim26transform_input_iterator_tIbNSD_35transform_pair_of_input_iterators_tIbNS6_6detail15normal_iteratorINS6_10device_ptrIKyEEEESL_NS6_8equal_toIyEEEENSG_9not_fun_tINSD_8identityEEEEENSD_19counting_iterator_tIlEES8_S8_S8_S8_S8_S8_S8_S8_EEEEPS9_S9_NSD_9__find_if7functorIS9_EEEE10hipError_tPvRmT1_T2_T3_mT4_P12ihipStream_tbEUlT_E1_NS1_11comp_targetILNS1_3genE2ELNS1_11target_archE906ELNS1_3gpuE6ELNS1_3repE0EEENS1_30default_config_static_selectorELNS0_4arch9wavefront6targetE1EEEvS14_, .Lfunc_end478-_ZN7rocprim17ROCPRIM_400000_NS6detail17trampoline_kernelINS0_14default_configENS1_22reduce_config_selectorIN6thrust23THRUST_200600_302600_NS5tupleIblNS6_9null_typeES8_S8_S8_S8_S8_S8_S8_EEEEZNS1_11reduce_implILb1ES3_NS6_12zip_iteratorINS7_INS6_11hip_rocprim26transform_input_iterator_tIbNSD_35transform_pair_of_input_iterators_tIbNS6_6detail15normal_iteratorINS6_10device_ptrIKyEEEESL_NS6_8equal_toIyEEEENSG_9not_fun_tINSD_8identityEEEEENSD_19counting_iterator_tIlEES8_S8_S8_S8_S8_S8_S8_S8_EEEEPS9_S9_NSD_9__find_if7functorIS9_EEEE10hipError_tPvRmT1_T2_T3_mT4_P12ihipStream_tbEUlT_E1_NS1_11comp_targetILNS1_3genE2ELNS1_11target_archE906ELNS1_3gpuE6ELNS1_3repE0EEENS1_30default_config_static_selectorELNS0_4arch9wavefront6targetE1EEEvS14_
                                        ; -- End function
	.set _ZN7rocprim17ROCPRIM_400000_NS6detail17trampoline_kernelINS0_14default_configENS1_22reduce_config_selectorIN6thrust23THRUST_200600_302600_NS5tupleIblNS6_9null_typeES8_S8_S8_S8_S8_S8_S8_EEEEZNS1_11reduce_implILb1ES3_NS6_12zip_iteratorINS7_INS6_11hip_rocprim26transform_input_iterator_tIbNSD_35transform_pair_of_input_iterators_tIbNS6_6detail15normal_iteratorINS6_10device_ptrIKyEEEESL_NS6_8equal_toIyEEEENSG_9not_fun_tINSD_8identityEEEEENSD_19counting_iterator_tIlEES8_S8_S8_S8_S8_S8_S8_S8_EEEEPS9_S9_NSD_9__find_if7functorIS9_EEEE10hipError_tPvRmT1_T2_T3_mT4_P12ihipStream_tbEUlT_E1_NS1_11comp_targetILNS1_3genE2ELNS1_11target_archE906ELNS1_3gpuE6ELNS1_3repE0EEENS1_30default_config_static_selectorELNS0_4arch9wavefront6targetE1EEEvS14_.num_vgpr, 31
	.set _ZN7rocprim17ROCPRIM_400000_NS6detail17trampoline_kernelINS0_14default_configENS1_22reduce_config_selectorIN6thrust23THRUST_200600_302600_NS5tupleIblNS6_9null_typeES8_S8_S8_S8_S8_S8_S8_EEEEZNS1_11reduce_implILb1ES3_NS6_12zip_iteratorINS7_INS6_11hip_rocprim26transform_input_iterator_tIbNSD_35transform_pair_of_input_iterators_tIbNS6_6detail15normal_iteratorINS6_10device_ptrIKyEEEESL_NS6_8equal_toIyEEEENSG_9not_fun_tINSD_8identityEEEEENSD_19counting_iterator_tIlEES8_S8_S8_S8_S8_S8_S8_S8_EEEEPS9_S9_NSD_9__find_if7functorIS9_EEEE10hipError_tPvRmT1_T2_T3_mT4_P12ihipStream_tbEUlT_E1_NS1_11comp_targetILNS1_3genE2ELNS1_11target_archE906ELNS1_3gpuE6ELNS1_3repE0EEENS1_30default_config_static_selectorELNS0_4arch9wavefront6targetE1EEEvS14_.num_agpr, 0
	.set _ZN7rocprim17ROCPRIM_400000_NS6detail17trampoline_kernelINS0_14default_configENS1_22reduce_config_selectorIN6thrust23THRUST_200600_302600_NS5tupleIblNS6_9null_typeES8_S8_S8_S8_S8_S8_S8_EEEEZNS1_11reduce_implILb1ES3_NS6_12zip_iteratorINS7_INS6_11hip_rocprim26transform_input_iterator_tIbNSD_35transform_pair_of_input_iterators_tIbNS6_6detail15normal_iteratorINS6_10device_ptrIKyEEEESL_NS6_8equal_toIyEEEENSG_9not_fun_tINSD_8identityEEEEENSD_19counting_iterator_tIlEES8_S8_S8_S8_S8_S8_S8_S8_EEEEPS9_S9_NSD_9__find_if7functorIS9_EEEE10hipError_tPvRmT1_T2_T3_mT4_P12ihipStream_tbEUlT_E1_NS1_11comp_targetILNS1_3genE2ELNS1_11target_archE906ELNS1_3gpuE6ELNS1_3repE0EEENS1_30default_config_static_selectorELNS0_4arch9wavefront6targetE1EEEvS14_.numbered_sgpr, 42
	.set _ZN7rocprim17ROCPRIM_400000_NS6detail17trampoline_kernelINS0_14default_configENS1_22reduce_config_selectorIN6thrust23THRUST_200600_302600_NS5tupleIblNS6_9null_typeES8_S8_S8_S8_S8_S8_S8_EEEEZNS1_11reduce_implILb1ES3_NS6_12zip_iteratorINS7_INS6_11hip_rocprim26transform_input_iterator_tIbNSD_35transform_pair_of_input_iterators_tIbNS6_6detail15normal_iteratorINS6_10device_ptrIKyEEEESL_NS6_8equal_toIyEEEENSG_9not_fun_tINSD_8identityEEEEENSD_19counting_iterator_tIlEES8_S8_S8_S8_S8_S8_S8_S8_EEEEPS9_S9_NSD_9__find_if7functorIS9_EEEE10hipError_tPvRmT1_T2_T3_mT4_P12ihipStream_tbEUlT_E1_NS1_11comp_targetILNS1_3genE2ELNS1_11target_archE906ELNS1_3gpuE6ELNS1_3repE0EEENS1_30default_config_static_selectorELNS0_4arch9wavefront6targetE1EEEvS14_.num_named_barrier, 0
	.set _ZN7rocprim17ROCPRIM_400000_NS6detail17trampoline_kernelINS0_14default_configENS1_22reduce_config_selectorIN6thrust23THRUST_200600_302600_NS5tupleIblNS6_9null_typeES8_S8_S8_S8_S8_S8_S8_EEEEZNS1_11reduce_implILb1ES3_NS6_12zip_iteratorINS7_INS6_11hip_rocprim26transform_input_iterator_tIbNSD_35transform_pair_of_input_iterators_tIbNS6_6detail15normal_iteratorINS6_10device_ptrIKyEEEESL_NS6_8equal_toIyEEEENSG_9not_fun_tINSD_8identityEEEEENSD_19counting_iterator_tIlEES8_S8_S8_S8_S8_S8_S8_S8_EEEEPS9_S9_NSD_9__find_if7functorIS9_EEEE10hipError_tPvRmT1_T2_T3_mT4_P12ihipStream_tbEUlT_E1_NS1_11comp_targetILNS1_3genE2ELNS1_11target_archE906ELNS1_3gpuE6ELNS1_3repE0EEENS1_30default_config_static_selectorELNS0_4arch9wavefront6targetE1EEEvS14_.private_seg_size, 0
	.set _ZN7rocprim17ROCPRIM_400000_NS6detail17trampoline_kernelINS0_14default_configENS1_22reduce_config_selectorIN6thrust23THRUST_200600_302600_NS5tupleIblNS6_9null_typeES8_S8_S8_S8_S8_S8_S8_EEEEZNS1_11reduce_implILb1ES3_NS6_12zip_iteratorINS7_INS6_11hip_rocprim26transform_input_iterator_tIbNSD_35transform_pair_of_input_iterators_tIbNS6_6detail15normal_iteratorINS6_10device_ptrIKyEEEESL_NS6_8equal_toIyEEEENSG_9not_fun_tINSD_8identityEEEEENSD_19counting_iterator_tIlEES8_S8_S8_S8_S8_S8_S8_S8_EEEEPS9_S9_NSD_9__find_if7functorIS9_EEEE10hipError_tPvRmT1_T2_T3_mT4_P12ihipStream_tbEUlT_E1_NS1_11comp_targetILNS1_3genE2ELNS1_11target_archE906ELNS1_3gpuE6ELNS1_3repE0EEENS1_30default_config_static_selectorELNS0_4arch9wavefront6targetE1EEEvS14_.uses_vcc, 1
	.set _ZN7rocprim17ROCPRIM_400000_NS6detail17trampoline_kernelINS0_14default_configENS1_22reduce_config_selectorIN6thrust23THRUST_200600_302600_NS5tupleIblNS6_9null_typeES8_S8_S8_S8_S8_S8_S8_EEEEZNS1_11reduce_implILb1ES3_NS6_12zip_iteratorINS7_INS6_11hip_rocprim26transform_input_iterator_tIbNSD_35transform_pair_of_input_iterators_tIbNS6_6detail15normal_iteratorINS6_10device_ptrIKyEEEESL_NS6_8equal_toIyEEEENSG_9not_fun_tINSD_8identityEEEEENSD_19counting_iterator_tIlEES8_S8_S8_S8_S8_S8_S8_S8_EEEEPS9_S9_NSD_9__find_if7functorIS9_EEEE10hipError_tPvRmT1_T2_T3_mT4_P12ihipStream_tbEUlT_E1_NS1_11comp_targetILNS1_3genE2ELNS1_11target_archE906ELNS1_3gpuE6ELNS1_3repE0EEENS1_30default_config_static_selectorELNS0_4arch9wavefront6targetE1EEEvS14_.uses_flat_scratch, 0
	.set _ZN7rocprim17ROCPRIM_400000_NS6detail17trampoline_kernelINS0_14default_configENS1_22reduce_config_selectorIN6thrust23THRUST_200600_302600_NS5tupleIblNS6_9null_typeES8_S8_S8_S8_S8_S8_S8_EEEEZNS1_11reduce_implILb1ES3_NS6_12zip_iteratorINS7_INS6_11hip_rocprim26transform_input_iterator_tIbNSD_35transform_pair_of_input_iterators_tIbNS6_6detail15normal_iteratorINS6_10device_ptrIKyEEEESL_NS6_8equal_toIyEEEENSG_9not_fun_tINSD_8identityEEEEENSD_19counting_iterator_tIlEES8_S8_S8_S8_S8_S8_S8_S8_EEEEPS9_S9_NSD_9__find_if7functorIS9_EEEE10hipError_tPvRmT1_T2_T3_mT4_P12ihipStream_tbEUlT_E1_NS1_11comp_targetILNS1_3genE2ELNS1_11target_archE906ELNS1_3gpuE6ELNS1_3repE0EEENS1_30default_config_static_selectorELNS0_4arch9wavefront6targetE1EEEvS14_.has_dyn_sized_stack, 0
	.set _ZN7rocprim17ROCPRIM_400000_NS6detail17trampoline_kernelINS0_14default_configENS1_22reduce_config_selectorIN6thrust23THRUST_200600_302600_NS5tupleIblNS6_9null_typeES8_S8_S8_S8_S8_S8_S8_EEEEZNS1_11reduce_implILb1ES3_NS6_12zip_iteratorINS7_INS6_11hip_rocprim26transform_input_iterator_tIbNSD_35transform_pair_of_input_iterators_tIbNS6_6detail15normal_iteratorINS6_10device_ptrIKyEEEESL_NS6_8equal_toIyEEEENSG_9not_fun_tINSD_8identityEEEEENSD_19counting_iterator_tIlEES8_S8_S8_S8_S8_S8_S8_S8_EEEEPS9_S9_NSD_9__find_if7functorIS9_EEEE10hipError_tPvRmT1_T2_T3_mT4_P12ihipStream_tbEUlT_E1_NS1_11comp_targetILNS1_3genE2ELNS1_11target_archE906ELNS1_3gpuE6ELNS1_3repE0EEENS1_30default_config_static_selectorELNS0_4arch9wavefront6targetE1EEEvS14_.has_recursion, 0
	.set _ZN7rocprim17ROCPRIM_400000_NS6detail17trampoline_kernelINS0_14default_configENS1_22reduce_config_selectorIN6thrust23THRUST_200600_302600_NS5tupleIblNS6_9null_typeES8_S8_S8_S8_S8_S8_S8_EEEEZNS1_11reduce_implILb1ES3_NS6_12zip_iteratorINS7_INS6_11hip_rocprim26transform_input_iterator_tIbNSD_35transform_pair_of_input_iterators_tIbNS6_6detail15normal_iteratorINS6_10device_ptrIKyEEEESL_NS6_8equal_toIyEEEENSG_9not_fun_tINSD_8identityEEEEENSD_19counting_iterator_tIlEES8_S8_S8_S8_S8_S8_S8_S8_EEEEPS9_S9_NSD_9__find_if7functorIS9_EEEE10hipError_tPvRmT1_T2_T3_mT4_P12ihipStream_tbEUlT_E1_NS1_11comp_targetILNS1_3genE2ELNS1_11target_archE906ELNS1_3gpuE6ELNS1_3repE0EEENS1_30default_config_static_selectorELNS0_4arch9wavefront6targetE1EEEvS14_.has_indirect_call, 0
	.section	.AMDGPU.csdata,"",@progbits
; Kernel info:
; codeLenInByte = 13192
; TotalNumSgprs: 46
; NumVgprs: 31
; ScratchSize: 0
; MemoryBound: 0
; FloatMode: 240
; IeeeMode: 1
; LDSByteSize: 160 bytes/workgroup (compile time only)
; SGPRBlocks: 5
; VGPRBlocks: 7
; NumSGPRsForWavesPerEU: 46
; NumVGPRsForWavesPerEU: 31
; Occupancy: 8
; WaveLimiterHint : 0
; COMPUTE_PGM_RSRC2:SCRATCH_EN: 0
; COMPUTE_PGM_RSRC2:USER_SGPR: 6
; COMPUTE_PGM_RSRC2:TRAP_HANDLER: 0
; COMPUTE_PGM_RSRC2:TGID_X_EN: 1
; COMPUTE_PGM_RSRC2:TGID_Y_EN: 0
; COMPUTE_PGM_RSRC2:TGID_Z_EN: 0
; COMPUTE_PGM_RSRC2:TIDIG_COMP_CNT: 0
	.section	.text._ZN7rocprim17ROCPRIM_400000_NS6detail17trampoline_kernelINS0_14default_configENS1_22reduce_config_selectorIN6thrust23THRUST_200600_302600_NS5tupleIblNS6_9null_typeES8_S8_S8_S8_S8_S8_S8_EEEEZNS1_11reduce_implILb1ES3_NS6_12zip_iteratorINS7_INS6_11hip_rocprim26transform_input_iterator_tIbNSD_35transform_pair_of_input_iterators_tIbNS6_6detail15normal_iteratorINS6_10device_ptrIKyEEEESL_NS6_8equal_toIyEEEENSG_9not_fun_tINSD_8identityEEEEENSD_19counting_iterator_tIlEES8_S8_S8_S8_S8_S8_S8_S8_EEEEPS9_S9_NSD_9__find_if7functorIS9_EEEE10hipError_tPvRmT1_T2_T3_mT4_P12ihipStream_tbEUlT_E1_NS1_11comp_targetILNS1_3genE10ELNS1_11target_archE1201ELNS1_3gpuE5ELNS1_3repE0EEENS1_30default_config_static_selectorELNS0_4arch9wavefront6targetE1EEEvS14_,"axG",@progbits,_ZN7rocprim17ROCPRIM_400000_NS6detail17trampoline_kernelINS0_14default_configENS1_22reduce_config_selectorIN6thrust23THRUST_200600_302600_NS5tupleIblNS6_9null_typeES8_S8_S8_S8_S8_S8_S8_EEEEZNS1_11reduce_implILb1ES3_NS6_12zip_iteratorINS7_INS6_11hip_rocprim26transform_input_iterator_tIbNSD_35transform_pair_of_input_iterators_tIbNS6_6detail15normal_iteratorINS6_10device_ptrIKyEEEESL_NS6_8equal_toIyEEEENSG_9not_fun_tINSD_8identityEEEEENSD_19counting_iterator_tIlEES8_S8_S8_S8_S8_S8_S8_S8_EEEEPS9_S9_NSD_9__find_if7functorIS9_EEEE10hipError_tPvRmT1_T2_T3_mT4_P12ihipStream_tbEUlT_E1_NS1_11comp_targetILNS1_3genE10ELNS1_11target_archE1201ELNS1_3gpuE5ELNS1_3repE0EEENS1_30default_config_static_selectorELNS0_4arch9wavefront6targetE1EEEvS14_,comdat
	.protected	_ZN7rocprim17ROCPRIM_400000_NS6detail17trampoline_kernelINS0_14default_configENS1_22reduce_config_selectorIN6thrust23THRUST_200600_302600_NS5tupleIblNS6_9null_typeES8_S8_S8_S8_S8_S8_S8_EEEEZNS1_11reduce_implILb1ES3_NS6_12zip_iteratorINS7_INS6_11hip_rocprim26transform_input_iterator_tIbNSD_35transform_pair_of_input_iterators_tIbNS6_6detail15normal_iteratorINS6_10device_ptrIKyEEEESL_NS6_8equal_toIyEEEENSG_9not_fun_tINSD_8identityEEEEENSD_19counting_iterator_tIlEES8_S8_S8_S8_S8_S8_S8_S8_EEEEPS9_S9_NSD_9__find_if7functorIS9_EEEE10hipError_tPvRmT1_T2_T3_mT4_P12ihipStream_tbEUlT_E1_NS1_11comp_targetILNS1_3genE10ELNS1_11target_archE1201ELNS1_3gpuE5ELNS1_3repE0EEENS1_30default_config_static_selectorELNS0_4arch9wavefront6targetE1EEEvS14_ ; -- Begin function _ZN7rocprim17ROCPRIM_400000_NS6detail17trampoline_kernelINS0_14default_configENS1_22reduce_config_selectorIN6thrust23THRUST_200600_302600_NS5tupleIblNS6_9null_typeES8_S8_S8_S8_S8_S8_S8_EEEEZNS1_11reduce_implILb1ES3_NS6_12zip_iteratorINS7_INS6_11hip_rocprim26transform_input_iterator_tIbNSD_35transform_pair_of_input_iterators_tIbNS6_6detail15normal_iteratorINS6_10device_ptrIKyEEEESL_NS6_8equal_toIyEEEENSG_9not_fun_tINSD_8identityEEEEENSD_19counting_iterator_tIlEES8_S8_S8_S8_S8_S8_S8_S8_EEEEPS9_S9_NSD_9__find_if7functorIS9_EEEE10hipError_tPvRmT1_T2_T3_mT4_P12ihipStream_tbEUlT_E1_NS1_11comp_targetILNS1_3genE10ELNS1_11target_archE1201ELNS1_3gpuE5ELNS1_3repE0EEENS1_30default_config_static_selectorELNS0_4arch9wavefront6targetE1EEEvS14_
	.globl	_ZN7rocprim17ROCPRIM_400000_NS6detail17trampoline_kernelINS0_14default_configENS1_22reduce_config_selectorIN6thrust23THRUST_200600_302600_NS5tupleIblNS6_9null_typeES8_S8_S8_S8_S8_S8_S8_EEEEZNS1_11reduce_implILb1ES3_NS6_12zip_iteratorINS7_INS6_11hip_rocprim26transform_input_iterator_tIbNSD_35transform_pair_of_input_iterators_tIbNS6_6detail15normal_iteratorINS6_10device_ptrIKyEEEESL_NS6_8equal_toIyEEEENSG_9not_fun_tINSD_8identityEEEEENSD_19counting_iterator_tIlEES8_S8_S8_S8_S8_S8_S8_S8_EEEEPS9_S9_NSD_9__find_if7functorIS9_EEEE10hipError_tPvRmT1_T2_T3_mT4_P12ihipStream_tbEUlT_E1_NS1_11comp_targetILNS1_3genE10ELNS1_11target_archE1201ELNS1_3gpuE5ELNS1_3repE0EEENS1_30default_config_static_selectorELNS0_4arch9wavefront6targetE1EEEvS14_
	.p2align	8
	.type	_ZN7rocprim17ROCPRIM_400000_NS6detail17trampoline_kernelINS0_14default_configENS1_22reduce_config_selectorIN6thrust23THRUST_200600_302600_NS5tupleIblNS6_9null_typeES8_S8_S8_S8_S8_S8_S8_EEEEZNS1_11reduce_implILb1ES3_NS6_12zip_iteratorINS7_INS6_11hip_rocprim26transform_input_iterator_tIbNSD_35transform_pair_of_input_iterators_tIbNS6_6detail15normal_iteratorINS6_10device_ptrIKyEEEESL_NS6_8equal_toIyEEEENSG_9not_fun_tINSD_8identityEEEEENSD_19counting_iterator_tIlEES8_S8_S8_S8_S8_S8_S8_S8_EEEEPS9_S9_NSD_9__find_if7functorIS9_EEEE10hipError_tPvRmT1_T2_T3_mT4_P12ihipStream_tbEUlT_E1_NS1_11comp_targetILNS1_3genE10ELNS1_11target_archE1201ELNS1_3gpuE5ELNS1_3repE0EEENS1_30default_config_static_selectorELNS0_4arch9wavefront6targetE1EEEvS14_,@function
_ZN7rocprim17ROCPRIM_400000_NS6detail17trampoline_kernelINS0_14default_configENS1_22reduce_config_selectorIN6thrust23THRUST_200600_302600_NS5tupleIblNS6_9null_typeES8_S8_S8_S8_S8_S8_S8_EEEEZNS1_11reduce_implILb1ES3_NS6_12zip_iteratorINS7_INS6_11hip_rocprim26transform_input_iterator_tIbNSD_35transform_pair_of_input_iterators_tIbNS6_6detail15normal_iteratorINS6_10device_ptrIKyEEEESL_NS6_8equal_toIyEEEENSG_9not_fun_tINSD_8identityEEEEENSD_19counting_iterator_tIlEES8_S8_S8_S8_S8_S8_S8_S8_EEEEPS9_S9_NSD_9__find_if7functorIS9_EEEE10hipError_tPvRmT1_T2_T3_mT4_P12ihipStream_tbEUlT_E1_NS1_11comp_targetILNS1_3genE10ELNS1_11target_archE1201ELNS1_3gpuE5ELNS1_3repE0EEENS1_30default_config_static_selectorELNS0_4arch9wavefront6targetE1EEEvS14_: ; @_ZN7rocprim17ROCPRIM_400000_NS6detail17trampoline_kernelINS0_14default_configENS1_22reduce_config_selectorIN6thrust23THRUST_200600_302600_NS5tupleIblNS6_9null_typeES8_S8_S8_S8_S8_S8_S8_EEEEZNS1_11reduce_implILb1ES3_NS6_12zip_iteratorINS7_INS6_11hip_rocprim26transform_input_iterator_tIbNSD_35transform_pair_of_input_iterators_tIbNS6_6detail15normal_iteratorINS6_10device_ptrIKyEEEESL_NS6_8equal_toIyEEEENSG_9not_fun_tINSD_8identityEEEEENSD_19counting_iterator_tIlEES8_S8_S8_S8_S8_S8_S8_S8_EEEEPS9_S9_NSD_9__find_if7functorIS9_EEEE10hipError_tPvRmT1_T2_T3_mT4_P12ihipStream_tbEUlT_E1_NS1_11comp_targetILNS1_3genE10ELNS1_11target_archE1201ELNS1_3gpuE5ELNS1_3repE0EEENS1_30default_config_static_selectorELNS0_4arch9wavefront6targetE1EEEvS14_
; %bb.0:
	.section	.rodata,"a",@progbits
	.p2align	6, 0x0
	.amdhsa_kernel _ZN7rocprim17ROCPRIM_400000_NS6detail17trampoline_kernelINS0_14default_configENS1_22reduce_config_selectorIN6thrust23THRUST_200600_302600_NS5tupleIblNS6_9null_typeES8_S8_S8_S8_S8_S8_S8_EEEEZNS1_11reduce_implILb1ES3_NS6_12zip_iteratorINS7_INS6_11hip_rocprim26transform_input_iterator_tIbNSD_35transform_pair_of_input_iterators_tIbNS6_6detail15normal_iteratorINS6_10device_ptrIKyEEEESL_NS6_8equal_toIyEEEENSG_9not_fun_tINSD_8identityEEEEENSD_19counting_iterator_tIlEES8_S8_S8_S8_S8_S8_S8_S8_EEEEPS9_S9_NSD_9__find_if7functorIS9_EEEE10hipError_tPvRmT1_T2_T3_mT4_P12ihipStream_tbEUlT_E1_NS1_11comp_targetILNS1_3genE10ELNS1_11target_archE1201ELNS1_3gpuE5ELNS1_3repE0EEENS1_30default_config_static_selectorELNS0_4arch9wavefront6targetE1EEEvS14_
		.amdhsa_group_segment_fixed_size 0
		.amdhsa_private_segment_fixed_size 0
		.amdhsa_kernarg_size 88
		.amdhsa_user_sgpr_count 6
		.amdhsa_user_sgpr_private_segment_buffer 1
		.amdhsa_user_sgpr_dispatch_ptr 0
		.amdhsa_user_sgpr_queue_ptr 0
		.amdhsa_user_sgpr_kernarg_segment_ptr 1
		.amdhsa_user_sgpr_dispatch_id 0
		.amdhsa_user_sgpr_flat_scratch_init 0
		.amdhsa_user_sgpr_private_segment_size 0
		.amdhsa_uses_dynamic_stack 0
		.amdhsa_system_sgpr_private_segment_wavefront_offset 0
		.amdhsa_system_sgpr_workgroup_id_x 1
		.amdhsa_system_sgpr_workgroup_id_y 0
		.amdhsa_system_sgpr_workgroup_id_z 0
		.amdhsa_system_sgpr_workgroup_info 0
		.amdhsa_system_vgpr_workitem_id 0
		.amdhsa_next_free_vgpr 1
		.amdhsa_next_free_sgpr 0
		.amdhsa_reserve_vcc 0
		.amdhsa_reserve_flat_scratch 0
		.amdhsa_float_round_mode_32 0
		.amdhsa_float_round_mode_16_64 0
		.amdhsa_float_denorm_mode_32 3
		.amdhsa_float_denorm_mode_16_64 3
		.amdhsa_dx10_clamp 1
		.amdhsa_ieee_mode 1
		.amdhsa_fp16_overflow 0
		.amdhsa_exception_fp_ieee_invalid_op 0
		.amdhsa_exception_fp_denorm_src 0
		.amdhsa_exception_fp_ieee_div_zero 0
		.amdhsa_exception_fp_ieee_overflow 0
		.amdhsa_exception_fp_ieee_underflow 0
		.amdhsa_exception_fp_ieee_inexact 0
		.amdhsa_exception_int_div_zero 0
	.end_amdhsa_kernel
	.section	.text._ZN7rocprim17ROCPRIM_400000_NS6detail17trampoline_kernelINS0_14default_configENS1_22reduce_config_selectorIN6thrust23THRUST_200600_302600_NS5tupleIblNS6_9null_typeES8_S8_S8_S8_S8_S8_S8_EEEEZNS1_11reduce_implILb1ES3_NS6_12zip_iteratorINS7_INS6_11hip_rocprim26transform_input_iterator_tIbNSD_35transform_pair_of_input_iterators_tIbNS6_6detail15normal_iteratorINS6_10device_ptrIKyEEEESL_NS6_8equal_toIyEEEENSG_9not_fun_tINSD_8identityEEEEENSD_19counting_iterator_tIlEES8_S8_S8_S8_S8_S8_S8_S8_EEEEPS9_S9_NSD_9__find_if7functorIS9_EEEE10hipError_tPvRmT1_T2_T3_mT4_P12ihipStream_tbEUlT_E1_NS1_11comp_targetILNS1_3genE10ELNS1_11target_archE1201ELNS1_3gpuE5ELNS1_3repE0EEENS1_30default_config_static_selectorELNS0_4arch9wavefront6targetE1EEEvS14_,"axG",@progbits,_ZN7rocprim17ROCPRIM_400000_NS6detail17trampoline_kernelINS0_14default_configENS1_22reduce_config_selectorIN6thrust23THRUST_200600_302600_NS5tupleIblNS6_9null_typeES8_S8_S8_S8_S8_S8_S8_EEEEZNS1_11reduce_implILb1ES3_NS6_12zip_iteratorINS7_INS6_11hip_rocprim26transform_input_iterator_tIbNSD_35transform_pair_of_input_iterators_tIbNS6_6detail15normal_iteratorINS6_10device_ptrIKyEEEESL_NS6_8equal_toIyEEEENSG_9not_fun_tINSD_8identityEEEEENSD_19counting_iterator_tIlEES8_S8_S8_S8_S8_S8_S8_S8_EEEEPS9_S9_NSD_9__find_if7functorIS9_EEEE10hipError_tPvRmT1_T2_T3_mT4_P12ihipStream_tbEUlT_E1_NS1_11comp_targetILNS1_3genE10ELNS1_11target_archE1201ELNS1_3gpuE5ELNS1_3repE0EEENS1_30default_config_static_selectorELNS0_4arch9wavefront6targetE1EEEvS14_,comdat
.Lfunc_end479:
	.size	_ZN7rocprim17ROCPRIM_400000_NS6detail17trampoline_kernelINS0_14default_configENS1_22reduce_config_selectorIN6thrust23THRUST_200600_302600_NS5tupleIblNS6_9null_typeES8_S8_S8_S8_S8_S8_S8_EEEEZNS1_11reduce_implILb1ES3_NS6_12zip_iteratorINS7_INS6_11hip_rocprim26transform_input_iterator_tIbNSD_35transform_pair_of_input_iterators_tIbNS6_6detail15normal_iteratorINS6_10device_ptrIKyEEEESL_NS6_8equal_toIyEEEENSG_9not_fun_tINSD_8identityEEEEENSD_19counting_iterator_tIlEES8_S8_S8_S8_S8_S8_S8_S8_EEEEPS9_S9_NSD_9__find_if7functorIS9_EEEE10hipError_tPvRmT1_T2_T3_mT4_P12ihipStream_tbEUlT_E1_NS1_11comp_targetILNS1_3genE10ELNS1_11target_archE1201ELNS1_3gpuE5ELNS1_3repE0EEENS1_30default_config_static_selectorELNS0_4arch9wavefront6targetE1EEEvS14_, .Lfunc_end479-_ZN7rocprim17ROCPRIM_400000_NS6detail17trampoline_kernelINS0_14default_configENS1_22reduce_config_selectorIN6thrust23THRUST_200600_302600_NS5tupleIblNS6_9null_typeES8_S8_S8_S8_S8_S8_S8_EEEEZNS1_11reduce_implILb1ES3_NS6_12zip_iteratorINS7_INS6_11hip_rocprim26transform_input_iterator_tIbNSD_35transform_pair_of_input_iterators_tIbNS6_6detail15normal_iteratorINS6_10device_ptrIKyEEEESL_NS6_8equal_toIyEEEENSG_9not_fun_tINSD_8identityEEEEENSD_19counting_iterator_tIlEES8_S8_S8_S8_S8_S8_S8_S8_EEEEPS9_S9_NSD_9__find_if7functorIS9_EEEE10hipError_tPvRmT1_T2_T3_mT4_P12ihipStream_tbEUlT_E1_NS1_11comp_targetILNS1_3genE10ELNS1_11target_archE1201ELNS1_3gpuE5ELNS1_3repE0EEENS1_30default_config_static_selectorELNS0_4arch9wavefront6targetE1EEEvS14_
                                        ; -- End function
	.set _ZN7rocprim17ROCPRIM_400000_NS6detail17trampoline_kernelINS0_14default_configENS1_22reduce_config_selectorIN6thrust23THRUST_200600_302600_NS5tupleIblNS6_9null_typeES8_S8_S8_S8_S8_S8_S8_EEEEZNS1_11reduce_implILb1ES3_NS6_12zip_iteratorINS7_INS6_11hip_rocprim26transform_input_iterator_tIbNSD_35transform_pair_of_input_iterators_tIbNS6_6detail15normal_iteratorINS6_10device_ptrIKyEEEESL_NS6_8equal_toIyEEEENSG_9not_fun_tINSD_8identityEEEEENSD_19counting_iterator_tIlEES8_S8_S8_S8_S8_S8_S8_S8_EEEEPS9_S9_NSD_9__find_if7functorIS9_EEEE10hipError_tPvRmT1_T2_T3_mT4_P12ihipStream_tbEUlT_E1_NS1_11comp_targetILNS1_3genE10ELNS1_11target_archE1201ELNS1_3gpuE5ELNS1_3repE0EEENS1_30default_config_static_selectorELNS0_4arch9wavefront6targetE1EEEvS14_.num_vgpr, 0
	.set _ZN7rocprim17ROCPRIM_400000_NS6detail17trampoline_kernelINS0_14default_configENS1_22reduce_config_selectorIN6thrust23THRUST_200600_302600_NS5tupleIblNS6_9null_typeES8_S8_S8_S8_S8_S8_S8_EEEEZNS1_11reduce_implILb1ES3_NS6_12zip_iteratorINS7_INS6_11hip_rocprim26transform_input_iterator_tIbNSD_35transform_pair_of_input_iterators_tIbNS6_6detail15normal_iteratorINS6_10device_ptrIKyEEEESL_NS6_8equal_toIyEEEENSG_9not_fun_tINSD_8identityEEEEENSD_19counting_iterator_tIlEES8_S8_S8_S8_S8_S8_S8_S8_EEEEPS9_S9_NSD_9__find_if7functorIS9_EEEE10hipError_tPvRmT1_T2_T3_mT4_P12ihipStream_tbEUlT_E1_NS1_11comp_targetILNS1_3genE10ELNS1_11target_archE1201ELNS1_3gpuE5ELNS1_3repE0EEENS1_30default_config_static_selectorELNS0_4arch9wavefront6targetE1EEEvS14_.num_agpr, 0
	.set _ZN7rocprim17ROCPRIM_400000_NS6detail17trampoline_kernelINS0_14default_configENS1_22reduce_config_selectorIN6thrust23THRUST_200600_302600_NS5tupleIblNS6_9null_typeES8_S8_S8_S8_S8_S8_S8_EEEEZNS1_11reduce_implILb1ES3_NS6_12zip_iteratorINS7_INS6_11hip_rocprim26transform_input_iterator_tIbNSD_35transform_pair_of_input_iterators_tIbNS6_6detail15normal_iteratorINS6_10device_ptrIKyEEEESL_NS6_8equal_toIyEEEENSG_9not_fun_tINSD_8identityEEEEENSD_19counting_iterator_tIlEES8_S8_S8_S8_S8_S8_S8_S8_EEEEPS9_S9_NSD_9__find_if7functorIS9_EEEE10hipError_tPvRmT1_T2_T3_mT4_P12ihipStream_tbEUlT_E1_NS1_11comp_targetILNS1_3genE10ELNS1_11target_archE1201ELNS1_3gpuE5ELNS1_3repE0EEENS1_30default_config_static_selectorELNS0_4arch9wavefront6targetE1EEEvS14_.numbered_sgpr, 0
	.set _ZN7rocprim17ROCPRIM_400000_NS6detail17trampoline_kernelINS0_14default_configENS1_22reduce_config_selectorIN6thrust23THRUST_200600_302600_NS5tupleIblNS6_9null_typeES8_S8_S8_S8_S8_S8_S8_EEEEZNS1_11reduce_implILb1ES3_NS6_12zip_iteratorINS7_INS6_11hip_rocprim26transform_input_iterator_tIbNSD_35transform_pair_of_input_iterators_tIbNS6_6detail15normal_iteratorINS6_10device_ptrIKyEEEESL_NS6_8equal_toIyEEEENSG_9not_fun_tINSD_8identityEEEEENSD_19counting_iterator_tIlEES8_S8_S8_S8_S8_S8_S8_S8_EEEEPS9_S9_NSD_9__find_if7functorIS9_EEEE10hipError_tPvRmT1_T2_T3_mT4_P12ihipStream_tbEUlT_E1_NS1_11comp_targetILNS1_3genE10ELNS1_11target_archE1201ELNS1_3gpuE5ELNS1_3repE0EEENS1_30default_config_static_selectorELNS0_4arch9wavefront6targetE1EEEvS14_.num_named_barrier, 0
	.set _ZN7rocprim17ROCPRIM_400000_NS6detail17trampoline_kernelINS0_14default_configENS1_22reduce_config_selectorIN6thrust23THRUST_200600_302600_NS5tupleIblNS6_9null_typeES8_S8_S8_S8_S8_S8_S8_EEEEZNS1_11reduce_implILb1ES3_NS6_12zip_iteratorINS7_INS6_11hip_rocprim26transform_input_iterator_tIbNSD_35transform_pair_of_input_iterators_tIbNS6_6detail15normal_iteratorINS6_10device_ptrIKyEEEESL_NS6_8equal_toIyEEEENSG_9not_fun_tINSD_8identityEEEEENSD_19counting_iterator_tIlEES8_S8_S8_S8_S8_S8_S8_S8_EEEEPS9_S9_NSD_9__find_if7functorIS9_EEEE10hipError_tPvRmT1_T2_T3_mT4_P12ihipStream_tbEUlT_E1_NS1_11comp_targetILNS1_3genE10ELNS1_11target_archE1201ELNS1_3gpuE5ELNS1_3repE0EEENS1_30default_config_static_selectorELNS0_4arch9wavefront6targetE1EEEvS14_.private_seg_size, 0
	.set _ZN7rocprim17ROCPRIM_400000_NS6detail17trampoline_kernelINS0_14default_configENS1_22reduce_config_selectorIN6thrust23THRUST_200600_302600_NS5tupleIblNS6_9null_typeES8_S8_S8_S8_S8_S8_S8_EEEEZNS1_11reduce_implILb1ES3_NS6_12zip_iteratorINS7_INS6_11hip_rocprim26transform_input_iterator_tIbNSD_35transform_pair_of_input_iterators_tIbNS6_6detail15normal_iteratorINS6_10device_ptrIKyEEEESL_NS6_8equal_toIyEEEENSG_9not_fun_tINSD_8identityEEEEENSD_19counting_iterator_tIlEES8_S8_S8_S8_S8_S8_S8_S8_EEEEPS9_S9_NSD_9__find_if7functorIS9_EEEE10hipError_tPvRmT1_T2_T3_mT4_P12ihipStream_tbEUlT_E1_NS1_11comp_targetILNS1_3genE10ELNS1_11target_archE1201ELNS1_3gpuE5ELNS1_3repE0EEENS1_30default_config_static_selectorELNS0_4arch9wavefront6targetE1EEEvS14_.uses_vcc, 0
	.set _ZN7rocprim17ROCPRIM_400000_NS6detail17trampoline_kernelINS0_14default_configENS1_22reduce_config_selectorIN6thrust23THRUST_200600_302600_NS5tupleIblNS6_9null_typeES8_S8_S8_S8_S8_S8_S8_EEEEZNS1_11reduce_implILb1ES3_NS6_12zip_iteratorINS7_INS6_11hip_rocprim26transform_input_iterator_tIbNSD_35transform_pair_of_input_iterators_tIbNS6_6detail15normal_iteratorINS6_10device_ptrIKyEEEESL_NS6_8equal_toIyEEEENSG_9not_fun_tINSD_8identityEEEEENSD_19counting_iterator_tIlEES8_S8_S8_S8_S8_S8_S8_S8_EEEEPS9_S9_NSD_9__find_if7functorIS9_EEEE10hipError_tPvRmT1_T2_T3_mT4_P12ihipStream_tbEUlT_E1_NS1_11comp_targetILNS1_3genE10ELNS1_11target_archE1201ELNS1_3gpuE5ELNS1_3repE0EEENS1_30default_config_static_selectorELNS0_4arch9wavefront6targetE1EEEvS14_.uses_flat_scratch, 0
	.set _ZN7rocprim17ROCPRIM_400000_NS6detail17trampoline_kernelINS0_14default_configENS1_22reduce_config_selectorIN6thrust23THRUST_200600_302600_NS5tupleIblNS6_9null_typeES8_S8_S8_S8_S8_S8_S8_EEEEZNS1_11reduce_implILb1ES3_NS6_12zip_iteratorINS7_INS6_11hip_rocprim26transform_input_iterator_tIbNSD_35transform_pair_of_input_iterators_tIbNS6_6detail15normal_iteratorINS6_10device_ptrIKyEEEESL_NS6_8equal_toIyEEEENSG_9not_fun_tINSD_8identityEEEEENSD_19counting_iterator_tIlEES8_S8_S8_S8_S8_S8_S8_S8_EEEEPS9_S9_NSD_9__find_if7functorIS9_EEEE10hipError_tPvRmT1_T2_T3_mT4_P12ihipStream_tbEUlT_E1_NS1_11comp_targetILNS1_3genE10ELNS1_11target_archE1201ELNS1_3gpuE5ELNS1_3repE0EEENS1_30default_config_static_selectorELNS0_4arch9wavefront6targetE1EEEvS14_.has_dyn_sized_stack, 0
	.set _ZN7rocprim17ROCPRIM_400000_NS6detail17trampoline_kernelINS0_14default_configENS1_22reduce_config_selectorIN6thrust23THRUST_200600_302600_NS5tupleIblNS6_9null_typeES8_S8_S8_S8_S8_S8_S8_EEEEZNS1_11reduce_implILb1ES3_NS6_12zip_iteratorINS7_INS6_11hip_rocprim26transform_input_iterator_tIbNSD_35transform_pair_of_input_iterators_tIbNS6_6detail15normal_iteratorINS6_10device_ptrIKyEEEESL_NS6_8equal_toIyEEEENSG_9not_fun_tINSD_8identityEEEEENSD_19counting_iterator_tIlEES8_S8_S8_S8_S8_S8_S8_S8_EEEEPS9_S9_NSD_9__find_if7functorIS9_EEEE10hipError_tPvRmT1_T2_T3_mT4_P12ihipStream_tbEUlT_E1_NS1_11comp_targetILNS1_3genE10ELNS1_11target_archE1201ELNS1_3gpuE5ELNS1_3repE0EEENS1_30default_config_static_selectorELNS0_4arch9wavefront6targetE1EEEvS14_.has_recursion, 0
	.set _ZN7rocprim17ROCPRIM_400000_NS6detail17trampoline_kernelINS0_14default_configENS1_22reduce_config_selectorIN6thrust23THRUST_200600_302600_NS5tupleIblNS6_9null_typeES8_S8_S8_S8_S8_S8_S8_EEEEZNS1_11reduce_implILb1ES3_NS6_12zip_iteratorINS7_INS6_11hip_rocprim26transform_input_iterator_tIbNSD_35transform_pair_of_input_iterators_tIbNS6_6detail15normal_iteratorINS6_10device_ptrIKyEEEESL_NS6_8equal_toIyEEEENSG_9not_fun_tINSD_8identityEEEEENSD_19counting_iterator_tIlEES8_S8_S8_S8_S8_S8_S8_S8_EEEEPS9_S9_NSD_9__find_if7functorIS9_EEEE10hipError_tPvRmT1_T2_T3_mT4_P12ihipStream_tbEUlT_E1_NS1_11comp_targetILNS1_3genE10ELNS1_11target_archE1201ELNS1_3gpuE5ELNS1_3repE0EEENS1_30default_config_static_selectorELNS0_4arch9wavefront6targetE1EEEvS14_.has_indirect_call, 0
	.section	.AMDGPU.csdata,"",@progbits
; Kernel info:
; codeLenInByte = 0
; TotalNumSgprs: 4
; NumVgprs: 0
; ScratchSize: 0
; MemoryBound: 0
; FloatMode: 240
; IeeeMode: 1
; LDSByteSize: 0 bytes/workgroup (compile time only)
; SGPRBlocks: 0
; VGPRBlocks: 0
; NumSGPRsForWavesPerEU: 4
; NumVGPRsForWavesPerEU: 1
; Occupancy: 10
; WaveLimiterHint : 0
; COMPUTE_PGM_RSRC2:SCRATCH_EN: 0
; COMPUTE_PGM_RSRC2:USER_SGPR: 6
; COMPUTE_PGM_RSRC2:TRAP_HANDLER: 0
; COMPUTE_PGM_RSRC2:TGID_X_EN: 1
; COMPUTE_PGM_RSRC2:TGID_Y_EN: 0
; COMPUTE_PGM_RSRC2:TGID_Z_EN: 0
; COMPUTE_PGM_RSRC2:TIDIG_COMP_CNT: 0
	.section	.text._ZN7rocprim17ROCPRIM_400000_NS6detail17trampoline_kernelINS0_14default_configENS1_22reduce_config_selectorIN6thrust23THRUST_200600_302600_NS5tupleIblNS6_9null_typeES8_S8_S8_S8_S8_S8_S8_EEEEZNS1_11reduce_implILb1ES3_NS6_12zip_iteratorINS7_INS6_11hip_rocprim26transform_input_iterator_tIbNSD_35transform_pair_of_input_iterators_tIbNS6_6detail15normal_iteratorINS6_10device_ptrIKyEEEESL_NS6_8equal_toIyEEEENSG_9not_fun_tINSD_8identityEEEEENSD_19counting_iterator_tIlEES8_S8_S8_S8_S8_S8_S8_S8_EEEEPS9_S9_NSD_9__find_if7functorIS9_EEEE10hipError_tPvRmT1_T2_T3_mT4_P12ihipStream_tbEUlT_E1_NS1_11comp_targetILNS1_3genE10ELNS1_11target_archE1200ELNS1_3gpuE4ELNS1_3repE0EEENS1_30default_config_static_selectorELNS0_4arch9wavefront6targetE1EEEvS14_,"axG",@progbits,_ZN7rocprim17ROCPRIM_400000_NS6detail17trampoline_kernelINS0_14default_configENS1_22reduce_config_selectorIN6thrust23THRUST_200600_302600_NS5tupleIblNS6_9null_typeES8_S8_S8_S8_S8_S8_S8_EEEEZNS1_11reduce_implILb1ES3_NS6_12zip_iteratorINS7_INS6_11hip_rocprim26transform_input_iterator_tIbNSD_35transform_pair_of_input_iterators_tIbNS6_6detail15normal_iteratorINS6_10device_ptrIKyEEEESL_NS6_8equal_toIyEEEENSG_9not_fun_tINSD_8identityEEEEENSD_19counting_iterator_tIlEES8_S8_S8_S8_S8_S8_S8_S8_EEEEPS9_S9_NSD_9__find_if7functorIS9_EEEE10hipError_tPvRmT1_T2_T3_mT4_P12ihipStream_tbEUlT_E1_NS1_11comp_targetILNS1_3genE10ELNS1_11target_archE1200ELNS1_3gpuE4ELNS1_3repE0EEENS1_30default_config_static_selectorELNS0_4arch9wavefront6targetE1EEEvS14_,comdat
	.protected	_ZN7rocprim17ROCPRIM_400000_NS6detail17trampoline_kernelINS0_14default_configENS1_22reduce_config_selectorIN6thrust23THRUST_200600_302600_NS5tupleIblNS6_9null_typeES8_S8_S8_S8_S8_S8_S8_EEEEZNS1_11reduce_implILb1ES3_NS6_12zip_iteratorINS7_INS6_11hip_rocprim26transform_input_iterator_tIbNSD_35transform_pair_of_input_iterators_tIbNS6_6detail15normal_iteratorINS6_10device_ptrIKyEEEESL_NS6_8equal_toIyEEEENSG_9not_fun_tINSD_8identityEEEEENSD_19counting_iterator_tIlEES8_S8_S8_S8_S8_S8_S8_S8_EEEEPS9_S9_NSD_9__find_if7functorIS9_EEEE10hipError_tPvRmT1_T2_T3_mT4_P12ihipStream_tbEUlT_E1_NS1_11comp_targetILNS1_3genE10ELNS1_11target_archE1200ELNS1_3gpuE4ELNS1_3repE0EEENS1_30default_config_static_selectorELNS0_4arch9wavefront6targetE1EEEvS14_ ; -- Begin function _ZN7rocprim17ROCPRIM_400000_NS6detail17trampoline_kernelINS0_14default_configENS1_22reduce_config_selectorIN6thrust23THRUST_200600_302600_NS5tupleIblNS6_9null_typeES8_S8_S8_S8_S8_S8_S8_EEEEZNS1_11reduce_implILb1ES3_NS6_12zip_iteratorINS7_INS6_11hip_rocprim26transform_input_iterator_tIbNSD_35transform_pair_of_input_iterators_tIbNS6_6detail15normal_iteratorINS6_10device_ptrIKyEEEESL_NS6_8equal_toIyEEEENSG_9not_fun_tINSD_8identityEEEEENSD_19counting_iterator_tIlEES8_S8_S8_S8_S8_S8_S8_S8_EEEEPS9_S9_NSD_9__find_if7functorIS9_EEEE10hipError_tPvRmT1_T2_T3_mT4_P12ihipStream_tbEUlT_E1_NS1_11comp_targetILNS1_3genE10ELNS1_11target_archE1200ELNS1_3gpuE4ELNS1_3repE0EEENS1_30default_config_static_selectorELNS0_4arch9wavefront6targetE1EEEvS14_
	.globl	_ZN7rocprim17ROCPRIM_400000_NS6detail17trampoline_kernelINS0_14default_configENS1_22reduce_config_selectorIN6thrust23THRUST_200600_302600_NS5tupleIblNS6_9null_typeES8_S8_S8_S8_S8_S8_S8_EEEEZNS1_11reduce_implILb1ES3_NS6_12zip_iteratorINS7_INS6_11hip_rocprim26transform_input_iterator_tIbNSD_35transform_pair_of_input_iterators_tIbNS6_6detail15normal_iteratorINS6_10device_ptrIKyEEEESL_NS6_8equal_toIyEEEENSG_9not_fun_tINSD_8identityEEEEENSD_19counting_iterator_tIlEES8_S8_S8_S8_S8_S8_S8_S8_EEEEPS9_S9_NSD_9__find_if7functorIS9_EEEE10hipError_tPvRmT1_T2_T3_mT4_P12ihipStream_tbEUlT_E1_NS1_11comp_targetILNS1_3genE10ELNS1_11target_archE1200ELNS1_3gpuE4ELNS1_3repE0EEENS1_30default_config_static_selectorELNS0_4arch9wavefront6targetE1EEEvS14_
	.p2align	8
	.type	_ZN7rocprim17ROCPRIM_400000_NS6detail17trampoline_kernelINS0_14default_configENS1_22reduce_config_selectorIN6thrust23THRUST_200600_302600_NS5tupleIblNS6_9null_typeES8_S8_S8_S8_S8_S8_S8_EEEEZNS1_11reduce_implILb1ES3_NS6_12zip_iteratorINS7_INS6_11hip_rocprim26transform_input_iterator_tIbNSD_35transform_pair_of_input_iterators_tIbNS6_6detail15normal_iteratorINS6_10device_ptrIKyEEEESL_NS6_8equal_toIyEEEENSG_9not_fun_tINSD_8identityEEEEENSD_19counting_iterator_tIlEES8_S8_S8_S8_S8_S8_S8_S8_EEEEPS9_S9_NSD_9__find_if7functorIS9_EEEE10hipError_tPvRmT1_T2_T3_mT4_P12ihipStream_tbEUlT_E1_NS1_11comp_targetILNS1_3genE10ELNS1_11target_archE1200ELNS1_3gpuE4ELNS1_3repE0EEENS1_30default_config_static_selectorELNS0_4arch9wavefront6targetE1EEEvS14_,@function
_ZN7rocprim17ROCPRIM_400000_NS6detail17trampoline_kernelINS0_14default_configENS1_22reduce_config_selectorIN6thrust23THRUST_200600_302600_NS5tupleIblNS6_9null_typeES8_S8_S8_S8_S8_S8_S8_EEEEZNS1_11reduce_implILb1ES3_NS6_12zip_iteratorINS7_INS6_11hip_rocprim26transform_input_iterator_tIbNSD_35transform_pair_of_input_iterators_tIbNS6_6detail15normal_iteratorINS6_10device_ptrIKyEEEESL_NS6_8equal_toIyEEEENSG_9not_fun_tINSD_8identityEEEEENSD_19counting_iterator_tIlEES8_S8_S8_S8_S8_S8_S8_S8_EEEEPS9_S9_NSD_9__find_if7functorIS9_EEEE10hipError_tPvRmT1_T2_T3_mT4_P12ihipStream_tbEUlT_E1_NS1_11comp_targetILNS1_3genE10ELNS1_11target_archE1200ELNS1_3gpuE4ELNS1_3repE0EEENS1_30default_config_static_selectorELNS0_4arch9wavefront6targetE1EEEvS14_: ; @_ZN7rocprim17ROCPRIM_400000_NS6detail17trampoline_kernelINS0_14default_configENS1_22reduce_config_selectorIN6thrust23THRUST_200600_302600_NS5tupleIblNS6_9null_typeES8_S8_S8_S8_S8_S8_S8_EEEEZNS1_11reduce_implILb1ES3_NS6_12zip_iteratorINS7_INS6_11hip_rocprim26transform_input_iterator_tIbNSD_35transform_pair_of_input_iterators_tIbNS6_6detail15normal_iteratorINS6_10device_ptrIKyEEEESL_NS6_8equal_toIyEEEENSG_9not_fun_tINSD_8identityEEEEENSD_19counting_iterator_tIlEES8_S8_S8_S8_S8_S8_S8_S8_EEEEPS9_S9_NSD_9__find_if7functorIS9_EEEE10hipError_tPvRmT1_T2_T3_mT4_P12ihipStream_tbEUlT_E1_NS1_11comp_targetILNS1_3genE10ELNS1_11target_archE1200ELNS1_3gpuE4ELNS1_3repE0EEENS1_30default_config_static_selectorELNS0_4arch9wavefront6targetE1EEEvS14_
; %bb.0:
	.section	.rodata,"a",@progbits
	.p2align	6, 0x0
	.amdhsa_kernel _ZN7rocprim17ROCPRIM_400000_NS6detail17trampoline_kernelINS0_14default_configENS1_22reduce_config_selectorIN6thrust23THRUST_200600_302600_NS5tupleIblNS6_9null_typeES8_S8_S8_S8_S8_S8_S8_EEEEZNS1_11reduce_implILb1ES3_NS6_12zip_iteratorINS7_INS6_11hip_rocprim26transform_input_iterator_tIbNSD_35transform_pair_of_input_iterators_tIbNS6_6detail15normal_iteratorINS6_10device_ptrIKyEEEESL_NS6_8equal_toIyEEEENSG_9not_fun_tINSD_8identityEEEEENSD_19counting_iterator_tIlEES8_S8_S8_S8_S8_S8_S8_S8_EEEEPS9_S9_NSD_9__find_if7functorIS9_EEEE10hipError_tPvRmT1_T2_T3_mT4_P12ihipStream_tbEUlT_E1_NS1_11comp_targetILNS1_3genE10ELNS1_11target_archE1200ELNS1_3gpuE4ELNS1_3repE0EEENS1_30default_config_static_selectorELNS0_4arch9wavefront6targetE1EEEvS14_
		.amdhsa_group_segment_fixed_size 0
		.amdhsa_private_segment_fixed_size 0
		.amdhsa_kernarg_size 88
		.amdhsa_user_sgpr_count 6
		.amdhsa_user_sgpr_private_segment_buffer 1
		.amdhsa_user_sgpr_dispatch_ptr 0
		.amdhsa_user_sgpr_queue_ptr 0
		.amdhsa_user_sgpr_kernarg_segment_ptr 1
		.amdhsa_user_sgpr_dispatch_id 0
		.amdhsa_user_sgpr_flat_scratch_init 0
		.amdhsa_user_sgpr_private_segment_size 0
		.amdhsa_uses_dynamic_stack 0
		.amdhsa_system_sgpr_private_segment_wavefront_offset 0
		.amdhsa_system_sgpr_workgroup_id_x 1
		.amdhsa_system_sgpr_workgroup_id_y 0
		.amdhsa_system_sgpr_workgroup_id_z 0
		.amdhsa_system_sgpr_workgroup_info 0
		.amdhsa_system_vgpr_workitem_id 0
		.amdhsa_next_free_vgpr 1
		.amdhsa_next_free_sgpr 0
		.amdhsa_reserve_vcc 0
		.amdhsa_reserve_flat_scratch 0
		.amdhsa_float_round_mode_32 0
		.amdhsa_float_round_mode_16_64 0
		.amdhsa_float_denorm_mode_32 3
		.amdhsa_float_denorm_mode_16_64 3
		.amdhsa_dx10_clamp 1
		.amdhsa_ieee_mode 1
		.amdhsa_fp16_overflow 0
		.amdhsa_exception_fp_ieee_invalid_op 0
		.amdhsa_exception_fp_denorm_src 0
		.amdhsa_exception_fp_ieee_div_zero 0
		.amdhsa_exception_fp_ieee_overflow 0
		.amdhsa_exception_fp_ieee_underflow 0
		.amdhsa_exception_fp_ieee_inexact 0
		.amdhsa_exception_int_div_zero 0
	.end_amdhsa_kernel
	.section	.text._ZN7rocprim17ROCPRIM_400000_NS6detail17trampoline_kernelINS0_14default_configENS1_22reduce_config_selectorIN6thrust23THRUST_200600_302600_NS5tupleIblNS6_9null_typeES8_S8_S8_S8_S8_S8_S8_EEEEZNS1_11reduce_implILb1ES3_NS6_12zip_iteratorINS7_INS6_11hip_rocprim26transform_input_iterator_tIbNSD_35transform_pair_of_input_iterators_tIbNS6_6detail15normal_iteratorINS6_10device_ptrIKyEEEESL_NS6_8equal_toIyEEEENSG_9not_fun_tINSD_8identityEEEEENSD_19counting_iterator_tIlEES8_S8_S8_S8_S8_S8_S8_S8_EEEEPS9_S9_NSD_9__find_if7functorIS9_EEEE10hipError_tPvRmT1_T2_T3_mT4_P12ihipStream_tbEUlT_E1_NS1_11comp_targetILNS1_3genE10ELNS1_11target_archE1200ELNS1_3gpuE4ELNS1_3repE0EEENS1_30default_config_static_selectorELNS0_4arch9wavefront6targetE1EEEvS14_,"axG",@progbits,_ZN7rocprim17ROCPRIM_400000_NS6detail17trampoline_kernelINS0_14default_configENS1_22reduce_config_selectorIN6thrust23THRUST_200600_302600_NS5tupleIblNS6_9null_typeES8_S8_S8_S8_S8_S8_S8_EEEEZNS1_11reduce_implILb1ES3_NS6_12zip_iteratorINS7_INS6_11hip_rocprim26transform_input_iterator_tIbNSD_35transform_pair_of_input_iterators_tIbNS6_6detail15normal_iteratorINS6_10device_ptrIKyEEEESL_NS6_8equal_toIyEEEENSG_9not_fun_tINSD_8identityEEEEENSD_19counting_iterator_tIlEES8_S8_S8_S8_S8_S8_S8_S8_EEEEPS9_S9_NSD_9__find_if7functorIS9_EEEE10hipError_tPvRmT1_T2_T3_mT4_P12ihipStream_tbEUlT_E1_NS1_11comp_targetILNS1_3genE10ELNS1_11target_archE1200ELNS1_3gpuE4ELNS1_3repE0EEENS1_30default_config_static_selectorELNS0_4arch9wavefront6targetE1EEEvS14_,comdat
.Lfunc_end480:
	.size	_ZN7rocprim17ROCPRIM_400000_NS6detail17trampoline_kernelINS0_14default_configENS1_22reduce_config_selectorIN6thrust23THRUST_200600_302600_NS5tupleIblNS6_9null_typeES8_S8_S8_S8_S8_S8_S8_EEEEZNS1_11reduce_implILb1ES3_NS6_12zip_iteratorINS7_INS6_11hip_rocprim26transform_input_iterator_tIbNSD_35transform_pair_of_input_iterators_tIbNS6_6detail15normal_iteratorINS6_10device_ptrIKyEEEESL_NS6_8equal_toIyEEEENSG_9not_fun_tINSD_8identityEEEEENSD_19counting_iterator_tIlEES8_S8_S8_S8_S8_S8_S8_S8_EEEEPS9_S9_NSD_9__find_if7functorIS9_EEEE10hipError_tPvRmT1_T2_T3_mT4_P12ihipStream_tbEUlT_E1_NS1_11comp_targetILNS1_3genE10ELNS1_11target_archE1200ELNS1_3gpuE4ELNS1_3repE0EEENS1_30default_config_static_selectorELNS0_4arch9wavefront6targetE1EEEvS14_, .Lfunc_end480-_ZN7rocprim17ROCPRIM_400000_NS6detail17trampoline_kernelINS0_14default_configENS1_22reduce_config_selectorIN6thrust23THRUST_200600_302600_NS5tupleIblNS6_9null_typeES8_S8_S8_S8_S8_S8_S8_EEEEZNS1_11reduce_implILb1ES3_NS6_12zip_iteratorINS7_INS6_11hip_rocprim26transform_input_iterator_tIbNSD_35transform_pair_of_input_iterators_tIbNS6_6detail15normal_iteratorINS6_10device_ptrIKyEEEESL_NS6_8equal_toIyEEEENSG_9not_fun_tINSD_8identityEEEEENSD_19counting_iterator_tIlEES8_S8_S8_S8_S8_S8_S8_S8_EEEEPS9_S9_NSD_9__find_if7functorIS9_EEEE10hipError_tPvRmT1_T2_T3_mT4_P12ihipStream_tbEUlT_E1_NS1_11comp_targetILNS1_3genE10ELNS1_11target_archE1200ELNS1_3gpuE4ELNS1_3repE0EEENS1_30default_config_static_selectorELNS0_4arch9wavefront6targetE1EEEvS14_
                                        ; -- End function
	.set _ZN7rocprim17ROCPRIM_400000_NS6detail17trampoline_kernelINS0_14default_configENS1_22reduce_config_selectorIN6thrust23THRUST_200600_302600_NS5tupleIblNS6_9null_typeES8_S8_S8_S8_S8_S8_S8_EEEEZNS1_11reduce_implILb1ES3_NS6_12zip_iteratorINS7_INS6_11hip_rocprim26transform_input_iterator_tIbNSD_35transform_pair_of_input_iterators_tIbNS6_6detail15normal_iteratorINS6_10device_ptrIKyEEEESL_NS6_8equal_toIyEEEENSG_9not_fun_tINSD_8identityEEEEENSD_19counting_iterator_tIlEES8_S8_S8_S8_S8_S8_S8_S8_EEEEPS9_S9_NSD_9__find_if7functorIS9_EEEE10hipError_tPvRmT1_T2_T3_mT4_P12ihipStream_tbEUlT_E1_NS1_11comp_targetILNS1_3genE10ELNS1_11target_archE1200ELNS1_3gpuE4ELNS1_3repE0EEENS1_30default_config_static_selectorELNS0_4arch9wavefront6targetE1EEEvS14_.num_vgpr, 0
	.set _ZN7rocprim17ROCPRIM_400000_NS6detail17trampoline_kernelINS0_14default_configENS1_22reduce_config_selectorIN6thrust23THRUST_200600_302600_NS5tupleIblNS6_9null_typeES8_S8_S8_S8_S8_S8_S8_EEEEZNS1_11reduce_implILb1ES3_NS6_12zip_iteratorINS7_INS6_11hip_rocprim26transform_input_iterator_tIbNSD_35transform_pair_of_input_iterators_tIbNS6_6detail15normal_iteratorINS6_10device_ptrIKyEEEESL_NS6_8equal_toIyEEEENSG_9not_fun_tINSD_8identityEEEEENSD_19counting_iterator_tIlEES8_S8_S8_S8_S8_S8_S8_S8_EEEEPS9_S9_NSD_9__find_if7functorIS9_EEEE10hipError_tPvRmT1_T2_T3_mT4_P12ihipStream_tbEUlT_E1_NS1_11comp_targetILNS1_3genE10ELNS1_11target_archE1200ELNS1_3gpuE4ELNS1_3repE0EEENS1_30default_config_static_selectorELNS0_4arch9wavefront6targetE1EEEvS14_.num_agpr, 0
	.set _ZN7rocprim17ROCPRIM_400000_NS6detail17trampoline_kernelINS0_14default_configENS1_22reduce_config_selectorIN6thrust23THRUST_200600_302600_NS5tupleIblNS6_9null_typeES8_S8_S8_S8_S8_S8_S8_EEEEZNS1_11reduce_implILb1ES3_NS6_12zip_iteratorINS7_INS6_11hip_rocprim26transform_input_iterator_tIbNSD_35transform_pair_of_input_iterators_tIbNS6_6detail15normal_iteratorINS6_10device_ptrIKyEEEESL_NS6_8equal_toIyEEEENSG_9not_fun_tINSD_8identityEEEEENSD_19counting_iterator_tIlEES8_S8_S8_S8_S8_S8_S8_S8_EEEEPS9_S9_NSD_9__find_if7functorIS9_EEEE10hipError_tPvRmT1_T2_T3_mT4_P12ihipStream_tbEUlT_E1_NS1_11comp_targetILNS1_3genE10ELNS1_11target_archE1200ELNS1_3gpuE4ELNS1_3repE0EEENS1_30default_config_static_selectorELNS0_4arch9wavefront6targetE1EEEvS14_.numbered_sgpr, 0
	.set _ZN7rocprim17ROCPRIM_400000_NS6detail17trampoline_kernelINS0_14default_configENS1_22reduce_config_selectorIN6thrust23THRUST_200600_302600_NS5tupleIblNS6_9null_typeES8_S8_S8_S8_S8_S8_S8_EEEEZNS1_11reduce_implILb1ES3_NS6_12zip_iteratorINS7_INS6_11hip_rocprim26transform_input_iterator_tIbNSD_35transform_pair_of_input_iterators_tIbNS6_6detail15normal_iteratorINS6_10device_ptrIKyEEEESL_NS6_8equal_toIyEEEENSG_9not_fun_tINSD_8identityEEEEENSD_19counting_iterator_tIlEES8_S8_S8_S8_S8_S8_S8_S8_EEEEPS9_S9_NSD_9__find_if7functorIS9_EEEE10hipError_tPvRmT1_T2_T3_mT4_P12ihipStream_tbEUlT_E1_NS1_11comp_targetILNS1_3genE10ELNS1_11target_archE1200ELNS1_3gpuE4ELNS1_3repE0EEENS1_30default_config_static_selectorELNS0_4arch9wavefront6targetE1EEEvS14_.num_named_barrier, 0
	.set _ZN7rocprim17ROCPRIM_400000_NS6detail17trampoline_kernelINS0_14default_configENS1_22reduce_config_selectorIN6thrust23THRUST_200600_302600_NS5tupleIblNS6_9null_typeES8_S8_S8_S8_S8_S8_S8_EEEEZNS1_11reduce_implILb1ES3_NS6_12zip_iteratorINS7_INS6_11hip_rocprim26transform_input_iterator_tIbNSD_35transform_pair_of_input_iterators_tIbNS6_6detail15normal_iteratorINS6_10device_ptrIKyEEEESL_NS6_8equal_toIyEEEENSG_9not_fun_tINSD_8identityEEEEENSD_19counting_iterator_tIlEES8_S8_S8_S8_S8_S8_S8_S8_EEEEPS9_S9_NSD_9__find_if7functorIS9_EEEE10hipError_tPvRmT1_T2_T3_mT4_P12ihipStream_tbEUlT_E1_NS1_11comp_targetILNS1_3genE10ELNS1_11target_archE1200ELNS1_3gpuE4ELNS1_3repE0EEENS1_30default_config_static_selectorELNS0_4arch9wavefront6targetE1EEEvS14_.private_seg_size, 0
	.set _ZN7rocprim17ROCPRIM_400000_NS6detail17trampoline_kernelINS0_14default_configENS1_22reduce_config_selectorIN6thrust23THRUST_200600_302600_NS5tupleIblNS6_9null_typeES8_S8_S8_S8_S8_S8_S8_EEEEZNS1_11reduce_implILb1ES3_NS6_12zip_iteratorINS7_INS6_11hip_rocprim26transform_input_iterator_tIbNSD_35transform_pair_of_input_iterators_tIbNS6_6detail15normal_iteratorINS6_10device_ptrIKyEEEESL_NS6_8equal_toIyEEEENSG_9not_fun_tINSD_8identityEEEEENSD_19counting_iterator_tIlEES8_S8_S8_S8_S8_S8_S8_S8_EEEEPS9_S9_NSD_9__find_if7functorIS9_EEEE10hipError_tPvRmT1_T2_T3_mT4_P12ihipStream_tbEUlT_E1_NS1_11comp_targetILNS1_3genE10ELNS1_11target_archE1200ELNS1_3gpuE4ELNS1_3repE0EEENS1_30default_config_static_selectorELNS0_4arch9wavefront6targetE1EEEvS14_.uses_vcc, 0
	.set _ZN7rocprim17ROCPRIM_400000_NS6detail17trampoline_kernelINS0_14default_configENS1_22reduce_config_selectorIN6thrust23THRUST_200600_302600_NS5tupleIblNS6_9null_typeES8_S8_S8_S8_S8_S8_S8_EEEEZNS1_11reduce_implILb1ES3_NS6_12zip_iteratorINS7_INS6_11hip_rocprim26transform_input_iterator_tIbNSD_35transform_pair_of_input_iterators_tIbNS6_6detail15normal_iteratorINS6_10device_ptrIKyEEEESL_NS6_8equal_toIyEEEENSG_9not_fun_tINSD_8identityEEEEENSD_19counting_iterator_tIlEES8_S8_S8_S8_S8_S8_S8_S8_EEEEPS9_S9_NSD_9__find_if7functorIS9_EEEE10hipError_tPvRmT1_T2_T3_mT4_P12ihipStream_tbEUlT_E1_NS1_11comp_targetILNS1_3genE10ELNS1_11target_archE1200ELNS1_3gpuE4ELNS1_3repE0EEENS1_30default_config_static_selectorELNS0_4arch9wavefront6targetE1EEEvS14_.uses_flat_scratch, 0
	.set _ZN7rocprim17ROCPRIM_400000_NS6detail17trampoline_kernelINS0_14default_configENS1_22reduce_config_selectorIN6thrust23THRUST_200600_302600_NS5tupleIblNS6_9null_typeES8_S8_S8_S8_S8_S8_S8_EEEEZNS1_11reduce_implILb1ES3_NS6_12zip_iteratorINS7_INS6_11hip_rocprim26transform_input_iterator_tIbNSD_35transform_pair_of_input_iterators_tIbNS6_6detail15normal_iteratorINS6_10device_ptrIKyEEEESL_NS6_8equal_toIyEEEENSG_9not_fun_tINSD_8identityEEEEENSD_19counting_iterator_tIlEES8_S8_S8_S8_S8_S8_S8_S8_EEEEPS9_S9_NSD_9__find_if7functorIS9_EEEE10hipError_tPvRmT1_T2_T3_mT4_P12ihipStream_tbEUlT_E1_NS1_11comp_targetILNS1_3genE10ELNS1_11target_archE1200ELNS1_3gpuE4ELNS1_3repE0EEENS1_30default_config_static_selectorELNS0_4arch9wavefront6targetE1EEEvS14_.has_dyn_sized_stack, 0
	.set _ZN7rocprim17ROCPRIM_400000_NS6detail17trampoline_kernelINS0_14default_configENS1_22reduce_config_selectorIN6thrust23THRUST_200600_302600_NS5tupleIblNS6_9null_typeES8_S8_S8_S8_S8_S8_S8_EEEEZNS1_11reduce_implILb1ES3_NS6_12zip_iteratorINS7_INS6_11hip_rocprim26transform_input_iterator_tIbNSD_35transform_pair_of_input_iterators_tIbNS6_6detail15normal_iteratorINS6_10device_ptrIKyEEEESL_NS6_8equal_toIyEEEENSG_9not_fun_tINSD_8identityEEEEENSD_19counting_iterator_tIlEES8_S8_S8_S8_S8_S8_S8_S8_EEEEPS9_S9_NSD_9__find_if7functorIS9_EEEE10hipError_tPvRmT1_T2_T3_mT4_P12ihipStream_tbEUlT_E1_NS1_11comp_targetILNS1_3genE10ELNS1_11target_archE1200ELNS1_3gpuE4ELNS1_3repE0EEENS1_30default_config_static_selectorELNS0_4arch9wavefront6targetE1EEEvS14_.has_recursion, 0
	.set _ZN7rocprim17ROCPRIM_400000_NS6detail17trampoline_kernelINS0_14default_configENS1_22reduce_config_selectorIN6thrust23THRUST_200600_302600_NS5tupleIblNS6_9null_typeES8_S8_S8_S8_S8_S8_S8_EEEEZNS1_11reduce_implILb1ES3_NS6_12zip_iteratorINS7_INS6_11hip_rocprim26transform_input_iterator_tIbNSD_35transform_pair_of_input_iterators_tIbNS6_6detail15normal_iteratorINS6_10device_ptrIKyEEEESL_NS6_8equal_toIyEEEENSG_9not_fun_tINSD_8identityEEEEENSD_19counting_iterator_tIlEES8_S8_S8_S8_S8_S8_S8_S8_EEEEPS9_S9_NSD_9__find_if7functorIS9_EEEE10hipError_tPvRmT1_T2_T3_mT4_P12ihipStream_tbEUlT_E1_NS1_11comp_targetILNS1_3genE10ELNS1_11target_archE1200ELNS1_3gpuE4ELNS1_3repE0EEENS1_30default_config_static_selectorELNS0_4arch9wavefront6targetE1EEEvS14_.has_indirect_call, 0
	.section	.AMDGPU.csdata,"",@progbits
; Kernel info:
; codeLenInByte = 0
; TotalNumSgprs: 4
; NumVgprs: 0
; ScratchSize: 0
; MemoryBound: 0
; FloatMode: 240
; IeeeMode: 1
; LDSByteSize: 0 bytes/workgroup (compile time only)
; SGPRBlocks: 0
; VGPRBlocks: 0
; NumSGPRsForWavesPerEU: 4
; NumVGPRsForWavesPerEU: 1
; Occupancy: 10
; WaveLimiterHint : 0
; COMPUTE_PGM_RSRC2:SCRATCH_EN: 0
; COMPUTE_PGM_RSRC2:USER_SGPR: 6
; COMPUTE_PGM_RSRC2:TRAP_HANDLER: 0
; COMPUTE_PGM_RSRC2:TGID_X_EN: 1
; COMPUTE_PGM_RSRC2:TGID_Y_EN: 0
; COMPUTE_PGM_RSRC2:TGID_Z_EN: 0
; COMPUTE_PGM_RSRC2:TIDIG_COMP_CNT: 0
	.section	.text._ZN7rocprim17ROCPRIM_400000_NS6detail17trampoline_kernelINS0_14default_configENS1_22reduce_config_selectorIN6thrust23THRUST_200600_302600_NS5tupleIblNS6_9null_typeES8_S8_S8_S8_S8_S8_S8_EEEEZNS1_11reduce_implILb1ES3_NS6_12zip_iteratorINS7_INS6_11hip_rocprim26transform_input_iterator_tIbNSD_35transform_pair_of_input_iterators_tIbNS6_6detail15normal_iteratorINS6_10device_ptrIKyEEEESL_NS6_8equal_toIyEEEENSG_9not_fun_tINSD_8identityEEEEENSD_19counting_iterator_tIlEES8_S8_S8_S8_S8_S8_S8_S8_EEEEPS9_S9_NSD_9__find_if7functorIS9_EEEE10hipError_tPvRmT1_T2_T3_mT4_P12ihipStream_tbEUlT_E1_NS1_11comp_targetILNS1_3genE9ELNS1_11target_archE1100ELNS1_3gpuE3ELNS1_3repE0EEENS1_30default_config_static_selectorELNS0_4arch9wavefront6targetE1EEEvS14_,"axG",@progbits,_ZN7rocprim17ROCPRIM_400000_NS6detail17trampoline_kernelINS0_14default_configENS1_22reduce_config_selectorIN6thrust23THRUST_200600_302600_NS5tupleIblNS6_9null_typeES8_S8_S8_S8_S8_S8_S8_EEEEZNS1_11reduce_implILb1ES3_NS6_12zip_iteratorINS7_INS6_11hip_rocprim26transform_input_iterator_tIbNSD_35transform_pair_of_input_iterators_tIbNS6_6detail15normal_iteratorINS6_10device_ptrIKyEEEESL_NS6_8equal_toIyEEEENSG_9not_fun_tINSD_8identityEEEEENSD_19counting_iterator_tIlEES8_S8_S8_S8_S8_S8_S8_S8_EEEEPS9_S9_NSD_9__find_if7functorIS9_EEEE10hipError_tPvRmT1_T2_T3_mT4_P12ihipStream_tbEUlT_E1_NS1_11comp_targetILNS1_3genE9ELNS1_11target_archE1100ELNS1_3gpuE3ELNS1_3repE0EEENS1_30default_config_static_selectorELNS0_4arch9wavefront6targetE1EEEvS14_,comdat
	.protected	_ZN7rocprim17ROCPRIM_400000_NS6detail17trampoline_kernelINS0_14default_configENS1_22reduce_config_selectorIN6thrust23THRUST_200600_302600_NS5tupleIblNS6_9null_typeES8_S8_S8_S8_S8_S8_S8_EEEEZNS1_11reduce_implILb1ES3_NS6_12zip_iteratorINS7_INS6_11hip_rocprim26transform_input_iterator_tIbNSD_35transform_pair_of_input_iterators_tIbNS6_6detail15normal_iteratorINS6_10device_ptrIKyEEEESL_NS6_8equal_toIyEEEENSG_9not_fun_tINSD_8identityEEEEENSD_19counting_iterator_tIlEES8_S8_S8_S8_S8_S8_S8_S8_EEEEPS9_S9_NSD_9__find_if7functorIS9_EEEE10hipError_tPvRmT1_T2_T3_mT4_P12ihipStream_tbEUlT_E1_NS1_11comp_targetILNS1_3genE9ELNS1_11target_archE1100ELNS1_3gpuE3ELNS1_3repE0EEENS1_30default_config_static_selectorELNS0_4arch9wavefront6targetE1EEEvS14_ ; -- Begin function _ZN7rocprim17ROCPRIM_400000_NS6detail17trampoline_kernelINS0_14default_configENS1_22reduce_config_selectorIN6thrust23THRUST_200600_302600_NS5tupleIblNS6_9null_typeES8_S8_S8_S8_S8_S8_S8_EEEEZNS1_11reduce_implILb1ES3_NS6_12zip_iteratorINS7_INS6_11hip_rocprim26transform_input_iterator_tIbNSD_35transform_pair_of_input_iterators_tIbNS6_6detail15normal_iteratorINS6_10device_ptrIKyEEEESL_NS6_8equal_toIyEEEENSG_9not_fun_tINSD_8identityEEEEENSD_19counting_iterator_tIlEES8_S8_S8_S8_S8_S8_S8_S8_EEEEPS9_S9_NSD_9__find_if7functorIS9_EEEE10hipError_tPvRmT1_T2_T3_mT4_P12ihipStream_tbEUlT_E1_NS1_11comp_targetILNS1_3genE9ELNS1_11target_archE1100ELNS1_3gpuE3ELNS1_3repE0EEENS1_30default_config_static_selectorELNS0_4arch9wavefront6targetE1EEEvS14_
	.globl	_ZN7rocprim17ROCPRIM_400000_NS6detail17trampoline_kernelINS0_14default_configENS1_22reduce_config_selectorIN6thrust23THRUST_200600_302600_NS5tupleIblNS6_9null_typeES8_S8_S8_S8_S8_S8_S8_EEEEZNS1_11reduce_implILb1ES3_NS6_12zip_iteratorINS7_INS6_11hip_rocprim26transform_input_iterator_tIbNSD_35transform_pair_of_input_iterators_tIbNS6_6detail15normal_iteratorINS6_10device_ptrIKyEEEESL_NS6_8equal_toIyEEEENSG_9not_fun_tINSD_8identityEEEEENSD_19counting_iterator_tIlEES8_S8_S8_S8_S8_S8_S8_S8_EEEEPS9_S9_NSD_9__find_if7functorIS9_EEEE10hipError_tPvRmT1_T2_T3_mT4_P12ihipStream_tbEUlT_E1_NS1_11comp_targetILNS1_3genE9ELNS1_11target_archE1100ELNS1_3gpuE3ELNS1_3repE0EEENS1_30default_config_static_selectorELNS0_4arch9wavefront6targetE1EEEvS14_
	.p2align	8
	.type	_ZN7rocprim17ROCPRIM_400000_NS6detail17trampoline_kernelINS0_14default_configENS1_22reduce_config_selectorIN6thrust23THRUST_200600_302600_NS5tupleIblNS6_9null_typeES8_S8_S8_S8_S8_S8_S8_EEEEZNS1_11reduce_implILb1ES3_NS6_12zip_iteratorINS7_INS6_11hip_rocprim26transform_input_iterator_tIbNSD_35transform_pair_of_input_iterators_tIbNS6_6detail15normal_iteratorINS6_10device_ptrIKyEEEESL_NS6_8equal_toIyEEEENSG_9not_fun_tINSD_8identityEEEEENSD_19counting_iterator_tIlEES8_S8_S8_S8_S8_S8_S8_S8_EEEEPS9_S9_NSD_9__find_if7functorIS9_EEEE10hipError_tPvRmT1_T2_T3_mT4_P12ihipStream_tbEUlT_E1_NS1_11comp_targetILNS1_3genE9ELNS1_11target_archE1100ELNS1_3gpuE3ELNS1_3repE0EEENS1_30default_config_static_selectorELNS0_4arch9wavefront6targetE1EEEvS14_,@function
_ZN7rocprim17ROCPRIM_400000_NS6detail17trampoline_kernelINS0_14default_configENS1_22reduce_config_selectorIN6thrust23THRUST_200600_302600_NS5tupleIblNS6_9null_typeES8_S8_S8_S8_S8_S8_S8_EEEEZNS1_11reduce_implILb1ES3_NS6_12zip_iteratorINS7_INS6_11hip_rocprim26transform_input_iterator_tIbNSD_35transform_pair_of_input_iterators_tIbNS6_6detail15normal_iteratorINS6_10device_ptrIKyEEEESL_NS6_8equal_toIyEEEENSG_9not_fun_tINSD_8identityEEEEENSD_19counting_iterator_tIlEES8_S8_S8_S8_S8_S8_S8_S8_EEEEPS9_S9_NSD_9__find_if7functorIS9_EEEE10hipError_tPvRmT1_T2_T3_mT4_P12ihipStream_tbEUlT_E1_NS1_11comp_targetILNS1_3genE9ELNS1_11target_archE1100ELNS1_3gpuE3ELNS1_3repE0EEENS1_30default_config_static_selectorELNS0_4arch9wavefront6targetE1EEEvS14_: ; @_ZN7rocprim17ROCPRIM_400000_NS6detail17trampoline_kernelINS0_14default_configENS1_22reduce_config_selectorIN6thrust23THRUST_200600_302600_NS5tupleIblNS6_9null_typeES8_S8_S8_S8_S8_S8_S8_EEEEZNS1_11reduce_implILb1ES3_NS6_12zip_iteratorINS7_INS6_11hip_rocprim26transform_input_iterator_tIbNSD_35transform_pair_of_input_iterators_tIbNS6_6detail15normal_iteratorINS6_10device_ptrIKyEEEESL_NS6_8equal_toIyEEEENSG_9not_fun_tINSD_8identityEEEEENSD_19counting_iterator_tIlEES8_S8_S8_S8_S8_S8_S8_S8_EEEEPS9_S9_NSD_9__find_if7functorIS9_EEEE10hipError_tPvRmT1_T2_T3_mT4_P12ihipStream_tbEUlT_E1_NS1_11comp_targetILNS1_3genE9ELNS1_11target_archE1100ELNS1_3gpuE3ELNS1_3repE0EEENS1_30default_config_static_selectorELNS0_4arch9wavefront6targetE1EEEvS14_
; %bb.0:
	.section	.rodata,"a",@progbits
	.p2align	6, 0x0
	.amdhsa_kernel _ZN7rocprim17ROCPRIM_400000_NS6detail17trampoline_kernelINS0_14default_configENS1_22reduce_config_selectorIN6thrust23THRUST_200600_302600_NS5tupleIblNS6_9null_typeES8_S8_S8_S8_S8_S8_S8_EEEEZNS1_11reduce_implILb1ES3_NS6_12zip_iteratorINS7_INS6_11hip_rocprim26transform_input_iterator_tIbNSD_35transform_pair_of_input_iterators_tIbNS6_6detail15normal_iteratorINS6_10device_ptrIKyEEEESL_NS6_8equal_toIyEEEENSG_9not_fun_tINSD_8identityEEEEENSD_19counting_iterator_tIlEES8_S8_S8_S8_S8_S8_S8_S8_EEEEPS9_S9_NSD_9__find_if7functorIS9_EEEE10hipError_tPvRmT1_T2_T3_mT4_P12ihipStream_tbEUlT_E1_NS1_11comp_targetILNS1_3genE9ELNS1_11target_archE1100ELNS1_3gpuE3ELNS1_3repE0EEENS1_30default_config_static_selectorELNS0_4arch9wavefront6targetE1EEEvS14_
		.amdhsa_group_segment_fixed_size 0
		.amdhsa_private_segment_fixed_size 0
		.amdhsa_kernarg_size 88
		.amdhsa_user_sgpr_count 6
		.amdhsa_user_sgpr_private_segment_buffer 1
		.amdhsa_user_sgpr_dispatch_ptr 0
		.amdhsa_user_sgpr_queue_ptr 0
		.amdhsa_user_sgpr_kernarg_segment_ptr 1
		.amdhsa_user_sgpr_dispatch_id 0
		.amdhsa_user_sgpr_flat_scratch_init 0
		.amdhsa_user_sgpr_private_segment_size 0
		.amdhsa_uses_dynamic_stack 0
		.amdhsa_system_sgpr_private_segment_wavefront_offset 0
		.amdhsa_system_sgpr_workgroup_id_x 1
		.amdhsa_system_sgpr_workgroup_id_y 0
		.amdhsa_system_sgpr_workgroup_id_z 0
		.amdhsa_system_sgpr_workgroup_info 0
		.amdhsa_system_vgpr_workitem_id 0
		.amdhsa_next_free_vgpr 1
		.amdhsa_next_free_sgpr 0
		.amdhsa_reserve_vcc 0
		.amdhsa_reserve_flat_scratch 0
		.amdhsa_float_round_mode_32 0
		.amdhsa_float_round_mode_16_64 0
		.amdhsa_float_denorm_mode_32 3
		.amdhsa_float_denorm_mode_16_64 3
		.amdhsa_dx10_clamp 1
		.amdhsa_ieee_mode 1
		.amdhsa_fp16_overflow 0
		.amdhsa_exception_fp_ieee_invalid_op 0
		.amdhsa_exception_fp_denorm_src 0
		.amdhsa_exception_fp_ieee_div_zero 0
		.amdhsa_exception_fp_ieee_overflow 0
		.amdhsa_exception_fp_ieee_underflow 0
		.amdhsa_exception_fp_ieee_inexact 0
		.amdhsa_exception_int_div_zero 0
	.end_amdhsa_kernel
	.section	.text._ZN7rocprim17ROCPRIM_400000_NS6detail17trampoline_kernelINS0_14default_configENS1_22reduce_config_selectorIN6thrust23THRUST_200600_302600_NS5tupleIblNS6_9null_typeES8_S8_S8_S8_S8_S8_S8_EEEEZNS1_11reduce_implILb1ES3_NS6_12zip_iteratorINS7_INS6_11hip_rocprim26transform_input_iterator_tIbNSD_35transform_pair_of_input_iterators_tIbNS6_6detail15normal_iteratorINS6_10device_ptrIKyEEEESL_NS6_8equal_toIyEEEENSG_9not_fun_tINSD_8identityEEEEENSD_19counting_iterator_tIlEES8_S8_S8_S8_S8_S8_S8_S8_EEEEPS9_S9_NSD_9__find_if7functorIS9_EEEE10hipError_tPvRmT1_T2_T3_mT4_P12ihipStream_tbEUlT_E1_NS1_11comp_targetILNS1_3genE9ELNS1_11target_archE1100ELNS1_3gpuE3ELNS1_3repE0EEENS1_30default_config_static_selectorELNS0_4arch9wavefront6targetE1EEEvS14_,"axG",@progbits,_ZN7rocprim17ROCPRIM_400000_NS6detail17trampoline_kernelINS0_14default_configENS1_22reduce_config_selectorIN6thrust23THRUST_200600_302600_NS5tupleIblNS6_9null_typeES8_S8_S8_S8_S8_S8_S8_EEEEZNS1_11reduce_implILb1ES3_NS6_12zip_iteratorINS7_INS6_11hip_rocprim26transform_input_iterator_tIbNSD_35transform_pair_of_input_iterators_tIbNS6_6detail15normal_iteratorINS6_10device_ptrIKyEEEESL_NS6_8equal_toIyEEEENSG_9not_fun_tINSD_8identityEEEEENSD_19counting_iterator_tIlEES8_S8_S8_S8_S8_S8_S8_S8_EEEEPS9_S9_NSD_9__find_if7functorIS9_EEEE10hipError_tPvRmT1_T2_T3_mT4_P12ihipStream_tbEUlT_E1_NS1_11comp_targetILNS1_3genE9ELNS1_11target_archE1100ELNS1_3gpuE3ELNS1_3repE0EEENS1_30default_config_static_selectorELNS0_4arch9wavefront6targetE1EEEvS14_,comdat
.Lfunc_end481:
	.size	_ZN7rocprim17ROCPRIM_400000_NS6detail17trampoline_kernelINS0_14default_configENS1_22reduce_config_selectorIN6thrust23THRUST_200600_302600_NS5tupleIblNS6_9null_typeES8_S8_S8_S8_S8_S8_S8_EEEEZNS1_11reduce_implILb1ES3_NS6_12zip_iteratorINS7_INS6_11hip_rocprim26transform_input_iterator_tIbNSD_35transform_pair_of_input_iterators_tIbNS6_6detail15normal_iteratorINS6_10device_ptrIKyEEEESL_NS6_8equal_toIyEEEENSG_9not_fun_tINSD_8identityEEEEENSD_19counting_iterator_tIlEES8_S8_S8_S8_S8_S8_S8_S8_EEEEPS9_S9_NSD_9__find_if7functorIS9_EEEE10hipError_tPvRmT1_T2_T3_mT4_P12ihipStream_tbEUlT_E1_NS1_11comp_targetILNS1_3genE9ELNS1_11target_archE1100ELNS1_3gpuE3ELNS1_3repE0EEENS1_30default_config_static_selectorELNS0_4arch9wavefront6targetE1EEEvS14_, .Lfunc_end481-_ZN7rocprim17ROCPRIM_400000_NS6detail17trampoline_kernelINS0_14default_configENS1_22reduce_config_selectorIN6thrust23THRUST_200600_302600_NS5tupleIblNS6_9null_typeES8_S8_S8_S8_S8_S8_S8_EEEEZNS1_11reduce_implILb1ES3_NS6_12zip_iteratorINS7_INS6_11hip_rocprim26transform_input_iterator_tIbNSD_35transform_pair_of_input_iterators_tIbNS6_6detail15normal_iteratorINS6_10device_ptrIKyEEEESL_NS6_8equal_toIyEEEENSG_9not_fun_tINSD_8identityEEEEENSD_19counting_iterator_tIlEES8_S8_S8_S8_S8_S8_S8_S8_EEEEPS9_S9_NSD_9__find_if7functorIS9_EEEE10hipError_tPvRmT1_T2_T3_mT4_P12ihipStream_tbEUlT_E1_NS1_11comp_targetILNS1_3genE9ELNS1_11target_archE1100ELNS1_3gpuE3ELNS1_3repE0EEENS1_30default_config_static_selectorELNS0_4arch9wavefront6targetE1EEEvS14_
                                        ; -- End function
	.set _ZN7rocprim17ROCPRIM_400000_NS6detail17trampoline_kernelINS0_14default_configENS1_22reduce_config_selectorIN6thrust23THRUST_200600_302600_NS5tupleIblNS6_9null_typeES8_S8_S8_S8_S8_S8_S8_EEEEZNS1_11reduce_implILb1ES3_NS6_12zip_iteratorINS7_INS6_11hip_rocprim26transform_input_iterator_tIbNSD_35transform_pair_of_input_iterators_tIbNS6_6detail15normal_iteratorINS6_10device_ptrIKyEEEESL_NS6_8equal_toIyEEEENSG_9not_fun_tINSD_8identityEEEEENSD_19counting_iterator_tIlEES8_S8_S8_S8_S8_S8_S8_S8_EEEEPS9_S9_NSD_9__find_if7functorIS9_EEEE10hipError_tPvRmT1_T2_T3_mT4_P12ihipStream_tbEUlT_E1_NS1_11comp_targetILNS1_3genE9ELNS1_11target_archE1100ELNS1_3gpuE3ELNS1_3repE0EEENS1_30default_config_static_selectorELNS0_4arch9wavefront6targetE1EEEvS14_.num_vgpr, 0
	.set _ZN7rocprim17ROCPRIM_400000_NS6detail17trampoline_kernelINS0_14default_configENS1_22reduce_config_selectorIN6thrust23THRUST_200600_302600_NS5tupleIblNS6_9null_typeES8_S8_S8_S8_S8_S8_S8_EEEEZNS1_11reduce_implILb1ES3_NS6_12zip_iteratorINS7_INS6_11hip_rocprim26transform_input_iterator_tIbNSD_35transform_pair_of_input_iterators_tIbNS6_6detail15normal_iteratorINS6_10device_ptrIKyEEEESL_NS6_8equal_toIyEEEENSG_9not_fun_tINSD_8identityEEEEENSD_19counting_iterator_tIlEES8_S8_S8_S8_S8_S8_S8_S8_EEEEPS9_S9_NSD_9__find_if7functorIS9_EEEE10hipError_tPvRmT1_T2_T3_mT4_P12ihipStream_tbEUlT_E1_NS1_11comp_targetILNS1_3genE9ELNS1_11target_archE1100ELNS1_3gpuE3ELNS1_3repE0EEENS1_30default_config_static_selectorELNS0_4arch9wavefront6targetE1EEEvS14_.num_agpr, 0
	.set _ZN7rocprim17ROCPRIM_400000_NS6detail17trampoline_kernelINS0_14default_configENS1_22reduce_config_selectorIN6thrust23THRUST_200600_302600_NS5tupleIblNS6_9null_typeES8_S8_S8_S8_S8_S8_S8_EEEEZNS1_11reduce_implILb1ES3_NS6_12zip_iteratorINS7_INS6_11hip_rocprim26transform_input_iterator_tIbNSD_35transform_pair_of_input_iterators_tIbNS6_6detail15normal_iteratorINS6_10device_ptrIKyEEEESL_NS6_8equal_toIyEEEENSG_9not_fun_tINSD_8identityEEEEENSD_19counting_iterator_tIlEES8_S8_S8_S8_S8_S8_S8_S8_EEEEPS9_S9_NSD_9__find_if7functorIS9_EEEE10hipError_tPvRmT1_T2_T3_mT4_P12ihipStream_tbEUlT_E1_NS1_11comp_targetILNS1_3genE9ELNS1_11target_archE1100ELNS1_3gpuE3ELNS1_3repE0EEENS1_30default_config_static_selectorELNS0_4arch9wavefront6targetE1EEEvS14_.numbered_sgpr, 0
	.set _ZN7rocprim17ROCPRIM_400000_NS6detail17trampoline_kernelINS0_14default_configENS1_22reduce_config_selectorIN6thrust23THRUST_200600_302600_NS5tupleIblNS6_9null_typeES8_S8_S8_S8_S8_S8_S8_EEEEZNS1_11reduce_implILb1ES3_NS6_12zip_iteratorINS7_INS6_11hip_rocprim26transform_input_iterator_tIbNSD_35transform_pair_of_input_iterators_tIbNS6_6detail15normal_iteratorINS6_10device_ptrIKyEEEESL_NS6_8equal_toIyEEEENSG_9not_fun_tINSD_8identityEEEEENSD_19counting_iterator_tIlEES8_S8_S8_S8_S8_S8_S8_S8_EEEEPS9_S9_NSD_9__find_if7functorIS9_EEEE10hipError_tPvRmT1_T2_T3_mT4_P12ihipStream_tbEUlT_E1_NS1_11comp_targetILNS1_3genE9ELNS1_11target_archE1100ELNS1_3gpuE3ELNS1_3repE0EEENS1_30default_config_static_selectorELNS0_4arch9wavefront6targetE1EEEvS14_.num_named_barrier, 0
	.set _ZN7rocprim17ROCPRIM_400000_NS6detail17trampoline_kernelINS0_14default_configENS1_22reduce_config_selectorIN6thrust23THRUST_200600_302600_NS5tupleIblNS6_9null_typeES8_S8_S8_S8_S8_S8_S8_EEEEZNS1_11reduce_implILb1ES3_NS6_12zip_iteratorINS7_INS6_11hip_rocprim26transform_input_iterator_tIbNSD_35transform_pair_of_input_iterators_tIbNS6_6detail15normal_iteratorINS6_10device_ptrIKyEEEESL_NS6_8equal_toIyEEEENSG_9not_fun_tINSD_8identityEEEEENSD_19counting_iterator_tIlEES8_S8_S8_S8_S8_S8_S8_S8_EEEEPS9_S9_NSD_9__find_if7functorIS9_EEEE10hipError_tPvRmT1_T2_T3_mT4_P12ihipStream_tbEUlT_E1_NS1_11comp_targetILNS1_3genE9ELNS1_11target_archE1100ELNS1_3gpuE3ELNS1_3repE0EEENS1_30default_config_static_selectorELNS0_4arch9wavefront6targetE1EEEvS14_.private_seg_size, 0
	.set _ZN7rocprim17ROCPRIM_400000_NS6detail17trampoline_kernelINS0_14default_configENS1_22reduce_config_selectorIN6thrust23THRUST_200600_302600_NS5tupleIblNS6_9null_typeES8_S8_S8_S8_S8_S8_S8_EEEEZNS1_11reduce_implILb1ES3_NS6_12zip_iteratorINS7_INS6_11hip_rocprim26transform_input_iterator_tIbNSD_35transform_pair_of_input_iterators_tIbNS6_6detail15normal_iteratorINS6_10device_ptrIKyEEEESL_NS6_8equal_toIyEEEENSG_9not_fun_tINSD_8identityEEEEENSD_19counting_iterator_tIlEES8_S8_S8_S8_S8_S8_S8_S8_EEEEPS9_S9_NSD_9__find_if7functorIS9_EEEE10hipError_tPvRmT1_T2_T3_mT4_P12ihipStream_tbEUlT_E1_NS1_11comp_targetILNS1_3genE9ELNS1_11target_archE1100ELNS1_3gpuE3ELNS1_3repE0EEENS1_30default_config_static_selectorELNS0_4arch9wavefront6targetE1EEEvS14_.uses_vcc, 0
	.set _ZN7rocprim17ROCPRIM_400000_NS6detail17trampoline_kernelINS0_14default_configENS1_22reduce_config_selectorIN6thrust23THRUST_200600_302600_NS5tupleIblNS6_9null_typeES8_S8_S8_S8_S8_S8_S8_EEEEZNS1_11reduce_implILb1ES3_NS6_12zip_iteratorINS7_INS6_11hip_rocprim26transform_input_iterator_tIbNSD_35transform_pair_of_input_iterators_tIbNS6_6detail15normal_iteratorINS6_10device_ptrIKyEEEESL_NS6_8equal_toIyEEEENSG_9not_fun_tINSD_8identityEEEEENSD_19counting_iterator_tIlEES8_S8_S8_S8_S8_S8_S8_S8_EEEEPS9_S9_NSD_9__find_if7functorIS9_EEEE10hipError_tPvRmT1_T2_T3_mT4_P12ihipStream_tbEUlT_E1_NS1_11comp_targetILNS1_3genE9ELNS1_11target_archE1100ELNS1_3gpuE3ELNS1_3repE0EEENS1_30default_config_static_selectorELNS0_4arch9wavefront6targetE1EEEvS14_.uses_flat_scratch, 0
	.set _ZN7rocprim17ROCPRIM_400000_NS6detail17trampoline_kernelINS0_14default_configENS1_22reduce_config_selectorIN6thrust23THRUST_200600_302600_NS5tupleIblNS6_9null_typeES8_S8_S8_S8_S8_S8_S8_EEEEZNS1_11reduce_implILb1ES3_NS6_12zip_iteratorINS7_INS6_11hip_rocprim26transform_input_iterator_tIbNSD_35transform_pair_of_input_iterators_tIbNS6_6detail15normal_iteratorINS6_10device_ptrIKyEEEESL_NS6_8equal_toIyEEEENSG_9not_fun_tINSD_8identityEEEEENSD_19counting_iterator_tIlEES8_S8_S8_S8_S8_S8_S8_S8_EEEEPS9_S9_NSD_9__find_if7functorIS9_EEEE10hipError_tPvRmT1_T2_T3_mT4_P12ihipStream_tbEUlT_E1_NS1_11comp_targetILNS1_3genE9ELNS1_11target_archE1100ELNS1_3gpuE3ELNS1_3repE0EEENS1_30default_config_static_selectorELNS0_4arch9wavefront6targetE1EEEvS14_.has_dyn_sized_stack, 0
	.set _ZN7rocprim17ROCPRIM_400000_NS6detail17trampoline_kernelINS0_14default_configENS1_22reduce_config_selectorIN6thrust23THRUST_200600_302600_NS5tupleIblNS6_9null_typeES8_S8_S8_S8_S8_S8_S8_EEEEZNS1_11reduce_implILb1ES3_NS6_12zip_iteratorINS7_INS6_11hip_rocprim26transform_input_iterator_tIbNSD_35transform_pair_of_input_iterators_tIbNS6_6detail15normal_iteratorINS6_10device_ptrIKyEEEESL_NS6_8equal_toIyEEEENSG_9not_fun_tINSD_8identityEEEEENSD_19counting_iterator_tIlEES8_S8_S8_S8_S8_S8_S8_S8_EEEEPS9_S9_NSD_9__find_if7functorIS9_EEEE10hipError_tPvRmT1_T2_T3_mT4_P12ihipStream_tbEUlT_E1_NS1_11comp_targetILNS1_3genE9ELNS1_11target_archE1100ELNS1_3gpuE3ELNS1_3repE0EEENS1_30default_config_static_selectorELNS0_4arch9wavefront6targetE1EEEvS14_.has_recursion, 0
	.set _ZN7rocprim17ROCPRIM_400000_NS6detail17trampoline_kernelINS0_14default_configENS1_22reduce_config_selectorIN6thrust23THRUST_200600_302600_NS5tupleIblNS6_9null_typeES8_S8_S8_S8_S8_S8_S8_EEEEZNS1_11reduce_implILb1ES3_NS6_12zip_iteratorINS7_INS6_11hip_rocprim26transform_input_iterator_tIbNSD_35transform_pair_of_input_iterators_tIbNS6_6detail15normal_iteratorINS6_10device_ptrIKyEEEESL_NS6_8equal_toIyEEEENSG_9not_fun_tINSD_8identityEEEEENSD_19counting_iterator_tIlEES8_S8_S8_S8_S8_S8_S8_S8_EEEEPS9_S9_NSD_9__find_if7functorIS9_EEEE10hipError_tPvRmT1_T2_T3_mT4_P12ihipStream_tbEUlT_E1_NS1_11comp_targetILNS1_3genE9ELNS1_11target_archE1100ELNS1_3gpuE3ELNS1_3repE0EEENS1_30default_config_static_selectorELNS0_4arch9wavefront6targetE1EEEvS14_.has_indirect_call, 0
	.section	.AMDGPU.csdata,"",@progbits
; Kernel info:
; codeLenInByte = 0
; TotalNumSgprs: 4
; NumVgprs: 0
; ScratchSize: 0
; MemoryBound: 0
; FloatMode: 240
; IeeeMode: 1
; LDSByteSize: 0 bytes/workgroup (compile time only)
; SGPRBlocks: 0
; VGPRBlocks: 0
; NumSGPRsForWavesPerEU: 4
; NumVGPRsForWavesPerEU: 1
; Occupancy: 10
; WaveLimiterHint : 0
; COMPUTE_PGM_RSRC2:SCRATCH_EN: 0
; COMPUTE_PGM_RSRC2:USER_SGPR: 6
; COMPUTE_PGM_RSRC2:TRAP_HANDLER: 0
; COMPUTE_PGM_RSRC2:TGID_X_EN: 1
; COMPUTE_PGM_RSRC2:TGID_Y_EN: 0
; COMPUTE_PGM_RSRC2:TGID_Z_EN: 0
; COMPUTE_PGM_RSRC2:TIDIG_COMP_CNT: 0
	.section	.text._ZN7rocprim17ROCPRIM_400000_NS6detail17trampoline_kernelINS0_14default_configENS1_22reduce_config_selectorIN6thrust23THRUST_200600_302600_NS5tupleIblNS6_9null_typeES8_S8_S8_S8_S8_S8_S8_EEEEZNS1_11reduce_implILb1ES3_NS6_12zip_iteratorINS7_INS6_11hip_rocprim26transform_input_iterator_tIbNSD_35transform_pair_of_input_iterators_tIbNS6_6detail15normal_iteratorINS6_10device_ptrIKyEEEESL_NS6_8equal_toIyEEEENSG_9not_fun_tINSD_8identityEEEEENSD_19counting_iterator_tIlEES8_S8_S8_S8_S8_S8_S8_S8_EEEEPS9_S9_NSD_9__find_if7functorIS9_EEEE10hipError_tPvRmT1_T2_T3_mT4_P12ihipStream_tbEUlT_E1_NS1_11comp_targetILNS1_3genE8ELNS1_11target_archE1030ELNS1_3gpuE2ELNS1_3repE0EEENS1_30default_config_static_selectorELNS0_4arch9wavefront6targetE1EEEvS14_,"axG",@progbits,_ZN7rocprim17ROCPRIM_400000_NS6detail17trampoline_kernelINS0_14default_configENS1_22reduce_config_selectorIN6thrust23THRUST_200600_302600_NS5tupleIblNS6_9null_typeES8_S8_S8_S8_S8_S8_S8_EEEEZNS1_11reduce_implILb1ES3_NS6_12zip_iteratorINS7_INS6_11hip_rocprim26transform_input_iterator_tIbNSD_35transform_pair_of_input_iterators_tIbNS6_6detail15normal_iteratorINS6_10device_ptrIKyEEEESL_NS6_8equal_toIyEEEENSG_9not_fun_tINSD_8identityEEEEENSD_19counting_iterator_tIlEES8_S8_S8_S8_S8_S8_S8_S8_EEEEPS9_S9_NSD_9__find_if7functorIS9_EEEE10hipError_tPvRmT1_T2_T3_mT4_P12ihipStream_tbEUlT_E1_NS1_11comp_targetILNS1_3genE8ELNS1_11target_archE1030ELNS1_3gpuE2ELNS1_3repE0EEENS1_30default_config_static_selectorELNS0_4arch9wavefront6targetE1EEEvS14_,comdat
	.protected	_ZN7rocprim17ROCPRIM_400000_NS6detail17trampoline_kernelINS0_14default_configENS1_22reduce_config_selectorIN6thrust23THRUST_200600_302600_NS5tupleIblNS6_9null_typeES8_S8_S8_S8_S8_S8_S8_EEEEZNS1_11reduce_implILb1ES3_NS6_12zip_iteratorINS7_INS6_11hip_rocprim26transform_input_iterator_tIbNSD_35transform_pair_of_input_iterators_tIbNS6_6detail15normal_iteratorINS6_10device_ptrIKyEEEESL_NS6_8equal_toIyEEEENSG_9not_fun_tINSD_8identityEEEEENSD_19counting_iterator_tIlEES8_S8_S8_S8_S8_S8_S8_S8_EEEEPS9_S9_NSD_9__find_if7functorIS9_EEEE10hipError_tPvRmT1_T2_T3_mT4_P12ihipStream_tbEUlT_E1_NS1_11comp_targetILNS1_3genE8ELNS1_11target_archE1030ELNS1_3gpuE2ELNS1_3repE0EEENS1_30default_config_static_selectorELNS0_4arch9wavefront6targetE1EEEvS14_ ; -- Begin function _ZN7rocprim17ROCPRIM_400000_NS6detail17trampoline_kernelINS0_14default_configENS1_22reduce_config_selectorIN6thrust23THRUST_200600_302600_NS5tupleIblNS6_9null_typeES8_S8_S8_S8_S8_S8_S8_EEEEZNS1_11reduce_implILb1ES3_NS6_12zip_iteratorINS7_INS6_11hip_rocprim26transform_input_iterator_tIbNSD_35transform_pair_of_input_iterators_tIbNS6_6detail15normal_iteratorINS6_10device_ptrIKyEEEESL_NS6_8equal_toIyEEEENSG_9not_fun_tINSD_8identityEEEEENSD_19counting_iterator_tIlEES8_S8_S8_S8_S8_S8_S8_S8_EEEEPS9_S9_NSD_9__find_if7functorIS9_EEEE10hipError_tPvRmT1_T2_T3_mT4_P12ihipStream_tbEUlT_E1_NS1_11comp_targetILNS1_3genE8ELNS1_11target_archE1030ELNS1_3gpuE2ELNS1_3repE0EEENS1_30default_config_static_selectorELNS0_4arch9wavefront6targetE1EEEvS14_
	.globl	_ZN7rocprim17ROCPRIM_400000_NS6detail17trampoline_kernelINS0_14default_configENS1_22reduce_config_selectorIN6thrust23THRUST_200600_302600_NS5tupleIblNS6_9null_typeES8_S8_S8_S8_S8_S8_S8_EEEEZNS1_11reduce_implILb1ES3_NS6_12zip_iteratorINS7_INS6_11hip_rocprim26transform_input_iterator_tIbNSD_35transform_pair_of_input_iterators_tIbNS6_6detail15normal_iteratorINS6_10device_ptrIKyEEEESL_NS6_8equal_toIyEEEENSG_9not_fun_tINSD_8identityEEEEENSD_19counting_iterator_tIlEES8_S8_S8_S8_S8_S8_S8_S8_EEEEPS9_S9_NSD_9__find_if7functorIS9_EEEE10hipError_tPvRmT1_T2_T3_mT4_P12ihipStream_tbEUlT_E1_NS1_11comp_targetILNS1_3genE8ELNS1_11target_archE1030ELNS1_3gpuE2ELNS1_3repE0EEENS1_30default_config_static_selectorELNS0_4arch9wavefront6targetE1EEEvS14_
	.p2align	8
	.type	_ZN7rocprim17ROCPRIM_400000_NS6detail17trampoline_kernelINS0_14default_configENS1_22reduce_config_selectorIN6thrust23THRUST_200600_302600_NS5tupleIblNS6_9null_typeES8_S8_S8_S8_S8_S8_S8_EEEEZNS1_11reduce_implILb1ES3_NS6_12zip_iteratorINS7_INS6_11hip_rocprim26transform_input_iterator_tIbNSD_35transform_pair_of_input_iterators_tIbNS6_6detail15normal_iteratorINS6_10device_ptrIKyEEEESL_NS6_8equal_toIyEEEENSG_9not_fun_tINSD_8identityEEEEENSD_19counting_iterator_tIlEES8_S8_S8_S8_S8_S8_S8_S8_EEEEPS9_S9_NSD_9__find_if7functorIS9_EEEE10hipError_tPvRmT1_T2_T3_mT4_P12ihipStream_tbEUlT_E1_NS1_11comp_targetILNS1_3genE8ELNS1_11target_archE1030ELNS1_3gpuE2ELNS1_3repE0EEENS1_30default_config_static_selectorELNS0_4arch9wavefront6targetE1EEEvS14_,@function
_ZN7rocprim17ROCPRIM_400000_NS6detail17trampoline_kernelINS0_14default_configENS1_22reduce_config_selectorIN6thrust23THRUST_200600_302600_NS5tupleIblNS6_9null_typeES8_S8_S8_S8_S8_S8_S8_EEEEZNS1_11reduce_implILb1ES3_NS6_12zip_iteratorINS7_INS6_11hip_rocprim26transform_input_iterator_tIbNSD_35transform_pair_of_input_iterators_tIbNS6_6detail15normal_iteratorINS6_10device_ptrIKyEEEESL_NS6_8equal_toIyEEEENSG_9not_fun_tINSD_8identityEEEEENSD_19counting_iterator_tIlEES8_S8_S8_S8_S8_S8_S8_S8_EEEEPS9_S9_NSD_9__find_if7functorIS9_EEEE10hipError_tPvRmT1_T2_T3_mT4_P12ihipStream_tbEUlT_E1_NS1_11comp_targetILNS1_3genE8ELNS1_11target_archE1030ELNS1_3gpuE2ELNS1_3repE0EEENS1_30default_config_static_selectorELNS0_4arch9wavefront6targetE1EEEvS14_: ; @_ZN7rocprim17ROCPRIM_400000_NS6detail17trampoline_kernelINS0_14default_configENS1_22reduce_config_selectorIN6thrust23THRUST_200600_302600_NS5tupleIblNS6_9null_typeES8_S8_S8_S8_S8_S8_S8_EEEEZNS1_11reduce_implILb1ES3_NS6_12zip_iteratorINS7_INS6_11hip_rocprim26transform_input_iterator_tIbNSD_35transform_pair_of_input_iterators_tIbNS6_6detail15normal_iteratorINS6_10device_ptrIKyEEEESL_NS6_8equal_toIyEEEENSG_9not_fun_tINSD_8identityEEEEENSD_19counting_iterator_tIlEES8_S8_S8_S8_S8_S8_S8_S8_EEEEPS9_S9_NSD_9__find_if7functorIS9_EEEE10hipError_tPvRmT1_T2_T3_mT4_P12ihipStream_tbEUlT_E1_NS1_11comp_targetILNS1_3genE8ELNS1_11target_archE1030ELNS1_3gpuE2ELNS1_3repE0EEENS1_30default_config_static_selectorELNS0_4arch9wavefront6targetE1EEEvS14_
; %bb.0:
	.section	.rodata,"a",@progbits
	.p2align	6, 0x0
	.amdhsa_kernel _ZN7rocprim17ROCPRIM_400000_NS6detail17trampoline_kernelINS0_14default_configENS1_22reduce_config_selectorIN6thrust23THRUST_200600_302600_NS5tupleIblNS6_9null_typeES8_S8_S8_S8_S8_S8_S8_EEEEZNS1_11reduce_implILb1ES3_NS6_12zip_iteratorINS7_INS6_11hip_rocprim26transform_input_iterator_tIbNSD_35transform_pair_of_input_iterators_tIbNS6_6detail15normal_iteratorINS6_10device_ptrIKyEEEESL_NS6_8equal_toIyEEEENSG_9not_fun_tINSD_8identityEEEEENSD_19counting_iterator_tIlEES8_S8_S8_S8_S8_S8_S8_S8_EEEEPS9_S9_NSD_9__find_if7functorIS9_EEEE10hipError_tPvRmT1_T2_T3_mT4_P12ihipStream_tbEUlT_E1_NS1_11comp_targetILNS1_3genE8ELNS1_11target_archE1030ELNS1_3gpuE2ELNS1_3repE0EEENS1_30default_config_static_selectorELNS0_4arch9wavefront6targetE1EEEvS14_
		.amdhsa_group_segment_fixed_size 0
		.amdhsa_private_segment_fixed_size 0
		.amdhsa_kernarg_size 88
		.amdhsa_user_sgpr_count 6
		.amdhsa_user_sgpr_private_segment_buffer 1
		.amdhsa_user_sgpr_dispatch_ptr 0
		.amdhsa_user_sgpr_queue_ptr 0
		.amdhsa_user_sgpr_kernarg_segment_ptr 1
		.amdhsa_user_sgpr_dispatch_id 0
		.amdhsa_user_sgpr_flat_scratch_init 0
		.amdhsa_user_sgpr_private_segment_size 0
		.amdhsa_uses_dynamic_stack 0
		.amdhsa_system_sgpr_private_segment_wavefront_offset 0
		.amdhsa_system_sgpr_workgroup_id_x 1
		.amdhsa_system_sgpr_workgroup_id_y 0
		.amdhsa_system_sgpr_workgroup_id_z 0
		.amdhsa_system_sgpr_workgroup_info 0
		.amdhsa_system_vgpr_workitem_id 0
		.amdhsa_next_free_vgpr 1
		.amdhsa_next_free_sgpr 0
		.amdhsa_reserve_vcc 0
		.amdhsa_reserve_flat_scratch 0
		.amdhsa_float_round_mode_32 0
		.amdhsa_float_round_mode_16_64 0
		.amdhsa_float_denorm_mode_32 3
		.amdhsa_float_denorm_mode_16_64 3
		.amdhsa_dx10_clamp 1
		.amdhsa_ieee_mode 1
		.amdhsa_fp16_overflow 0
		.amdhsa_exception_fp_ieee_invalid_op 0
		.amdhsa_exception_fp_denorm_src 0
		.amdhsa_exception_fp_ieee_div_zero 0
		.amdhsa_exception_fp_ieee_overflow 0
		.amdhsa_exception_fp_ieee_underflow 0
		.amdhsa_exception_fp_ieee_inexact 0
		.amdhsa_exception_int_div_zero 0
	.end_amdhsa_kernel
	.section	.text._ZN7rocprim17ROCPRIM_400000_NS6detail17trampoline_kernelINS0_14default_configENS1_22reduce_config_selectorIN6thrust23THRUST_200600_302600_NS5tupleIblNS6_9null_typeES8_S8_S8_S8_S8_S8_S8_EEEEZNS1_11reduce_implILb1ES3_NS6_12zip_iteratorINS7_INS6_11hip_rocprim26transform_input_iterator_tIbNSD_35transform_pair_of_input_iterators_tIbNS6_6detail15normal_iteratorINS6_10device_ptrIKyEEEESL_NS6_8equal_toIyEEEENSG_9not_fun_tINSD_8identityEEEEENSD_19counting_iterator_tIlEES8_S8_S8_S8_S8_S8_S8_S8_EEEEPS9_S9_NSD_9__find_if7functorIS9_EEEE10hipError_tPvRmT1_T2_T3_mT4_P12ihipStream_tbEUlT_E1_NS1_11comp_targetILNS1_3genE8ELNS1_11target_archE1030ELNS1_3gpuE2ELNS1_3repE0EEENS1_30default_config_static_selectorELNS0_4arch9wavefront6targetE1EEEvS14_,"axG",@progbits,_ZN7rocprim17ROCPRIM_400000_NS6detail17trampoline_kernelINS0_14default_configENS1_22reduce_config_selectorIN6thrust23THRUST_200600_302600_NS5tupleIblNS6_9null_typeES8_S8_S8_S8_S8_S8_S8_EEEEZNS1_11reduce_implILb1ES3_NS6_12zip_iteratorINS7_INS6_11hip_rocprim26transform_input_iterator_tIbNSD_35transform_pair_of_input_iterators_tIbNS6_6detail15normal_iteratorINS6_10device_ptrIKyEEEESL_NS6_8equal_toIyEEEENSG_9not_fun_tINSD_8identityEEEEENSD_19counting_iterator_tIlEES8_S8_S8_S8_S8_S8_S8_S8_EEEEPS9_S9_NSD_9__find_if7functorIS9_EEEE10hipError_tPvRmT1_T2_T3_mT4_P12ihipStream_tbEUlT_E1_NS1_11comp_targetILNS1_3genE8ELNS1_11target_archE1030ELNS1_3gpuE2ELNS1_3repE0EEENS1_30default_config_static_selectorELNS0_4arch9wavefront6targetE1EEEvS14_,comdat
.Lfunc_end482:
	.size	_ZN7rocprim17ROCPRIM_400000_NS6detail17trampoline_kernelINS0_14default_configENS1_22reduce_config_selectorIN6thrust23THRUST_200600_302600_NS5tupleIblNS6_9null_typeES8_S8_S8_S8_S8_S8_S8_EEEEZNS1_11reduce_implILb1ES3_NS6_12zip_iteratorINS7_INS6_11hip_rocprim26transform_input_iterator_tIbNSD_35transform_pair_of_input_iterators_tIbNS6_6detail15normal_iteratorINS6_10device_ptrIKyEEEESL_NS6_8equal_toIyEEEENSG_9not_fun_tINSD_8identityEEEEENSD_19counting_iterator_tIlEES8_S8_S8_S8_S8_S8_S8_S8_EEEEPS9_S9_NSD_9__find_if7functorIS9_EEEE10hipError_tPvRmT1_T2_T3_mT4_P12ihipStream_tbEUlT_E1_NS1_11comp_targetILNS1_3genE8ELNS1_11target_archE1030ELNS1_3gpuE2ELNS1_3repE0EEENS1_30default_config_static_selectorELNS0_4arch9wavefront6targetE1EEEvS14_, .Lfunc_end482-_ZN7rocprim17ROCPRIM_400000_NS6detail17trampoline_kernelINS0_14default_configENS1_22reduce_config_selectorIN6thrust23THRUST_200600_302600_NS5tupleIblNS6_9null_typeES8_S8_S8_S8_S8_S8_S8_EEEEZNS1_11reduce_implILb1ES3_NS6_12zip_iteratorINS7_INS6_11hip_rocprim26transform_input_iterator_tIbNSD_35transform_pair_of_input_iterators_tIbNS6_6detail15normal_iteratorINS6_10device_ptrIKyEEEESL_NS6_8equal_toIyEEEENSG_9not_fun_tINSD_8identityEEEEENSD_19counting_iterator_tIlEES8_S8_S8_S8_S8_S8_S8_S8_EEEEPS9_S9_NSD_9__find_if7functorIS9_EEEE10hipError_tPvRmT1_T2_T3_mT4_P12ihipStream_tbEUlT_E1_NS1_11comp_targetILNS1_3genE8ELNS1_11target_archE1030ELNS1_3gpuE2ELNS1_3repE0EEENS1_30default_config_static_selectorELNS0_4arch9wavefront6targetE1EEEvS14_
                                        ; -- End function
	.set _ZN7rocprim17ROCPRIM_400000_NS6detail17trampoline_kernelINS0_14default_configENS1_22reduce_config_selectorIN6thrust23THRUST_200600_302600_NS5tupleIblNS6_9null_typeES8_S8_S8_S8_S8_S8_S8_EEEEZNS1_11reduce_implILb1ES3_NS6_12zip_iteratorINS7_INS6_11hip_rocprim26transform_input_iterator_tIbNSD_35transform_pair_of_input_iterators_tIbNS6_6detail15normal_iteratorINS6_10device_ptrIKyEEEESL_NS6_8equal_toIyEEEENSG_9not_fun_tINSD_8identityEEEEENSD_19counting_iterator_tIlEES8_S8_S8_S8_S8_S8_S8_S8_EEEEPS9_S9_NSD_9__find_if7functorIS9_EEEE10hipError_tPvRmT1_T2_T3_mT4_P12ihipStream_tbEUlT_E1_NS1_11comp_targetILNS1_3genE8ELNS1_11target_archE1030ELNS1_3gpuE2ELNS1_3repE0EEENS1_30default_config_static_selectorELNS0_4arch9wavefront6targetE1EEEvS14_.num_vgpr, 0
	.set _ZN7rocprim17ROCPRIM_400000_NS6detail17trampoline_kernelINS0_14default_configENS1_22reduce_config_selectorIN6thrust23THRUST_200600_302600_NS5tupleIblNS6_9null_typeES8_S8_S8_S8_S8_S8_S8_EEEEZNS1_11reduce_implILb1ES3_NS6_12zip_iteratorINS7_INS6_11hip_rocprim26transform_input_iterator_tIbNSD_35transform_pair_of_input_iterators_tIbNS6_6detail15normal_iteratorINS6_10device_ptrIKyEEEESL_NS6_8equal_toIyEEEENSG_9not_fun_tINSD_8identityEEEEENSD_19counting_iterator_tIlEES8_S8_S8_S8_S8_S8_S8_S8_EEEEPS9_S9_NSD_9__find_if7functorIS9_EEEE10hipError_tPvRmT1_T2_T3_mT4_P12ihipStream_tbEUlT_E1_NS1_11comp_targetILNS1_3genE8ELNS1_11target_archE1030ELNS1_3gpuE2ELNS1_3repE0EEENS1_30default_config_static_selectorELNS0_4arch9wavefront6targetE1EEEvS14_.num_agpr, 0
	.set _ZN7rocprim17ROCPRIM_400000_NS6detail17trampoline_kernelINS0_14default_configENS1_22reduce_config_selectorIN6thrust23THRUST_200600_302600_NS5tupleIblNS6_9null_typeES8_S8_S8_S8_S8_S8_S8_EEEEZNS1_11reduce_implILb1ES3_NS6_12zip_iteratorINS7_INS6_11hip_rocprim26transform_input_iterator_tIbNSD_35transform_pair_of_input_iterators_tIbNS6_6detail15normal_iteratorINS6_10device_ptrIKyEEEESL_NS6_8equal_toIyEEEENSG_9not_fun_tINSD_8identityEEEEENSD_19counting_iterator_tIlEES8_S8_S8_S8_S8_S8_S8_S8_EEEEPS9_S9_NSD_9__find_if7functorIS9_EEEE10hipError_tPvRmT1_T2_T3_mT4_P12ihipStream_tbEUlT_E1_NS1_11comp_targetILNS1_3genE8ELNS1_11target_archE1030ELNS1_3gpuE2ELNS1_3repE0EEENS1_30default_config_static_selectorELNS0_4arch9wavefront6targetE1EEEvS14_.numbered_sgpr, 0
	.set _ZN7rocprim17ROCPRIM_400000_NS6detail17trampoline_kernelINS0_14default_configENS1_22reduce_config_selectorIN6thrust23THRUST_200600_302600_NS5tupleIblNS6_9null_typeES8_S8_S8_S8_S8_S8_S8_EEEEZNS1_11reduce_implILb1ES3_NS6_12zip_iteratorINS7_INS6_11hip_rocprim26transform_input_iterator_tIbNSD_35transform_pair_of_input_iterators_tIbNS6_6detail15normal_iteratorINS6_10device_ptrIKyEEEESL_NS6_8equal_toIyEEEENSG_9not_fun_tINSD_8identityEEEEENSD_19counting_iterator_tIlEES8_S8_S8_S8_S8_S8_S8_S8_EEEEPS9_S9_NSD_9__find_if7functorIS9_EEEE10hipError_tPvRmT1_T2_T3_mT4_P12ihipStream_tbEUlT_E1_NS1_11comp_targetILNS1_3genE8ELNS1_11target_archE1030ELNS1_3gpuE2ELNS1_3repE0EEENS1_30default_config_static_selectorELNS0_4arch9wavefront6targetE1EEEvS14_.num_named_barrier, 0
	.set _ZN7rocprim17ROCPRIM_400000_NS6detail17trampoline_kernelINS0_14default_configENS1_22reduce_config_selectorIN6thrust23THRUST_200600_302600_NS5tupleIblNS6_9null_typeES8_S8_S8_S8_S8_S8_S8_EEEEZNS1_11reduce_implILb1ES3_NS6_12zip_iteratorINS7_INS6_11hip_rocprim26transform_input_iterator_tIbNSD_35transform_pair_of_input_iterators_tIbNS6_6detail15normal_iteratorINS6_10device_ptrIKyEEEESL_NS6_8equal_toIyEEEENSG_9not_fun_tINSD_8identityEEEEENSD_19counting_iterator_tIlEES8_S8_S8_S8_S8_S8_S8_S8_EEEEPS9_S9_NSD_9__find_if7functorIS9_EEEE10hipError_tPvRmT1_T2_T3_mT4_P12ihipStream_tbEUlT_E1_NS1_11comp_targetILNS1_3genE8ELNS1_11target_archE1030ELNS1_3gpuE2ELNS1_3repE0EEENS1_30default_config_static_selectorELNS0_4arch9wavefront6targetE1EEEvS14_.private_seg_size, 0
	.set _ZN7rocprim17ROCPRIM_400000_NS6detail17trampoline_kernelINS0_14default_configENS1_22reduce_config_selectorIN6thrust23THRUST_200600_302600_NS5tupleIblNS6_9null_typeES8_S8_S8_S8_S8_S8_S8_EEEEZNS1_11reduce_implILb1ES3_NS6_12zip_iteratorINS7_INS6_11hip_rocprim26transform_input_iterator_tIbNSD_35transform_pair_of_input_iterators_tIbNS6_6detail15normal_iteratorINS6_10device_ptrIKyEEEESL_NS6_8equal_toIyEEEENSG_9not_fun_tINSD_8identityEEEEENSD_19counting_iterator_tIlEES8_S8_S8_S8_S8_S8_S8_S8_EEEEPS9_S9_NSD_9__find_if7functorIS9_EEEE10hipError_tPvRmT1_T2_T3_mT4_P12ihipStream_tbEUlT_E1_NS1_11comp_targetILNS1_3genE8ELNS1_11target_archE1030ELNS1_3gpuE2ELNS1_3repE0EEENS1_30default_config_static_selectorELNS0_4arch9wavefront6targetE1EEEvS14_.uses_vcc, 0
	.set _ZN7rocprim17ROCPRIM_400000_NS6detail17trampoline_kernelINS0_14default_configENS1_22reduce_config_selectorIN6thrust23THRUST_200600_302600_NS5tupleIblNS6_9null_typeES8_S8_S8_S8_S8_S8_S8_EEEEZNS1_11reduce_implILb1ES3_NS6_12zip_iteratorINS7_INS6_11hip_rocprim26transform_input_iterator_tIbNSD_35transform_pair_of_input_iterators_tIbNS6_6detail15normal_iteratorINS6_10device_ptrIKyEEEESL_NS6_8equal_toIyEEEENSG_9not_fun_tINSD_8identityEEEEENSD_19counting_iterator_tIlEES8_S8_S8_S8_S8_S8_S8_S8_EEEEPS9_S9_NSD_9__find_if7functorIS9_EEEE10hipError_tPvRmT1_T2_T3_mT4_P12ihipStream_tbEUlT_E1_NS1_11comp_targetILNS1_3genE8ELNS1_11target_archE1030ELNS1_3gpuE2ELNS1_3repE0EEENS1_30default_config_static_selectorELNS0_4arch9wavefront6targetE1EEEvS14_.uses_flat_scratch, 0
	.set _ZN7rocprim17ROCPRIM_400000_NS6detail17trampoline_kernelINS0_14default_configENS1_22reduce_config_selectorIN6thrust23THRUST_200600_302600_NS5tupleIblNS6_9null_typeES8_S8_S8_S8_S8_S8_S8_EEEEZNS1_11reduce_implILb1ES3_NS6_12zip_iteratorINS7_INS6_11hip_rocprim26transform_input_iterator_tIbNSD_35transform_pair_of_input_iterators_tIbNS6_6detail15normal_iteratorINS6_10device_ptrIKyEEEESL_NS6_8equal_toIyEEEENSG_9not_fun_tINSD_8identityEEEEENSD_19counting_iterator_tIlEES8_S8_S8_S8_S8_S8_S8_S8_EEEEPS9_S9_NSD_9__find_if7functorIS9_EEEE10hipError_tPvRmT1_T2_T3_mT4_P12ihipStream_tbEUlT_E1_NS1_11comp_targetILNS1_3genE8ELNS1_11target_archE1030ELNS1_3gpuE2ELNS1_3repE0EEENS1_30default_config_static_selectorELNS0_4arch9wavefront6targetE1EEEvS14_.has_dyn_sized_stack, 0
	.set _ZN7rocprim17ROCPRIM_400000_NS6detail17trampoline_kernelINS0_14default_configENS1_22reduce_config_selectorIN6thrust23THRUST_200600_302600_NS5tupleIblNS6_9null_typeES8_S8_S8_S8_S8_S8_S8_EEEEZNS1_11reduce_implILb1ES3_NS6_12zip_iteratorINS7_INS6_11hip_rocprim26transform_input_iterator_tIbNSD_35transform_pair_of_input_iterators_tIbNS6_6detail15normal_iteratorINS6_10device_ptrIKyEEEESL_NS6_8equal_toIyEEEENSG_9not_fun_tINSD_8identityEEEEENSD_19counting_iterator_tIlEES8_S8_S8_S8_S8_S8_S8_S8_EEEEPS9_S9_NSD_9__find_if7functorIS9_EEEE10hipError_tPvRmT1_T2_T3_mT4_P12ihipStream_tbEUlT_E1_NS1_11comp_targetILNS1_3genE8ELNS1_11target_archE1030ELNS1_3gpuE2ELNS1_3repE0EEENS1_30default_config_static_selectorELNS0_4arch9wavefront6targetE1EEEvS14_.has_recursion, 0
	.set _ZN7rocprim17ROCPRIM_400000_NS6detail17trampoline_kernelINS0_14default_configENS1_22reduce_config_selectorIN6thrust23THRUST_200600_302600_NS5tupleIblNS6_9null_typeES8_S8_S8_S8_S8_S8_S8_EEEEZNS1_11reduce_implILb1ES3_NS6_12zip_iteratorINS7_INS6_11hip_rocprim26transform_input_iterator_tIbNSD_35transform_pair_of_input_iterators_tIbNS6_6detail15normal_iteratorINS6_10device_ptrIKyEEEESL_NS6_8equal_toIyEEEENSG_9not_fun_tINSD_8identityEEEEENSD_19counting_iterator_tIlEES8_S8_S8_S8_S8_S8_S8_S8_EEEEPS9_S9_NSD_9__find_if7functorIS9_EEEE10hipError_tPvRmT1_T2_T3_mT4_P12ihipStream_tbEUlT_E1_NS1_11comp_targetILNS1_3genE8ELNS1_11target_archE1030ELNS1_3gpuE2ELNS1_3repE0EEENS1_30default_config_static_selectorELNS0_4arch9wavefront6targetE1EEEvS14_.has_indirect_call, 0
	.section	.AMDGPU.csdata,"",@progbits
; Kernel info:
; codeLenInByte = 0
; TotalNumSgprs: 4
; NumVgprs: 0
; ScratchSize: 0
; MemoryBound: 0
; FloatMode: 240
; IeeeMode: 1
; LDSByteSize: 0 bytes/workgroup (compile time only)
; SGPRBlocks: 0
; VGPRBlocks: 0
; NumSGPRsForWavesPerEU: 4
; NumVGPRsForWavesPerEU: 1
; Occupancy: 10
; WaveLimiterHint : 0
; COMPUTE_PGM_RSRC2:SCRATCH_EN: 0
; COMPUTE_PGM_RSRC2:USER_SGPR: 6
; COMPUTE_PGM_RSRC2:TRAP_HANDLER: 0
; COMPUTE_PGM_RSRC2:TGID_X_EN: 1
; COMPUTE_PGM_RSRC2:TGID_Y_EN: 0
; COMPUTE_PGM_RSRC2:TGID_Z_EN: 0
; COMPUTE_PGM_RSRC2:TIDIG_COMP_CNT: 0
	.section	.text._ZN7rocprim17ROCPRIM_400000_NS6detail17trampoline_kernelINS0_14default_configENS1_22reduce_config_selectorIN6thrust23THRUST_200600_302600_NS5tupleIblNS6_9null_typeES8_S8_S8_S8_S8_S8_S8_EEEEZNS1_11reduce_implILb1ES3_NS6_12zip_iteratorINS7_INS6_11hip_rocprim26transform_input_iterator_tIbNSD_35transform_pair_of_input_iterators_tIbNS6_6detail15normal_iteratorINS6_10device_ptrIKjEEEESL_NS6_8equal_toIjEEEENSG_9not_fun_tINSD_8identityEEEEENSD_19counting_iterator_tIlEES8_S8_S8_S8_S8_S8_S8_S8_EEEEPS9_S9_NSD_9__find_if7functorIS9_EEEE10hipError_tPvRmT1_T2_T3_mT4_P12ihipStream_tbEUlT_E0_NS1_11comp_targetILNS1_3genE0ELNS1_11target_archE4294967295ELNS1_3gpuE0ELNS1_3repE0EEENS1_30default_config_static_selectorELNS0_4arch9wavefront6targetE1EEEvS14_,"axG",@progbits,_ZN7rocprim17ROCPRIM_400000_NS6detail17trampoline_kernelINS0_14default_configENS1_22reduce_config_selectorIN6thrust23THRUST_200600_302600_NS5tupleIblNS6_9null_typeES8_S8_S8_S8_S8_S8_S8_EEEEZNS1_11reduce_implILb1ES3_NS6_12zip_iteratorINS7_INS6_11hip_rocprim26transform_input_iterator_tIbNSD_35transform_pair_of_input_iterators_tIbNS6_6detail15normal_iteratorINS6_10device_ptrIKjEEEESL_NS6_8equal_toIjEEEENSG_9not_fun_tINSD_8identityEEEEENSD_19counting_iterator_tIlEES8_S8_S8_S8_S8_S8_S8_S8_EEEEPS9_S9_NSD_9__find_if7functorIS9_EEEE10hipError_tPvRmT1_T2_T3_mT4_P12ihipStream_tbEUlT_E0_NS1_11comp_targetILNS1_3genE0ELNS1_11target_archE4294967295ELNS1_3gpuE0ELNS1_3repE0EEENS1_30default_config_static_selectorELNS0_4arch9wavefront6targetE1EEEvS14_,comdat
	.protected	_ZN7rocprim17ROCPRIM_400000_NS6detail17trampoline_kernelINS0_14default_configENS1_22reduce_config_selectorIN6thrust23THRUST_200600_302600_NS5tupleIblNS6_9null_typeES8_S8_S8_S8_S8_S8_S8_EEEEZNS1_11reduce_implILb1ES3_NS6_12zip_iteratorINS7_INS6_11hip_rocprim26transform_input_iterator_tIbNSD_35transform_pair_of_input_iterators_tIbNS6_6detail15normal_iteratorINS6_10device_ptrIKjEEEESL_NS6_8equal_toIjEEEENSG_9not_fun_tINSD_8identityEEEEENSD_19counting_iterator_tIlEES8_S8_S8_S8_S8_S8_S8_S8_EEEEPS9_S9_NSD_9__find_if7functorIS9_EEEE10hipError_tPvRmT1_T2_T3_mT4_P12ihipStream_tbEUlT_E0_NS1_11comp_targetILNS1_3genE0ELNS1_11target_archE4294967295ELNS1_3gpuE0ELNS1_3repE0EEENS1_30default_config_static_selectorELNS0_4arch9wavefront6targetE1EEEvS14_ ; -- Begin function _ZN7rocprim17ROCPRIM_400000_NS6detail17trampoline_kernelINS0_14default_configENS1_22reduce_config_selectorIN6thrust23THRUST_200600_302600_NS5tupleIblNS6_9null_typeES8_S8_S8_S8_S8_S8_S8_EEEEZNS1_11reduce_implILb1ES3_NS6_12zip_iteratorINS7_INS6_11hip_rocprim26transform_input_iterator_tIbNSD_35transform_pair_of_input_iterators_tIbNS6_6detail15normal_iteratorINS6_10device_ptrIKjEEEESL_NS6_8equal_toIjEEEENSG_9not_fun_tINSD_8identityEEEEENSD_19counting_iterator_tIlEES8_S8_S8_S8_S8_S8_S8_S8_EEEEPS9_S9_NSD_9__find_if7functorIS9_EEEE10hipError_tPvRmT1_T2_T3_mT4_P12ihipStream_tbEUlT_E0_NS1_11comp_targetILNS1_3genE0ELNS1_11target_archE4294967295ELNS1_3gpuE0ELNS1_3repE0EEENS1_30default_config_static_selectorELNS0_4arch9wavefront6targetE1EEEvS14_
	.globl	_ZN7rocprim17ROCPRIM_400000_NS6detail17trampoline_kernelINS0_14default_configENS1_22reduce_config_selectorIN6thrust23THRUST_200600_302600_NS5tupleIblNS6_9null_typeES8_S8_S8_S8_S8_S8_S8_EEEEZNS1_11reduce_implILb1ES3_NS6_12zip_iteratorINS7_INS6_11hip_rocprim26transform_input_iterator_tIbNSD_35transform_pair_of_input_iterators_tIbNS6_6detail15normal_iteratorINS6_10device_ptrIKjEEEESL_NS6_8equal_toIjEEEENSG_9not_fun_tINSD_8identityEEEEENSD_19counting_iterator_tIlEES8_S8_S8_S8_S8_S8_S8_S8_EEEEPS9_S9_NSD_9__find_if7functorIS9_EEEE10hipError_tPvRmT1_T2_T3_mT4_P12ihipStream_tbEUlT_E0_NS1_11comp_targetILNS1_3genE0ELNS1_11target_archE4294967295ELNS1_3gpuE0ELNS1_3repE0EEENS1_30default_config_static_selectorELNS0_4arch9wavefront6targetE1EEEvS14_
	.p2align	8
	.type	_ZN7rocprim17ROCPRIM_400000_NS6detail17trampoline_kernelINS0_14default_configENS1_22reduce_config_selectorIN6thrust23THRUST_200600_302600_NS5tupleIblNS6_9null_typeES8_S8_S8_S8_S8_S8_S8_EEEEZNS1_11reduce_implILb1ES3_NS6_12zip_iteratorINS7_INS6_11hip_rocprim26transform_input_iterator_tIbNSD_35transform_pair_of_input_iterators_tIbNS6_6detail15normal_iteratorINS6_10device_ptrIKjEEEESL_NS6_8equal_toIjEEEENSG_9not_fun_tINSD_8identityEEEEENSD_19counting_iterator_tIlEES8_S8_S8_S8_S8_S8_S8_S8_EEEEPS9_S9_NSD_9__find_if7functorIS9_EEEE10hipError_tPvRmT1_T2_T3_mT4_P12ihipStream_tbEUlT_E0_NS1_11comp_targetILNS1_3genE0ELNS1_11target_archE4294967295ELNS1_3gpuE0ELNS1_3repE0EEENS1_30default_config_static_selectorELNS0_4arch9wavefront6targetE1EEEvS14_,@function
_ZN7rocprim17ROCPRIM_400000_NS6detail17trampoline_kernelINS0_14default_configENS1_22reduce_config_selectorIN6thrust23THRUST_200600_302600_NS5tupleIblNS6_9null_typeES8_S8_S8_S8_S8_S8_S8_EEEEZNS1_11reduce_implILb1ES3_NS6_12zip_iteratorINS7_INS6_11hip_rocprim26transform_input_iterator_tIbNSD_35transform_pair_of_input_iterators_tIbNS6_6detail15normal_iteratorINS6_10device_ptrIKjEEEESL_NS6_8equal_toIjEEEENSG_9not_fun_tINSD_8identityEEEEENSD_19counting_iterator_tIlEES8_S8_S8_S8_S8_S8_S8_S8_EEEEPS9_S9_NSD_9__find_if7functorIS9_EEEE10hipError_tPvRmT1_T2_T3_mT4_P12ihipStream_tbEUlT_E0_NS1_11comp_targetILNS1_3genE0ELNS1_11target_archE4294967295ELNS1_3gpuE0ELNS1_3repE0EEENS1_30default_config_static_selectorELNS0_4arch9wavefront6targetE1EEEvS14_: ; @_ZN7rocprim17ROCPRIM_400000_NS6detail17trampoline_kernelINS0_14default_configENS1_22reduce_config_selectorIN6thrust23THRUST_200600_302600_NS5tupleIblNS6_9null_typeES8_S8_S8_S8_S8_S8_S8_EEEEZNS1_11reduce_implILb1ES3_NS6_12zip_iteratorINS7_INS6_11hip_rocprim26transform_input_iterator_tIbNSD_35transform_pair_of_input_iterators_tIbNS6_6detail15normal_iteratorINS6_10device_ptrIKjEEEESL_NS6_8equal_toIjEEEENSG_9not_fun_tINSD_8identityEEEEENSD_19counting_iterator_tIlEES8_S8_S8_S8_S8_S8_S8_S8_EEEEPS9_S9_NSD_9__find_if7functorIS9_EEEE10hipError_tPvRmT1_T2_T3_mT4_P12ihipStream_tbEUlT_E0_NS1_11comp_targetILNS1_3genE0ELNS1_11target_archE4294967295ELNS1_3gpuE0ELNS1_3repE0EEENS1_30default_config_static_selectorELNS0_4arch9wavefront6targetE1EEEvS14_
; %bb.0:
	.section	.rodata,"a",@progbits
	.p2align	6, 0x0
	.amdhsa_kernel _ZN7rocprim17ROCPRIM_400000_NS6detail17trampoline_kernelINS0_14default_configENS1_22reduce_config_selectorIN6thrust23THRUST_200600_302600_NS5tupleIblNS6_9null_typeES8_S8_S8_S8_S8_S8_S8_EEEEZNS1_11reduce_implILb1ES3_NS6_12zip_iteratorINS7_INS6_11hip_rocprim26transform_input_iterator_tIbNSD_35transform_pair_of_input_iterators_tIbNS6_6detail15normal_iteratorINS6_10device_ptrIKjEEEESL_NS6_8equal_toIjEEEENSG_9not_fun_tINSD_8identityEEEEENSD_19counting_iterator_tIlEES8_S8_S8_S8_S8_S8_S8_S8_EEEEPS9_S9_NSD_9__find_if7functorIS9_EEEE10hipError_tPvRmT1_T2_T3_mT4_P12ihipStream_tbEUlT_E0_NS1_11comp_targetILNS1_3genE0ELNS1_11target_archE4294967295ELNS1_3gpuE0ELNS1_3repE0EEENS1_30default_config_static_selectorELNS0_4arch9wavefront6targetE1EEEvS14_
		.amdhsa_group_segment_fixed_size 0
		.amdhsa_private_segment_fixed_size 0
		.amdhsa_kernarg_size 104
		.amdhsa_user_sgpr_count 6
		.amdhsa_user_sgpr_private_segment_buffer 1
		.amdhsa_user_sgpr_dispatch_ptr 0
		.amdhsa_user_sgpr_queue_ptr 0
		.amdhsa_user_sgpr_kernarg_segment_ptr 1
		.amdhsa_user_sgpr_dispatch_id 0
		.amdhsa_user_sgpr_flat_scratch_init 0
		.amdhsa_user_sgpr_private_segment_size 0
		.amdhsa_uses_dynamic_stack 0
		.amdhsa_system_sgpr_private_segment_wavefront_offset 0
		.amdhsa_system_sgpr_workgroup_id_x 1
		.amdhsa_system_sgpr_workgroup_id_y 0
		.amdhsa_system_sgpr_workgroup_id_z 0
		.amdhsa_system_sgpr_workgroup_info 0
		.amdhsa_system_vgpr_workitem_id 0
		.amdhsa_next_free_vgpr 1
		.amdhsa_next_free_sgpr 0
		.amdhsa_reserve_vcc 0
		.amdhsa_reserve_flat_scratch 0
		.amdhsa_float_round_mode_32 0
		.amdhsa_float_round_mode_16_64 0
		.amdhsa_float_denorm_mode_32 3
		.amdhsa_float_denorm_mode_16_64 3
		.amdhsa_dx10_clamp 1
		.amdhsa_ieee_mode 1
		.amdhsa_fp16_overflow 0
		.amdhsa_exception_fp_ieee_invalid_op 0
		.amdhsa_exception_fp_denorm_src 0
		.amdhsa_exception_fp_ieee_div_zero 0
		.amdhsa_exception_fp_ieee_overflow 0
		.amdhsa_exception_fp_ieee_underflow 0
		.amdhsa_exception_fp_ieee_inexact 0
		.amdhsa_exception_int_div_zero 0
	.end_amdhsa_kernel
	.section	.text._ZN7rocprim17ROCPRIM_400000_NS6detail17trampoline_kernelINS0_14default_configENS1_22reduce_config_selectorIN6thrust23THRUST_200600_302600_NS5tupleIblNS6_9null_typeES8_S8_S8_S8_S8_S8_S8_EEEEZNS1_11reduce_implILb1ES3_NS6_12zip_iteratorINS7_INS6_11hip_rocprim26transform_input_iterator_tIbNSD_35transform_pair_of_input_iterators_tIbNS6_6detail15normal_iteratorINS6_10device_ptrIKjEEEESL_NS6_8equal_toIjEEEENSG_9not_fun_tINSD_8identityEEEEENSD_19counting_iterator_tIlEES8_S8_S8_S8_S8_S8_S8_S8_EEEEPS9_S9_NSD_9__find_if7functorIS9_EEEE10hipError_tPvRmT1_T2_T3_mT4_P12ihipStream_tbEUlT_E0_NS1_11comp_targetILNS1_3genE0ELNS1_11target_archE4294967295ELNS1_3gpuE0ELNS1_3repE0EEENS1_30default_config_static_selectorELNS0_4arch9wavefront6targetE1EEEvS14_,"axG",@progbits,_ZN7rocprim17ROCPRIM_400000_NS6detail17trampoline_kernelINS0_14default_configENS1_22reduce_config_selectorIN6thrust23THRUST_200600_302600_NS5tupleIblNS6_9null_typeES8_S8_S8_S8_S8_S8_S8_EEEEZNS1_11reduce_implILb1ES3_NS6_12zip_iteratorINS7_INS6_11hip_rocprim26transform_input_iterator_tIbNSD_35transform_pair_of_input_iterators_tIbNS6_6detail15normal_iteratorINS6_10device_ptrIKjEEEESL_NS6_8equal_toIjEEEENSG_9not_fun_tINSD_8identityEEEEENSD_19counting_iterator_tIlEES8_S8_S8_S8_S8_S8_S8_S8_EEEEPS9_S9_NSD_9__find_if7functorIS9_EEEE10hipError_tPvRmT1_T2_T3_mT4_P12ihipStream_tbEUlT_E0_NS1_11comp_targetILNS1_3genE0ELNS1_11target_archE4294967295ELNS1_3gpuE0ELNS1_3repE0EEENS1_30default_config_static_selectorELNS0_4arch9wavefront6targetE1EEEvS14_,comdat
.Lfunc_end483:
	.size	_ZN7rocprim17ROCPRIM_400000_NS6detail17trampoline_kernelINS0_14default_configENS1_22reduce_config_selectorIN6thrust23THRUST_200600_302600_NS5tupleIblNS6_9null_typeES8_S8_S8_S8_S8_S8_S8_EEEEZNS1_11reduce_implILb1ES3_NS6_12zip_iteratorINS7_INS6_11hip_rocprim26transform_input_iterator_tIbNSD_35transform_pair_of_input_iterators_tIbNS6_6detail15normal_iteratorINS6_10device_ptrIKjEEEESL_NS6_8equal_toIjEEEENSG_9not_fun_tINSD_8identityEEEEENSD_19counting_iterator_tIlEES8_S8_S8_S8_S8_S8_S8_S8_EEEEPS9_S9_NSD_9__find_if7functorIS9_EEEE10hipError_tPvRmT1_T2_T3_mT4_P12ihipStream_tbEUlT_E0_NS1_11comp_targetILNS1_3genE0ELNS1_11target_archE4294967295ELNS1_3gpuE0ELNS1_3repE0EEENS1_30default_config_static_selectorELNS0_4arch9wavefront6targetE1EEEvS14_, .Lfunc_end483-_ZN7rocprim17ROCPRIM_400000_NS6detail17trampoline_kernelINS0_14default_configENS1_22reduce_config_selectorIN6thrust23THRUST_200600_302600_NS5tupleIblNS6_9null_typeES8_S8_S8_S8_S8_S8_S8_EEEEZNS1_11reduce_implILb1ES3_NS6_12zip_iteratorINS7_INS6_11hip_rocprim26transform_input_iterator_tIbNSD_35transform_pair_of_input_iterators_tIbNS6_6detail15normal_iteratorINS6_10device_ptrIKjEEEESL_NS6_8equal_toIjEEEENSG_9not_fun_tINSD_8identityEEEEENSD_19counting_iterator_tIlEES8_S8_S8_S8_S8_S8_S8_S8_EEEEPS9_S9_NSD_9__find_if7functorIS9_EEEE10hipError_tPvRmT1_T2_T3_mT4_P12ihipStream_tbEUlT_E0_NS1_11comp_targetILNS1_3genE0ELNS1_11target_archE4294967295ELNS1_3gpuE0ELNS1_3repE0EEENS1_30default_config_static_selectorELNS0_4arch9wavefront6targetE1EEEvS14_
                                        ; -- End function
	.set _ZN7rocprim17ROCPRIM_400000_NS6detail17trampoline_kernelINS0_14default_configENS1_22reduce_config_selectorIN6thrust23THRUST_200600_302600_NS5tupleIblNS6_9null_typeES8_S8_S8_S8_S8_S8_S8_EEEEZNS1_11reduce_implILb1ES3_NS6_12zip_iteratorINS7_INS6_11hip_rocprim26transform_input_iterator_tIbNSD_35transform_pair_of_input_iterators_tIbNS6_6detail15normal_iteratorINS6_10device_ptrIKjEEEESL_NS6_8equal_toIjEEEENSG_9not_fun_tINSD_8identityEEEEENSD_19counting_iterator_tIlEES8_S8_S8_S8_S8_S8_S8_S8_EEEEPS9_S9_NSD_9__find_if7functorIS9_EEEE10hipError_tPvRmT1_T2_T3_mT4_P12ihipStream_tbEUlT_E0_NS1_11comp_targetILNS1_3genE0ELNS1_11target_archE4294967295ELNS1_3gpuE0ELNS1_3repE0EEENS1_30default_config_static_selectorELNS0_4arch9wavefront6targetE1EEEvS14_.num_vgpr, 0
	.set _ZN7rocprim17ROCPRIM_400000_NS6detail17trampoline_kernelINS0_14default_configENS1_22reduce_config_selectorIN6thrust23THRUST_200600_302600_NS5tupleIblNS6_9null_typeES8_S8_S8_S8_S8_S8_S8_EEEEZNS1_11reduce_implILb1ES3_NS6_12zip_iteratorINS7_INS6_11hip_rocprim26transform_input_iterator_tIbNSD_35transform_pair_of_input_iterators_tIbNS6_6detail15normal_iteratorINS6_10device_ptrIKjEEEESL_NS6_8equal_toIjEEEENSG_9not_fun_tINSD_8identityEEEEENSD_19counting_iterator_tIlEES8_S8_S8_S8_S8_S8_S8_S8_EEEEPS9_S9_NSD_9__find_if7functorIS9_EEEE10hipError_tPvRmT1_T2_T3_mT4_P12ihipStream_tbEUlT_E0_NS1_11comp_targetILNS1_3genE0ELNS1_11target_archE4294967295ELNS1_3gpuE0ELNS1_3repE0EEENS1_30default_config_static_selectorELNS0_4arch9wavefront6targetE1EEEvS14_.num_agpr, 0
	.set _ZN7rocprim17ROCPRIM_400000_NS6detail17trampoline_kernelINS0_14default_configENS1_22reduce_config_selectorIN6thrust23THRUST_200600_302600_NS5tupleIblNS6_9null_typeES8_S8_S8_S8_S8_S8_S8_EEEEZNS1_11reduce_implILb1ES3_NS6_12zip_iteratorINS7_INS6_11hip_rocprim26transform_input_iterator_tIbNSD_35transform_pair_of_input_iterators_tIbNS6_6detail15normal_iteratorINS6_10device_ptrIKjEEEESL_NS6_8equal_toIjEEEENSG_9not_fun_tINSD_8identityEEEEENSD_19counting_iterator_tIlEES8_S8_S8_S8_S8_S8_S8_S8_EEEEPS9_S9_NSD_9__find_if7functorIS9_EEEE10hipError_tPvRmT1_T2_T3_mT4_P12ihipStream_tbEUlT_E0_NS1_11comp_targetILNS1_3genE0ELNS1_11target_archE4294967295ELNS1_3gpuE0ELNS1_3repE0EEENS1_30default_config_static_selectorELNS0_4arch9wavefront6targetE1EEEvS14_.numbered_sgpr, 0
	.set _ZN7rocprim17ROCPRIM_400000_NS6detail17trampoline_kernelINS0_14default_configENS1_22reduce_config_selectorIN6thrust23THRUST_200600_302600_NS5tupleIblNS6_9null_typeES8_S8_S8_S8_S8_S8_S8_EEEEZNS1_11reduce_implILb1ES3_NS6_12zip_iteratorINS7_INS6_11hip_rocprim26transform_input_iterator_tIbNSD_35transform_pair_of_input_iterators_tIbNS6_6detail15normal_iteratorINS6_10device_ptrIKjEEEESL_NS6_8equal_toIjEEEENSG_9not_fun_tINSD_8identityEEEEENSD_19counting_iterator_tIlEES8_S8_S8_S8_S8_S8_S8_S8_EEEEPS9_S9_NSD_9__find_if7functorIS9_EEEE10hipError_tPvRmT1_T2_T3_mT4_P12ihipStream_tbEUlT_E0_NS1_11comp_targetILNS1_3genE0ELNS1_11target_archE4294967295ELNS1_3gpuE0ELNS1_3repE0EEENS1_30default_config_static_selectorELNS0_4arch9wavefront6targetE1EEEvS14_.num_named_barrier, 0
	.set _ZN7rocprim17ROCPRIM_400000_NS6detail17trampoline_kernelINS0_14default_configENS1_22reduce_config_selectorIN6thrust23THRUST_200600_302600_NS5tupleIblNS6_9null_typeES8_S8_S8_S8_S8_S8_S8_EEEEZNS1_11reduce_implILb1ES3_NS6_12zip_iteratorINS7_INS6_11hip_rocprim26transform_input_iterator_tIbNSD_35transform_pair_of_input_iterators_tIbNS6_6detail15normal_iteratorINS6_10device_ptrIKjEEEESL_NS6_8equal_toIjEEEENSG_9not_fun_tINSD_8identityEEEEENSD_19counting_iterator_tIlEES8_S8_S8_S8_S8_S8_S8_S8_EEEEPS9_S9_NSD_9__find_if7functorIS9_EEEE10hipError_tPvRmT1_T2_T3_mT4_P12ihipStream_tbEUlT_E0_NS1_11comp_targetILNS1_3genE0ELNS1_11target_archE4294967295ELNS1_3gpuE0ELNS1_3repE0EEENS1_30default_config_static_selectorELNS0_4arch9wavefront6targetE1EEEvS14_.private_seg_size, 0
	.set _ZN7rocprim17ROCPRIM_400000_NS6detail17trampoline_kernelINS0_14default_configENS1_22reduce_config_selectorIN6thrust23THRUST_200600_302600_NS5tupleIblNS6_9null_typeES8_S8_S8_S8_S8_S8_S8_EEEEZNS1_11reduce_implILb1ES3_NS6_12zip_iteratorINS7_INS6_11hip_rocprim26transform_input_iterator_tIbNSD_35transform_pair_of_input_iterators_tIbNS6_6detail15normal_iteratorINS6_10device_ptrIKjEEEESL_NS6_8equal_toIjEEEENSG_9not_fun_tINSD_8identityEEEEENSD_19counting_iterator_tIlEES8_S8_S8_S8_S8_S8_S8_S8_EEEEPS9_S9_NSD_9__find_if7functorIS9_EEEE10hipError_tPvRmT1_T2_T3_mT4_P12ihipStream_tbEUlT_E0_NS1_11comp_targetILNS1_3genE0ELNS1_11target_archE4294967295ELNS1_3gpuE0ELNS1_3repE0EEENS1_30default_config_static_selectorELNS0_4arch9wavefront6targetE1EEEvS14_.uses_vcc, 0
	.set _ZN7rocprim17ROCPRIM_400000_NS6detail17trampoline_kernelINS0_14default_configENS1_22reduce_config_selectorIN6thrust23THRUST_200600_302600_NS5tupleIblNS6_9null_typeES8_S8_S8_S8_S8_S8_S8_EEEEZNS1_11reduce_implILb1ES3_NS6_12zip_iteratorINS7_INS6_11hip_rocprim26transform_input_iterator_tIbNSD_35transform_pair_of_input_iterators_tIbNS6_6detail15normal_iteratorINS6_10device_ptrIKjEEEESL_NS6_8equal_toIjEEEENSG_9not_fun_tINSD_8identityEEEEENSD_19counting_iterator_tIlEES8_S8_S8_S8_S8_S8_S8_S8_EEEEPS9_S9_NSD_9__find_if7functorIS9_EEEE10hipError_tPvRmT1_T2_T3_mT4_P12ihipStream_tbEUlT_E0_NS1_11comp_targetILNS1_3genE0ELNS1_11target_archE4294967295ELNS1_3gpuE0ELNS1_3repE0EEENS1_30default_config_static_selectorELNS0_4arch9wavefront6targetE1EEEvS14_.uses_flat_scratch, 0
	.set _ZN7rocprim17ROCPRIM_400000_NS6detail17trampoline_kernelINS0_14default_configENS1_22reduce_config_selectorIN6thrust23THRUST_200600_302600_NS5tupleIblNS6_9null_typeES8_S8_S8_S8_S8_S8_S8_EEEEZNS1_11reduce_implILb1ES3_NS6_12zip_iteratorINS7_INS6_11hip_rocprim26transform_input_iterator_tIbNSD_35transform_pair_of_input_iterators_tIbNS6_6detail15normal_iteratorINS6_10device_ptrIKjEEEESL_NS6_8equal_toIjEEEENSG_9not_fun_tINSD_8identityEEEEENSD_19counting_iterator_tIlEES8_S8_S8_S8_S8_S8_S8_S8_EEEEPS9_S9_NSD_9__find_if7functorIS9_EEEE10hipError_tPvRmT1_T2_T3_mT4_P12ihipStream_tbEUlT_E0_NS1_11comp_targetILNS1_3genE0ELNS1_11target_archE4294967295ELNS1_3gpuE0ELNS1_3repE0EEENS1_30default_config_static_selectorELNS0_4arch9wavefront6targetE1EEEvS14_.has_dyn_sized_stack, 0
	.set _ZN7rocprim17ROCPRIM_400000_NS6detail17trampoline_kernelINS0_14default_configENS1_22reduce_config_selectorIN6thrust23THRUST_200600_302600_NS5tupleIblNS6_9null_typeES8_S8_S8_S8_S8_S8_S8_EEEEZNS1_11reduce_implILb1ES3_NS6_12zip_iteratorINS7_INS6_11hip_rocprim26transform_input_iterator_tIbNSD_35transform_pair_of_input_iterators_tIbNS6_6detail15normal_iteratorINS6_10device_ptrIKjEEEESL_NS6_8equal_toIjEEEENSG_9not_fun_tINSD_8identityEEEEENSD_19counting_iterator_tIlEES8_S8_S8_S8_S8_S8_S8_S8_EEEEPS9_S9_NSD_9__find_if7functorIS9_EEEE10hipError_tPvRmT1_T2_T3_mT4_P12ihipStream_tbEUlT_E0_NS1_11comp_targetILNS1_3genE0ELNS1_11target_archE4294967295ELNS1_3gpuE0ELNS1_3repE0EEENS1_30default_config_static_selectorELNS0_4arch9wavefront6targetE1EEEvS14_.has_recursion, 0
	.set _ZN7rocprim17ROCPRIM_400000_NS6detail17trampoline_kernelINS0_14default_configENS1_22reduce_config_selectorIN6thrust23THRUST_200600_302600_NS5tupleIblNS6_9null_typeES8_S8_S8_S8_S8_S8_S8_EEEEZNS1_11reduce_implILb1ES3_NS6_12zip_iteratorINS7_INS6_11hip_rocprim26transform_input_iterator_tIbNSD_35transform_pair_of_input_iterators_tIbNS6_6detail15normal_iteratorINS6_10device_ptrIKjEEEESL_NS6_8equal_toIjEEEENSG_9not_fun_tINSD_8identityEEEEENSD_19counting_iterator_tIlEES8_S8_S8_S8_S8_S8_S8_S8_EEEEPS9_S9_NSD_9__find_if7functorIS9_EEEE10hipError_tPvRmT1_T2_T3_mT4_P12ihipStream_tbEUlT_E0_NS1_11comp_targetILNS1_3genE0ELNS1_11target_archE4294967295ELNS1_3gpuE0ELNS1_3repE0EEENS1_30default_config_static_selectorELNS0_4arch9wavefront6targetE1EEEvS14_.has_indirect_call, 0
	.section	.AMDGPU.csdata,"",@progbits
; Kernel info:
; codeLenInByte = 0
; TotalNumSgprs: 4
; NumVgprs: 0
; ScratchSize: 0
; MemoryBound: 0
; FloatMode: 240
; IeeeMode: 1
; LDSByteSize: 0 bytes/workgroup (compile time only)
; SGPRBlocks: 0
; VGPRBlocks: 0
; NumSGPRsForWavesPerEU: 4
; NumVGPRsForWavesPerEU: 1
; Occupancy: 10
; WaveLimiterHint : 0
; COMPUTE_PGM_RSRC2:SCRATCH_EN: 0
; COMPUTE_PGM_RSRC2:USER_SGPR: 6
; COMPUTE_PGM_RSRC2:TRAP_HANDLER: 0
; COMPUTE_PGM_RSRC2:TGID_X_EN: 1
; COMPUTE_PGM_RSRC2:TGID_Y_EN: 0
; COMPUTE_PGM_RSRC2:TGID_Z_EN: 0
; COMPUTE_PGM_RSRC2:TIDIG_COMP_CNT: 0
	.section	.text._ZN7rocprim17ROCPRIM_400000_NS6detail17trampoline_kernelINS0_14default_configENS1_22reduce_config_selectorIN6thrust23THRUST_200600_302600_NS5tupleIblNS6_9null_typeES8_S8_S8_S8_S8_S8_S8_EEEEZNS1_11reduce_implILb1ES3_NS6_12zip_iteratorINS7_INS6_11hip_rocprim26transform_input_iterator_tIbNSD_35transform_pair_of_input_iterators_tIbNS6_6detail15normal_iteratorINS6_10device_ptrIKjEEEESL_NS6_8equal_toIjEEEENSG_9not_fun_tINSD_8identityEEEEENSD_19counting_iterator_tIlEES8_S8_S8_S8_S8_S8_S8_S8_EEEEPS9_S9_NSD_9__find_if7functorIS9_EEEE10hipError_tPvRmT1_T2_T3_mT4_P12ihipStream_tbEUlT_E0_NS1_11comp_targetILNS1_3genE5ELNS1_11target_archE942ELNS1_3gpuE9ELNS1_3repE0EEENS1_30default_config_static_selectorELNS0_4arch9wavefront6targetE1EEEvS14_,"axG",@progbits,_ZN7rocprim17ROCPRIM_400000_NS6detail17trampoline_kernelINS0_14default_configENS1_22reduce_config_selectorIN6thrust23THRUST_200600_302600_NS5tupleIblNS6_9null_typeES8_S8_S8_S8_S8_S8_S8_EEEEZNS1_11reduce_implILb1ES3_NS6_12zip_iteratorINS7_INS6_11hip_rocprim26transform_input_iterator_tIbNSD_35transform_pair_of_input_iterators_tIbNS6_6detail15normal_iteratorINS6_10device_ptrIKjEEEESL_NS6_8equal_toIjEEEENSG_9not_fun_tINSD_8identityEEEEENSD_19counting_iterator_tIlEES8_S8_S8_S8_S8_S8_S8_S8_EEEEPS9_S9_NSD_9__find_if7functorIS9_EEEE10hipError_tPvRmT1_T2_T3_mT4_P12ihipStream_tbEUlT_E0_NS1_11comp_targetILNS1_3genE5ELNS1_11target_archE942ELNS1_3gpuE9ELNS1_3repE0EEENS1_30default_config_static_selectorELNS0_4arch9wavefront6targetE1EEEvS14_,comdat
	.protected	_ZN7rocprim17ROCPRIM_400000_NS6detail17trampoline_kernelINS0_14default_configENS1_22reduce_config_selectorIN6thrust23THRUST_200600_302600_NS5tupleIblNS6_9null_typeES8_S8_S8_S8_S8_S8_S8_EEEEZNS1_11reduce_implILb1ES3_NS6_12zip_iteratorINS7_INS6_11hip_rocprim26transform_input_iterator_tIbNSD_35transform_pair_of_input_iterators_tIbNS6_6detail15normal_iteratorINS6_10device_ptrIKjEEEESL_NS6_8equal_toIjEEEENSG_9not_fun_tINSD_8identityEEEEENSD_19counting_iterator_tIlEES8_S8_S8_S8_S8_S8_S8_S8_EEEEPS9_S9_NSD_9__find_if7functorIS9_EEEE10hipError_tPvRmT1_T2_T3_mT4_P12ihipStream_tbEUlT_E0_NS1_11comp_targetILNS1_3genE5ELNS1_11target_archE942ELNS1_3gpuE9ELNS1_3repE0EEENS1_30default_config_static_selectorELNS0_4arch9wavefront6targetE1EEEvS14_ ; -- Begin function _ZN7rocprim17ROCPRIM_400000_NS6detail17trampoline_kernelINS0_14default_configENS1_22reduce_config_selectorIN6thrust23THRUST_200600_302600_NS5tupleIblNS6_9null_typeES8_S8_S8_S8_S8_S8_S8_EEEEZNS1_11reduce_implILb1ES3_NS6_12zip_iteratorINS7_INS6_11hip_rocprim26transform_input_iterator_tIbNSD_35transform_pair_of_input_iterators_tIbNS6_6detail15normal_iteratorINS6_10device_ptrIKjEEEESL_NS6_8equal_toIjEEEENSG_9not_fun_tINSD_8identityEEEEENSD_19counting_iterator_tIlEES8_S8_S8_S8_S8_S8_S8_S8_EEEEPS9_S9_NSD_9__find_if7functorIS9_EEEE10hipError_tPvRmT1_T2_T3_mT4_P12ihipStream_tbEUlT_E0_NS1_11comp_targetILNS1_3genE5ELNS1_11target_archE942ELNS1_3gpuE9ELNS1_3repE0EEENS1_30default_config_static_selectorELNS0_4arch9wavefront6targetE1EEEvS14_
	.globl	_ZN7rocprim17ROCPRIM_400000_NS6detail17trampoline_kernelINS0_14default_configENS1_22reduce_config_selectorIN6thrust23THRUST_200600_302600_NS5tupleIblNS6_9null_typeES8_S8_S8_S8_S8_S8_S8_EEEEZNS1_11reduce_implILb1ES3_NS6_12zip_iteratorINS7_INS6_11hip_rocprim26transform_input_iterator_tIbNSD_35transform_pair_of_input_iterators_tIbNS6_6detail15normal_iteratorINS6_10device_ptrIKjEEEESL_NS6_8equal_toIjEEEENSG_9not_fun_tINSD_8identityEEEEENSD_19counting_iterator_tIlEES8_S8_S8_S8_S8_S8_S8_S8_EEEEPS9_S9_NSD_9__find_if7functorIS9_EEEE10hipError_tPvRmT1_T2_T3_mT4_P12ihipStream_tbEUlT_E0_NS1_11comp_targetILNS1_3genE5ELNS1_11target_archE942ELNS1_3gpuE9ELNS1_3repE0EEENS1_30default_config_static_selectorELNS0_4arch9wavefront6targetE1EEEvS14_
	.p2align	8
	.type	_ZN7rocprim17ROCPRIM_400000_NS6detail17trampoline_kernelINS0_14default_configENS1_22reduce_config_selectorIN6thrust23THRUST_200600_302600_NS5tupleIblNS6_9null_typeES8_S8_S8_S8_S8_S8_S8_EEEEZNS1_11reduce_implILb1ES3_NS6_12zip_iteratorINS7_INS6_11hip_rocprim26transform_input_iterator_tIbNSD_35transform_pair_of_input_iterators_tIbNS6_6detail15normal_iteratorINS6_10device_ptrIKjEEEESL_NS6_8equal_toIjEEEENSG_9not_fun_tINSD_8identityEEEEENSD_19counting_iterator_tIlEES8_S8_S8_S8_S8_S8_S8_S8_EEEEPS9_S9_NSD_9__find_if7functorIS9_EEEE10hipError_tPvRmT1_T2_T3_mT4_P12ihipStream_tbEUlT_E0_NS1_11comp_targetILNS1_3genE5ELNS1_11target_archE942ELNS1_3gpuE9ELNS1_3repE0EEENS1_30default_config_static_selectorELNS0_4arch9wavefront6targetE1EEEvS14_,@function
_ZN7rocprim17ROCPRIM_400000_NS6detail17trampoline_kernelINS0_14default_configENS1_22reduce_config_selectorIN6thrust23THRUST_200600_302600_NS5tupleIblNS6_9null_typeES8_S8_S8_S8_S8_S8_S8_EEEEZNS1_11reduce_implILb1ES3_NS6_12zip_iteratorINS7_INS6_11hip_rocprim26transform_input_iterator_tIbNSD_35transform_pair_of_input_iterators_tIbNS6_6detail15normal_iteratorINS6_10device_ptrIKjEEEESL_NS6_8equal_toIjEEEENSG_9not_fun_tINSD_8identityEEEEENSD_19counting_iterator_tIlEES8_S8_S8_S8_S8_S8_S8_S8_EEEEPS9_S9_NSD_9__find_if7functorIS9_EEEE10hipError_tPvRmT1_T2_T3_mT4_P12ihipStream_tbEUlT_E0_NS1_11comp_targetILNS1_3genE5ELNS1_11target_archE942ELNS1_3gpuE9ELNS1_3repE0EEENS1_30default_config_static_selectorELNS0_4arch9wavefront6targetE1EEEvS14_: ; @_ZN7rocprim17ROCPRIM_400000_NS6detail17trampoline_kernelINS0_14default_configENS1_22reduce_config_selectorIN6thrust23THRUST_200600_302600_NS5tupleIblNS6_9null_typeES8_S8_S8_S8_S8_S8_S8_EEEEZNS1_11reduce_implILb1ES3_NS6_12zip_iteratorINS7_INS6_11hip_rocprim26transform_input_iterator_tIbNSD_35transform_pair_of_input_iterators_tIbNS6_6detail15normal_iteratorINS6_10device_ptrIKjEEEESL_NS6_8equal_toIjEEEENSG_9not_fun_tINSD_8identityEEEEENSD_19counting_iterator_tIlEES8_S8_S8_S8_S8_S8_S8_S8_EEEEPS9_S9_NSD_9__find_if7functorIS9_EEEE10hipError_tPvRmT1_T2_T3_mT4_P12ihipStream_tbEUlT_E0_NS1_11comp_targetILNS1_3genE5ELNS1_11target_archE942ELNS1_3gpuE9ELNS1_3repE0EEENS1_30default_config_static_selectorELNS0_4arch9wavefront6targetE1EEEvS14_
; %bb.0:
	.section	.rodata,"a",@progbits
	.p2align	6, 0x0
	.amdhsa_kernel _ZN7rocprim17ROCPRIM_400000_NS6detail17trampoline_kernelINS0_14default_configENS1_22reduce_config_selectorIN6thrust23THRUST_200600_302600_NS5tupleIblNS6_9null_typeES8_S8_S8_S8_S8_S8_S8_EEEEZNS1_11reduce_implILb1ES3_NS6_12zip_iteratorINS7_INS6_11hip_rocprim26transform_input_iterator_tIbNSD_35transform_pair_of_input_iterators_tIbNS6_6detail15normal_iteratorINS6_10device_ptrIKjEEEESL_NS6_8equal_toIjEEEENSG_9not_fun_tINSD_8identityEEEEENSD_19counting_iterator_tIlEES8_S8_S8_S8_S8_S8_S8_S8_EEEEPS9_S9_NSD_9__find_if7functorIS9_EEEE10hipError_tPvRmT1_T2_T3_mT4_P12ihipStream_tbEUlT_E0_NS1_11comp_targetILNS1_3genE5ELNS1_11target_archE942ELNS1_3gpuE9ELNS1_3repE0EEENS1_30default_config_static_selectorELNS0_4arch9wavefront6targetE1EEEvS14_
		.amdhsa_group_segment_fixed_size 0
		.amdhsa_private_segment_fixed_size 0
		.amdhsa_kernarg_size 104
		.amdhsa_user_sgpr_count 6
		.amdhsa_user_sgpr_private_segment_buffer 1
		.amdhsa_user_sgpr_dispatch_ptr 0
		.amdhsa_user_sgpr_queue_ptr 0
		.amdhsa_user_sgpr_kernarg_segment_ptr 1
		.amdhsa_user_sgpr_dispatch_id 0
		.amdhsa_user_sgpr_flat_scratch_init 0
		.amdhsa_user_sgpr_private_segment_size 0
		.amdhsa_uses_dynamic_stack 0
		.amdhsa_system_sgpr_private_segment_wavefront_offset 0
		.amdhsa_system_sgpr_workgroup_id_x 1
		.amdhsa_system_sgpr_workgroup_id_y 0
		.amdhsa_system_sgpr_workgroup_id_z 0
		.amdhsa_system_sgpr_workgroup_info 0
		.amdhsa_system_vgpr_workitem_id 0
		.amdhsa_next_free_vgpr 1
		.amdhsa_next_free_sgpr 0
		.amdhsa_reserve_vcc 0
		.amdhsa_reserve_flat_scratch 0
		.amdhsa_float_round_mode_32 0
		.amdhsa_float_round_mode_16_64 0
		.amdhsa_float_denorm_mode_32 3
		.amdhsa_float_denorm_mode_16_64 3
		.amdhsa_dx10_clamp 1
		.amdhsa_ieee_mode 1
		.amdhsa_fp16_overflow 0
		.amdhsa_exception_fp_ieee_invalid_op 0
		.amdhsa_exception_fp_denorm_src 0
		.amdhsa_exception_fp_ieee_div_zero 0
		.amdhsa_exception_fp_ieee_overflow 0
		.amdhsa_exception_fp_ieee_underflow 0
		.amdhsa_exception_fp_ieee_inexact 0
		.amdhsa_exception_int_div_zero 0
	.end_amdhsa_kernel
	.section	.text._ZN7rocprim17ROCPRIM_400000_NS6detail17trampoline_kernelINS0_14default_configENS1_22reduce_config_selectorIN6thrust23THRUST_200600_302600_NS5tupleIblNS6_9null_typeES8_S8_S8_S8_S8_S8_S8_EEEEZNS1_11reduce_implILb1ES3_NS6_12zip_iteratorINS7_INS6_11hip_rocprim26transform_input_iterator_tIbNSD_35transform_pair_of_input_iterators_tIbNS6_6detail15normal_iteratorINS6_10device_ptrIKjEEEESL_NS6_8equal_toIjEEEENSG_9not_fun_tINSD_8identityEEEEENSD_19counting_iterator_tIlEES8_S8_S8_S8_S8_S8_S8_S8_EEEEPS9_S9_NSD_9__find_if7functorIS9_EEEE10hipError_tPvRmT1_T2_T3_mT4_P12ihipStream_tbEUlT_E0_NS1_11comp_targetILNS1_3genE5ELNS1_11target_archE942ELNS1_3gpuE9ELNS1_3repE0EEENS1_30default_config_static_selectorELNS0_4arch9wavefront6targetE1EEEvS14_,"axG",@progbits,_ZN7rocprim17ROCPRIM_400000_NS6detail17trampoline_kernelINS0_14default_configENS1_22reduce_config_selectorIN6thrust23THRUST_200600_302600_NS5tupleIblNS6_9null_typeES8_S8_S8_S8_S8_S8_S8_EEEEZNS1_11reduce_implILb1ES3_NS6_12zip_iteratorINS7_INS6_11hip_rocprim26transform_input_iterator_tIbNSD_35transform_pair_of_input_iterators_tIbNS6_6detail15normal_iteratorINS6_10device_ptrIKjEEEESL_NS6_8equal_toIjEEEENSG_9not_fun_tINSD_8identityEEEEENSD_19counting_iterator_tIlEES8_S8_S8_S8_S8_S8_S8_S8_EEEEPS9_S9_NSD_9__find_if7functorIS9_EEEE10hipError_tPvRmT1_T2_T3_mT4_P12ihipStream_tbEUlT_E0_NS1_11comp_targetILNS1_3genE5ELNS1_11target_archE942ELNS1_3gpuE9ELNS1_3repE0EEENS1_30default_config_static_selectorELNS0_4arch9wavefront6targetE1EEEvS14_,comdat
.Lfunc_end484:
	.size	_ZN7rocprim17ROCPRIM_400000_NS6detail17trampoline_kernelINS0_14default_configENS1_22reduce_config_selectorIN6thrust23THRUST_200600_302600_NS5tupleIblNS6_9null_typeES8_S8_S8_S8_S8_S8_S8_EEEEZNS1_11reduce_implILb1ES3_NS6_12zip_iteratorINS7_INS6_11hip_rocprim26transform_input_iterator_tIbNSD_35transform_pair_of_input_iterators_tIbNS6_6detail15normal_iteratorINS6_10device_ptrIKjEEEESL_NS6_8equal_toIjEEEENSG_9not_fun_tINSD_8identityEEEEENSD_19counting_iterator_tIlEES8_S8_S8_S8_S8_S8_S8_S8_EEEEPS9_S9_NSD_9__find_if7functorIS9_EEEE10hipError_tPvRmT1_T2_T3_mT4_P12ihipStream_tbEUlT_E0_NS1_11comp_targetILNS1_3genE5ELNS1_11target_archE942ELNS1_3gpuE9ELNS1_3repE0EEENS1_30default_config_static_selectorELNS0_4arch9wavefront6targetE1EEEvS14_, .Lfunc_end484-_ZN7rocprim17ROCPRIM_400000_NS6detail17trampoline_kernelINS0_14default_configENS1_22reduce_config_selectorIN6thrust23THRUST_200600_302600_NS5tupleIblNS6_9null_typeES8_S8_S8_S8_S8_S8_S8_EEEEZNS1_11reduce_implILb1ES3_NS6_12zip_iteratorINS7_INS6_11hip_rocprim26transform_input_iterator_tIbNSD_35transform_pair_of_input_iterators_tIbNS6_6detail15normal_iteratorINS6_10device_ptrIKjEEEESL_NS6_8equal_toIjEEEENSG_9not_fun_tINSD_8identityEEEEENSD_19counting_iterator_tIlEES8_S8_S8_S8_S8_S8_S8_S8_EEEEPS9_S9_NSD_9__find_if7functorIS9_EEEE10hipError_tPvRmT1_T2_T3_mT4_P12ihipStream_tbEUlT_E0_NS1_11comp_targetILNS1_3genE5ELNS1_11target_archE942ELNS1_3gpuE9ELNS1_3repE0EEENS1_30default_config_static_selectorELNS0_4arch9wavefront6targetE1EEEvS14_
                                        ; -- End function
	.set _ZN7rocprim17ROCPRIM_400000_NS6detail17trampoline_kernelINS0_14default_configENS1_22reduce_config_selectorIN6thrust23THRUST_200600_302600_NS5tupleIblNS6_9null_typeES8_S8_S8_S8_S8_S8_S8_EEEEZNS1_11reduce_implILb1ES3_NS6_12zip_iteratorINS7_INS6_11hip_rocprim26transform_input_iterator_tIbNSD_35transform_pair_of_input_iterators_tIbNS6_6detail15normal_iteratorINS6_10device_ptrIKjEEEESL_NS6_8equal_toIjEEEENSG_9not_fun_tINSD_8identityEEEEENSD_19counting_iterator_tIlEES8_S8_S8_S8_S8_S8_S8_S8_EEEEPS9_S9_NSD_9__find_if7functorIS9_EEEE10hipError_tPvRmT1_T2_T3_mT4_P12ihipStream_tbEUlT_E0_NS1_11comp_targetILNS1_3genE5ELNS1_11target_archE942ELNS1_3gpuE9ELNS1_3repE0EEENS1_30default_config_static_selectorELNS0_4arch9wavefront6targetE1EEEvS14_.num_vgpr, 0
	.set _ZN7rocprim17ROCPRIM_400000_NS6detail17trampoline_kernelINS0_14default_configENS1_22reduce_config_selectorIN6thrust23THRUST_200600_302600_NS5tupleIblNS6_9null_typeES8_S8_S8_S8_S8_S8_S8_EEEEZNS1_11reduce_implILb1ES3_NS6_12zip_iteratorINS7_INS6_11hip_rocprim26transform_input_iterator_tIbNSD_35transform_pair_of_input_iterators_tIbNS6_6detail15normal_iteratorINS6_10device_ptrIKjEEEESL_NS6_8equal_toIjEEEENSG_9not_fun_tINSD_8identityEEEEENSD_19counting_iterator_tIlEES8_S8_S8_S8_S8_S8_S8_S8_EEEEPS9_S9_NSD_9__find_if7functorIS9_EEEE10hipError_tPvRmT1_T2_T3_mT4_P12ihipStream_tbEUlT_E0_NS1_11comp_targetILNS1_3genE5ELNS1_11target_archE942ELNS1_3gpuE9ELNS1_3repE0EEENS1_30default_config_static_selectorELNS0_4arch9wavefront6targetE1EEEvS14_.num_agpr, 0
	.set _ZN7rocprim17ROCPRIM_400000_NS6detail17trampoline_kernelINS0_14default_configENS1_22reduce_config_selectorIN6thrust23THRUST_200600_302600_NS5tupleIblNS6_9null_typeES8_S8_S8_S8_S8_S8_S8_EEEEZNS1_11reduce_implILb1ES3_NS6_12zip_iteratorINS7_INS6_11hip_rocprim26transform_input_iterator_tIbNSD_35transform_pair_of_input_iterators_tIbNS6_6detail15normal_iteratorINS6_10device_ptrIKjEEEESL_NS6_8equal_toIjEEEENSG_9not_fun_tINSD_8identityEEEEENSD_19counting_iterator_tIlEES8_S8_S8_S8_S8_S8_S8_S8_EEEEPS9_S9_NSD_9__find_if7functorIS9_EEEE10hipError_tPvRmT1_T2_T3_mT4_P12ihipStream_tbEUlT_E0_NS1_11comp_targetILNS1_3genE5ELNS1_11target_archE942ELNS1_3gpuE9ELNS1_3repE0EEENS1_30default_config_static_selectorELNS0_4arch9wavefront6targetE1EEEvS14_.numbered_sgpr, 0
	.set _ZN7rocprim17ROCPRIM_400000_NS6detail17trampoline_kernelINS0_14default_configENS1_22reduce_config_selectorIN6thrust23THRUST_200600_302600_NS5tupleIblNS6_9null_typeES8_S8_S8_S8_S8_S8_S8_EEEEZNS1_11reduce_implILb1ES3_NS6_12zip_iteratorINS7_INS6_11hip_rocprim26transform_input_iterator_tIbNSD_35transform_pair_of_input_iterators_tIbNS6_6detail15normal_iteratorINS6_10device_ptrIKjEEEESL_NS6_8equal_toIjEEEENSG_9not_fun_tINSD_8identityEEEEENSD_19counting_iterator_tIlEES8_S8_S8_S8_S8_S8_S8_S8_EEEEPS9_S9_NSD_9__find_if7functorIS9_EEEE10hipError_tPvRmT1_T2_T3_mT4_P12ihipStream_tbEUlT_E0_NS1_11comp_targetILNS1_3genE5ELNS1_11target_archE942ELNS1_3gpuE9ELNS1_3repE0EEENS1_30default_config_static_selectorELNS0_4arch9wavefront6targetE1EEEvS14_.num_named_barrier, 0
	.set _ZN7rocprim17ROCPRIM_400000_NS6detail17trampoline_kernelINS0_14default_configENS1_22reduce_config_selectorIN6thrust23THRUST_200600_302600_NS5tupleIblNS6_9null_typeES8_S8_S8_S8_S8_S8_S8_EEEEZNS1_11reduce_implILb1ES3_NS6_12zip_iteratorINS7_INS6_11hip_rocprim26transform_input_iterator_tIbNSD_35transform_pair_of_input_iterators_tIbNS6_6detail15normal_iteratorINS6_10device_ptrIKjEEEESL_NS6_8equal_toIjEEEENSG_9not_fun_tINSD_8identityEEEEENSD_19counting_iterator_tIlEES8_S8_S8_S8_S8_S8_S8_S8_EEEEPS9_S9_NSD_9__find_if7functorIS9_EEEE10hipError_tPvRmT1_T2_T3_mT4_P12ihipStream_tbEUlT_E0_NS1_11comp_targetILNS1_3genE5ELNS1_11target_archE942ELNS1_3gpuE9ELNS1_3repE0EEENS1_30default_config_static_selectorELNS0_4arch9wavefront6targetE1EEEvS14_.private_seg_size, 0
	.set _ZN7rocprim17ROCPRIM_400000_NS6detail17trampoline_kernelINS0_14default_configENS1_22reduce_config_selectorIN6thrust23THRUST_200600_302600_NS5tupleIblNS6_9null_typeES8_S8_S8_S8_S8_S8_S8_EEEEZNS1_11reduce_implILb1ES3_NS6_12zip_iteratorINS7_INS6_11hip_rocprim26transform_input_iterator_tIbNSD_35transform_pair_of_input_iterators_tIbNS6_6detail15normal_iteratorINS6_10device_ptrIKjEEEESL_NS6_8equal_toIjEEEENSG_9not_fun_tINSD_8identityEEEEENSD_19counting_iterator_tIlEES8_S8_S8_S8_S8_S8_S8_S8_EEEEPS9_S9_NSD_9__find_if7functorIS9_EEEE10hipError_tPvRmT1_T2_T3_mT4_P12ihipStream_tbEUlT_E0_NS1_11comp_targetILNS1_3genE5ELNS1_11target_archE942ELNS1_3gpuE9ELNS1_3repE0EEENS1_30default_config_static_selectorELNS0_4arch9wavefront6targetE1EEEvS14_.uses_vcc, 0
	.set _ZN7rocprim17ROCPRIM_400000_NS6detail17trampoline_kernelINS0_14default_configENS1_22reduce_config_selectorIN6thrust23THRUST_200600_302600_NS5tupleIblNS6_9null_typeES8_S8_S8_S8_S8_S8_S8_EEEEZNS1_11reduce_implILb1ES3_NS6_12zip_iteratorINS7_INS6_11hip_rocprim26transform_input_iterator_tIbNSD_35transform_pair_of_input_iterators_tIbNS6_6detail15normal_iteratorINS6_10device_ptrIKjEEEESL_NS6_8equal_toIjEEEENSG_9not_fun_tINSD_8identityEEEEENSD_19counting_iterator_tIlEES8_S8_S8_S8_S8_S8_S8_S8_EEEEPS9_S9_NSD_9__find_if7functorIS9_EEEE10hipError_tPvRmT1_T2_T3_mT4_P12ihipStream_tbEUlT_E0_NS1_11comp_targetILNS1_3genE5ELNS1_11target_archE942ELNS1_3gpuE9ELNS1_3repE0EEENS1_30default_config_static_selectorELNS0_4arch9wavefront6targetE1EEEvS14_.uses_flat_scratch, 0
	.set _ZN7rocprim17ROCPRIM_400000_NS6detail17trampoline_kernelINS0_14default_configENS1_22reduce_config_selectorIN6thrust23THRUST_200600_302600_NS5tupleIblNS6_9null_typeES8_S8_S8_S8_S8_S8_S8_EEEEZNS1_11reduce_implILb1ES3_NS6_12zip_iteratorINS7_INS6_11hip_rocprim26transform_input_iterator_tIbNSD_35transform_pair_of_input_iterators_tIbNS6_6detail15normal_iteratorINS6_10device_ptrIKjEEEESL_NS6_8equal_toIjEEEENSG_9not_fun_tINSD_8identityEEEEENSD_19counting_iterator_tIlEES8_S8_S8_S8_S8_S8_S8_S8_EEEEPS9_S9_NSD_9__find_if7functorIS9_EEEE10hipError_tPvRmT1_T2_T3_mT4_P12ihipStream_tbEUlT_E0_NS1_11comp_targetILNS1_3genE5ELNS1_11target_archE942ELNS1_3gpuE9ELNS1_3repE0EEENS1_30default_config_static_selectorELNS0_4arch9wavefront6targetE1EEEvS14_.has_dyn_sized_stack, 0
	.set _ZN7rocprim17ROCPRIM_400000_NS6detail17trampoline_kernelINS0_14default_configENS1_22reduce_config_selectorIN6thrust23THRUST_200600_302600_NS5tupleIblNS6_9null_typeES8_S8_S8_S8_S8_S8_S8_EEEEZNS1_11reduce_implILb1ES3_NS6_12zip_iteratorINS7_INS6_11hip_rocprim26transform_input_iterator_tIbNSD_35transform_pair_of_input_iterators_tIbNS6_6detail15normal_iteratorINS6_10device_ptrIKjEEEESL_NS6_8equal_toIjEEEENSG_9not_fun_tINSD_8identityEEEEENSD_19counting_iterator_tIlEES8_S8_S8_S8_S8_S8_S8_S8_EEEEPS9_S9_NSD_9__find_if7functorIS9_EEEE10hipError_tPvRmT1_T2_T3_mT4_P12ihipStream_tbEUlT_E0_NS1_11comp_targetILNS1_3genE5ELNS1_11target_archE942ELNS1_3gpuE9ELNS1_3repE0EEENS1_30default_config_static_selectorELNS0_4arch9wavefront6targetE1EEEvS14_.has_recursion, 0
	.set _ZN7rocprim17ROCPRIM_400000_NS6detail17trampoline_kernelINS0_14default_configENS1_22reduce_config_selectorIN6thrust23THRUST_200600_302600_NS5tupleIblNS6_9null_typeES8_S8_S8_S8_S8_S8_S8_EEEEZNS1_11reduce_implILb1ES3_NS6_12zip_iteratorINS7_INS6_11hip_rocprim26transform_input_iterator_tIbNSD_35transform_pair_of_input_iterators_tIbNS6_6detail15normal_iteratorINS6_10device_ptrIKjEEEESL_NS6_8equal_toIjEEEENSG_9not_fun_tINSD_8identityEEEEENSD_19counting_iterator_tIlEES8_S8_S8_S8_S8_S8_S8_S8_EEEEPS9_S9_NSD_9__find_if7functorIS9_EEEE10hipError_tPvRmT1_T2_T3_mT4_P12ihipStream_tbEUlT_E0_NS1_11comp_targetILNS1_3genE5ELNS1_11target_archE942ELNS1_3gpuE9ELNS1_3repE0EEENS1_30default_config_static_selectorELNS0_4arch9wavefront6targetE1EEEvS14_.has_indirect_call, 0
	.section	.AMDGPU.csdata,"",@progbits
; Kernel info:
; codeLenInByte = 0
; TotalNumSgprs: 4
; NumVgprs: 0
; ScratchSize: 0
; MemoryBound: 0
; FloatMode: 240
; IeeeMode: 1
; LDSByteSize: 0 bytes/workgroup (compile time only)
; SGPRBlocks: 0
; VGPRBlocks: 0
; NumSGPRsForWavesPerEU: 4
; NumVGPRsForWavesPerEU: 1
; Occupancy: 10
; WaveLimiterHint : 0
; COMPUTE_PGM_RSRC2:SCRATCH_EN: 0
; COMPUTE_PGM_RSRC2:USER_SGPR: 6
; COMPUTE_PGM_RSRC2:TRAP_HANDLER: 0
; COMPUTE_PGM_RSRC2:TGID_X_EN: 1
; COMPUTE_PGM_RSRC2:TGID_Y_EN: 0
; COMPUTE_PGM_RSRC2:TGID_Z_EN: 0
; COMPUTE_PGM_RSRC2:TIDIG_COMP_CNT: 0
	.section	.text._ZN7rocprim17ROCPRIM_400000_NS6detail17trampoline_kernelINS0_14default_configENS1_22reduce_config_selectorIN6thrust23THRUST_200600_302600_NS5tupleIblNS6_9null_typeES8_S8_S8_S8_S8_S8_S8_EEEEZNS1_11reduce_implILb1ES3_NS6_12zip_iteratorINS7_INS6_11hip_rocprim26transform_input_iterator_tIbNSD_35transform_pair_of_input_iterators_tIbNS6_6detail15normal_iteratorINS6_10device_ptrIKjEEEESL_NS6_8equal_toIjEEEENSG_9not_fun_tINSD_8identityEEEEENSD_19counting_iterator_tIlEES8_S8_S8_S8_S8_S8_S8_S8_EEEEPS9_S9_NSD_9__find_if7functorIS9_EEEE10hipError_tPvRmT1_T2_T3_mT4_P12ihipStream_tbEUlT_E0_NS1_11comp_targetILNS1_3genE4ELNS1_11target_archE910ELNS1_3gpuE8ELNS1_3repE0EEENS1_30default_config_static_selectorELNS0_4arch9wavefront6targetE1EEEvS14_,"axG",@progbits,_ZN7rocprim17ROCPRIM_400000_NS6detail17trampoline_kernelINS0_14default_configENS1_22reduce_config_selectorIN6thrust23THRUST_200600_302600_NS5tupleIblNS6_9null_typeES8_S8_S8_S8_S8_S8_S8_EEEEZNS1_11reduce_implILb1ES3_NS6_12zip_iteratorINS7_INS6_11hip_rocprim26transform_input_iterator_tIbNSD_35transform_pair_of_input_iterators_tIbNS6_6detail15normal_iteratorINS6_10device_ptrIKjEEEESL_NS6_8equal_toIjEEEENSG_9not_fun_tINSD_8identityEEEEENSD_19counting_iterator_tIlEES8_S8_S8_S8_S8_S8_S8_S8_EEEEPS9_S9_NSD_9__find_if7functorIS9_EEEE10hipError_tPvRmT1_T2_T3_mT4_P12ihipStream_tbEUlT_E0_NS1_11comp_targetILNS1_3genE4ELNS1_11target_archE910ELNS1_3gpuE8ELNS1_3repE0EEENS1_30default_config_static_selectorELNS0_4arch9wavefront6targetE1EEEvS14_,comdat
	.protected	_ZN7rocprim17ROCPRIM_400000_NS6detail17trampoline_kernelINS0_14default_configENS1_22reduce_config_selectorIN6thrust23THRUST_200600_302600_NS5tupleIblNS6_9null_typeES8_S8_S8_S8_S8_S8_S8_EEEEZNS1_11reduce_implILb1ES3_NS6_12zip_iteratorINS7_INS6_11hip_rocprim26transform_input_iterator_tIbNSD_35transform_pair_of_input_iterators_tIbNS6_6detail15normal_iteratorINS6_10device_ptrIKjEEEESL_NS6_8equal_toIjEEEENSG_9not_fun_tINSD_8identityEEEEENSD_19counting_iterator_tIlEES8_S8_S8_S8_S8_S8_S8_S8_EEEEPS9_S9_NSD_9__find_if7functorIS9_EEEE10hipError_tPvRmT1_T2_T3_mT4_P12ihipStream_tbEUlT_E0_NS1_11comp_targetILNS1_3genE4ELNS1_11target_archE910ELNS1_3gpuE8ELNS1_3repE0EEENS1_30default_config_static_selectorELNS0_4arch9wavefront6targetE1EEEvS14_ ; -- Begin function _ZN7rocprim17ROCPRIM_400000_NS6detail17trampoline_kernelINS0_14default_configENS1_22reduce_config_selectorIN6thrust23THRUST_200600_302600_NS5tupleIblNS6_9null_typeES8_S8_S8_S8_S8_S8_S8_EEEEZNS1_11reduce_implILb1ES3_NS6_12zip_iteratorINS7_INS6_11hip_rocprim26transform_input_iterator_tIbNSD_35transform_pair_of_input_iterators_tIbNS6_6detail15normal_iteratorINS6_10device_ptrIKjEEEESL_NS6_8equal_toIjEEEENSG_9not_fun_tINSD_8identityEEEEENSD_19counting_iterator_tIlEES8_S8_S8_S8_S8_S8_S8_S8_EEEEPS9_S9_NSD_9__find_if7functorIS9_EEEE10hipError_tPvRmT1_T2_T3_mT4_P12ihipStream_tbEUlT_E0_NS1_11comp_targetILNS1_3genE4ELNS1_11target_archE910ELNS1_3gpuE8ELNS1_3repE0EEENS1_30default_config_static_selectorELNS0_4arch9wavefront6targetE1EEEvS14_
	.globl	_ZN7rocprim17ROCPRIM_400000_NS6detail17trampoline_kernelINS0_14default_configENS1_22reduce_config_selectorIN6thrust23THRUST_200600_302600_NS5tupleIblNS6_9null_typeES8_S8_S8_S8_S8_S8_S8_EEEEZNS1_11reduce_implILb1ES3_NS6_12zip_iteratorINS7_INS6_11hip_rocprim26transform_input_iterator_tIbNSD_35transform_pair_of_input_iterators_tIbNS6_6detail15normal_iteratorINS6_10device_ptrIKjEEEESL_NS6_8equal_toIjEEEENSG_9not_fun_tINSD_8identityEEEEENSD_19counting_iterator_tIlEES8_S8_S8_S8_S8_S8_S8_S8_EEEEPS9_S9_NSD_9__find_if7functorIS9_EEEE10hipError_tPvRmT1_T2_T3_mT4_P12ihipStream_tbEUlT_E0_NS1_11comp_targetILNS1_3genE4ELNS1_11target_archE910ELNS1_3gpuE8ELNS1_3repE0EEENS1_30default_config_static_selectorELNS0_4arch9wavefront6targetE1EEEvS14_
	.p2align	8
	.type	_ZN7rocprim17ROCPRIM_400000_NS6detail17trampoline_kernelINS0_14default_configENS1_22reduce_config_selectorIN6thrust23THRUST_200600_302600_NS5tupleIblNS6_9null_typeES8_S8_S8_S8_S8_S8_S8_EEEEZNS1_11reduce_implILb1ES3_NS6_12zip_iteratorINS7_INS6_11hip_rocprim26transform_input_iterator_tIbNSD_35transform_pair_of_input_iterators_tIbNS6_6detail15normal_iteratorINS6_10device_ptrIKjEEEESL_NS6_8equal_toIjEEEENSG_9not_fun_tINSD_8identityEEEEENSD_19counting_iterator_tIlEES8_S8_S8_S8_S8_S8_S8_S8_EEEEPS9_S9_NSD_9__find_if7functorIS9_EEEE10hipError_tPvRmT1_T2_T3_mT4_P12ihipStream_tbEUlT_E0_NS1_11comp_targetILNS1_3genE4ELNS1_11target_archE910ELNS1_3gpuE8ELNS1_3repE0EEENS1_30default_config_static_selectorELNS0_4arch9wavefront6targetE1EEEvS14_,@function
_ZN7rocprim17ROCPRIM_400000_NS6detail17trampoline_kernelINS0_14default_configENS1_22reduce_config_selectorIN6thrust23THRUST_200600_302600_NS5tupleIblNS6_9null_typeES8_S8_S8_S8_S8_S8_S8_EEEEZNS1_11reduce_implILb1ES3_NS6_12zip_iteratorINS7_INS6_11hip_rocprim26transform_input_iterator_tIbNSD_35transform_pair_of_input_iterators_tIbNS6_6detail15normal_iteratorINS6_10device_ptrIKjEEEESL_NS6_8equal_toIjEEEENSG_9not_fun_tINSD_8identityEEEEENSD_19counting_iterator_tIlEES8_S8_S8_S8_S8_S8_S8_S8_EEEEPS9_S9_NSD_9__find_if7functorIS9_EEEE10hipError_tPvRmT1_T2_T3_mT4_P12ihipStream_tbEUlT_E0_NS1_11comp_targetILNS1_3genE4ELNS1_11target_archE910ELNS1_3gpuE8ELNS1_3repE0EEENS1_30default_config_static_selectorELNS0_4arch9wavefront6targetE1EEEvS14_: ; @_ZN7rocprim17ROCPRIM_400000_NS6detail17trampoline_kernelINS0_14default_configENS1_22reduce_config_selectorIN6thrust23THRUST_200600_302600_NS5tupleIblNS6_9null_typeES8_S8_S8_S8_S8_S8_S8_EEEEZNS1_11reduce_implILb1ES3_NS6_12zip_iteratorINS7_INS6_11hip_rocprim26transform_input_iterator_tIbNSD_35transform_pair_of_input_iterators_tIbNS6_6detail15normal_iteratorINS6_10device_ptrIKjEEEESL_NS6_8equal_toIjEEEENSG_9not_fun_tINSD_8identityEEEEENSD_19counting_iterator_tIlEES8_S8_S8_S8_S8_S8_S8_S8_EEEEPS9_S9_NSD_9__find_if7functorIS9_EEEE10hipError_tPvRmT1_T2_T3_mT4_P12ihipStream_tbEUlT_E0_NS1_11comp_targetILNS1_3genE4ELNS1_11target_archE910ELNS1_3gpuE8ELNS1_3repE0EEENS1_30default_config_static_selectorELNS0_4arch9wavefront6targetE1EEEvS14_
; %bb.0:
	.section	.rodata,"a",@progbits
	.p2align	6, 0x0
	.amdhsa_kernel _ZN7rocprim17ROCPRIM_400000_NS6detail17trampoline_kernelINS0_14default_configENS1_22reduce_config_selectorIN6thrust23THRUST_200600_302600_NS5tupleIblNS6_9null_typeES8_S8_S8_S8_S8_S8_S8_EEEEZNS1_11reduce_implILb1ES3_NS6_12zip_iteratorINS7_INS6_11hip_rocprim26transform_input_iterator_tIbNSD_35transform_pair_of_input_iterators_tIbNS6_6detail15normal_iteratorINS6_10device_ptrIKjEEEESL_NS6_8equal_toIjEEEENSG_9not_fun_tINSD_8identityEEEEENSD_19counting_iterator_tIlEES8_S8_S8_S8_S8_S8_S8_S8_EEEEPS9_S9_NSD_9__find_if7functorIS9_EEEE10hipError_tPvRmT1_T2_T3_mT4_P12ihipStream_tbEUlT_E0_NS1_11comp_targetILNS1_3genE4ELNS1_11target_archE910ELNS1_3gpuE8ELNS1_3repE0EEENS1_30default_config_static_selectorELNS0_4arch9wavefront6targetE1EEEvS14_
		.amdhsa_group_segment_fixed_size 0
		.amdhsa_private_segment_fixed_size 0
		.amdhsa_kernarg_size 104
		.amdhsa_user_sgpr_count 6
		.amdhsa_user_sgpr_private_segment_buffer 1
		.amdhsa_user_sgpr_dispatch_ptr 0
		.amdhsa_user_sgpr_queue_ptr 0
		.amdhsa_user_sgpr_kernarg_segment_ptr 1
		.amdhsa_user_sgpr_dispatch_id 0
		.amdhsa_user_sgpr_flat_scratch_init 0
		.amdhsa_user_sgpr_private_segment_size 0
		.amdhsa_uses_dynamic_stack 0
		.amdhsa_system_sgpr_private_segment_wavefront_offset 0
		.amdhsa_system_sgpr_workgroup_id_x 1
		.amdhsa_system_sgpr_workgroup_id_y 0
		.amdhsa_system_sgpr_workgroup_id_z 0
		.amdhsa_system_sgpr_workgroup_info 0
		.amdhsa_system_vgpr_workitem_id 0
		.amdhsa_next_free_vgpr 1
		.amdhsa_next_free_sgpr 0
		.amdhsa_reserve_vcc 0
		.amdhsa_reserve_flat_scratch 0
		.amdhsa_float_round_mode_32 0
		.amdhsa_float_round_mode_16_64 0
		.amdhsa_float_denorm_mode_32 3
		.amdhsa_float_denorm_mode_16_64 3
		.amdhsa_dx10_clamp 1
		.amdhsa_ieee_mode 1
		.amdhsa_fp16_overflow 0
		.amdhsa_exception_fp_ieee_invalid_op 0
		.amdhsa_exception_fp_denorm_src 0
		.amdhsa_exception_fp_ieee_div_zero 0
		.amdhsa_exception_fp_ieee_overflow 0
		.amdhsa_exception_fp_ieee_underflow 0
		.amdhsa_exception_fp_ieee_inexact 0
		.amdhsa_exception_int_div_zero 0
	.end_amdhsa_kernel
	.section	.text._ZN7rocprim17ROCPRIM_400000_NS6detail17trampoline_kernelINS0_14default_configENS1_22reduce_config_selectorIN6thrust23THRUST_200600_302600_NS5tupleIblNS6_9null_typeES8_S8_S8_S8_S8_S8_S8_EEEEZNS1_11reduce_implILb1ES3_NS6_12zip_iteratorINS7_INS6_11hip_rocprim26transform_input_iterator_tIbNSD_35transform_pair_of_input_iterators_tIbNS6_6detail15normal_iteratorINS6_10device_ptrIKjEEEESL_NS6_8equal_toIjEEEENSG_9not_fun_tINSD_8identityEEEEENSD_19counting_iterator_tIlEES8_S8_S8_S8_S8_S8_S8_S8_EEEEPS9_S9_NSD_9__find_if7functorIS9_EEEE10hipError_tPvRmT1_T2_T3_mT4_P12ihipStream_tbEUlT_E0_NS1_11comp_targetILNS1_3genE4ELNS1_11target_archE910ELNS1_3gpuE8ELNS1_3repE0EEENS1_30default_config_static_selectorELNS0_4arch9wavefront6targetE1EEEvS14_,"axG",@progbits,_ZN7rocprim17ROCPRIM_400000_NS6detail17trampoline_kernelINS0_14default_configENS1_22reduce_config_selectorIN6thrust23THRUST_200600_302600_NS5tupleIblNS6_9null_typeES8_S8_S8_S8_S8_S8_S8_EEEEZNS1_11reduce_implILb1ES3_NS6_12zip_iteratorINS7_INS6_11hip_rocprim26transform_input_iterator_tIbNSD_35transform_pair_of_input_iterators_tIbNS6_6detail15normal_iteratorINS6_10device_ptrIKjEEEESL_NS6_8equal_toIjEEEENSG_9not_fun_tINSD_8identityEEEEENSD_19counting_iterator_tIlEES8_S8_S8_S8_S8_S8_S8_S8_EEEEPS9_S9_NSD_9__find_if7functorIS9_EEEE10hipError_tPvRmT1_T2_T3_mT4_P12ihipStream_tbEUlT_E0_NS1_11comp_targetILNS1_3genE4ELNS1_11target_archE910ELNS1_3gpuE8ELNS1_3repE0EEENS1_30default_config_static_selectorELNS0_4arch9wavefront6targetE1EEEvS14_,comdat
.Lfunc_end485:
	.size	_ZN7rocprim17ROCPRIM_400000_NS6detail17trampoline_kernelINS0_14default_configENS1_22reduce_config_selectorIN6thrust23THRUST_200600_302600_NS5tupleIblNS6_9null_typeES8_S8_S8_S8_S8_S8_S8_EEEEZNS1_11reduce_implILb1ES3_NS6_12zip_iteratorINS7_INS6_11hip_rocprim26transform_input_iterator_tIbNSD_35transform_pair_of_input_iterators_tIbNS6_6detail15normal_iteratorINS6_10device_ptrIKjEEEESL_NS6_8equal_toIjEEEENSG_9not_fun_tINSD_8identityEEEEENSD_19counting_iterator_tIlEES8_S8_S8_S8_S8_S8_S8_S8_EEEEPS9_S9_NSD_9__find_if7functorIS9_EEEE10hipError_tPvRmT1_T2_T3_mT4_P12ihipStream_tbEUlT_E0_NS1_11comp_targetILNS1_3genE4ELNS1_11target_archE910ELNS1_3gpuE8ELNS1_3repE0EEENS1_30default_config_static_selectorELNS0_4arch9wavefront6targetE1EEEvS14_, .Lfunc_end485-_ZN7rocprim17ROCPRIM_400000_NS6detail17trampoline_kernelINS0_14default_configENS1_22reduce_config_selectorIN6thrust23THRUST_200600_302600_NS5tupleIblNS6_9null_typeES8_S8_S8_S8_S8_S8_S8_EEEEZNS1_11reduce_implILb1ES3_NS6_12zip_iteratorINS7_INS6_11hip_rocprim26transform_input_iterator_tIbNSD_35transform_pair_of_input_iterators_tIbNS6_6detail15normal_iteratorINS6_10device_ptrIKjEEEESL_NS6_8equal_toIjEEEENSG_9not_fun_tINSD_8identityEEEEENSD_19counting_iterator_tIlEES8_S8_S8_S8_S8_S8_S8_S8_EEEEPS9_S9_NSD_9__find_if7functorIS9_EEEE10hipError_tPvRmT1_T2_T3_mT4_P12ihipStream_tbEUlT_E0_NS1_11comp_targetILNS1_3genE4ELNS1_11target_archE910ELNS1_3gpuE8ELNS1_3repE0EEENS1_30default_config_static_selectorELNS0_4arch9wavefront6targetE1EEEvS14_
                                        ; -- End function
	.set _ZN7rocprim17ROCPRIM_400000_NS6detail17trampoline_kernelINS0_14default_configENS1_22reduce_config_selectorIN6thrust23THRUST_200600_302600_NS5tupleIblNS6_9null_typeES8_S8_S8_S8_S8_S8_S8_EEEEZNS1_11reduce_implILb1ES3_NS6_12zip_iteratorINS7_INS6_11hip_rocprim26transform_input_iterator_tIbNSD_35transform_pair_of_input_iterators_tIbNS6_6detail15normal_iteratorINS6_10device_ptrIKjEEEESL_NS6_8equal_toIjEEEENSG_9not_fun_tINSD_8identityEEEEENSD_19counting_iterator_tIlEES8_S8_S8_S8_S8_S8_S8_S8_EEEEPS9_S9_NSD_9__find_if7functorIS9_EEEE10hipError_tPvRmT1_T2_T3_mT4_P12ihipStream_tbEUlT_E0_NS1_11comp_targetILNS1_3genE4ELNS1_11target_archE910ELNS1_3gpuE8ELNS1_3repE0EEENS1_30default_config_static_selectorELNS0_4arch9wavefront6targetE1EEEvS14_.num_vgpr, 0
	.set _ZN7rocprim17ROCPRIM_400000_NS6detail17trampoline_kernelINS0_14default_configENS1_22reduce_config_selectorIN6thrust23THRUST_200600_302600_NS5tupleIblNS6_9null_typeES8_S8_S8_S8_S8_S8_S8_EEEEZNS1_11reduce_implILb1ES3_NS6_12zip_iteratorINS7_INS6_11hip_rocprim26transform_input_iterator_tIbNSD_35transform_pair_of_input_iterators_tIbNS6_6detail15normal_iteratorINS6_10device_ptrIKjEEEESL_NS6_8equal_toIjEEEENSG_9not_fun_tINSD_8identityEEEEENSD_19counting_iterator_tIlEES8_S8_S8_S8_S8_S8_S8_S8_EEEEPS9_S9_NSD_9__find_if7functorIS9_EEEE10hipError_tPvRmT1_T2_T3_mT4_P12ihipStream_tbEUlT_E0_NS1_11comp_targetILNS1_3genE4ELNS1_11target_archE910ELNS1_3gpuE8ELNS1_3repE0EEENS1_30default_config_static_selectorELNS0_4arch9wavefront6targetE1EEEvS14_.num_agpr, 0
	.set _ZN7rocprim17ROCPRIM_400000_NS6detail17trampoline_kernelINS0_14default_configENS1_22reduce_config_selectorIN6thrust23THRUST_200600_302600_NS5tupleIblNS6_9null_typeES8_S8_S8_S8_S8_S8_S8_EEEEZNS1_11reduce_implILb1ES3_NS6_12zip_iteratorINS7_INS6_11hip_rocprim26transform_input_iterator_tIbNSD_35transform_pair_of_input_iterators_tIbNS6_6detail15normal_iteratorINS6_10device_ptrIKjEEEESL_NS6_8equal_toIjEEEENSG_9not_fun_tINSD_8identityEEEEENSD_19counting_iterator_tIlEES8_S8_S8_S8_S8_S8_S8_S8_EEEEPS9_S9_NSD_9__find_if7functorIS9_EEEE10hipError_tPvRmT1_T2_T3_mT4_P12ihipStream_tbEUlT_E0_NS1_11comp_targetILNS1_3genE4ELNS1_11target_archE910ELNS1_3gpuE8ELNS1_3repE0EEENS1_30default_config_static_selectorELNS0_4arch9wavefront6targetE1EEEvS14_.numbered_sgpr, 0
	.set _ZN7rocprim17ROCPRIM_400000_NS6detail17trampoline_kernelINS0_14default_configENS1_22reduce_config_selectorIN6thrust23THRUST_200600_302600_NS5tupleIblNS6_9null_typeES8_S8_S8_S8_S8_S8_S8_EEEEZNS1_11reduce_implILb1ES3_NS6_12zip_iteratorINS7_INS6_11hip_rocprim26transform_input_iterator_tIbNSD_35transform_pair_of_input_iterators_tIbNS6_6detail15normal_iteratorINS6_10device_ptrIKjEEEESL_NS6_8equal_toIjEEEENSG_9not_fun_tINSD_8identityEEEEENSD_19counting_iterator_tIlEES8_S8_S8_S8_S8_S8_S8_S8_EEEEPS9_S9_NSD_9__find_if7functorIS9_EEEE10hipError_tPvRmT1_T2_T3_mT4_P12ihipStream_tbEUlT_E0_NS1_11comp_targetILNS1_3genE4ELNS1_11target_archE910ELNS1_3gpuE8ELNS1_3repE0EEENS1_30default_config_static_selectorELNS0_4arch9wavefront6targetE1EEEvS14_.num_named_barrier, 0
	.set _ZN7rocprim17ROCPRIM_400000_NS6detail17trampoline_kernelINS0_14default_configENS1_22reduce_config_selectorIN6thrust23THRUST_200600_302600_NS5tupleIblNS6_9null_typeES8_S8_S8_S8_S8_S8_S8_EEEEZNS1_11reduce_implILb1ES3_NS6_12zip_iteratorINS7_INS6_11hip_rocprim26transform_input_iterator_tIbNSD_35transform_pair_of_input_iterators_tIbNS6_6detail15normal_iteratorINS6_10device_ptrIKjEEEESL_NS6_8equal_toIjEEEENSG_9not_fun_tINSD_8identityEEEEENSD_19counting_iterator_tIlEES8_S8_S8_S8_S8_S8_S8_S8_EEEEPS9_S9_NSD_9__find_if7functorIS9_EEEE10hipError_tPvRmT1_T2_T3_mT4_P12ihipStream_tbEUlT_E0_NS1_11comp_targetILNS1_3genE4ELNS1_11target_archE910ELNS1_3gpuE8ELNS1_3repE0EEENS1_30default_config_static_selectorELNS0_4arch9wavefront6targetE1EEEvS14_.private_seg_size, 0
	.set _ZN7rocprim17ROCPRIM_400000_NS6detail17trampoline_kernelINS0_14default_configENS1_22reduce_config_selectorIN6thrust23THRUST_200600_302600_NS5tupleIblNS6_9null_typeES8_S8_S8_S8_S8_S8_S8_EEEEZNS1_11reduce_implILb1ES3_NS6_12zip_iteratorINS7_INS6_11hip_rocprim26transform_input_iterator_tIbNSD_35transform_pair_of_input_iterators_tIbNS6_6detail15normal_iteratorINS6_10device_ptrIKjEEEESL_NS6_8equal_toIjEEEENSG_9not_fun_tINSD_8identityEEEEENSD_19counting_iterator_tIlEES8_S8_S8_S8_S8_S8_S8_S8_EEEEPS9_S9_NSD_9__find_if7functorIS9_EEEE10hipError_tPvRmT1_T2_T3_mT4_P12ihipStream_tbEUlT_E0_NS1_11comp_targetILNS1_3genE4ELNS1_11target_archE910ELNS1_3gpuE8ELNS1_3repE0EEENS1_30default_config_static_selectorELNS0_4arch9wavefront6targetE1EEEvS14_.uses_vcc, 0
	.set _ZN7rocprim17ROCPRIM_400000_NS6detail17trampoline_kernelINS0_14default_configENS1_22reduce_config_selectorIN6thrust23THRUST_200600_302600_NS5tupleIblNS6_9null_typeES8_S8_S8_S8_S8_S8_S8_EEEEZNS1_11reduce_implILb1ES3_NS6_12zip_iteratorINS7_INS6_11hip_rocprim26transform_input_iterator_tIbNSD_35transform_pair_of_input_iterators_tIbNS6_6detail15normal_iteratorINS6_10device_ptrIKjEEEESL_NS6_8equal_toIjEEEENSG_9not_fun_tINSD_8identityEEEEENSD_19counting_iterator_tIlEES8_S8_S8_S8_S8_S8_S8_S8_EEEEPS9_S9_NSD_9__find_if7functorIS9_EEEE10hipError_tPvRmT1_T2_T3_mT4_P12ihipStream_tbEUlT_E0_NS1_11comp_targetILNS1_3genE4ELNS1_11target_archE910ELNS1_3gpuE8ELNS1_3repE0EEENS1_30default_config_static_selectorELNS0_4arch9wavefront6targetE1EEEvS14_.uses_flat_scratch, 0
	.set _ZN7rocprim17ROCPRIM_400000_NS6detail17trampoline_kernelINS0_14default_configENS1_22reduce_config_selectorIN6thrust23THRUST_200600_302600_NS5tupleIblNS6_9null_typeES8_S8_S8_S8_S8_S8_S8_EEEEZNS1_11reduce_implILb1ES3_NS6_12zip_iteratorINS7_INS6_11hip_rocprim26transform_input_iterator_tIbNSD_35transform_pair_of_input_iterators_tIbNS6_6detail15normal_iteratorINS6_10device_ptrIKjEEEESL_NS6_8equal_toIjEEEENSG_9not_fun_tINSD_8identityEEEEENSD_19counting_iterator_tIlEES8_S8_S8_S8_S8_S8_S8_S8_EEEEPS9_S9_NSD_9__find_if7functorIS9_EEEE10hipError_tPvRmT1_T2_T3_mT4_P12ihipStream_tbEUlT_E0_NS1_11comp_targetILNS1_3genE4ELNS1_11target_archE910ELNS1_3gpuE8ELNS1_3repE0EEENS1_30default_config_static_selectorELNS0_4arch9wavefront6targetE1EEEvS14_.has_dyn_sized_stack, 0
	.set _ZN7rocprim17ROCPRIM_400000_NS6detail17trampoline_kernelINS0_14default_configENS1_22reduce_config_selectorIN6thrust23THRUST_200600_302600_NS5tupleIblNS6_9null_typeES8_S8_S8_S8_S8_S8_S8_EEEEZNS1_11reduce_implILb1ES3_NS6_12zip_iteratorINS7_INS6_11hip_rocprim26transform_input_iterator_tIbNSD_35transform_pair_of_input_iterators_tIbNS6_6detail15normal_iteratorINS6_10device_ptrIKjEEEESL_NS6_8equal_toIjEEEENSG_9not_fun_tINSD_8identityEEEEENSD_19counting_iterator_tIlEES8_S8_S8_S8_S8_S8_S8_S8_EEEEPS9_S9_NSD_9__find_if7functorIS9_EEEE10hipError_tPvRmT1_T2_T3_mT4_P12ihipStream_tbEUlT_E0_NS1_11comp_targetILNS1_3genE4ELNS1_11target_archE910ELNS1_3gpuE8ELNS1_3repE0EEENS1_30default_config_static_selectorELNS0_4arch9wavefront6targetE1EEEvS14_.has_recursion, 0
	.set _ZN7rocprim17ROCPRIM_400000_NS6detail17trampoline_kernelINS0_14default_configENS1_22reduce_config_selectorIN6thrust23THRUST_200600_302600_NS5tupleIblNS6_9null_typeES8_S8_S8_S8_S8_S8_S8_EEEEZNS1_11reduce_implILb1ES3_NS6_12zip_iteratorINS7_INS6_11hip_rocprim26transform_input_iterator_tIbNSD_35transform_pair_of_input_iterators_tIbNS6_6detail15normal_iteratorINS6_10device_ptrIKjEEEESL_NS6_8equal_toIjEEEENSG_9not_fun_tINSD_8identityEEEEENSD_19counting_iterator_tIlEES8_S8_S8_S8_S8_S8_S8_S8_EEEEPS9_S9_NSD_9__find_if7functorIS9_EEEE10hipError_tPvRmT1_T2_T3_mT4_P12ihipStream_tbEUlT_E0_NS1_11comp_targetILNS1_3genE4ELNS1_11target_archE910ELNS1_3gpuE8ELNS1_3repE0EEENS1_30default_config_static_selectorELNS0_4arch9wavefront6targetE1EEEvS14_.has_indirect_call, 0
	.section	.AMDGPU.csdata,"",@progbits
; Kernel info:
; codeLenInByte = 0
; TotalNumSgprs: 4
; NumVgprs: 0
; ScratchSize: 0
; MemoryBound: 0
; FloatMode: 240
; IeeeMode: 1
; LDSByteSize: 0 bytes/workgroup (compile time only)
; SGPRBlocks: 0
; VGPRBlocks: 0
; NumSGPRsForWavesPerEU: 4
; NumVGPRsForWavesPerEU: 1
; Occupancy: 10
; WaveLimiterHint : 0
; COMPUTE_PGM_RSRC2:SCRATCH_EN: 0
; COMPUTE_PGM_RSRC2:USER_SGPR: 6
; COMPUTE_PGM_RSRC2:TRAP_HANDLER: 0
; COMPUTE_PGM_RSRC2:TGID_X_EN: 1
; COMPUTE_PGM_RSRC2:TGID_Y_EN: 0
; COMPUTE_PGM_RSRC2:TGID_Z_EN: 0
; COMPUTE_PGM_RSRC2:TIDIG_COMP_CNT: 0
	.section	.text._ZN7rocprim17ROCPRIM_400000_NS6detail17trampoline_kernelINS0_14default_configENS1_22reduce_config_selectorIN6thrust23THRUST_200600_302600_NS5tupleIblNS6_9null_typeES8_S8_S8_S8_S8_S8_S8_EEEEZNS1_11reduce_implILb1ES3_NS6_12zip_iteratorINS7_INS6_11hip_rocprim26transform_input_iterator_tIbNSD_35transform_pair_of_input_iterators_tIbNS6_6detail15normal_iteratorINS6_10device_ptrIKjEEEESL_NS6_8equal_toIjEEEENSG_9not_fun_tINSD_8identityEEEEENSD_19counting_iterator_tIlEES8_S8_S8_S8_S8_S8_S8_S8_EEEEPS9_S9_NSD_9__find_if7functorIS9_EEEE10hipError_tPvRmT1_T2_T3_mT4_P12ihipStream_tbEUlT_E0_NS1_11comp_targetILNS1_3genE3ELNS1_11target_archE908ELNS1_3gpuE7ELNS1_3repE0EEENS1_30default_config_static_selectorELNS0_4arch9wavefront6targetE1EEEvS14_,"axG",@progbits,_ZN7rocprim17ROCPRIM_400000_NS6detail17trampoline_kernelINS0_14default_configENS1_22reduce_config_selectorIN6thrust23THRUST_200600_302600_NS5tupleIblNS6_9null_typeES8_S8_S8_S8_S8_S8_S8_EEEEZNS1_11reduce_implILb1ES3_NS6_12zip_iteratorINS7_INS6_11hip_rocprim26transform_input_iterator_tIbNSD_35transform_pair_of_input_iterators_tIbNS6_6detail15normal_iteratorINS6_10device_ptrIKjEEEESL_NS6_8equal_toIjEEEENSG_9not_fun_tINSD_8identityEEEEENSD_19counting_iterator_tIlEES8_S8_S8_S8_S8_S8_S8_S8_EEEEPS9_S9_NSD_9__find_if7functorIS9_EEEE10hipError_tPvRmT1_T2_T3_mT4_P12ihipStream_tbEUlT_E0_NS1_11comp_targetILNS1_3genE3ELNS1_11target_archE908ELNS1_3gpuE7ELNS1_3repE0EEENS1_30default_config_static_selectorELNS0_4arch9wavefront6targetE1EEEvS14_,comdat
	.protected	_ZN7rocprim17ROCPRIM_400000_NS6detail17trampoline_kernelINS0_14default_configENS1_22reduce_config_selectorIN6thrust23THRUST_200600_302600_NS5tupleIblNS6_9null_typeES8_S8_S8_S8_S8_S8_S8_EEEEZNS1_11reduce_implILb1ES3_NS6_12zip_iteratorINS7_INS6_11hip_rocprim26transform_input_iterator_tIbNSD_35transform_pair_of_input_iterators_tIbNS6_6detail15normal_iteratorINS6_10device_ptrIKjEEEESL_NS6_8equal_toIjEEEENSG_9not_fun_tINSD_8identityEEEEENSD_19counting_iterator_tIlEES8_S8_S8_S8_S8_S8_S8_S8_EEEEPS9_S9_NSD_9__find_if7functorIS9_EEEE10hipError_tPvRmT1_T2_T3_mT4_P12ihipStream_tbEUlT_E0_NS1_11comp_targetILNS1_3genE3ELNS1_11target_archE908ELNS1_3gpuE7ELNS1_3repE0EEENS1_30default_config_static_selectorELNS0_4arch9wavefront6targetE1EEEvS14_ ; -- Begin function _ZN7rocprim17ROCPRIM_400000_NS6detail17trampoline_kernelINS0_14default_configENS1_22reduce_config_selectorIN6thrust23THRUST_200600_302600_NS5tupleIblNS6_9null_typeES8_S8_S8_S8_S8_S8_S8_EEEEZNS1_11reduce_implILb1ES3_NS6_12zip_iteratorINS7_INS6_11hip_rocprim26transform_input_iterator_tIbNSD_35transform_pair_of_input_iterators_tIbNS6_6detail15normal_iteratorINS6_10device_ptrIKjEEEESL_NS6_8equal_toIjEEEENSG_9not_fun_tINSD_8identityEEEEENSD_19counting_iterator_tIlEES8_S8_S8_S8_S8_S8_S8_S8_EEEEPS9_S9_NSD_9__find_if7functorIS9_EEEE10hipError_tPvRmT1_T2_T3_mT4_P12ihipStream_tbEUlT_E0_NS1_11comp_targetILNS1_3genE3ELNS1_11target_archE908ELNS1_3gpuE7ELNS1_3repE0EEENS1_30default_config_static_selectorELNS0_4arch9wavefront6targetE1EEEvS14_
	.globl	_ZN7rocprim17ROCPRIM_400000_NS6detail17trampoline_kernelINS0_14default_configENS1_22reduce_config_selectorIN6thrust23THRUST_200600_302600_NS5tupleIblNS6_9null_typeES8_S8_S8_S8_S8_S8_S8_EEEEZNS1_11reduce_implILb1ES3_NS6_12zip_iteratorINS7_INS6_11hip_rocprim26transform_input_iterator_tIbNSD_35transform_pair_of_input_iterators_tIbNS6_6detail15normal_iteratorINS6_10device_ptrIKjEEEESL_NS6_8equal_toIjEEEENSG_9not_fun_tINSD_8identityEEEEENSD_19counting_iterator_tIlEES8_S8_S8_S8_S8_S8_S8_S8_EEEEPS9_S9_NSD_9__find_if7functorIS9_EEEE10hipError_tPvRmT1_T2_T3_mT4_P12ihipStream_tbEUlT_E0_NS1_11comp_targetILNS1_3genE3ELNS1_11target_archE908ELNS1_3gpuE7ELNS1_3repE0EEENS1_30default_config_static_selectorELNS0_4arch9wavefront6targetE1EEEvS14_
	.p2align	8
	.type	_ZN7rocprim17ROCPRIM_400000_NS6detail17trampoline_kernelINS0_14default_configENS1_22reduce_config_selectorIN6thrust23THRUST_200600_302600_NS5tupleIblNS6_9null_typeES8_S8_S8_S8_S8_S8_S8_EEEEZNS1_11reduce_implILb1ES3_NS6_12zip_iteratorINS7_INS6_11hip_rocprim26transform_input_iterator_tIbNSD_35transform_pair_of_input_iterators_tIbNS6_6detail15normal_iteratorINS6_10device_ptrIKjEEEESL_NS6_8equal_toIjEEEENSG_9not_fun_tINSD_8identityEEEEENSD_19counting_iterator_tIlEES8_S8_S8_S8_S8_S8_S8_S8_EEEEPS9_S9_NSD_9__find_if7functorIS9_EEEE10hipError_tPvRmT1_T2_T3_mT4_P12ihipStream_tbEUlT_E0_NS1_11comp_targetILNS1_3genE3ELNS1_11target_archE908ELNS1_3gpuE7ELNS1_3repE0EEENS1_30default_config_static_selectorELNS0_4arch9wavefront6targetE1EEEvS14_,@function
_ZN7rocprim17ROCPRIM_400000_NS6detail17trampoline_kernelINS0_14default_configENS1_22reduce_config_selectorIN6thrust23THRUST_200600_302600_NS5tupleIblNS6_9null_typeES8_S8_S8_S8_S8_S8_S8_EEEEZNS1_11reduce_implILb1ES3_NS6_12zip_iteratorINS7_INS6_11hip_rocprim26transform_input_iterator_tIbNSD_35transform_pair_of_input_iterators_tIbNS6_6detail15normal_iteratorINS6_10device_ptrIKjEEEESL_NS6_8equal_toIjEEEENSG_9not_fun_tINSD_8identityEEEEENSD_19counting_iterator_tIlEES8_S8_S8_S8_S8_S8_S8_S8_EEEEPS9_S9_NSD_9__find_if7functorIS9_EEEE10hipError_tPvRmT1_T2_T3_mT4_P12ihipStream_tbEUlT_E0_NS1_11comp_targetILNS1_3genE3ELNS1_11target_archE908ELNS1_3gpuE7ELNS1_3repE0EEENS1_30default_config_static_selectorELNS0_4arch9wavefront6targetE1EEEvS14_: ; @_ZN7rocprim17ROCPRIM_400000_NS6detail17trampoline_kernelINS0_14default_configENS1_22reduce_config_selectorIN6thrust23THRUST_200600_302600_NS5tupleIblNS6_9null_typeES8_S8_S8_S8_S8_S8_S8_EEEEZNS1_11reduce_implILb1ES3_NS6_12zip_iteratorINS7_INS6_11hip_rocprim26transform_input_iterator_tIbNSD_35transform_pair_of_input_iterators_tIbNS6_6detail15normal_iteratorINS6_10device_ptrIKjEEEESL_NS6_8equal_toIjEEEENSG_9not_fun_tINSD_8identityEEEEENSD_19counting_iterator_tIlEES8_S8_S8_S8_S8_S8_S8_S8_EEEEPS9_S9_NSD_9__find_if7functorIS9_EEEE10hipError_tPvRmT1_T2_T3_mT4_P12ihipStream_tbEUlT_E0_NS1_11comp_targetILNS1_3genE3ELNS1_11target_archE908ELNS1_3gpuE7ELNS1_3repE0EEENS1_30default_config_static_selectorELNS0_4arch9wavefront6targetE1EEEvS14_
; %bb.0:
	.section	.rodata,"a",@progbits
	.p2align	6, 0x0
	.amdhsa_kernel _ZN7rocprim17ROCPRIM_400000_NS6detail17trampoline_kernelINS0_14default_configENS1_22reduce_config_selectorIN6thrust23THRUST_200600_302600_NS5tupleIblNS6_9null_typeES8_S8_S8_S8_S8_S8_S8_EEEEZNS1_11reduce_implILb1ES3_NS6_12zip_iteratorINS7_INS6_11hip_rocprim26transform_input_iterator_tIbNSD_35transform_pair_of_input_iterators_tIbNS6_6detail15normal_iteratorINS6_10device_ptrIKjEEEESL_NS6_8equal_toIjEEEENSG_9not_fun_tINSD_8identityEEEEENSD_19counting_iterator_tIlEES8_S8_S8_S8_S8_S8_S8_S8_EEEEPS9_S9_NSD_9__find_if7functorIS9_EEEE10hipError_tPvRmT1_T2_T3_mT4_P12ihipStream_tbEUlT_E0_NS1_11comp_targetILNS1_3genE3ELNS1_11target_archE908ELNS1_3gpuE7ELNS1_3repE0EEENS1_30default_config_static_selectorELNS0_4arch9wavefront6targetE1EEEvS14_
		.amdhsa_group_segment_fixed_size 0
		.amdhsa_private_segment_fixed_size 0
		.amdhsa_kernarg_size 104
		.amdhsa_user_sgpr_count 6
		.amdhsa_user_sgpr_private_segment_buffer 1
		.amdhsa_user_sgpr_dispatch_ptr 0
		.amdhsa_user_sgpr_queue_ptr 0
		.amdhsa_user_sgpr_kernarg_segment_ptr 1
		.amdhsa_user_sgpr_dispatch_id 0
		.amdhsa_user_sgpr_flat_scratch_init 0
		.amdhsa_user_sgpr_private_segment_size 0
		.amdhsa_uses_dynamic_stack 0
		.amdhsa_system_sgpr_private_segment_wavefront_offset 0
		.amdhsa_system_sgpr_workgroup_id_x 1
		.amdhsa_system_sgpr_workgroup_id_y 0
		.amdhsa_system_sgpr_workgroup_id_z 0
		.amdhsa_system_sgpr_workgroup_info 0
		.amdhsa_system_vgpr_workitem_id 0
		.amdhsa_next_free_vgpr 1
		.amdhsa_next_free_sgpr 0
		.amdhsa_reserve_vcc 0
		.amdhsa_reserve_flat_scratch 0
		.amdhsa_float_round_mode_32 0
		.amdhsa_float_round_mode_16_64 0
		.amdhsa_float_denorm_mode_32 3
		.amdhsa_float_denorm_mode_16_64 3
		.amdhsa_dx10_clamp 1
		.amdhsa_ieee_mode 1
		.amdhsa_fp16_overflow 0
		.amdhsa_exception_fp_ieee_invalid_op 0
		.amdhsa_exception_fp_denorm_src 0
		.amdhsa_exception_fp_ieee_div_zero 0
		.amdhsa_exception_fp_ieee_overflow 0
		.amdhsa_exception_fp_ieee_underflow 0
		.amdhsa_exception_fp_ieee_inexact 0
		.amdhsa_exception_int_div_zero 0
	.end_amdhsa_kernel
	.section	.text._ZN7rocprim17ROCPRIM_400000_NS6detail17trampoline_kernelINS0_14default_configENS1_22reduce_config_selectorIN6thrust23THRUST_200600_302600_NS5tupleIblNS6_9null_typeES8_S8_S8_S8_S8_S8_S8_EEEEZNS1_11reduce_implILb1ES3_NS6_12zip_iteratorINS7_INS6_11hip_rocprim26transform_input_iterator_tIbNSD_35transform_pair_of_input_iterators_tIbNS6_6detail15normal_iteratorINS6_10device_ptrIKjEEEESL_NS6_8equal_toIjEEEENSG_9not_fun_tINSD_8identityEEEEENSD_19counting_iterator_tIlEES8_S8_S8_S8_S8_S8_S8_S8_EEEEPS9_S9_NSD_9__find_if7functorIS9_EEEE10hipError_tPvRmT1_T2_T3_mT4_P12ihipStream_tbEUlT_E0_NS1_11comp_targetILNS1_3genE3ELNS1_11target_archE908ELNS1_3gpuE7ELNS1_3repE0EEENS1_30default_config_static_selectorELNS0_4arch9wavefront6targetE1EEEvS14_,"axG",@progbits,_ZN7rocprim17ROCPRIM_400000_NS6detail17trampoline_kernelINS0_14default_configENS1_22reduce_config_selectorIN6thrust23THRUST_200600_302600_NS5tupleIblNS6_9null_typeES8_S8_S8_S8_S8_S8_S8_EEEEZNS1_11reduce_implILb1ES3_NS6_12zip_iteratorINS7_INS6_11hip_rocprim26transform_input_iterator_tIbNSD_35transform_pair_of_input_iterators_tIbNS6_6detail15normal_iteratorINS6_10device_ptrIKjEEEESL_NS6_8equal_toIjEEEENSG_9not_fun_tINSD_8identityEEEEENSD_19counting_iterator_tIlEES8_S8_S8_S8_S8_S8_S8_S8_EEEEPS9_S9_NSD_9__find_if7functorIS9_EEEE10hipError_tPvRmT1_T2_T3_mT4_P12ihipStream_tbEUlT_E0_NS1_11comp_targetILNS1_3genE3ELNS1_11target_archE908ELNS1_3gpuE7ELNS1_3repE0EEENS1_30default_config_static_selectorELNS0_4arch9wavefront6targetE1EEEvS14_,comdat
.Lfunc_end486:
	.size	_ZN7rocprim17ROCPRIM_400000_NS6detail17trampoline_kernelINS0_14default_configENS1_22reduce_config_selectorIN6thrust23THRUST_200600_302600_NS5tupleIblNS6_9null_typeES8_S8_S8_S8_S8_S8_S8_EEEEZNS1_11reduce_implILb1ES3_NS6_12zip_iteratorINS7_INS6_11hip_rocprim26transform_input_iterator_tIbNSD_35transform_pair_of_input_iterators_tIbNS6_6detail15normal_iteratorINS6_10device_ptrIKjEEEESL_NS6_8equal_toIjEEEENSG_9not_fun_tINSD_8identityEEEEENSD_19counting_iterator_tIlEES8_S8_S8_S8_S8_S8_S8_S8_EEEEPS9_S9_NSD_9__find_if7functorIS9_EEEE10hipError_tPvRmT1_T2_T3_mT4_P12ihipStream_tbEUlT_E0_NS1_11comp_targetILNS1_3genE3ELNS1_11target_archE908ELNS1_3gpuE7ELNS1_3repE0EEENS1_30default_config_static_selectorELNS0_4arch9wavefront6targetE1EEEvS14_, .Lfunc_end486-_ZN7rocprim17ROCPRIM_400000_NS6detail17trampoline_kernelINS0_14default_configENS1_22reduce_config_selectorIN6thrust23THRUST_200600_302600_NS5tupleIblNS6_9null_typeES8_S8_S8_S8_S8_S8_S8_EEEEZNS1_11reduce_implILb1ES3_NS6_12zip_iteratorINS7_INS6_11hip_rocprim26transform_input_iterator_tIbNSD_35transform_pair_of_input_iterators_tIbNS6_6detail15normal_iteratorINS6_10device_ptrIKjEEEESL_NS6_8equal_toIjEEEENSG_9not_fun_tINSD_8identityEEEEENSD_19counting_iterator_tIlEES8_S8_S8_S8_S8_S8_S8_S8_EEEEPS9_S9_NSD_9__find_if7functorIS9_EEEE10hipError_tPvRmT1_T2_T3_mT4_P12ihipStream_tbEUlT_E0_NS1_11comp_targetILNS1_3genE3ELNS1_11target_archE908ELNS1_3gpuE7ELNS1_3repE0EEENS1_30default_config_static_selectorELNS0_4arch9wavefront6targetE1EEEvS14_
                                        ; -- End function
	.set _ZN7rocprim17ROCPRIM_400000_NS6detail17trampoline_kernelINS0_14default_configENS1_22reduce_config_selectorIN6thrust23THRUST_200600_302600_NS5tupleIblNS6_9null_typeES8_S8_S8_S8_S8_S8_S8_EEEEZNS1_11reduce_implILb1ES3_NS6_12zip_iteratorINS7_INS6_11hip_rocprim26transform_input_iterator_tIbNSD_35transform_pair_of_input_iterators_tIbNS6_6detail15normal_iteratorINS6_10device_ptrIKjEEEESL_NS6_8equal_toIjEEEENSG_9not_fun_tINSD_8identityEEEEENSD_19counting_iterator_tIlEES8_S8_S8_S8_S8_S8_S8_S8_EEEEPS9_S9_NSD_9__find_if7functorIS9_EEEE10hipError_tPvRmT1_T2_T3_mT4_P12ihipStream_tbEUlT_E0_NS1_11comp_targetILNS1_3genE3ELNS1_11target_archE908ELNS1_3gpuE7ELNS1_3repE0EEENS1_30default_config_static_selectorELNS0_4arch9wavefront6targetE1EEEvS14_.num_vgpr, 0
	.set _ZN7rocprim17ROCPRIM_400000_NS6detail17trampoline_kernelINS0_14default_configENS1_22reduce_config_selectorIN6thrust23THRUST_200600_302600_NS5tupleIblNS6_9null_typeES8_S8_S8_S8_S8_S8_S8_EEEEZNS1_11reduce_implILb1ES3_NS6_12zip_iteratorINS7_INS6_11hip_rocprim26transform_input_iterator_tIbNSD_35transform_pair_of_input_iterators_tIbNS6_6detail15normal_iteratorINS6_10device_ptrIKjEEEESL_NS6_8equal_toIjEEEENSG_9not_fun_tINSD_8identityEEEEENSD_19counting_iterator_tIlEES8_S8_S8_S8_S8_S8_S8_S8_EEEEPS9_S9_NSD_9__find_if7functorIS9_EEEE10hipError_tPvRmT1_T2_T3_mT4_P12ihipStream_tbEUlT_E0_NS1_11comp_targetILNS1_3genE3ELNS1_11target_archE908ELNS1_3gpuE7ELNS1_3repE0EEENS1_30default_config_static_selectorELNS0_4arch9wavefront6targetE1EEEvS14_.num_agpr, 0
	.set _ZN7rocprim17ROCPRIM_400000_NS6detail17trampoline_kernelINS0_14default_configENS1_22reduce_config_selectorIN6thrust23THRUST_200600_302600_NS5tupleIblNS6_9null_typeES8_S8_S8_S8_S8_S8_S8_EEEEZNS1_11reduce_implILb1ES3_NS6_12zip_iteratorINS7_INS6_11hip_rocprim26transform_input_iterator_tIbNSD_35transform_pair_of_input_iterators_tIbNS6_6detail15normal_iteratorINS6_10device_ptrIKjEEEESL_NS6_8equal_toIjEEEENSG_9not_fun_tINSD_8identityEEEEENSD_19counting_iterator_tIlEES8_S8_S8_S8_S8_S8_S8_S8_EEEEPS9_S9_NSD_9__find_if7functorIS9_EEEE10hipError_tPvRmT1_T2_T3_mT4_P12ihipStream_tbEUlT_E0_NS1_11comp_targetILNS1_3genE3ELNS1_11target_archE908ELNS1_3gpuE7ELNS1_3repE0EEENS1_30default_config_static_selectorELNS0_4arch9wavefront6targetE1EEEvS14_.numbered_sgpr, 0
	.set _ZN7rocprim17ROCPRIM_400000_NS6detail17trampoline_kernelINS0_14default_configENS1_22reduce_config_selectorIN6thrust23THRUST_200600_302600_NS5tupleIblNS6_9null_typeES8_S8_S8_S8_S8_S8_S8_EEEEZNS1_11reduce_implILb1ES3_NS6_12zip_iteratorINS7_INS6_11hip_rocprim26transform_input_iterator_tIbNSD_35transform_pair_of_input_iterators_tIbNS6_6detail15normal_iteratorINS6_10device_ptrIKjEEEESL_NS6_8equal_toIjEEEENSG_9not_fun_tINSD_8identityEEEEENSD_19counting_iterator_tIlEES8_S8_S8_S8_S8_S8_S8_S8_EEEEPS9_S9_NSD_9__find_if7functorIS9_EEEE10hipError_tPvRmT1_T2_T3_mT4_P12ihipStream_tbEUlT_E0_NS1_11comp_targetILNS1_3genE3ELNS1_11target_archE908ELNS1_3gpuE7ELNS1_3repE0EEENS1_30default_config_static_selectorELNS0_4arch9wavefront6targetE1EEEvS14_.num_named_barrier, 0
	.set _ZN7rocprim17ROCPRIM_400000_NS6detail17trampoline_kernelINS0_14default_configENS1_22reduce_config_selectorIN6thrust23THRUST_200600_302600_NS5tupleIblNS6_9null_typeES8_S8_S8_S8_S8_S8_S8_EEEEZNS1_11reduce_implILb1ES3_NS6_12zip_iteratorINS7_INS6_11hip_rocprim26transform_input_iterator_tIbNSD_35transform_pair_of_input_iterators_tIbNS6_6detail15normal_iteratorINS6_10device_ptrIKjEEEESL_NS6_8equal_toIjEEEENSG_9not_fun_tINSD_8identityEEEEENSD_19counting_iterator_tIlEES8_S8_S8_S8_S8_S8_S8_S8_EEEEPS9_S9_NSD_9__find_if7functorIS9_EEEE10hipError_tPvRmT1_T2_T3_mT4_P12ihipStream_tbEUlT_E0_NS1_11comp_targetILNS1_3genE3ELNS1_11target_archE908ELNS1_3gpuE7ELNS1_3repE0EEENS1_30default_config_static_selectorELNS0_4arch9wavefront6targetE1EEEvS14_.private_seg_size, 0
	.set _ZN7rocprim17ROCPRIM_400000_NS6detail17trampoline_kernelINS0_14default_configENS1_22reduce_config_selectorIN6thrust23THRUST_200600_302600_NS5tupleIblNS6_9null_typeES8_S8_S8_S8_S8_S8_S8_EEEEZNS1_11reduce_implILb1ES3_NS6_12zip_iteratorINS7_INS6_11hip_rocprim26transform_input_iterator_tIbNSD_35transform_pair_of_input_iterators_tIbNS6_6detail15normal_iteratorINS6_10device_ptrIKjEEEESL_NS6_8equal_toIjEEEENSG_9not_fun_tINSD_8identityEEEEENSD_19counting_iterator_tIlEES8_S8_S8_S8_S8_S8_S8_S8_EEEEPS9_S9_NSD_9__find_if7functorIS9_EEEE10hipError_tPvRmT1_T2_T3_mT4_P12ihipStream_tbEUlT_E0_NS1_11comp_targetILNS1_3genE3ELNS1_11target_archE908ELNS1_3gpuE7ELNS1_3repE0EEENS1_30default_config_static_selectorELNS0_4arch9wavefront6targetE1EEEvS14_.uses_vcc, 0
	.set _ZN7rocprim17ROCPRIM_400000_NS6detail17trampoline_kernelINS0_14default_configENS1_22reduce_config_selectorIN6thrust23THRUST_200600_302600_NS5tupleIblNS6_9null_typeES8_S8_S8_S8_S8_S8_S8_EEEEZNS1_11reduce_implILb1ES3_NS6_12zip_iteratorINS7_INS6_11hip_rocprim26transform_input_iterator_tIbNSD_35transform_pair_of_input_iterators_tIbNS6_6detail15normal_iteratorINS6_10device_ptrIKjEEEESL_NS6_8equal_toIjEEEENSG_9not_fun_tINSD_8identityEEEEENSD_19counting_iterator_tIlEES8_S8_S8_S8_S8_S8_S8_S8_EEEEPS9_S9_NSD_9__find_if7functorIS9_EEEE10hipError_tPvRmT1_T2_T3_mT4_P12ihipStream_tbEUlT_E0_NS1_11comp_targetILNS1_3genE3ELNS1_11target_archE908ELNS1_3gpuE7ELNS1_3repE0EEENS1_30default_config_static_selectorELNS0_4arch9wavefront6targetE1EEEvS14_.uses_flat_scratch, 0
	.set _ZN7rocprim17ROCPRIM_400000_NS6detail17trampoline_kernelINS0_14default_configENS1_22reduce_config_selectorIN6thrust23THRUST_200600_302600_NS5tupleIblNS6_9null_typeES8_S8_S8_S8_S8_S8_S8_EEEEZNS1_11reduce_implILb1ES3_NS6_12zip_iteratorINS7_INS6_11hip_rocprim26transform_input_iterator_tIbNSD_35transform_pair_of_input_iterators_tIbNS6_6detail15normal_iteratorINS6_10device_ptrIKjEEEESL_NS6_8equal_toIjEEEENSG_9not_fun_tINSD_8identityEEEEENSD_19counting_iterator_tIlEES8_S8_S8_S8_S8_S8_S8_S8_EEEEPS9_S9_NSD_9__find_if7functorIS9_EEEE10hipError_tPvRmT1_T2_T3_mT4_P12ihipStream_tbEUlT_E0_NS1_11comp_targetILNS1_3genE3ELNS1_11target_archE908ELNS1_3gpuE7ELNS1_3repE0EEENS1_30default_config_static_selectorELNS0_4arch9wavefront6targetE1EEEvS14_.has_dyn_sized_stack, 0
	.set _ZN7rocprim17ROCPRIM_400000_NS6detail17trampoline_kernelINS0_14default_configENS1_22reduce_config_selectorIN6thrust23THRUST_200600_302600_NS5tupleIblNS6_9null_typeES8_S8_S8_S8_S8_S8_S8_EEEEZNS1_11reduce_implILb1ES3_NS6_12zip_iteratorINS7_INS6_11hip_rocprim26transform_input_iterator_tIbNSD_35transform_pair_of_input_iterators_tIbNS6_6detail15normal_iteratorINS6_10device_ptrIKjEEEESL_NS6_8equal_toIjEEEENSG_9not_fun_tINSD_8identityEEEEENSD_19counting_iterator_tIlEES8_S8_S8_S8_S8_S8_S8_S8_EEEEPS9_S9_NSD_9__find_if7functorIS9_EEEE10hipError_tPvRmT1_T2_T3_mT4_P12ihipStream_tbEUlT_E0_NS1_11comp_targetILNS1_3genE3ELNS1_11target_archE908ELNS1_3gpuE7ELNS1_3repE0EEENS1_30default_config_static_selectorELNS0_4arch9wavefront6targetE1EEEvS14_.has_recursion, 0
	.set _ZN7rocprim17ROCPRIM_400000_NS6detail17trampoline_kernelINS0_14default_configENS1_22reduce_config_selectorIN6thrust23THRUST_200600_302600_NS5tupleIblNS6_9null_typeES8_S8_S8_S8_S8_S8_S8_EEEEZNS1_11reduce_implILb1ES3_NS6_12zip_iteratorINS7_INS6_11hip_rocprim26transform_input_iterator_tIbNSD_35transform_pair_of_input_iterators_tIbNS6_6detail15normal_iteratorINS6_10device_ptrIKjEEEESL_NS6_8equal_toIjEEEENSG_9not_fun_tINSD_8identityEEEEENSD_19counting_iterator_tIlEES8_S8_S8_S8_S8_S8_S8_S8_EEEEPS9_S9_NSD_9__find_if7functorIS9_EEEE10hipError_tPvRmT1_T2_T3_mT4_P12ihipStream_tbEUlT_E0_NS1_11comp_targetILNS1_3genE3ELNS1_11target_archE908ELNS1_3gpuE7ELNS1_3repE0EEENS1_30default_config_static_selectorELNS0_4arch9wavefront6targetE1EEEvS14_.has_indirect_call, 0
	.section	.AMDGPU.csdata,"",@progbits
; Kernel info:
; codeLenInByte = 0
; TotalNumSgprs: 4
; NumVgprs: 0
; ScratchSize: 0
; MemoryBound: 0
; FloatMode: 240
; IeeeMode: 1
; LDSByteSize: 0 bytes/workgroup (compile time only)
; SGPRBlocks: 0
; VGPRBlocks: 0
; NumSGPRsForWavesPerEU: 4
; NumVGPRsForWavesPerEU: 1
; Occupancy: 10
; WaveLimiterHint : 0
; COMPUTE_PGM_RSRC2:SCRATCH_EN: 0
; COMPUTE_PGM_RSRC2:USER_SGPR: 6
; COMPUTE_PGM_RSRC2:TRAP_HANDLER: 0
; COMPUTE_PGM_RSRC2:TGID_X_EN: 1
; COMPUTE_PGM_RSRC2:TGID_Y_EN: 0
; COMPUTE_PGM_RSRC2:TGID_Z_EN: 0
; COMPUTE_PGM_RSRC2:TIDIG_COMP_CNT: 0
	.section	.text._ZN7rocprim17ROCPRIM_400000_NS6detail17trampoline_kernelINS0_14default_configENS1_22reduce_config_selectorIN6thrust23THRUST_200600_302600_NS5tupleIblNS6_9null_typeES8_S8_S8_S8_S8_S8_S8_EEEEZNS1_11reduce_implILb1ES3_NS6_12zip_iteratorINS7_INS6_11hip_rocprim26transform_input_iterator_tIbNSD_35transform_pair_of_input_iterators_tIbNS6_6detail15normal_iteratorINS6_10device_ptrIKjEEEESL_NS6_8equal_toIjEEEENSG_9not_fun_tINSD_8identityEEEEENSD_19counting_iterator_tIlEES8_S8_S8_S8_S8_S8_S8_S8_EEEEPS9_S9_NSD_9__find_if7functorIS9_EEEE10hipError_tPvRmT1_T2_T3_mT4_P12ihipStream_tbEUlT_E0_NS1_11comp_targetILNS1_3genE2ELNS1_11target_archE906ELNS1_3gpuE6ELNS1_3repE0EEENS1_30default_config_static_selectorELNS0_4arch9wavefront6targetE1EEEvS14_,"axG",@progbits,_ZN7rocprim17ROCPRIM_400000_NS6detail17trampoline_kernelINS0_14default_configENS1_22reduce_config_selectorIN6thrust23THRUST_200600_302600_NS5tupleIblNS6_9null_typeES8_S8_S8_S8_S8_S8_S8_EEEEZNS1_11reduce_implILb1ES3_NS6_12zip_iteratorINS7_INS6_11hip_rocprim26transform_input_iterator_tIbNSD_35transform_pair_of_input_iterators_tIbNS6_6detail15normal_iteratorINS6_10device_ptrIKjEEEESL_NS6_8equal_toIjEEEENSG_9not_fun_tINSD_8identityEEEEENSD_19counting_iterator_tIlEES8_S8_S8_S8_S8_S8_S8_S8_EEEEPS9_S9_NSD_9__find_if7functorIS9_EEEE10hipError_tPvRmT1_T2_T3_mT4_P12ihipStream_tbEUlT_E0_NS1_11comp_targetILNS1_3genE2ELNS1_11target_archE906ELNS1_3gpuE6ELNS1_3repE0EEENS1_30default_config_static_selectorELNS0_4arch9wavefront6targetE1EEEvS14_,comdat
	.protected	_ZN7rocprim17ROCPRIM_400000_NS6detail17trampoline_kernelINS0_14default_configENS1_22reduce_config_selectorIN6thrust23THRUST_200600_302600_NS5tupleIblNS6_9null_typeES8_S8_S8_S8_S8_S8_S8_EEEEZNS1_11reduce_implILb1ES3_NS6_12zip_iteratorINS7_INS6_11hip_rocprim26transform_input_iterator_tIbNSD_35transform_pair_of_input_iterators_tIbNS6_6detail15normal_iteratorINS6_10device_ptrIKjEEEESL_NS6_8equal_toIjEEEENSG_9not_fun_tINSD_8identityEEEEENSD_19counting_iterator_tIlEES8_S8_S8_S8_S8_S8_S8_S8_EEEEPS9_S9_NSD_9__find_if7functorIS9_EEEE10hipError_tPvRmT1_T2_T3_mT4_P12ihipStream_tbEUlT_E0_NS1_11comp_targetILNS1_3genE2ELNS1_11target_archE906ELNS1_3gpuE6ELNS1_3repE0EEENS1_30default_config_static_selectorELNS0_4arch9wavefront6targetE1EEEvS14_ ; -- Begin function _ZN7rocprim17ROCPRIM_400000_NS6detail17trampoline_kernelINS0_14default_configENS1_22reduce_config_selectorIN6thrust23THRUST_200600_302600_NS5tupleIblNS6_9null_typeES8_S8_S8_S8_S8_S8_S8_EEEEZNS1_11reduce_implILb1ES3_NS6_12zip_iteratorINS7_INS6_11hip_rocprim26transform_input_iterator_tIbNSD_35transform_pair_of_input_iterators_tIbNS6_6detail15normal_iteratorINS6_10device_ptrIKjEEEESL_NS6_8equal_toIjEEEENSG_9not_fun_tINSD_8identityEEEEENSD_19counting_iterator_tIlEES8_S8_S8_S8_S8_S8_S8_S8_EEEEPS9_S9_NSD_9__find_if7functorIS9_EEEE10hipError_tPvRmT1_T2_T3_mT4_P12ihipStream_tbEUlT_E0_NS1_11comp_targetILNS1_3genE2ELNS1_11target_archE906ELNS1_3gpuE6ELNS1_3repE0EEENS1_30default_config_static_selectorELNS0_4arch9wavefront6targetE1EEEvS14_
	.globl	_ZN7rocprim17ROCPRIM_400000_NS6detail17trampoline_kernelINS0_14default_configENS1_22reduce_config_selectorIN6thrust23THRUST_200600_302600_NS5tupleIblNS6_9null_typeES8_S8_S8_S8_S8_S8_S8_EEEEZNS1_11reduce_implILb1ES3_NS6_12zip_iteratorINS7_INS6_11hip_rocprim26transform_input_iterator_tIbNSD_35transform_pair_of_input_iterators_tIbNS6_6detail15normal_iteratorINS6_10device_ptrIKjEEEESL_NS6_8equal_toIjEEEENSG_9not_fun_tINSD_8identityEEEEENSD_19counting_iterator_tIlEES8_S8_S8_S8_S8_S8_S8_S8_EEEEPS9_S9_NSD_9__find_if7functorIS9_EEEE10hipError_tPvRmT1_T2_T3_mT4_P12ihipStream_tbEUlT_E0_NS1_11comp_targetILNS1_3genE2ELNS1_11target_archE906ELNS1_3gpuE6ELNS1_3repE0EEENS1_30default_config_static_selectorELNS0_4arch9wavefront6targetE1EEEvS14_
	.p2align	8
	.type	_ZN7rocprim17ROCPRIM_400000_NS6detail17trampoline_kernelINS0_14default_configENS1_22reduce_config_selectorIN6thrust23THRUST_200600_302600_NS5tupleIblNS6_9null_typeES8_S8_S8_S8_S8_S8_S8_EEEEZNS1_11reduce_implILb1ES3_NS6_12zip_iteratorINS7_INS6_11hip_rocprim26transform_input_iterator_tIbNSD_35transform_pair_of_input_iterators_tIbNS6_6detail15normal_iteratorINS6_10device_ptrIKjEEEESL_NS6_8equal_toIjEEEENSG_9not_fun_tINSD_8identityEEEEENSD_19counting_iterator_tIlEES8_S8_S8_S8_S8_S8_S8_S8_EEEEPS9_S9_NSD_9__find_if7functorIS9_EEEE10hipError_tPvRmT1_T2_T3_mT4_P12ihipStream_tbEUlT_E0_NS1_11comp_targetILNS1_3genE2ELNS1_11target_archE906ELNS1_3gpuE6ELNS1_3repE0EEENS1_30default_config_static_selectorELNS0_4arch9wavefront6targetE1EEEvS14_,@function
_ZN7rocprim17ROCPRIM_400000_NS6detail17trampoline_kernelINS0_14default_configENS1_22reduce_config_selectorIN6thrust23THRUST_200600_302600_NS5tupleIblNS6_9null_typeES8_S8_S8_S8_S8_S8_S8_EEEEZNS1_11reduce_implILb1ES3_NS6_12zip_iteratorINS7_INS6_11hip_rocprim26transform_input_iterator_tIbNSD_35transform_pair_of_input_iterators_tIbNS6_6detail15normal_iteratorINS6_10device_ptrIKjEEEESL_NS6_8equal_toIjEEEENSG_9not_fun_tINSD_8identityEEEEENSD_19counting_iterator_tIlEES8_S8_S8_S8_S8_S8_S8_S8_EEEEPS9_S9_NSD_9__find_if7functorIS9_EEEE10hipError_tPvRmT1_T2_T3_mT4_P12ihipStream_tbEUlT_E0_NS1_11comp_targetILNS1_3genE2ELNS1_11target_archE906ELNS1_3gpuE6ELNS1_3repE0EEENS1_30default_config_static_selectorELNS0_4arch9wavefront6targetE1EEEvS14_: ; @_ZN7rocprim17ROCPRIM_400000_NS6detail17trampoline_kernelINS0_14default_configENS1_22reduce_config_selectorIN6thrust23THRUST_200600_302600_NS5tupleIblNS6_9null_typeES8_S8_S8_S8_S8_S8_S8_EEEEZNS1_11reduce_implILb1ES3_NS6_12zip_iteratorINS7_INS6_11hip_rocprim26transform_input_iterator_tIbNSD_35transform_pair_of_input_iterators_tIbNS6_6detail15normal_iteratorINS6_10device_ptrIKjEEEESL_NS6_8equal_toIjEEEENSG_9not_fun_tINSD_8identityEEEEENSD_19counting_iterator_tIlEES8_S8_S8_S8_S8_S8_S8_S8_EEEEPS9_S9_NSD_9__find_if7functorIS9_EEEE10hipError_tPvRmT1_T2_T3_mT4_P12ihipStream_tbEUlT_E0_NS1_11comp_targetILNS1_3genE2ELNS1_11target_archE906ELNS1_3gpuE6ELNS1_3repE0EEENS1_30default_config_static_selectorELNS0_4arch9wavefront6targetE1EEEvS14_
; %bb.0:
	s_load_dwordx8 s[12:19], s[4:5], 0x20
	s_load_dwordx4 s[0:3], s[4:5], 0x0
	s_load_dwordx4 s[20:23], s[4:5], 0x40
	s_mov_b32 s29, 0
	s_mov_b32 s7, s29
	s_waitcnt lgkmcnt(0)
	s_lshl_b64 s[8:9], s[14:15], 2
	s_add_u32 s10, s0, s8
	s_addc_u32 s11, s1, s9
	s_add_u32 s8, s2, s8
	s_addc_u32 s9, s3, s9
	s_lshl_b32 s28, s6, 8
	s_lshr_b64 s[0:1], s[16:17], 8
	s_lshl_b64 s[2:3], s[28:29], 2
	s_add_u32 s24, s10, s2
	s_addc_u32 s25, s11, s3
	s_add_u32 s26, s8, s2
	s_addc_u32 s27, s9, s3
	;; [unrolled: 2-line block ×4, first 2 shown]
	s_cmp_lg_u64 s[0:1], s[6:7]
	v_lshlrev_b32_e32 v9, 2, v0
	v_mbcnt_lo_u32_b32 v8, -1, 0
	s_cbranch_scc0 .LBB487_10
; %bb.1:
	global_load_dword v1, v9, s[26:27]
	global_load_dword v2, v9, s[26:27] offset:512
	global_load_dword v4, v9, s[24:25] offset:512
	global_load_dword v6, v9, s[24:25]
	v_mov_b32_e32 v5, s15
	v_add_co_u32_e32 v7, vcc, s14, v0
	v_addc_co_u32_e32 v10, vcc, 0, v5, vcc
	v_add_co_u32_e32 v11, vcc, 0x80, v7
	v_addc_co_u32_e32 v12, vcc, 0, v10, vcc
	v_mbcnt_hi_u32_b32 v3, -1, v8
	v_lshlrev_b32_e32 v5, 2, v3
	v_or_b32_e32 v13, 0xfc, v5
	s_waitcnt vmcnt(1)
	v_cmp_ne_u32_e32 vcc, v4, v2
	s_waitcnt vmcnt(0)
	v_cmp_ne_u32_e64 s[0:1], v6, v1
	v_cndmask_b32_e64 v2, v12, v10, s[0:1]
	v_cndmask_b32_e64 v1, v11, v7, s[0:1]
	s_or_b64 s[0:1], s[0:1], vcc
	v_mov_b32_dpp v7, v2 quad_perm:[1,0,3,2] row_mask:0xf bank_mask:0xf bound_ctrl:1
	v_mov_b32_dpp v6, v1 quad_perm:[1,0,3,2] row_mask:0xf bank_mask:0xf bound_ctrl:1
	v_cndmask_b32_e64 v4, 0, 1, s[0:1]
	v_cmp_lt_i64_e32 vcc, v[1:2], v[6:7]
	s_and_b64 vcc, s[0:1], vcc
	v_mov_b32_dpp v10, v4 quad_perm:[1,0,3,2] row_mask:0xf bank_mask:0xf bound_ctrl:1
	v_and_b32_e32 v10, 1, v10
	v_cndmask_b32_e32 v6, v6, v1, vcc
	v_cndmask_b32_e32 v7, v7, v2, vcc
	v_cmp_eq_u32_e32 vcc, 1, v10
	v_cndmask_b32_e32 v2, v2, v7, vcc
	v_cndmask_b32_e32 v1, v1, v6, vcc
	v_cndmask_b32_e64 v4, v4, 1, vcc
	v_mov_b32_dpp v7, v2 quad_perm:[2,3,0,1] row_mask:0xf bank_mask:0xf bound_ctrl:1
	v_mov_b32_dpp v6, v1 quad_perm:[2,3,0,1] row_mask:0xf bank_mask:0xf bound_ctrl:1
	v_and_b32_e32 v11, 1, v4
	v_cmp_lt_i64_e64 s[0:1], v[1:2], v[6:7]
	v_mov_b32_dpp v10, v4 quad_perm:[2,3,0,1] row_mask:0xf bank_mask:0xf bound_ctrl:1
	v_cmp_eq_u32_e32 vcc, 1, v11
	v_and_b32_e32 v10, 1, v10
	s_and_b64 vcc, vcc, s[0:1]
	v_cmp_eq_u32_e64 s[2:3], 1, v10
	v_cndmask_b32_e32 v6, v6, v1, vcc
	v_cndmask_b32_e32 v7, v7, v2, vcc
	v_cndmask_b32_e64 v1, v1, v6, s[2:3]
	v_cndmask_b32_e64 v2, v2, v7, s[2:3]
	;; [unrolled: 1-line block ×3, first 2 shown]
	v_mov_b32_dpp v6, v1 row_ror:4 row_mask:0xf bank_mask:0xf bound_ctrl:1
	v_mov_b32_dpp v7, v2 row_ror:4 row_mask:0xf bank_mask:0xf bound_ctrl:1
	v_and_b32_e32 v11, 1, v4
	v_cmp_lt_i64_e64 s[2:3], v[1:2], v[6:7]
	v_mov_b32_dpp v10, v4 row_ror:4 row_mask:0xf bank_mask:0xf bound_ctrl:1
	v_cmp_eq_u32_e32 vcc, 1, v11
	v_and_b32_e32 v10, 1, v10
	s_and_b64 vcc, vcc, s[2:3]
	v_cmp_eq_u32_e64 s[0:1], 1, v10
	v_cndmask_b32_e32 v6, v6, v1, vcc
	v_cndmask_b32_e32 v7, v7, v2, vcc
	v_cndmask_b32_e64 v1, v1, v6, s[0:1]
	v_cndmask_b32_e64 v2, v2, v7, s[0:1]
	;; [unrolled: 1-line block ×3, first 2 shown]
	v_mov_b32_dpp v6, v1 row_ror:8 row_mask:0xf bank_mask:0xf bound_ctrl:1
	v_mov_b32_dpp v7, v2 row_ror:8 row_mask:0xf bank_mask:0xf bound_ctrl:1
	v_and_b32_e32 v11, 1, v4
	v_cmp_lt_i64_e64 s[2:3], v[1:2], v[6:7]
	v_mov_b32_dpp v10, v4 row_ror:8 row_mask:0xf bank_mask:0xf bound_ctrl:1
	v_cmp_eq_u32_e64 s[8:9], 1, v11
	v_and_b32_e32 v10, 1, v10
	s_and_b64 s[2:3], s[8:9], s[2:3]
	v_cmp_eq_u32_e64 s[10:11], 1, v10
	v_cndmask_b32_e64 v6, v6, v1, s[2:3]
	v_cndmask_b32_e64 v7, v7, v2, s[2:3]
	v_cndmask_b32_e64 v4, v4, 1, s[10:11]
	v_cndmask_b32_e64 v1, v1, v6, s[10:11]
	v_cndmask_b32_e64 v2, v2, v7, s[10:11]
	v_mov_b32_dpp v10, v4 row_bcast:15 row_mask:0xf bank_mask:0xf bound_ctrl:1
	v_mov_b32_dpp v6, v1 row_bcast:15 row_mask:0xf bank_mask:0xf bound_ctrl:1
	v_mov_b32_dpp v7, v2 row_bcast:15 row_mask:0xf bank_mask:0xf bound_ctrl:1
	v_and_b32_e32 v11, 1, v4
	v_and_b32_e32 v10, 1, v10
	v_cmp_lt_i64_e64 s[2:3], v[1:2], v[6:7]
	v_cmp_eq_u32_e32 vcc, 1, v11
	v_cmp_eq_u32_e64 s[0:1], 1, v10
	v_cndmask_b32_e64 v4, v4, 1, s[0:1]
	s_and_b64 vcc, vcc, s[2:3]
	v_cndmask_b32_e32 v6, v6, v1, vcc
	v_mov_b32_dpp v10, v4 row_bcast:31 row_mask:0xf bank_mask:0xf bound_ctrl:1
	v_cndmask_b32_e32 v7, v7, v2, vcc
	v_and_b32_e32 v11, 1, v4
	v_and_b32_e32 v10, 1, v10
	v_cndmask_b32_e64 v1, v1, v6, s[0:1]
	v_cndmask_b32_e64 v2, v2, v7, s[0:1]
	v_cmp_eq_u32_e64 s[12:13], 1, v11
	v_cmp_eq_u32_e64 s[8:9], 1, v10
	v_mov_b32_dpp v10, v1 row_bcast:31 row_mask:0xf bank_mask:0xf bound_ctrl:1
	v_mov_b32_dpp v11, v2 row_bcast:31 row_mask:0xf bank_mask:0xf bound_ctrl:1
	v_cmp_lt_i64_e32 vcc, v[1:2], v[10:11]
	v_cndmask_b32_e64 v4, v4, 1, s[8:9]
	s_and_b64 vcc, s[12:13], vcc
	ds_bpermute_b32 v7, v13, v4
	v_cndmask_b32_e32 v4, v10, v1, vcc
	v_cndmask_b32_e32 v6, v11, v2, vcc
	v_cndmask_b32_e64 v1, v1, v4, s[8:9]
	v_cndmask_b32_e64 v2, v2, v6, s[8:9]
	ds_bpermute_b32 v1, v13, v1
	ds_bpermute_b32 v2, v13, v2
	v_cmp_eq_u32_e32 vcc, 0, v3
	s_and_saveexec_b64 s[0:1], vcc
	s_cbranch_execz .LBB487_3
; %bb.2:
	v_lshrrev_b32_e32 v4, 2, v0
	v_and_b32_e32 v4, 16, v4
	s_waitcnt lgkmcnt(2)
	ds_write_b8 v4, v7
	s_waitcnt lgkmcnt(1)
	ds_write_b64 v4, v[1:2] offset:8
.LBB487_3:
	s_or_b64 exec, exec, s[0:1]
	v_cmp_gt_u32_e32 vcc, 64, v0
	s_waitcnt lgkmcnt(0)
	s_barrier
	s_and_saveexec_b64 s[0:1], vcc
	s_cbranch_execz .LBB487_9
; %bb.4:
	v_and_b32_e32 v1, 1, v3
	v_lshlrev_b32_e32 v1, 4, v1
	ds_read_u8 v10, v1
	ds_read_b64 v[3:4], v1 offset:8
	v_or_b32_e32 v2, 4, v5
	s_waitcnt lgkmcnt(1)
	v_and_b32_e32 v1, 0xff, v10
	ds_bpermute_b32 v11, v2, v1
	s_waitcnt lgkmcnt(1)
	ds_bpermute_b32 v5, v2, v3
	ds_bpermute_b32 v6, v2, v4
	s_waitcnt lgkmcnt(2)
	v_and_b32_e32 v1, v10, v11
	v_and_b32_e32 v1, 1, v1
	v_cmp_eq_u32_e32 vcc, 1, v1
                                        ; implicit-def: $vgpr1_vgpr2
	s_and_saveexec_b64 s[2:3], vcc
	s_xor_b64 s[2:3], exec, s[2:3]
	s_cbranch_execz .LBB487_6
; %bb.5:
	s_waitcnt lgkmcnt(0)
	v_cmp_lt_i64_e32 vcc, v[5:6], v[3:4]
                                        ; implicit-def: $vgpr10
                                        ; implicit-def: $vgpr11
	v_cndmask_b32_e32 v2, v4, v6, vcc
	v_cndmask_b32_e32 v1, v3, v5, vcc
                                        ; implicit-def: $vgpr5_vgpr6
                                        ; implicit-def: $vgpr3_vgpr4
.LBB487_6:
	s_or_saveexec_b64 s[2:3], s[2:3]
	v_mov_b32_e32 v7, 1
	s_xor_b64 exec, exec, s[2:3]
	s_cbranch_execz .LBB487_8
; %bb.7:
	v_and_b32_e32 v1, 1, v10
	v_cmp_eq_u32_e32 vcc, 1, v1
	s_waitcnt lgkmcnt(0)
	v_cndmask_b32_e32 v2, v6, v4, vcc
	v_cndmask_b32_e32 v1, v5, v3, vcc
	v_cndmask_b32_e64 v7, v11, 1, vcc
.LBB487_8:
	s_or_b64 exec, exec, s[2:3]
.LBB487_9:
	s_or_b64 exec, exec, s[0:1]
	s_load_dword s10, s[4:5], 0x50
	s_load_dwordx2 s[8:9], s[4:5], 0x58
	s_branch .LBB487_62
.LBB487_10:
                                        ; implicit-def: $vgpr1_vgpr2
                                        ; implicit-def: $vgpr7
	s_load_dword s10, s[4:5], 0x50
	s_load_dwordx2 s[8:9], s[4:5], 0x58
	s_cbranch_execz .LBB487_62
; %bb.11:
	s_sub_i32 s11, s16, s28
	v_mov_b32_e32 v3, 0
	v_mov_b32_e32 v1, 0
	v_cmp_gt_u32_e32 vcc, s11, v0
	s_waitcnt lgkmcnt(0)
	v_mov_b32_e32 v6, 0
	v_mov_b32_e32 v4, 0
	;; [unrolled: 1-line block ×4, first 2 shown]
	s_and_saveexec_b64 s[0:1], vcc
	s_cbranch_execz .LBB487_13
; %bb.12:
	global_load_dword v5, v9, s[24:25]
	global_load_dword v7, v9, s[26:27]
	v_mov_b32_e32 v2, s15
	v_add_co_u32_e32 v1, vcc, s14, v0
	v_addc_co_u32_e32 v2, vcc, 0, v2, vcc
	s_waitcnt vmcnt(0)
	v_cmp_ne_u32_e32 vcc, v5, v7
	v_cndmask_b32_e64 v5, 0, 1, vcc
.LBB487_13:
	s_or_b64 exec, exec, s[0:1]
	v_or_b32_e32 v7, 0x80, v0
	v_cmp_gt_u32_e32 vcc, s11, v7
	s_and_saveexec_b64 s[2:3], vcc
	s_cbranch_execz .LBB487_15
; %bb.14:
	global_load_dword v6, v9, s[24:25] offset:512
	global_load_dword v10, v9, s[26:27] offset:512
	v_mov_b32_e32 v4, s15
	v_add_co_u32_e64 v3, s[0:1], s14, v7
	v_addc_co_u32_e64 v4, s[0:1], 0, v4, s[0:1]
	s_waitcnt vmcnt(0)
	v_cmp_ne_u32_e64 s[0:1], v6, v10
	v_cndmask_b32_e64 v6, 0, 1, s[0:1]
.LBB487_15:
	s_or_b64 exec, exec, s[2:3]
	v_and_b32_e32 v7, 0xffff, v5
	v_and_b32_e32 v9, 0xffff, v6
	;; [unrolled: 1-line block ×4, first 2 shown]
	v_cmp_lt_i64_e64 s[2:3], v[3:4], v[1:2]
	v_cmp_eq_u32_e64 s[0:1], 1, v6
	v_cmp_eq_u32_e64 s[4:5], 1, v5
	v_cndmask_b32_e64 v5, v9, 1, s[4:5]
	s_and_b64 s[0:1], s[0:1], s[2:3]
	v_cndmask_b32_e64 v6, v2, v4, s[0:1]
	v_cndmask_b32_e64 v9, v1, v3, s[0:1]
	v_cndmask_b32_e32 v7, v7, v5, vcc
	v_mbcnt_hi_u32_b32 v5, -1, v8
	v_cndmask_b32_e64 v3, v3, v9, s[4:5]
	v_cndmask_b32_e64 v4, v4, v6, s[4:5]
	v_and_b32_e32 v6, 63, v5
	v_cndmask_b32_e32 v2, v2, v4, vcc
	v_cndmask_b32_e32 v1, v1, v3, vcc
	v_cmp_ne_u32_e32 vcc, 63, v6
	v_addc_co_u32_e32 v3, vcc, 0, v5, vcc
	v_lshlrev_b32_e32 v4, 2, v3
	ds_bpermute_b32 v9, v4, v7
	ds_bpermute_b32 v3, v4, v1
	;; [unrolled: 1-line block ×3, first 2 shown]
	s_min_u32 s4, s11, 0x80
	v_and_b32_e32 v8, 64, v0
	v_sub_u32_e64 v8, s4, v8 clamp
	v_add_u32_e32 v10, 1, v6
	v_cmp_lt_u32_e32 vcc, v10, v8
	s_and_saveexec_b64 s[0:1], vcc
	s_cbranch_execz .LBB487_21
; %bb.16:
	s_waitcnt lgkmcnt(2)
	v_and_b32_e32 v10, v9, v7
	v_cmp_ne_u32_e32 vcc, 0, v10
	s_and_saveexec_b64 s[2:3], vcc
	s_xor_b64 s[2:3], exec, s[2:3]
	s_cbranch_execz .LBB487_18
; %bb.17:
	s_waitcnt lgkmcnt(0)
	v_cmp_lt_i64_e32 vcc, v[3:4], v[1:2]
                                        ; implicit-def: $vgpr7
                                        ; implicit-def: $vgpr9
	v_cndmask_b32_e32 v2, v2, v4, vcc
	v_cndmask_b32_e32 v1, v1, v3, vcc
                                        ; implicit-def: $vgpr3_vgpr4
.LBB487_18:
	s_or_saveexec_b64 s[2:3], s[2:3]
	v_mov_b32_e32 v10, 1
	s_xor_b64 exec, exec, s[2:3]
	s_cbranch_execz .LBB487_20
; %bb.19:
	v_and_b32_e32 v7, 1, v7
	v_cmp_eq_u32_e32 vcc, 1, v7
	s_waitcnt lgkmcnt(1)
	v_cndmask_b32_e32 v1, v3, v1, vcc
	v_and_b32_e32 v3, 0xff, v9
	s_waitcnt lgkmcnt(0)
	v_cndmask_b32_e32 v2, v4, v2, vcc
	v_cndmask_b32_e64 v10, v3, 1, vcc
.LBB487_20:
	s_or_b64 exec, exec, s[2:3]
	v_mov_b32_e32 v7, v10
.LBB487_21:
	s_or_b64 exec, exec, s[0:1]
	v_cmp_gt_u32_e32 vcc, 62, v6
	s_waitcnt lgkmcnt(1)
	v_cndmask_b32_e64 v3, 0, 2, vcc
	s_waitcnt lgkmcnt(0)
	v_add_lshl_u32 v4, v3, v5, 2
	ds_bpermute_b32 v9, v4, v7
	ds_bpermute_b32 v3, v4, v1
	ds_bpermute_b32 v4, v4, v2
	v_add_u32_e32 v10, 2, v6
	v_cmp_lt_u32_e32 vcc, v10, v8
	s_and_saveexec_b64 s[0:1], vcc
	s_cbranch_execz .LBB487_27
; %bb.22:
	s_waitcnt lgkmcnt(2)
	v_and_b32_e32 v10, v7, v9
	v_and_b32_e32 v10, 1, v10
	v_cmp_eq_u32_e32 vcc, 1, v10
	s_and_saveexec_b64 s[2:3], vcc
	s_xor_b64 s[2:3], exec, s[2:3]
	s_cbranch_execz .LBB487_24
; %bb.23:
	s_waitcnt lgkmcnt(0)
	v_cmp_lt_i64_e32 vcc, v[3:4], v[1:2]
                                        ; implicit-def: $vgpr7
                                        ; implicit-def: $vgpr9
	v_cndmask_b32_e32 v2, v2, v4, vcc
	v_cndmask_b32_e32 v1, v1, v3, vcc
                                        ; implicit-def: $vgpr3_vgpr4
.LBB487_24:
	s_or_saveexec_b64 s[2:3], s[2:3]
	v_mov_b32_e32 v10, 1
	s_xor_b64 exec, exec, s[2:3]
	s_cbranch_execz .LBB487_26
; %bb.25:
	v_and_b32_e32 v7, 1, v7
	v_cmp_eq_u32_e32 vcc, 1, v7
	s_waitcnt lgkmcnt(1)
	v_cndmask_b32_e32 v1, v3, v1, vcc
	v_and_b32_e32 v3, 0xff, v9
	s_waitcnt lgkmcnt(0)
	v_cndmask_b32_e32 v2, v4, v2, vcc
	v_cndmask_b32_e64 v10, v3, 1, vcc
.LBB487_26:
	s_or_b64 exec, exec, s[2:3]
	v_mov_b32_e32 v7, v10
.LBB487_27:
	s_or_b64 exec, exec, s[0:1]
	v_cmp_gt_u32_e32 vcc, 60, v6
	s_waitcnt lgkmcnt(1)
	v_cndmask_b32_e64 v3, 0, 4, vcc
	s_waitcnt lgkmcnt(0)
	v_add_lshl_u32 v4, v3, v5, 2
	ds_bpermute_b32 v9, v4, v7
	ds_bpermute_b32 v3, v4, v1
	ds_bpermute_b32 v4, v4, v2
	v_add_u32_e32 v10, 4, v6
	v_cmp_lt_u32_e32 vcc, v10, v8
	s_and_saveexec_b64 s[0:1], vcc
	s_cbranch_execz .LBB487_33
; %bb.28:
	s_waitcnt lgkmcnt(2)
	v_and_b32_e32 v10, v7, v9
	v_and_b32_e32 v10, 1, v10
	v_cmp_eq_u32_e32 vcc, 1, v10
	s_and_saveexec_b64 s[2:3], vcc
	s_xor_b64 s[2:3], exec, s[2:3]
	s_cbranch_execz .LBB487_30
; %bb.29:
	s_waitcnt lgkmcnt(0)
	v_cmp_lt_i64_e32 vcc, v[3:4], v[1:2]
                                        ; implicit-def: $vgpr7
                                        ; implicit-def: $vgpr9
	v_cndmask_b32_e32 v2, v2, v4, vcc
	v_cndmask_b32_e32 v1, v1, v3, vcc
                                        ; implicit-def: $vgpr3_vgpr4
.LBB487_30:
	s_or_saveexec_b64 s[2:3], s[2:3]
	v_mov_b32_e32 v10, 1
	s_xor_b64 exec, exec, s[2:3]
	s_cbranch_execz .LBB487_32
; %bb.31:
	v_and_b32_e32 v7, 1, v7
	v_cmp_eq_u32_e32 vcc, 1, v7
	s_waitcnt lgkmcnt(1)
	v_cndmask_b32_e32 v1, v3, v1, vcc
	v_and_b32_e32 v3, 0xff, v9
	s_waitcnt lgkmcnt(0)
	v_cndmask_b32_e32 v2, v4, v2, vcc
	v_cndmask_b32_e64 v10, v3, 1, vcc
.LBB487_32:
	s_or_b64 exec, exec, s[2:3]
	v_mov_b32_e32 v7, v10
.LBB487_33:
	;; [unrolled: 47-line block ×4, first 2 shown]
	s_or_b64 exec, exec, s[0:1]
	s_waitcnt lgkmcnt(2)
	v_lshlrev_b32_e32 v9, 2, v5
	s_waitcnt lgkmcnt(0)
	v_or_b32_e32 v4, 0x80, v9
	ds_bpermute_b32 v10, v4, v7
	ds_bpermute_b32 v3, v4, v1
	;; [unrolled: 1-line block ×3, first 2 shown]
	v_add_u32_e32 v6, 32, v6
	v_cmp_lt_u32_e32 vcc, v6, v8
	v_mov_b32_e32 v6, v7
	s_and_saveexec_b64 s[0:1], vcc
	s_cbranch_execz .LBB487_51
; %bb.46:
	s_waitcnt lgkmcnt(2)
	v_and_b32_e32 v6, v7, v10
	v_and_b32_e32 v6, 1, v6
	v_cmp_eq_u32_e32 vcc, 1, v6
	s_and_saveexec_b64 s[2:3], vcc
	s_xor_b64 s[2:3], exec, s[2:3]
	s_cbranch_execz .LBB487_48
; %bb.47:
	s_waitcnt lgkmcnt(0)
	v_cmp_lt_i64_e32 vcc, v[3:4], v[1:2]
                                        ; implicit-def: $vgpr7
                                        ; implicit-def: $vgpr10
	v_cndmask_b32_e32 v2, v2, v4, vcc
	v_cndmask_b32_e32 v1, v1, v3, vcc
                                        ; implicit-def: $vgpr3_vgpr4
.LBB487_48:
	s_or_saveexec_b64 s[2:3], s[2:3]
	v_mov_b32_e32 v6, 1
	s_xor_b64 exec, exec, s[2:3]
	s_cbranch_execz .LBB487_50
; %bb.49:
	v_and_b32_e32 v6, 1, v7
	v_cmp_eq_u32_e32 vcc, 1, v6
	v_cndmask_b32_e64 v6, v10, 1, vcc
	s_waitcnt lgkmcnt(0)
	v_cndmask_b32_e32 v2, v4, v2, vcc
	v_cndmask_b32_e32 v1, v3, v1, vcc
.LBB487_50:
	s_or_b64 exec, exec, s[2:3]
	v_and_b32_e32 v7, 0xff, v6
.LBB487_51:
	s_or_b64 exec, exec, s[0:1]
	v_cmp_eq_u32_e32 vcc, 0, v5
	s_and_saveexec_b64 s[0:1], vcc
	s_cbranch_execz .LBB487_53
; %bb.52:
	s_waitcnt lgkmcnt(1)
	v_lshrrev_b32_e32 v3, 2, v0
	v_and_b32_e32 v3, 16, v3
	ds_write_b8 v3, v6 offset:32
	ds_write_b64 v3, v[1:2] offset:40
.LBB487_53:
	s_or_b64 exec, exec, s[0:1]
	v_cmp_gt_u32_e32 vcc, 2, v0
	s_waitcnt lgkmcnt(0)
	s_barrier
	s_and_saveexec_b64 s[0:1], vcc
	s_cbranch_execz .LBB487_61
; %bb.54:
	v_lshlrev_b32_e32 v1, 4, v5
	ds_read_u8 v6, v1 offset:32
	ds_read_b64 v[1:2], v1 offset:40
	v_or_b32_e32 v4, 4, v9
	s_add_i32 s4, s4, 63
	v_and_b32_e32 v5, 1, v5
	s_waitcnt lgkmcnt(1)
	v_and_b32_e32 v7, 0xff, v6
	s_waitcnt lgkmcnt(0)
	ds_bpermute_b32 v3, v4, v1
	ds_bpermute_b32 v8, v4, v7
	;; [unrolled: 1-line block ×3, first 2 shown]
	s_lshr_b32 s2, s4, 6
	v_add_u32_e32 v5, 1, v5
	v_cmp_gt_u32_e32 vcc, s2, v5
	s_and_saveexec_b64 s[2:3], vcc
	s_cbranch_execz .LBB487_60
; %bb.55:
	s_waitcnt lgkmcnt(1)
	v_and_b32_e32 v5, v7, v8
	v_and_b32_e32 v5, 1, v5
	v_cmp_eq_u32_e32 vcc, 1, v5
	s_and_saveexec_b64 s[4:5], vcc
	s_xor_b64 s[4:5], exec, s[4:5]
	s_cbranch_execz .LBB487_57
; %bb.56:
	s_waitcnt lgkmcnt(0)
	v_cmp_lt_i64_e32 vcc, v[3:4], v[1:2]
                                        ; implicit-def: $vgpr6
                                        ; implicit-def: $vgpr8
	v_cndmask_b32_e32 v2, v2, v4, vcc
	v_cndmask_b32_e32 v1, v1, v3, vcc
                                        ; implicit-def: $vgpr3_vgpr4
.LBB487_57:
	s_or_saveexec_b64 s[4:5], s[4:5]
	v_mov_b32_e32 v7, 1
	s_xor_b64 exec, exec, s[4:5]
	s_cbranch_execz .LBB487_59
; %bb.58:
	v_and_b32_e32 v5, 1, v6
	v_cmp_eq_u32_e32 vcc, 1, v5
	s_waitcnt lgkmcnt(0)
	v_cndmask_b32_e32 v2, v4, v2, vcc
	v_cndmask_b32_e32 v1, v3, v1, vcc
	v_cndmask_b32_e64 v7, v8, 1, vcc
.LBB487_59:
	s_or_b64 exec, exec, s[4:5]
.LBB487_60:
	s_or_b64 exec, exec, s[2:3]
.LBB487_61:
	s_or_b64 exec, exec, s[0:1]
.LBB487_62:
	v_cmp_eq_u32_e32 vcc, 0, v0
	s_and_saveexec_b64 s[0:1], vcc
	s_cbranch_execnz .LBB487_64
; %bb.63:
	s_endpgm
.LBB487_64:
	s_mul_i32 s0, s22, s21
	s_mul_hi_u32 s1, s22, s20
	s_add_i32 s0, s1, s0
	s_mul_i32 s1, s23, s20
	s_add_i32 s1, s0, s1
	s_mul_i32 s0, s22, s20
	s_lshl_b64 s[0:1], s[0:1], 4
	s_add_u32 s2, s18, s0
	s_addc_u32 s3, s19, s1
	s_cmp_eq_u64 s[16:17], 0
	s_waitcnt lgkmcnt(0)
	v_mov_b32_e32 v0, s9
	s_cselect_b64 vcc, -1, 0
	v_cndmask_b32_e32 v2, v2, v0, vcc
	v_mov_b32_e32 v0, s8
	s_lshl_b64 s[0:1], s[6:7], 4
	v_cndmask_b32_e32 v1, v1, v0, vcc
	v_mov_b32_e32 v0, s10
	s_add_u32 s0, s2, s0
	v_cndmask_b32_e32 v0, v7, v0, vcc
	s_addc_u32 s1, s3, s1
	v_mov_b32_e32 v3, 0
	global_store_byte v3, v0, s[0:1]
	global_store_dwordx2 v3, v[1:2], s[0:1] offset:8
	s_endpgm
	.section	.rodata,"a",@progbits
	.p2align	6, 0x0
	.amdhsa_kernel _ZN7rocprim17ROCPRIM_400000_NS6detail17trampoline_kernelINS0_14default_configENS1_22reduce_config_selectorIN6thrust23THRUST_200600_302600_NS5tupleIblNS6_9null_typeES8_S8_S8_S8_S8_S8_S8_EEEEZNS1_11reduce_implILb1ES3_NS6_12zip_iteratorINS7_INS6_11hip_rocprim26transform_input_iterator_tIbNSD_35transform_pair_of_input_iterators_tIbNS6_6detail15normal_iteratorINS6_10device_ptrIKjEEEESL_NS6_8equal_toIjEEEENSG_9not_fun_tINSD_8identityEEEEENSD_19counting_iterator_tIlEES8_S8_S8_S8_S8_S8_S8_S8_EEEEPS9_S9_NSD_9__find_if7functorIS9_EEEE10hipError_tPvRmT1_T2_T3_mT4_P12ihipStream_tbEUlT_E0_NS1_11comp_targetILNS1_3genE2ELNS1_11target_archE906ELNS1_3gpuE6ELNS1_3repE0EEENS1_30default_config_static_selectorELNS0_4arch9wavefront6targetE1EEEvS14_
		.amdhsa_group_segment_fixed_size 64
		.amdhsa_private_segment_fixed_size 0
		.amdhsa_kernarg_size 104
		.amdhsa_user_sgpr_count 6
		.amdhsa_user_sgpr_private_segment_buffer 1
		.amdhsa_user_sgpr_dispatch_ptr 0
		.amdhsa_user_sgpr_queue_ptr 0
		.amdhsa_user_sgpr_kernarg_segment_ptr 1
		.amdhsa_user_sgpr_dispatch_id 0
		.amdhsa_user_sgpr_flat_scratch_init 0
		.amdhsa_user_sgpr_private_segment_size 0
		.amdhsa_uses_dynamic_stack 0
		.amdhsa_system_sgpr_private_segment_wavefront_offset 0
		.amdhsa_system_sgpr_workgroup_id_x 1
		.amdhsa_system_sgpr_workgroup_id_y 0
		.amdhsa_system_sgpr_workgroup_id_z 0
		.amdhsa_system_sgpr_workgroup_info 0
		.amdhsa_system_vgpr_workitem_id 0
		.amdhsa_next_free_vgpr 14
		.amdhsa_next_free_sgpr 30
		.amdhsa_reserve_vcc 1
		.amdhsa_reserve_flat_scratch 0
		.amdhsa_float_round_mode_32 0
		.amdhsa_float_round_mode_16_64 0
		.amdhsa_float_denorm_mode_32 3
		.amdhsa_float_denorm_mode_16_64 3
		.amdhsa_dx10_clamp 1
		.amdhsa_ieee_mode 1
		.amdhsa_fp16_overflow 0
		.amdhsa_exception_fp_ieee_invalid_op 0
		.amdhsa_exception_fp_denorm_src 0
		.amdhsa_exception_fp_ieee_div_zero 0
		.amdhsa_exception_fp_ieee_overflow 0
		.amdhsa_exception_fp_ieee_underflow 0
		.amdhsa_exception_fp_ieee_inexact 0
		.amdhsa_exception_int_div_zero 0
	.end_amdhsa_kernel
	.section	.text._ZN7rocprim17ROCPRIM_400000_NS6detail17trampoline_kernelINS0_14default_configENS1_22reduce_config_selectorIN6thrust23THRUST_200600_302600_NS5tupleIblNS6_9null_typeES8_S8_S8_S8_S8_S8_S8_EEEEZNS1_11reduce_implILb1ES3_NS6_12zip_iteratorINS7_INS6_11hip_rocprim26transform_input_iterator_tIbNSD_35transform_pair_of_input_iterators_tIbNS6_6detail15normal_iteratorINS6_10device_ptrIKjEEEESL_NS6_8equal_toIjEEEENSG_9not_fun_tINSD_8identityEEEEENSD_19counting_iterator_tIlEES8_S8_S8_S8_S8_S8_S8_S8_EEEEPS9_S9_NSD_9__find_if7functorIS9_EEEE10hipError_tPvRmT1_T2_T3_mT4_P12ihipStream_tbEUlT_E0_NS1_11comp_targetILNS1_3genE2ELNS1_11target_archE906ELNS1_3gpuE6ELNS1_3repE0EEENS1_30default_config_static_selectorELNS0_4arch9wavefront6targetE1EEEvS14_,"axG",@progbits,_ZN7rocprim17ROCPRIM_400000_NS6detail17trampoline_kernelINS0_14default_configENS1_22reduce_config_selectorIN6thrust23THRUST_200600_302600_NS5tupleIblNS6_9null_typeES8_S8_S8_S8_S8_S8_S8_EEEEZNS1_11reduce_implILb1ES3_NS6_12zip_iteratorINS7_INS6_11hip_rocprim26transform_input_iterator_tIbNSD_35transform_pair_of_input_iterators_tIbNS6_6detail15normal_iteratorINS6_10device_ptrIKjEEEESL_NS6_8equal_toIjEEEENSG_9not_fun_tINSD_8identityEEEEENSD_19counting_iterator_tIlEES8_S8_S8_S8_S8_S8_S8_S8_EEEEPS9_S9_NSD_9__find_if7functorIS9_EEEE10hipError_tPvRmT1_T2_T3_mT4_P12ihipStream_tbEUlT_E0_NS1_11comp_targetILNS1_3genE2ELNS1_11target_archE906ELNS1_3gpuE6ELNS1_3repE0EEENS1_30default_config_static_selectorELNS0_4arch9wavefront6targetE1EEEvS14_,comdat
.Lfunc_end487:
	.size	_ZN7rocprim17ROCPRIM_400000_NS6detail17trampoline_kernelINS0_14default_configENS1_22reduce_config_selectorIN6thrust23THRUST_200600_302600_NS5tupleIblNS6_9null_typeES8_S8_S8_S8_S8_S8_S8_EEEEZNS1_11reduce_implILb1ES3_NS6_12zip_iteratorINS7_INS6_11hip_rocprim26transform_input_iterator_tIbNSD_35transform_pair_of_input_iterators_tIbNS6_6detail15normal_iteratorINS6_10device_ptrIKjEEEESL_NS6_8equal_toIjEEEENSG_9not_fun_tINSD_8identityEEEEENSD_19counting_iterator_tIlEES8_S8_S8_S8_S8_S8_S8_S8_EEEEPS9_S9_NSD_9__find_if7functorIS9_EEEE10hipError_tPvRmT1_T2_T3_mT4_P12ihipStream_tbEUlT_E0_NS1_11comp_targetILNS1_3genE2ELNS1_11target_archE906ELNS1_3gpuE6ELNS1_3repE0EEENS1_30default_config_static_selectorELNS0_4arch9wavefront6targetE1EEEvS14_, .Lfunc_end487-_ZN7rocprim17ROCPRIM_400000_NS6detail17trampoline_kernelINS0_14default_configENS1_22reduce_config_selectorIN6thrust23THRUST_200600_302600_NS5tupleIblNS6_9null_typeES8_S8_S8_S8_S8_S8_S8_EEEEZNS1_11reduce_implILb1ES3_NS6_12zip_iteratorINS7_INS6_11hip_rocprim26transform_input_iterator_tIbNSD_35transform_pair_of_input_iterators_tIbNS6_6detail15normal_iteratorINS6_10device_ptrIKjEEEESL_NS6_8equal_toIjEEEENSG_9not_fun_tINSD_8identityEEEEENSD_19counting_iterator_tIlEES8_S8_S8_S8_S8_S8_S8_S8_EEEEPS9_S9_NSD_9__find_if7functorIS9_EEEE10hipError_tPvRmT1_T2_T3_mT4_P12ihipStream_tbEUlT_E0_NS1_11comp_targetILNS1_3genE2ELNS1_11target_archE906ELNS1_3gpuE6ELNS1_3repE0EEENS1_30default_config_static_selectorELNS0_4arch9wavefront6targetE1EEEvS14_
                                        ; -- End function
	.set _ZN7rocprim17ROCPRIM_400000_NS6detail17trampoline_kernelINS0_14default_configENS1_22reduce_config_selectorIN6thrust23THRUST_200600_302600_NS5tupleIblNS6_9null_typeES8_S8_S8_S8_S8_S8_S8_EEEEZNS1_11reduce_implILb1ES3_NS6_12zip_iteratorINS7_INS6_11hip_rocprim26transform_input_iterator_tIbNSD_35transform_pair_of_input_iterators_tIbNS6_6detail15normal_iteratorINS6_10device_ptrIKjEEEESL_NS6_8equal_toIjEEEENSG_9not_fun_tINSD_8identityEEEEENSD_19counting_iterator_tIlEES8_S8_S8_S8_S8_S8_S8_S8_EEEEPS9_S9_NSD_9__find_if7functorIS9_EEEE10hipError_tPvRmT1_T2_T3_mT4_P12ihipStream_tbEUlT_E0_NS1_11comp_targetILNS1_3genE2ELNS1_11target_archE906ELNS1_3gpuE6ELNS1_3repE0EEENS1_30default_config_static_selectorELNS0_4arch9wavefront6targetE1EEEvS14_.num_vgpr, 14
	.set _ZN7rocprim17ROCPRIM_400000_NS6detail17trampoline_kernelINS0_14default_configENS1_22reduce_config_selectorIN6thrust23THRUST_200600_302600_NS5tupleIblNS6_9null_typeES8_S8_S8_S8_S8_S8_S8_EEEEZNS1_11reduce_implILb1ES3_NS6_12zip_iteratorINS7_INS6_11hip_rocprim26transform_input_iterator_tIbNSD_35transform_pair_of_input_iterators_tIbNS6_6detail15normal_iteratorINS6_10device_ptrIKjEEEESL_NS6_8equal_toIjEEEENSG_9not_fun_tINSD_8identityEEEEENSD_19counting_iterator_tIlEES8_S8_S8_S8_S8_S8_S8_S8_EEEEPS9_S9_NSD_9__find_if7functorIS9_EEEE10hipError_tPvRmT1_T2_T3_mT4_P12ihipStream_tbEUlT_E0_NS1_11comp_targetILNS1_3genE2ELNS1_11target_archE906ELNS1_3gpuE6ELNS1_3repE0EEENS1_30default_config_static_selectorELNS0_4arch9wavefront6targetE1EEEvS14_.num_agpr, 0
	.set _ZN7rocprim17ROCPRIM_400000_NS6detail17trampoline_kernelINS0_14default_configENS1_22reduce_config_selectorIN6thrust23THRUST_200600_302600_NS5tupleIblNS6_9null_typeES8_S8_S8_S8_S8_S8_S8_EEEEZNS1_11reduce_implILb1ES3_NS6_12zip_iteratorINS7_INS6_11hip_rocprim26transform_input_iterator_tIbNSD_35transform_pair_of_input_iterators_tIbNS6_6detail15normal_iteratorINS6_10device_ptrIKjEEEESL_NS6_8equal_toIjEEEENSG_9not_fun_tINSD_8identityEEEEENSD_19counting_iterator_tIlEES8_S8_S8_S8_S8_S8_S8_S8_EEEEPS9_S9_NSD_9__find_if7functorIS9_EEEE10hipError_tPvRmT1_T2_T3_mT4_P12ihipStream_tbEUlT_E0_NS1_11comp_targetILNS1_3genE2ELNS1_11target_archE906ELNS1_3gpuE6ELNS1_3repE0EEENS1_30default_config_static_selectorELNS0_4arch9wavefront6targetE1EEEvS14_.numbered_sgpr, 30
	.set _ZN7rocprim17ROCPRIM_400000_NS6detail17trampoline_kernelINS0_14default_configENS1_22reduce_config_selectorIN6thrust23THRUST_200600_302600_NS5tupleIblNS6_9null_typeES8_S8_S8_S8_S8_S8_S8_EEEEZNS1_11reduce_implILb1ES3_NS6_12zip_iteratorINS7_INS6_11hip_rocprim26transform_input_iterator_tIbNSD_35transform_pair_of_input_iterators_tIbNS6_6detail15normal_iteratorINS6_10device_ptrIKjEEEESL_NS6_8equal_toIjEEEENSG_9not_fun_tINSD_8identityEEEEENSD_19counting_iterator_tIlEES8_S8_S8_S8_S8_S8_S8_S8_EEEEPS9_S9_NSD_9__find_if7functorIS9_EEEE10hipError_tPvRmT1_T2_T3_mT4_P12ihipStream_tbEUlT_E0_NS1_11comp_targetILNS1_3genE2ELNS1_11target_archE906ELNS1_3gpuE6ELNS1_3repE0EEENS1_30default_config_static_selectorELNS0_4arch9wavefront6targetE1EEEvS14_.num_named_barrier, 0
	.set _ZN7rocprim17ROCPRIM_400000_NS6detail17trampoline_kernelINS0_14default_configENS1_22reduce_config_selectorIN6thrust23THRUST_200600_302600_NS5tupleIblNS6_9null_typeES8_S8_S8_S8_S8_S8_S8_EEEEZNS1_11reduce_implILb1ES3_NS6_12zip_iteratorINS7_INS6_11hip_rocprim26transform_input_iterator_tIbNSD_35transform_pair_of_input_iterators_tIbNS6_6detail15normal_iteratorINS6_10device_ptrIKjEEEESL_NS6_8equal_toIjEEEENSG_9not_fun_tINSD_8identityEEEEENSD_19counting_iterator_tIlEES8_S8_S8_S8_S8_S8_S8_S8_EEEEPS9_S9_NSD_9__find_if7functorIS9_EEEE10hipError_tPvRmT1_T2_T3_mT4_P12ihipStream_tbEUlT_E0_NS1_11comp_targetILNS1_3genE2ELNS1_11target_archE906ELNS1_3gpuE6ELNS1_3repE0EEENS1_30default_config_static_selectorELNS0_4arch9wavefront6targetE1EEEvS14_.private_seg_size, 0
	.set _ZN7rocprim17ROCPRIM_400000_NS6detail17trampoline_kernelINS0_14default_configENS1_22reduce_config_selectorIN6thrust23THRUST_200600_302600_NS5tupleIblNS6_9null_typeES8_S8_S8_S8_S8_S8_S8_EEEEZNS1_11reduce_implILb1ES3_NS6_12zip_iteratorINS7_INS6_11hip_rocprim26transform_input_iterator_tIbNSD_35transform_pair_of_input_iterators_tIbNS6_6detail15normal_iteratorINS6_10device_ptrIKjEEEESL_NS6_8equal_toIjEEEENSG_9not_fun_tINSD_8identityEEEEENSD_19counting_iterator_tIlEES8_S8_S8_S8_S8_S8_S8_S8_EEEEPS9_S9_NSD_9__find_if7functorIS9_EEEE10hipError_tPvRmT1_T2_T3_mT4_P12ihipStream_tbEUlT_E0_NS1_11comp_targetILNS1_3genE2ELNS1_11target_archE906ELNS1_3gpuE6ELNS1_3repE0EEENS1_30default_config_static_selectorELNS0_4arch9wavefront6targetE1EEEvS14_.uses_vcc, 1
	.set _ZN7rocprim17ROCPRIM_400000_NS6detail17trampoline_kernelINS0_14default_configENS1_22reduce_config_selectorIN6thrust23THRUST_200600_302600_NS5tupleIblNS6_9null_typeES8_S8_S8_S8_S8_S8_S8_EEEEZNS1_11reduce_implILb1ES3_NS6_12zip_iteratorINS7_INS6_11hip_rocprim26transform_input_iterator_tIbNSD_35transform_pair_of_input_iterators_tIbNS6_6detail15normal_iteratorINS6_10device_ptrIKjEEEESL_NS6_8equal_toIjEEEENSG_9not_fun_tINSD_8identityEEEEENSD_19counting_iterator_tIlEES8_S8_S8_S8_S8_S8_S8_S8_EEEEPS9_S9_NSD_9__find_if7functorIS9_EEEE10hipError_tPvRmT1_T2_T3_mT4_P12ihipStream_tbEUlT_E0_NS1_11comp_targetILNS1_3genE2ELNS1_11target_archE906ELNS1_3gpuE6ELNS1_3repE0EEENS1_30default_config_static_selectorELNS0_4arch9wavefront6targetE1EEEvS14_.uses_flat_scratch, 0
	.set _ZN7rocprim17ROCPRIM_400000_NS6detail17trampoline_kernelINS0_14default_configENS1_22reduce_config_selectorIN6thrust23THRUST_200600_302600_NS5tupleIblNS6_9null_typeES8_S8_S8_S8_S8_S8_S8_EEEEZNS1_11reduce_implILb1ES3_NS6_12zip_iteratorINS7_INS6_11hip_rocprim26transform_input_iterator_tIbNSD_35transform_pair_of_input_iterators_tIbNS6_6detail15normal_iteratorINS6_10device_ptrIKjEEEESL_NS6_8equal_toIjEEEENSG_9not_fun_tINSD_8identityEEEEENSD_19counting_iterator_tIlEES8_S8_S8_S8_S8_S8_S8_S8_EEEEPS9_S9_NSD_9__find_if7functorIS9_EEEE10hipError_tPvRmT1_T2_T3_mT4_P12ihipStream_tbEUlT_E0_NS1_11comp_targetILNS1_3genE2ELNS1_11target_archE906ELNS1_3gpuE6ELNS1_3repE0EEENS1_30default_config_static_selectorELNS0_4arch9wavefront6targetE1EEEvS14_.has_dyn_sized_stack, 0
	.set _ZN7rocprim17ROCPRIM_400000_NS6detail17trampoline_kernelINS0_14default_configENS1_22reduce_config_selectorIN6thrust23THRUST_200600_302600_NS5tupleIblNS6_9null_typeES8_S8_S8_S8_S8_S8_S8_EEEEZNS1_11reduce_implILb1ES3_NS6_12zip_iteratorINS7_INS6_11hip_rocprim26transform_input_iterator_tIbNSD_35transform_pair_of_input_iterators_tIbNS6_6detail15normal_iteratorINS6_10device_ptrIKjEEEESL_NS6_8equal_toIjEEEENSG_9not_fun_tINSD_8identityEEEEENSD_19counting_iterator_tIlEES8_S8_S8_S8_S8_S8_S8_S8_EEEEPS9_S9_NSD_9__find_if7functorIS9_EEEE10hipError_tPvRmT1_T2_T3_mT4_P12ihipStream_tbEUlT_E0_NS1_11comp_targetILNS1_3genE2ELNS1_11target_archE906ELNS1_3gpuE6ELNS1_3repE0EEENS1_30default_config_static_selectorELNS0_4arch9wavefront6targetE1EEEvS14_.has_recursion, 0
	.set _ZN7rocprim17ROCPRIM_400000_NS6detail17trampoline_kernelINS0_14default_configENS1_22reduce_config_selectorIN6thrust23THRUST_200600_302600_NS5tupleIblNS6_9null_typeES8_S8_S8_S8_S8_S8_S8_EEEEZNS1_11reduce_implILb1ES3_NS6_12zip_iteratorINS7_INS6_11hip_rocprim26transform_input_iterator_tIbNSD_35transform_pair_of_input_iterators_tIbNS6_6detail15normal_iteratorINS6_10device_ptrIKjEEEESL_NS6_8equal_toIjEEEENSG_9not_fun_tINSD_8identityEEEEENSD_19counting_iterator_tIlEES8_S8_S8_S8_S8_S8_S8_S8_EEEEPS9_S9_NSD_9__find_if7functorIS9_EEEE10hipError_tPvRmT1_T2_T3_mT4_P12ihipStream_tbEUlT_E0_NS1_11comp_targetILNS1_3genE2ELNS1_11target_archE906ELNS1_3gpuE6ELNS1_3repE0EEENS1_30default_config_static_selectorELNS0_4arch9wavefront6targetE1EEEvS14_.has_indirect_call, 0
	.section	.AMDGPU.csdata,"",@progbits
; Kernel info:
; codeLenInByte = 2792
; TotalNumSgprs: 34
; NumVgprs: 14
; ScratchSize: 0
; MemoryBound: 0
; FloatMode: 240
; IeeeMode: 1
; LDSByteSize: 64 bytes/workgroup (compile time only)
; SGPRBlocks: 4
; VGPRBlocks: 3
; NumSGPRsForWavesPerEU: 34
; NumVGPRsForWavesPerEU: 14
; Occupancy: 10
; WaveLimiterHint : 0
; COMPUTE_PGM_RSRC2:SCRATCH_EN: 0
; COMPUTE_PGM_RSRC2:USER_SGPR: 6
; COMPUTE_PGM_RSRC2:TRAP_HANDLER: 0
; COMPUTE_PGM_RSRC2:TGID_X_EN: 1
; COMPUTE_PGM_RSRC2:TGID_Y_EN: 0
; COMPUTE_PGM_RSRC2:TGID_Z_EN: 0
; COMPUTE_PGM_RSRC2:TIDIG_COMP_CNT: 0
	.section	.text._ZN7rocprim17ROCPRIM_400000_NS6detail17trampoline_kernelINS0_14default_configENS1_22reduce_config_selectorIN6thrust23THRUST_200600_302600_NS5tupleIblNS6_9null_typeES8_S8_S8_S8_S8_S8_S8_EEEEZNS1_11reduce_implILb1ES3_NS6_12zip_iteratorINS7_INS6_11hip_rocprim26transform_input_iterator_tIbNSD_35transform_pair_of_input_iterators_tIbNS6_6detail15normal_iteratorINS6_10device_ptrIKjEEEESL_NS6_8equal_toIjEEEENSG_9not_fun_tINSD_8identityEEEEENSD_19counting_iterator_tIlEES8_S8_S8_S8_S8_S8_S8_S8_EEEEPS9_S9_NSD_9__find_if7functorIS9_EEEE10hipError_tPvRmT1_T2_T3_mT4_P12ihipStream_tbEUlT_E0_NS1_11comp_targetILNS1_3genE10ELNS1_11target_archE1201ELNS1_3gpuE5ELNS1_3repE0EEENS1_30default_config_static_selectorELNS0_4arch9wavefront6targetE1EEEvS14_,"axG",@progbits,_ZN7rocprim17ROCPRIM_400000_NS6detail17trampoline_kernelINS0_14default_configENS1_22reduce_config_selectorIN6thrust23THRUST_200600_302600_NS5tupleIblNS6_9null_typeES8_S8_S8_S8_S8_S8_S8_EEEEZNS1_11reduce_implILb1ES3_NS6_12zip_iteratorINS7_INS6_11hip_rocprim26transform_input_iterator_tIbNSD_35transform_pair_of_input_iterators_tIbNS6_6detail15normal_iteratorINS6_10device_ptrIKjEEEESL_NS6_8equal_toIjEEEENSG_9not_fun_tINSD_8identityEEEEENSD_19counting_iterator_tIlEES8_S8_S8_S8_S8_S8_S8_S8_EEEEPS9_S9_NSD_9__find_if7functorIS9_EEEE10hipError_tPvRmT1_T2_T3_mT4_P12ihipStream_tbEUlT_E0_NS1_11comp_targetILNS1_3genE10ELNS1_11target_archE1201ELNS1_3gpuE5ELNS1_3repE0EEENS1_30default_config_static_selectorELNS0_4arch9wavefront6targetE1EEEvS14_,comdat
	.protected	_ZN7rocprim17ROCPRIM_400000_NS6detail17trampoline_kernelINS0_14default_configENS1_22reduce_config_selectorIN6thrust23THRUST_200600_302600_NS5tupleIblNS6_9null_typeES8_S8_S8_S8_S8_S8_S8_EEEEZNS1_11reduce_implILb1ES3_NS6_12zip_iteratorINS7_INS6_11hip_rocprim26transform_input_iterator_tIbNSD_35transform_pair_of_input_iterators_tIbNS6_6detail15normal_iteratorINS6_10device_ptrIKjEEEESL_NS6_8equal_toIjEEEENSG_9not_fun_tINSD_8identityEEEEENSD_19counting_iterator_tIlEES8_S8_S8_S8_S8_S8_S8_S8_EEEEPS9_S9_NSD_9__find_if7functorIS9_EEEE10hipError_tPvRmT1_T2_T3_mT4_P12ihipStream_tbEUlT_E0_NS1_11comp_targetILNS1_3genE10ELNS1_11target_archE1201ELNS1_3gpuE5ELNS1_3repE0EEENS1_30default_config_static_selectorELNS0_4arch9wavefront6targetE1EEEvS14_ ; -- Begin function _ZN7rocprim17ROCPRIM_400000_NS6detail17trampoline_kernelINS0_14default_configENS1_22reduce_config_selectorIN6thrust23THRUST_200600_302600_NS5tupleIblNS6_9null_typeES8_S8_S8_S8_S8_S8_S8_EEEEZNS1_11reduce_implILb1ES3_NS6_12zip_iteratorINS7_INS6_11hip_rocprim26transform_input_iterator_tIbNSD_35transform_pair_of_input_iterators_tIbNS6_6detail15normal_iteratorINS6_10device_ptrIKjEEEESL_NS6_8equal_toIjEEEENSG_9not_fun_tINSD_8identityEEEEENSD_19counting_iterator_tIlEES8_S8_S8_S8_S8_S8_S8_S8_EEEEPS9_S9_NSD_9__find_if7functorIS9_EEEE10hipError_tPvRmT1_T2_T3_mT4_P12ihipStream_tbEUlT_E0_NS1_11comp_targetILNS1_3genE10ELNS1_11target_archE1201ELNS1_3gpuE5ELNS1_3repE0EEENS1_30default_config_static_selectorELNS0_4arch9wavefront6targetE1EEEvS14_
	.globl	_ZN7rocprim17ROCPRIM_400000_NS6detail17trampoline_kernelINS0_14default_configENS1_22reduce_config_selectorIN6thrust23THRUST_200600_302600_NS5tupleIblNS6_9null_typeES8_S8_S8_S8_S8_S8_S8_EEEEZNS1_11reduce_implILb1ES3_NS6_12zip_iteratorINS7_INS6_11hip_rocprim26transform_input_iterator_tIbNSD_35transform_pair_of_input_iterators_tIbNS6_6detail15normal_iteratorINS6_10device_ptrIKjEEEESL_NS6_8equal_toIjEEEENSG_9not_fun_tINSD_8identityEEEEENSD_19counting_iterator_tIlEES8_S8_S8_S8_S8_S8_S8_S8_EEEEPS9_S9_NSD_9__find_if7functorIS9_EEEE10hipError_tPvRmT1_T2_T3_mT4_P12ihipStream_tbEUlT_E0_NS1_11comp_targetILNS1_3genE10ELNS1_11target_archE1201ELNS1_3gpuE5ELNS1_3repE0EEENS1_30default_config_static_selectorELNS0_4arch9wavefront6targetE1EEEvS14_
	.p2align	8
	.type	_ZN7rocprim17ROCPRIM_400000_NS6detail17trampoline_kernelINS0_14default_configENS1_22reduce_config_selectorIN6thrust23THRUST_200600_302600_NS5tupleIblNS6_9null_typeES8_S8_S8_S8_S8_S8_S8_EEEEZNS1_11reduce_implILb1ES3_NS6_12zip_iteratorINS7_INS6_11hip_rocprim26transform_input_iterator_tIbNSD_35transform_pair_of_input_iterators_tIbNS6_6detail15normal_iteratorINS6_10device_ptrIKjEEEESL_NS6_8equal_toIjEEEENSG_9not_fun_tINSD_8identityEEEEENSD_19counting_iterator_tIlEES8_S8_S8_S8_S8_S8_S8_S8_EEEEPS9_S9_NSD_9__find_if7functorIS9_EEEE10hipError_tPvRmT1_T2_T3_mT4_P12ihipStream_tbEUlT_E0_NS1_11comp_targetILNS1_3genE10ELNS1_11target_archE1201ELNS1_3gpuE5ELNS1_3repE0EEENS1_30default_config_static_selectorELNS0_4arch9wavefront6targetE1EEEvS14_,@function
_ZN7rocprim17ROCPRIM_400000_NS6detail17trampoline_kernelINS0_14default_configENS1_22reduce_config_selectorIN6thrust23THRUST_200600_302600_NS5tupleIblNS6_9null_typeES8_S8_S8_S8_S8_S8_S8_EEEEZNS1_11reduce_implILb1ES3_NS6_12zip_iteratorINS7_INS6_11hip_rocprim26transform_input_iterator_tIbNSD_35transform_pair_of_input_iterators_tIbNS6_6detail15normal_iteratorINS6_10device_ptrIKjEEEESL_NS6_8equal_toIjEEEENSG_9not_fun_tINSD_8identityEEEEENSD_19counting_iterator_tIlEES8_S8_S8_S8_S8_S8_S8_S8_EEEEPS9_S9_NSD_9__find_if7functorIS9_EEEE10hipError_tPvRmT1_T2_T3_mT4_P12ihipStream_tbEUlT_E0_NS1_11comp_targetILNS1_3genE10ELNS1_11target_archE1201ELNS1_3gpuE5ELNS1_3repE0EEENS1_30default_config_static_selectorELNS0_4arch9wavefront6targetE1EEEvS14_: ; @_ZN7rocprim17ROCPRIM_400000_NS6detail17trampoline_kernelINS0_14default_configENS1_22reduce_config_selectorIN6thrust23THRUST_200600_302600_NS5tupleIblNS6_9null_typeES8_S8_S8_S8_S8_S8_S8_EEEEZNS1_11reduce_implILb1ES3_NS6_12zip_iteratorINS7_INS6_11hip_rocprim26transform_input_iterator_tIbNSD_35transform_pair_of_input_iterators_tIbNS6_6detail15normal_iteratorINS6_10device_ptrIKjEEEESL_NS6_8equal_toIjEEEENSG_9not_fun_tINSD_8identityEEEEENSD_19counting_iterator_tIlEES8_S8_S8_S8_S8_S8_S8_S8_EEEEPS9_S9_NSD_9__find_if7functorIS9_EEEE10hipError_tPvRmT1_T2_T3_mT4_P12ihipStream_tbEUlT_E0_NS1_11comp_targetILNS1_3genE10ELNS1_11target_archE1201ELNS1_3gpuE5ELNS1_3repE0EEENS1_30default_config_static_selectorELNS0_4arch9wavefront6targetE1EEEvS14_
; %bb.0:
	.section	.rodata,"a",@progbits
	.p2align	6, 0x0
	.amdhsa_kernel _ZN7rocprim17ROCPRIM_400000_NS6detail17trampoline_kernelINS0_14default_configENS1_22reduce_config_selectorIN6thrust23THRUST_200600_302600_NS5tupleIblNS6_9null_typeES8_S8_S8_S8_S8_S8_S8_EEEEZNS1_11reduce_implILb1ES3_NS6_12zip_iteratorINS7_INS6_11hip_rocprim26transform_input_iterator_tIbNSD_35transform_pair_of_input_iterators_tIbNS6_6detail15normal_iteratorINS6_10device_ptrIKjEEEESL_NS6_8equal_toIjEEEENSG_9not_fun_tINSD_8identityEEEEENSD_19counting_iterator_tIlEES8_S8_S8_S8_S8_S8_S8_S8_EEEEPS9_S9_NSD_9__find_if7functorIS9_EEEE10hipError_tPvRmT1_T2_T3_mT4_P12ihipStream_tbEUlT_E0_NS1_11comp_targetILNS1_3genE10ELNS1_11target_archE1201ELNS1_3gpuE5ELNS1_3repE0EEENS1_30default_config_static_selectorELNS0_4arch9wavefront6targetE1EEEvS14_
		.amdhsa_group_segment_fixed_size 0
		.amdhsa_private_segment_fixed_size 0
		.amdhsa_kernarg_size 104
		.amdhsa_user_sgpr_count 6
		.amdhsa_user_sgpr_private_segment_buffer 1
		.amdhsa_user_sgpr_dispatch_ptr 0
		.amdhsa_user_sgpr_queue_ptr 0
		.amdhsa_user_sgpr_kernarg_segment_ptr 1
		.amdhsa_user_sgpr_dispatch_id 0
		.amdhsa_user_sgpr_flat_scratch_init 0
		.amdhsa_user_sgpr_private_segment_size 0
		.amdhsa_uses_dynamic_stack 0
		.amdhsa_system_sgpr_private_segment_wavefront_offset 0
		.amdhsa_system_sgpr_workgroup_id_x 1
		.amdhsa_system_sgpr_workgroup_id_y 0
		.amdhsa_system_sgpr_workgroup_id_z 0
		.amdhsa_system_sgpr_workgroup_info 0
		.amdhsa_system_vgpr_workitem_id 0
		.amdhsa_next_free_vgpr 1
		.amdhsa_next_free_sgpr 0
		.amdhsa_reserve_vcc 0
		.amdhsa_reserve_flat_scratch 0
		.amdhsa_float_round_mode_32 0
		.amdhsa_float_round_mode_16_64 0
		.amdhsa_float_denorm_mode_32 3
		.amdhsa_float_denorm_mode_16_64 3
		.amdhsa_dx10_clamp 1
		.amdhsa_ieee_mode 1
		.amdhsa_fp16_overflow 0
		.amdhsa_exception_fp_ieee_invalid_op 0
		.amdhsa_exception_fp_denorm_src 0
		.amdhsa_exception_fp_ieee_div_zero 0
		.amdhsa_exception_fp_ieee_overflow 0
		.amdhsa_exception_fp_ieee_underflow 0
		.amdhsa_exception_fp_ieee_inexact 0
		.amdhsa_exception_int_div_zero 0
	.end_amdhsa_kernel
	.section	.text._ZN7rocprim17ROCPRIM_400000_NS6detail17trampoline_kernelINS0_14default_configENS1_22reduce_config_selectorIN6thrust23THRUST_200600_302600_NS5tupleIblNS6_9null_typeES8_S8_S8_S8_S8_S8_S8_EEEEZNS1_11reduce_implILb1ES3_NS6_12zip_iteratorINS7_INS6_11hip_rocprim26transform_input_iterator_tIbNSD_35transform_pair_of_input_iterators_tIbNS6_6detail15normal_iteratorINS6_10device_ptrIKjEEEESL_NS6_8equal_toIjEEEENSG_9not_fun_tINSD_8identityEEEEENSD_19counting_iterator_tIlEES8_S8_S8_S8_S8_S8_S8_S8_EEEEPS9_S9_NSD_9__find_if7functorIS9_EEEE10hipError_tPvRmT1_T2_T3_mT4_P12ihipStream_tbEUlT_E0_NS1_11comp_targetILNS1_3genE10ELNS1_11target_archE1201ELNS1_3gpuE5ELNS1_3repE0EEENS1_30default_config_static_selectorELNS0_4arch9wavefront6targetE1EEEvS14_,"axG",@progbits,_ZN7rocprim17ROCPRIM_400000_NS6detail17trampoline_kernelINS0_14default_configENS1_22reduce_config_selectorIN6thrust23THRUST_200600_302600_NS5tupleIblNS6_9null_typeES8_S8_S8_S8_S8_S8_S8_EEEEZNS1_11reduce_implILb1ES3_NS6_12zip_iteratorINS7_INS6_11hip_rocprim26transform_input_iterator_tIbNSD_35transform_pair_of_input_iterators_tIbNS6_6detail15normal_iteratorINS6_10device_ptrIKjEEEESL_NS6_8equal_toIjEEEENSG_9not_fun_tINSD_8identityEEEEENSD_19counting_iterator_tIlEES8_S8_S8_S8_S8_S8_S8_S8_EEEEPS9_S9_NSD_9__find_if7functorIS9_EEEE10hipError_tPvRmT1_T2_T3_mT4_P12ihipStream_tbEUlT_E0_NS1_11comp_targetILNS1_3genE10ELNS1_11target_archE1201ELNS1_3gpuE5ELNS1_3repE0EEENS1_30default_config_static_selectorELNS0_4arch9wavefront6targetE1EEEvS14_,comdat
.Lfunc_end488:
	.size	_ZN7rocprim17ROCPRIM_400000_NS6detail17trampoline_kernelINS0_14default_configENS1_22reduce_config_selectorIN6thrust23THRUST_200600_302600_NS5tupleIblNS6_9null_typeES8_S8_S8_S8_S8_S8_S8_EEEEZNS1_11reduce_implILb1ES3_NS6_12zip_iteratorINS7_INS6_11hip_rocprim26transform_input_iterator_tIbNSD_35transform_pair_of_input_iterators_tIbNS6_6detail15normal_iteratorINS6_10device_ptrIKjEEEESL_NS6_8equal_toIjEEEENSG_9not_fun_tINSD_8identityEEEEENSD_19counting_iterator_tIlEES8_S8_S8_S8_S8_S8_S8_S8_EEEEPS9_S9_NSD_9__find_if7functorIS9_EEEE10hipError_tPvRmT1_T2_T3_mT4_P12ihipStream_tbEUlT_E0_NS1_11comp_targetILNS1_3genE10ELNS1_11target_archE1201ELNS1_3gpuE5ELNS1_3repE0EEENS1_30default_config_static_selectorELNS0_4arch9wavefront6targetE1EEEvS14_, .Lfunc_end488-_ZN7rocprim17ROCPRIM_400000_NS6detail17trampoline_kernelINS0_14default_configENS1_22reduce_config_selectorIN6thrust23THRUST_200600_302600_NS5tupleIblNS6_9null_typeES8_S8_S8_S8_S8_S8_S8_EEEEZNS1_11reduce_implILb1ES3_NS6_12zip_iteratorINS7_INS6_11hip_rocprim26transform_input_iterator_tIbNSD_35transform_pair_of_input_iterators_tIbNS6_6detail15normal_iteratorINS6_10device_ptrIKjEEEESL_NS6_8equal_toIjEEEENSG_9not_fun_tINSD_8identityEEEEENSD_19counting_iterator_tIlEES8_S8_S8_S8_S8_S8_S8_S8_EEEEPS9_S9_NSD_9__find_if7functorIS9_EEEE10hipError_tPvRmT1_T2_T3_mT4_P12ihipStream_tbEUlT_E0_NS1_11comp_targetILNS1_3genE10ELNS1_11target_archE1201ELNS1_3gpuE5ELNS1_3repE0EEENS1_30default_config_static_selectorELNS0_4arch9wavefront6targetE1EEEvS14_
                                        ; -- End function
	.set _ZN7rocprim17ROCPRIM_400000_NS6detail17trampoline_kernelINS0_14default_configENS1_22reduce_config_selectorIN6thrust23THRUST_200600_302600_NS5tupleIblNS6_9null_typeES8_S8_S8_S8_S8_S8_S8_EEEEZNS1_11reduce_implILb1ES3_NS6_12zip_iteratorINS7_INS6_11hip_rocprim26transform_input_iterator_tIbNSD_35transform_pair_of_input_iterators_tIbNS6_6detail15normal_iteratorINS6_10device_ptrIKjEEEESL_NS6_8equal_toIjEEEENSG_9not_fun_tINSD_8identityEEEEENSD_19counting_iterator_tIlEES8_S8_S8_S8_S8_S8_S8_S8_EEEEPS9_S9_NSD_9__find_if7functorIS9_EEEE10hipError_tPvRmT1_T2_T3_mT4_P12ihipStream_tbEUlT_E0_NS1_11comp_targetILNS1_3genE10ELNS1_11target_archE1201ELNS1_3gpuE5ELNS1_3repE0EEENS1_30default_config_static_selectorELNS0_4arch9wavefront6targetE1EEEvS14_.num_vgpr, 0
	.set _ZN7rocprim17ROCPRIM_400000_NS6detail17trampoline_kernelINS0_14default_configENS1_22reduce_config_selectorIN6thrust23THRUST_200600_302600_NS5tupleIblNS6_9null_typeES8_S8_S8_S8_S8_S8_S8_EEEEZNS1_11reduce_implILb1ES3_NS6_12zip_iteratorINS7_INS6_11hip_rocprim26transform_input_iterator_tIbNSD_35transform_pair_of_input_iterators_tIbNS6_6detail15normal_iteratorINS6_10device_ptrIKjEEEESL_NS6_8equal_toIjEEEENSG_9not_fun_tINSD_8identityEEEEENSD_19counting_iterator_tIlEES8_S8_S8_S8_S8_S8_S8_S8_EEEEPS9_S9_NSD_9__find_if7functorIS9_EEEE10hipError_tPvRmT1_T2_T3_mT4_P12ihipStream_tbEUlT_E0_NS1_11comp_targetILNS1_3genE10ELNS1_11target_archE1201ELNS1_3gpuE5ELNS1_3repE0EEENS1_30default_config_static_selectorELNS0_4arch9wavefront6targetE1EEEvS14_.num_agpr, 0
	.set _ZN7rocprim17ROCPRIM_400000_NS6detail17trampoline_kernelINS0_14default_configENS1_22reduce_config_selectorIN6thrust23THRUST_200600_302600_NS5tupleIblNS6_9null_typeES8_S8_S8_S8_S8_S8_S8_EEEEZNS1_11reduce_implILb1ES3_NS6_12zip_iteratorINS7_INS6_11hip_rocprim26transform_input_iterator_tIbNSD_35transform_pair_of_input_iterators_tIbNS6_6detail15normal_iteratorINS6_10device_ptrIKjEEEESL_NS6_8equal_toIjEEEENSG_9not_fun_tINSD_8identityEEEEENSD_19counting_iterator_tIlEES8_S8_S8_S8_S8_S8_S8_S8_EEEEPS9_S9_NSD_9__find_if7functorIS9_EEEE10hipError_tPvRmT1_T2_T3_mT4_P12ihipStream_tbEUlT_E0_NS1_11comp_targetILNS1_3genE10ELNS1_11target_archE1201ELNS1_3gpuE5ELNS1_3repE0EEENS1_30default_config_static_selectorELNS0_4arch9wavefront6targetE1EEEvS14_.numbered_sgpr, 0
	.set _ZN7rocprim17ROCPRIM_400000_NS6detail17trampoline_kernelINS0_14default_configENS1_22reduce_config_selectorIN6thrust23THRUST_200600_302600_NS5tupleIblNS6_9null_typeES8_S8_S8_S8_S8_S8_S8_EEEEZNS1_11reduce_implILb1ES3_NS6_12zip_iteratorINS7_INS6_11hip_rocprim26transform_input_iterator_tIbNSD_35transform_pair_of_input_iterators_tIbNS6_6detail15normal_iteratorINS6_10device_ptrIKjEEEESL_NS6_8equal_toIjEEEENSG_9not_fun_tINSD_8identityEEEEENSD_19counting_iterator_tIlEES8_S8_S8_S8_S8_S8_S8_S8_EEEEPS9_S9_NSD_9__find_if7functorIS9_EEEE10hipError_tPvRmT1_T2_T3_mT4_P12ihipStream_tbEUlT_E0_NS1_11comp_targetILNS1_3genE10ELNS1_11target_archE1201ELNS1_3gpuE5ELNS1_3repE0EEENS1_30default_config_static_selectorELNS0_4arch9wavefront6targetE1EEEvS14_.num_named_barrier, 0
	.set _ZN7rocprim17ROCPRIM_400000_NS6detail17trampoline_kernelINS0_14default_configENS1_22reduce_config_selectorIN6thrust23THRUST_200600_302600_NS5tupleIblNS6_9null_typeES8_S8_S8_S8_S8_S8_S8_EEEEZNS1_11reduce_implILb1ES3_NS6_12zip_iteratorINS7_INS6_11hip_rocprim26transform_input_iterator_tIbNSD_35transform_pair_of_input_iterators_tIbNS6_6detail15normal_iteratorINS6_10device_ptrIKjEEEESL_NS6_8equal_toIjEEEENSG_9not_fun_tINSD_8identityEEEEENSD_19counting_iterator_tIlEES8_S8_S8_S8_S8_S8_S8_S8_EEEEPS9_S9_NSD_9__find_if7functorIS9_EEEE10hipError_tPvRmT1_T2_T3_mT4_P12ihipStream_tbEUlT_E0_NS1_11comp_targetILNS1_3genE10ELNS1_11target_archE1201ELNS1_3gpuE5ELNS1_3repE0EEENS1_30default_config_static_selectorELNS0_4arch9wavefront6targetE1EEEvS14_.private_seg_size, 0
	.set _ZN7rocprim17ROCPRIM_400000_NS6detail17trampoline_kernelINS0_14default_configENS1_22reduce_config_selectorIN6thrust23THRUST_200600_302600_NS5tupleIblNS6_9null_typeES8_S8_S8_S8_S8_S8_S8_EEEEZNS1_11reduce_implILb1ES3_NS6_12zip_iteratorINS7_INS6_11hip_rocprim26transform_input_iterator_tIbNSD_35transform_pair_of_input_iterators_tIbNS6_6detail15normal_iteratorINS6_10device_ptrIKjEEEESL_NS6_8equal_toIjEEEENSG_9not_fun_tINSD_8identityEEEEENSD_19counting_iterator_tIlEES8_S8_S8_S8_S8_S8_S8_S8_EEEEPS9_S9_NSD_9__find_if7functorIS9_EEEE10hipError_tPvRmT1_T2_T3_mT4_P12ihipStream_tbEUlT_E0_NS1_11comp_targetILNS1_3genE10ELNS1_11target_archE1201ELNS1_3gpuE5ELNS1_3repE0EEENS1_30default_config_static_selectorELNS0_4arch9wavefront6targetE1EEEvS14_.uses_vcc, 0
	.set _ZN7rocprim17ROCPRIM_400000_NS6detail17trampoline_kernelINS0_14default_configENS1_22reduce_config_selectorIN6thrust23THRUST_200600_302600_NS5tupleIblNS6_9null_typeES8_S8_S8_S8_S8_S8_S8_EEEEZNS1_11reduce_implILb1ES3_NS6_12zip_iteratorINS7_INS6_11hip_rocprim26transform_input_iterator_tIbNSD_35transform_pair_of_input_iterators_tIbNS6_6detail15normal_iteratorINS6_10device_ptrIKjEEEESL_NS6_8equal_toIjEEEENSG_9not_fun_tINSD_8identityEEEEENSD_19counting_iterator_tIlEES8_S8_S8_S8_S8_S8_S8_S8_EEEEPS9_S9_NSD_9__find_if7functorIS9_EEEE10hipError_tPvRmT1_T2_T3_mT4_P12ihipStream_tbEUlT_E0_NS1_11comp_targetILNS1_3genE10ELNS1_11target_archE1201ELNS1_3gpuE5ELNS1_3repE0EEENS1_30default_config_static_selectorELNS0_4arch9wavefront6targetE1EEEvS14_.uses_flat_scratch, 0
	.set _ZN7rocprim17ROCPRIM_400000_NS6detail17trampoline_kernelINS0_14default_configENS1_22reduce_config_selectorIN6thrust23THRUST_200600_302600_NS5tupleIblNS6_9null_typeES8_S8_S8_S8_S8_S8_S8_EEEEZNS1_11reduce_implILb1ES3_NS6_12zip_iteratorINS7_INS6_11hip_rocprim26transform_input_iterator_tIbNSD_35transform_pair_of_input_iterators_tIbNS6_6detail15normal_iteratorINS6_10device_ptrIKjEEEESL_NS6_8equal_toIjEEEENSG_9not_fun_tINSD_8identityEEEEENSD_19counting_iterator_tIlEES8_S8_S8_S8_S8_S8_S8_S8_EEEEPS9_S9_NSD_9__find_if7functorIS9_EEEE10hipError_tPvRmT1_T2_T3_mT4_P12ihipStream_tbEUlT_E0_NS1_11comp_targetILNS1_3genE10ELNS1_11target_archE1201ELNS1_3gpuE5ELNS1_3repE0EEENS1_30default_config_static_selectorELNS0_4arch9wavefront6targetE1EEEvS14_.has_dyn_sized_stack, 0
	.set _ZN7rocprim17ROCPRIM_400000_NS6detail17trampoline_kernelINS0_14default_configENS1_22reduce_config_selectorIN6thrust23THRUST_200600_302600_NS5tupleIblNS6_9null_typeES8_S8_S8_S8_S8_S8_S8_EEEEZNS1_11reduce_implILb1ES3_NS6_12zip_iteratorINS7_INS6_11hip_rocprim26transform_input_iterator_tIbNSD_35transform_pair_of_input_iterators_tIbNS6_6detail15normal_iteratorINS6_10device_ptrIKjEEEESL_NS6_8equal_toIjEEEENSG_9not_fun_tINSD_8identityEEEEENSD_19counting_iterator_tIlEES8_S8_S8_S8_S8_S8_S8_S8_EEEEPS9_S9_NSD_9__find_if7functorIS9_EEEE10hipError_tPvRmT1_T2_T3_mT4_P12ihipStream_tbEUlT_E0_NS1_11comp_targetILNS1_3genE10ELNS1_11target_archE1201ELNS1_3gpuE5ELNS1_3repE0EEENS1_30default_config_static_selectorELNS0_4arch9wavefront6targetE1EEEvS14_.has_recursion, 0
	.set _ZN7rocprim17ROCPRIM_400000_NS6detail17trampoline_kernelINS0_14default_configENS1_22reduce_config_selectorIN6thrust23THRUST_200600_302600_NS5tupleIblNS6_9null_typeES8_S8_S8_S8_S8_S8_S8_EEEEZNS1_11reduce_implILb1ES3_NS6_12zip_iteratorINS7_INS6_11hip_rocprim26transform_input_iterator_tIbNSD_35transform_pair_of_input_iterators_tIbNS6_6detail15normal_iteratorINS6_10device_ptrIKjEEEESL_NS6_8equal_toIjEEEENSG_9not_fun_tINSD_8identityEEEEENSD_19counting_iterator_tIlEES8_S8_S8_S8_S8_S8_S8_S8_EEEEPS9_S9_NSD_9__find_if7functorIS9_EEEE10hipError_tPvRmT1_T2_T3_mT4_P12ihipStream_tbEUlT_E0_NS1_11comp_targetILNS1_3genE10ELNS1_11target_archE1201ELNS1_3gpuE5ELNS1_3repE0EEENS1_30default_config_static_selectorELNS0_4arch9wavefront6targetE1EEEvS14_.has_indirect_call, 0
	.section	.AMDGPU.csdata,"",@progbits
; Kernel info:
; codeLenInByte = 0
; TotalNumSgprs: 4
; NumVgprs: 0
; ScratchSize: 0
; MemoryBound: 0
; FloatMode: 240
; IeeeMode: 1
; LDSByteSize: 0 bytes/workgroup (compile time only)
; SGPRBlocks: 0
; VGPRBlocks: 0
; NumSGPRsForWavesPerEU: 4
; NumVGPRsForWavesPerEU: 1
; Occupancy: 10
; WaveLimiterHint : 0
; COMPUTE_PGM_RSRC2:SCRATCH_EN: 0
; COMPUTE_PGM_RSRC2:USER_SGPR: 6
; COMPUTE_PGM_RSRC2:TRAP_HANDLER: 0
; COMPUTE_PGM_RSRC2:TGID_X_EN: 1
; COMPUTE_PGM_RSRC2:TGID_Y_EN: 0
; COMPUTE_PGM_RSRC2:TGID_Z_EN: 0
; COMPUTE_PGM_RSRC2:TIDIG_COMP_CNT: 0
	.section	.text._ZN7rocprim17ROCPRIM_400000_NS6detail17trampoline_kernelINS0_14default_configENS1_22reduce_config_selectorIN6thrust23THRUST_200600_302600_NS5tupleIblNS6_9null_typeES8_S8_S8_S8_S8_S8_S8_EEEEZNS1_11reduce_implILb1ES3_NS6_12zip_iteratorINS7_INS6_11hip_rocprim26transform_input_iterator_tIbNSD_35transform_pair_of_input_iterators_tIbNS6_6detail15normal_iteratorINS6_10device_ptrIKjEEEESL_NS6_8equal_toIjEEEENSG_9not_fun_tINSD_8identityEEEEENSD_19counting_iterator_tIlEES8_S8_S8_S8_S8_S8_S8_S8_EEEEPS9_S9_NSD_9__find_if7functorIS9_EEEE10hipError_tPvRmT1_T2_T3_mT4_P12ihipStream_tbEUlT_E0_NS1_11comp_targetILNS1_3genE10ELNS1_11target_archE1200ELNS1_3gpuE4ELNS1_3repE0EEENS1_30default_config_static_selectorELNS0_4arch9wavefront6targetE1EEEvS14_,"axG",@progbits,_ZN7rocprim17ROCPRIM_400000_NS6detail17trampoline_kernelINS0_14default_configENS1_22reduce_config_selectorIN6thrust23THRUST_200600_302600_NS5tupleIblNS6_9null_typeES8_S8_S8_S8_S8_S8_S8_EEEEZNS1_11reduce_implILb1ES3_NS6_12zip_iteratorINS7_INS6_11hip_rocprim26transform_input_iterator_tIbNSD_35transform_pair_of_input_iterators_tIbNS6_6detail15normal_iteratorINS6_10device_ptrIKjEEEESL_NS6_8equal_toIjEEEENSG_9not_fun_tINSD_8identityEEEEENSD_19counting_iterator_tIlEES8_S8_S8_S8_S8_S8_S8_S8_EEEEPS9_S9_NSD_9__find_if7functorIS9_EEEE10hipError_tPvRmT1_T2_T3_mT4_P12ihipStream_tbEUlT_E0_NS1_11comp_targetILNS1_3genE10ELNS1_11target_archE1200ELNS1_3gpuE4ELNS1_3repE0EEENS1_30default_config_static_selectorELNS0_4arch9wavefront6targetE1EEEvS14_,comdat
	.protected	_ZN7rocprim17ROCPRIM_400000_NS6detail17trampoline_kernelINS0_14default_configENS1_22reduce_config_selectorIN6thrust23THRUST_200600_302600_NS5tupleIblNS6_9null_typeES8_S8_S8_S8_S8_S8_S8_EEEEZNS1_11reduce_implILb1ES3_NS6_12zip_iteratorINS7_INS6_11hip_rocprim26transform_input_iterator_tIbNSD_35transform_pair_of_input_iterators_tIbNS6_6detail15normal_iteratorINS6_10device_ptrIKjEEEESL_NS6_8equal_toIjEEEENSG_9not_fun_tINSD_8identityEEEEENSD_19counting_iterator_tIlEES8_S8_S8_S8_S8_S8_S8_S8_EEEEPS9_S9_NSD_9__find_if7functorIS9_EEEE10hipError_tPvRmT1_T2_T3_mT4_P12ihipStream_tbEUlT_E0_NS1_11comp_targetILNS1_3genE10ELNS1_11target_archE1200ELNS1_3gpuE4ELNS1_3repE0EEENS1_30default_config_static_selectorELNS0_4arch9wavefront6targetE1EEEvS14_ ; -- Begin function _ZN7rocprim17ROCPRIM_400000_NS6detail17trampoline_kernelINS0_14default_configENS1_22reduce_config_selectorIN6thrust23THRUST_200600_302600_NS5tupleIblNS6_9null_typeES8_S8_S8_S8_S8_S8_S8_EEEEZNS1_11reduce_implILb1ES3_NS6_12zip_iteratorINS7_INS6_11hip_rocprim26transform_input_iterator_tIbNSD_35transform_pair_of_input_iterators_tIbNS6_6detail15normal_iteratorINS6_10device_ptrIKjEEEESL_NS6_8equal_toIjEEEENSG_9not_fun_tINSD_8identityEEEEENSD_19counting_iterator_tIlEES8_S8_S8_S8_S8_S8_S8_S8_EEEEPS9_S9_NSD_9__find_if7functorIS9_EEEE10hipError_tPvRmT1_T2_T3_mT4_P12ihipStream_tbEUlT_E0_NS1_11comp_targetILNS1_3genE10ELNS1_11target_archE1200ELNS1_3gpuE4ELNS1_3repE0EEENS1_30default_config_static_selectorELNS0_4arch9wavefront6targetE1EEEvS14_
	.globl	_ZN7rocprim17ROCPRIM_400000_NS6detail17trampoline_kernelINS0_14default_configENS1_22reduce_config_selectorIN6thrust23THRUST_200600_302600_NS5tupleIblNS6_9null_typeES8_S8_S8_S8_S8_S8_S8_EEEEZNS1_11reduce_implILb1ES3_NS6_12zip_iteratorINS7_INS6_11hip_rocprim26transform_input_iterator_tIbNSD_35transform_pair_of_input_iterators_tIbNS6_6detail15normal_iteratorINS6_10device_ptrIKjEEEESL_NS6_8equal_toIjEEEENSG_9not_fun_tINSD_8identityEEEEENSD_19counting_iterator_tIlEES8_S8_S8_S8_S8_S8_S8_S8_EEEEPS9_S9_NSD_9__find_if7functorIS9_EEEE10hipError_tPvRmT1_T2_T3_mT4_P12ihipStream_tbEUlT_E0_NS1_11comp_targetILNS1_3genE10ELNS1_11target_archE1200ELNS1_3gpuE4ELNS1_3repE0EEENS1_30default_config_static_selectorELNS0_4arch9wavefront6targetE1EEEvS14_
	.p2align	8
	.type	_ZN7rocprim17ROCPRIM_400000_NS6detail17trampoline_kernelINS0_14default_configENS1_22reduce_config_selectorIN6thrust23THRUST_200600_302600_NS5tupleIblNS6_9null_typeES8_S8_S8_S8_S8_S8_S8_EEEEZNS1_11reduce_implILb1ES3_NS6_12zip_iteratorINS7_INS6_11hip_rocprim26transform_input_iterator_tIbNSD_35transform_pair_of_input_iterators_tIbNS6_6detail15normal_iteratorINS6_10device_ptrIKjEEEESL_NS6_8equal_toIjEEEENSG_9not_fun_tINSD_8identityEEEEENSD_19counting_iterator_tIlEES8_S8_S8_S8_S8_S8_S8_S8_EEEEPS9_S9_NSD_9__find_if7functorIS9_EEEE10hipError_tPvRmT1_T2_T3_mT4_P12ihipStream_tbEUlT_E0_NS1_11comp_targetILNS1_3genE10ELNS1_11target_archE1200ELNS1_3gpuE4ELNS1_3repE0EEENS1_30default_config_static_selectorELNS0_4arch9wavefront6targetE1EEEvS14_,@function
_ZN7rocprim17ROCPRIM_400000_NS6detail17trampoline_kernelINS0_14default_configENS1_22reduce_config_selectorIN6thrust23THRUST_200600_302600_NS5tupleIblNS6_9null_typeES8_S8_S8_S8_S8_S8_S8_EEEEZNS1_11reduce_implILb1ES3_NS6_12zip_iteratorINS7_INS6_11hip_rocprim26transform_input_iterator_tIbNSD_35transform_pair_of_input_iterators_tIbNS6_6detail15normal_iteratorINS6_10device_ptrIKjEEEESL_NS6_8equal_toIjEEEENSG_9not_fun_tINSD_8identityEEEEENSD_19counting_iterator_tIlEES8_S8_S8_S8_S8_S8_S8_S8_EEEEPS9_S9_NSD_9__find_if7functorIS9_EEEE10hipError_tPvRmT1_T2_T3_mT4_P12ihipStream_tbEUlT_E0_NS1_11comp_targetILNS1_3genE10ELNS1_11target_archE1200ELNS1_3gpuE4ELNS1_3repE0EEENS1_30default_config_static_selectorELNS0_4arch9wavefront6targetE1EEEvS14_: ; @_ZN7rocprim17ROCPRIM_400000_NS6detail17trampoline_kernelINS0_14default_configENS1_22reduce_config_selectorIN6thrust23THRUST_200600_302600_NS5tupleIblNS6_9null_typeES8_S8_S8_S8_S8_S8_S8_EEEEZNS1_11reduce_implILb1ES3_NS6_12zip_iteratorINS7_INS6_11hip_rocprim26transform_input_iterator_tIbNSD_35transform_pair_of_input_iterators_tIbNS6_6detail15normal_iteratorINS6_10device_ptrIKjEEEESL_NS6_8equal_toIjEEEENSG_9not_fun_tINSD_8identityEEEEENSD_19counting_iterator_tIlEES8_S8_S8_S8_S8_S8_S8_S8_EEEEPS9_S9_NSD_9__find_if7functorIS9_EEEE10hipError_tPvRmT1_T2_T3_mT4_P12ihipStream_tbEUlT_E0_NS1_11comp_targetILNS1_3genE10ELNS1_11target_archE1200ELNS1_3gpuE4ELNS1_3repE0EEENS1_30default_config_static_selectorELNS0_4arch9wavefront6targetE1EEEvS14_
; %bb.0:
	.section	.rodata,"a",@progbits
	.p2align	6, 0x0
	.amdhsa_kernel _ZN7rocprim17ROCPRIM_400000_NS6detail17trampoline_kernelINS0_14default_configENS1_22reduce_config_selectorIN6thrust23THRUST_200600_302600_NS5tupleIblNS6_9null_typeES8_S8_S8_S8_S8_S8_S8_EEEEZNS1_11reduce_implILb1ES3_NS6_12zip_iteratorINS7_INS6_11hip_rocprim26transform_input_iterator_tIbNSD_35transform_pair_of_input_iterators_tIbNS6_6detail15normal_iteratorINS6_10device_ptrIKjEEEESL_NS6_8equal_toIjEEEENSG_9not_fun_tINSD_8identityEEEEENSD_19counting_iterator_tIlEES8_S8_S8_S8_S8_S8_S8_S8_EEEEPS9_S9_NSD_9__find_if7functorIS9_EEEE10hipError_tPvRmT1_T2_T3_mT4_P12ihipStream_tbEUlT_E0_NS1_11comp_targetILNS1_3genE10ELNS1_11target_archE1200ELNS1_3gpuE4ELNS1_3repE0EEENS1_30default_config_static_selectorELNS0_4arch9wavefront6targetE1EEEvS14_
		.amdhsa_group_segment_fixed_size 0
		.amdhsa_private_segment_fixed_size 0
		.amdhsa_kernarg_size 104
		.amdhsa_user_sgpr_count 6
		.amdhsa_user_sgpr_private_segment_buffer 1
		.amdhsa_user_sgpr_dispatch_ptr 0
		.amdhsa_user_sgpr_queue_ptr 0
		.amdhsa_user_sgpr_kernarg_segment_ptr 1
		.amdhsa_user_sgpr_dispatch_id 0
		.amdhsa_user_sgpr_flat_scratch_init 0
		.amdhsa_user_sgpr_private_segment_size 0
		.amdhsa_uses_dynamic_stack 0
		.amdhsa_system_sgpr_private_segment_wavefront_offset 0
		.amdhsa_system_sgpr_workgroup_id_x 1
		.amdhsa_system_sgpr_workgroup_id_y 0
		.amdhsa_system_sgpr_workgroup_id_z 0
		.amdhsa_system_sgpr_workgroup_info 0
		.amdhsa_system_vgpr_workitem_id 0
		.amdhsa_next_free_vgpr 1
		.amdhsa_next_free_sgpr 0
		.amdhsa_reserve_vcc 0
		.amdhsa_reserve_flat_scratch 0
		.amdhsa_float_round_mode_32 0
		.amdhsa_float_round_mode_16_64 0
		.amdhsa_float_denorm_mode_32 3
		.amdhsa_float_denorm_mode_16_64 3
		.amdhsa_dx10_clamp 1
		.amdhsa_ieee_mode 1
		.amdhsa_fp16_overflow 0
		.amdhsa_exception_fp_ieee_invalid_op 0
		.amdhsa_exception_fp_denorm_src 0
		.amdhsa_exception_fp_ieee_div_zero 0
		.amdhsa_exception_fp_ieee_overflow 0
		.amdhsa_exception_fp_ieee_underflow 0
		.amdhsa_exception_fp_ieee_inexact 0
		.amdhsa_exception_int_div_zero 0
	.end_amdhsa_kernel
	.section	.text._ZN7rocprim17ROCPRIM_400000_NS6detail17trampoline_kernelINS0_14default_configENS1_22reduce_config_selectorIN6thrust23THRUST_200600_302600_NS5tupleIblNS6_9null_typeES8_S8_S8_S8_S8_S8_S8_EEEEZNS1_11reduce_implILb1ES3_NS6_12zip_iteratorINS7_INS6_11hip_rocprim26transform_input_iterator_tIbNSD_35transform_pair_of_input_iterators_tIbNS6_6detail15normal_iteratorINS6_10device_ptrIKjEEEESL_NS6_8equal_toIjEEEENSG_9not_fun_tINSD_8identityEEEEENSD_19counting_iterator_tIlEES8_S8_S8_S8_S8_S8_S8_S8_EEEEPS9_S9_NSD_9__find_if7functorIS9_EEEE10hipError_tPvRmT1_T2_T3_mT4_P12ihipStream_tbEUlT_E0_NS1_11comp_targetILNS1_3genE10ELNS1_11target_archE1200ELNS1_3gpuE4ELNS1_3repE0EEENS1_30default_config_static_selectorELNS0_4arch9wavefront6targetE1EEEvS14_,"axG",@progbits,_ZN7rocprim17ROCPRIM_400000_NS6detail17trampoline_kernelINS0_14default_configENS1_22reduce_config_selectorIN6thrust23THRUST_200600_302600_NS5tupleIblNS6_9null_typeES8_S8_S8_S8_S8_S8_S8_EEEEZNS1_11reduce_implILb1ES3_NS6_12zip_iteratorINS7_INS6_11hip_rocprim26transform_input_iterator_tIbNSD_35transform_pair_of_input_iterators_tIbNS6_6detail15normal_iteratorINS6_10device_ptrIKjEEEESL_NS6_8equal_toIjEEEENSG_9not_fun_tINSD_8identityEEEEENSD_19counting_iterator_tIlEES8_S8_S8_S8_S8_S8_S8_S8_EEEEPS9_S9_NSD_9__find_if7functorIS9_EEEE10hipError_tPvRmT1_T2_T3_mT4_P12ihipStream_tbEUlT_E0_NS1_11comp_targetILNS1_3genE10ELNS1_11target_archE1200ELNS1_3gpuE4ELNS1_3repE0EEENS1_30default_config_static_selectorELNS0_4arch9wavefront6targetE1EEEvS14_,comdat
.Lfunc_end489:
	.size	_ZN7rocprim17ROCPRIM_400000_NS6detail17trampoline_kernelINS0_14default_configENS1_22reduce_config_selectorIN6thrust23THRUST_200600_302600_NS5tupleIblNS6_9null_typeES8_S8_S8_S8_S8_S8_S8_EEEEZNS1_11reduce_implILb1ES3_NS6_12zip_iteratorINS7_INS6_11hip_rocprim26transform_input_iterator_tIbNSD_35transform_pair_of_input_iterators_tIbNS6_6detail15normal_iteratorINS6_10device_ptrIKjEEEESL_NS6_8equal_toIjEEEENSG_9not_fun_tINSD_8identityEEEEENSD_19counting_iterator_tIlEES8_S8_S8_S8_S8_S8_S8_S8_EEEEPS9_S9_NSD_9__find_if7functorIS9_EEEE10hipError_tPvRmT1_T2_T3_mT4_P12ihipStream_tbEUlT_E0_NS1_11comp_targetILNS1_3genE10ELNS1_11target_archE1200ELNS1_3gpuE4ELNS1_3repE0EEENS1_30default_config_static_selectorELNS0_4arch9wavefront6targetE1EEEvS14_, .Lfunc_end489-_ZN7rocprim17ROCPRIM_400000_NS6detail17trampoline_kernelINS0_14default_configENS1_22reduce_config_selectorIN6thrust23THRUST_200600_302600_NS5tupleIblNS6_9null_typeES8_S8_S8_S8_S8_S8_S8_EEEEZNS1_11reduce_implILb1ES3_NS6_12zip_iteratorINS7_INS6_11hip_rocprim26transform_input_iterator_tIbNSD_35transform_pair_of_input_iterators_tIbNS6_6detail15normal_iteratorINS6_10device_ptrIKjEEEESL_NS6_8equal_toIjEEEENSG_9not_fun_tINSD_8identityEEEEENSD_19counting_iterator_tIlEES8_S8_S8_S8_S8_S8_S8_S8_EEEEPS9_S9_NSD_9__find_if7functorIS9_EEEE10hipError_tPvRmT1_T2_T3_mT4_P12ihipStream_tbEUlT_E0_NS1_11comp_targetILNS1_3genE10ELNS1_11target_archE1200ELNS1_3gpuE4ELNS1_3repE0EEENS1_30default_config_static_selectorELNS0_4arch9wavefront6targetE1EEEvS14_
                                        ; -- End function
	.set _ZN7rocprim17ROCPRIM_400000_NS6detail17trampoline_kernelINS0_14default_configENS1_22reduce_config_selectorIN6thrust23THRUST_200600_302600_NS5tupleIblNS6_9null_typeES8_S8_S8_S8_S8_S8_S8_EEEEZNS1_11reduce_implILb1ES3_NS6_12zip_iteratorINS7_INS6_11hip_rocprim26transform_input_iterator_tIbNSD_35transform_pair_of_input_iterators_tIbNS6_6detail15normal_iteratorINS6_10device_ptrIKjEEEESL_NS6_8equal_toIjEEEENSG_9not_fun_tINSD_8identityEEEEENSD_19counting_iterator_tIlEES8_S8_S8_S8_S8_S8_S8_S8_EEEEPS9_S9_NSD_9__find_if7functorIS9_EEEE10hipError_tPvRmT1_T2_T3_mT4_P12ihipStream_tbEUlT_E0_NS1_11comp_targetILNS1_3genE10ELNS1_11target_archE1200ELNS1_3gpuE4ELNS1_3repE0EEENS1_30default_config_static_selectorELNS0_4arch9wavefront6targetE1EEEvS14_.num_vgpr, 0
	.set _ZN7rocprim17ROCPRIM_400000_NS6detail17trampoline_kernelINS0_14default_configENS1_22reduce_config_selectorIN6thrust23THRUST_200600_302600_NS5tupleIblNS6_9null_typeES8_S8_S8_S8_S8_S8_S8_EEEEZNS1_11reduce_implILb1ES3_NS6_12zip_iteratorINS7_INS6_11hip_rocprim26transform_input_iterator_tIbNSD_35transform_pair_of_input_iterators_tIbNS6_6detail15normal_iteratorINS6_10device_ptrIKjEEEESL_NS6_8equal_toIjEEEENSG_9not_fun_tINSD_8identityEEEEENSD_19counting_iterator_tIlEES8_S8_S8_S8_S8_S8_S8_S8_EEEEPS9_S9_NSD_9__find_if7functorIS9_EEEE10hipError_tPvRmT1_T2_T3_mT4_P12ihipStream_tbEUlT_E0_NS1_11comp_targetILNS1_3genE10ELNS1_11target_archE1200ELNS1_3gpuE4ELNS1_3repE0EEENS1_30default_config_static_selectorELNS0_4arch9wavefront6targetE1EEEvS14_.num_agpr, 0
	.set _ZN7rocprim17ROCPRIM_400000_NS6detail17trampoline_kernelINS0_14default_configENS1_22reduce_config_selectorIN6thrust23THRUST_200600_302600_NS5tupleIblNS6_9null_typeES8_S8_S8_S8_S8_S8_S8_EEEEZNS1_11reduce_implILb1ES3_NS6_12zip_iteratorINS7_INS6_11hip_rocprim26transform_input_iterator_tIbNSD_35transform_pair_of_input_iterators_tIbNS6_6detail15normal_iteratorINS6_10device_ptrIKjEEEESL_NS6_8equal_toIjEEEENSG_9not_fun_tINSD_8identityEEEEENSD_19counting_iterator_tIlEES8_S8_S8_S8_S8_S8_S8_S8_EEEEPS9_S9_NSD_9__find_if7functorIS9_EEEE10hipError_tPvRmT1_T2_T3_mT4_P12ihipStream_tbEUlT_E0_NS1_11comp_targetILNS1_3genE10ELNS1_11target_archE1200ELNS1_3gpuE4ELNS1_3repE0EEENS1_30default_config_static_selectorELNS0_4arch9wavefront6targetE1EEEvS14_.numbered_sgpr, 0
	.set _ZN7rocprim17ROCPRIM_400000_NS6detail17trampoline_kernelINS0_14default_configENS1_22reduce_config_selectorIN6thrust23THRUST_200600_302600_NS5tupleIblNS6_9null_typeES8_S8_S8_S8_S8_S8_S8_EEEEZNS1_11reduce_implILb1ES3_NS6_12zip_iteratorINS7_INS6_11hip_rocprim26transform_input_iterator_tIbNSD_35transform_pair_of_input_iterators_tIbNS6_6detail15normal_iteratorINS6_10device_ptrIKjEEEESL_NS6_8equal_toIjEEEENSG_9not_fun_tINSD_8identityEEEEENSD_19counting_iterator_tIlEES8_S8_S8_S8_S8_S8_S8_S8_EEEEPS9_S9_NSD_9__find_if7functorIS9_EEEE10hipError_tPvRmT1_T2_T3_mT4_P12ihipStream_tbEUlT_E0_NS1_11comp_targetILNS1_3genE10ELNS1_11target_archE1200ELNS1_3gpuE4ELNS1_3repE0EEENS1_30default_config_static_selectorELNS0_4arch9wavefront6targetE1EEEvS14_.num_named_barrier, 0
	.set _ZN7rocprim17ROCPRIM_400000_NS6detail17trampoline_kernelINS0_14default_configENS1_22reduce_config_selectorIN6thrust23THRUST_200600_302600_NS5tupleIblNS6_9null_typeES8_S8_S8_S8_S8_S8_S8_EEEEZNS1_11reduce_implILb1ES3_NS6_12zip_iteratorINS7_INS6_11hip_rocprim26transform_input_iterator_tIbNSD_35transform_pair_of_input_iterators_tIbNS6_6detail15normal_iteratorINS6_10device_ptrIKjEEEESL_NS6_8equal_toIjEEEENSG_9not_fun_tINSD_8identityEEEEENSD_19counting_iterator_tIlEES8_S8_S8_S8_S8_S8_S8_S8_EEEEPS9_S9_NSD_9__find_if7functorIS9_EEEE10hipError_tPvRmT1_T2_T3_mT4_P12ihipStream_tbEUlT_E0_NS1_11comp_targetILNS1_3genE10ELNS1_11target_archE1200ELNS1_3gpuE4ELNS1_3repE0EEENS1_30default_config_static_selectorELNS0_4arch9wavefront6targetE1EEEvS14_.private_seg_size, 0
	.set _ZN7rocprim17ROCPRIM_400000_NS6detail17trampoline_kernelINS0_14default_configENS1_22reduce_config_selectorIN6thrust23THRUST_200600_302600_NS5tupleIblNS6_9null_typeES8_S8_S8_S8_S8_S8_S8_EEEEZNS1_11reduce_implILb1ES3_NS6_12zip_iteratorINS7_INS6_11hip_rocprim26transform_input_iterator_tIbNSD_35transform_pair_of_input_iterators_tIbNS6_6detail15normal_iteratorINS6_10device_ptrIKjEEEESL_NS6_8equal_toIjEEEENSG_9not_fun_tINSD_8identityEEEEENSD_19counting_iterator_tIlEES8_S8_S8_S8_S8_S8_S8_S8_EEEEPS9_S9_NSD_9__find_if7functorIS9_EEEE10hipError_tPvRmT1_T2_T3_mT4_P12ihipStream_tbEUlT_E0_NS1_11comp_targetILNS1_3genE10ELNS1_11target_archE1200ELNS1_3gpuE4ELNS1_3repE0EEENS1_30default_config_static_selectorELNS0_4arch9wavefront6targetE1EEEvS14_.uses_vcc, 0
	.set _ZN7rocprim17ROCPRIM_400000_NS6detail17trampoline_kernelINS0_14default_configENS1_22reduce_config_selectorIN6thrust23THRUST_200600_302600_NS5tupleIblNS6_9null_typeES8_S8_S8_S8_S8_S8_S8_EEEEZNS1_11reduce_implILb1ES3_NS6_12zip_iteratorINS7_INS6_11hip_rocprim26transform_input_iterator_tIbNSD_35transform_pair_of_input_iterators_tIbNS6_6detail15normal_iteratorINS6_10device_ptrIKjEEEESL_NS6_8equal_toIjEEEENSG_9not_fun_tINSD_8identityEEEEENSD_19counting_iterator_tIlEES8_S8_S8_S8_S8_S8_S8_S8_EEEEPS9_S9_NSD_9__find_if7functorIS9_EEEE10hipError_tPvRmT1_T2_T3_mT4_P12ihipStream_tbEUlT_E0_NS1_11comp_targetILNS1_3genE10ELNS1_11target_archE1200ELNS1_3gpuE4ELNS1_3repE0EEENS1_30default_config_static_selectorELNS0_4arch9wavefront6targetE1EEEvS14_.uses_flat_scratch, 0
	.set _ZN7rocprim17ROCPRIM_400000_NS6detail17trampoline_kernelINS0_14default_configENS1_22reduce_config_selectorIN6thrust23THRUST_200600_302600_NS5tupleIblNS6_9null_typeES8_S8_S8_S8_S8_S8_S8_EEEEZNS1_11reduce_implILb1ES3_NS6_12zip_iteratorINS7_INS6_11hip_rocprim26transform_input_iterator_tIbNSD_35transform_pair_of_input_iterators_tIbNS6_6detail15normal_iteratorINS6_10device_ptrIKjEEEESL_NS6_8equal_toIjEEEENSG_9not_fun_tINSD_8identityEEEEENSD_19counting_iterator_tIlEES8_S8_S8_S8_S8_S8_S8_S8_EEEEPS9_S9_NSD_9__find_if7functorIS9_EEEE10hipError_tPvRmT1_T2_T3_mT4_P12ihipStream_tbEUlT_E0_NS1_11comp_targetILNS1_3genE10ELNS1_11target_archE1200ELNS1_3gpuE4ELNS1_3repE0EEENS1_30default_config_static_selectorELNS0_4arch9wavefront6targetE1EEEvS14_.has_dyn_sized_stack, 0
	.set _ZN7rocprim17ROCPRIM_400000_NS6detail17trampoline_kernelINS0_14default_configENS1_22reduce_config_selectorIN6thrust23THRUST_200600_302600_NS5tupleIblNS6_9null_typeES8_S8_S8_S8_S8_S8_S8_EEEEZNS1_11reduce_implILb1ES3_NS6_12zip_iteratorINS7_INS6_11hip_rocprim26transform_input_iterator_tIbNSD_35transform_pair_of_input_iterators_tIbNS6_6detail15normal_iteratorINS6_10device_ptrIKjEEEESL_NS6_8equal_toIjEEEENSG_9not_fun_tINSD_8identityEEEEENSD_19counting_iterator_tIlEES8_S8_S8_S8_S8_S8_S8_S8_EEEEPS9_S9_NSD_9__find_if7functorIS9_EEEE10hipError_tPvRmT1_T2_T3_mT4_P12ihipStream_tbEUlT_E0_NS1_11comp_targetILNS1_3genE10ELNS1_11target_archE1200ELNS1_3gpuE4ELNS1_3repE0EEENS1_30default_config_static_selectorELNS0_4arch9wavefront6targetE1EEEvS14_.has_recursion, 0
	.set _ZN7rocprim17ROCPRIM_400000_NS6detail17trampoline_kernelINS0_14default_configENS1_22reduce_config_selectorIN6thrust23THRUST_200600_302600_NS5tupleIblNS6_9null_typeES8_S8_S8_S8_S8_S8_S8_EEEEZNS1_11reduce_implILb1ES3_NS6_12zip_iteratorINS7_INS6_11hip_rocprim26transform_input_iterator_tIbNSD_35transform_pair_of_input_iterators_tIbNS6_6detail15normal_iteratorINS6_10device_ptrIKjEEEESL_NS6_8equal_toIjEEEENSG_9not_fun_tINSD_8identityEEEEENSD_19counting_iterator_tIlEES8_S8_S8_S8_S8_S8_S8_S8_EEEEPS9_S9_NSD_9__find_if7functorIS9_EEEE10hipError_tPvRmT1_T2_T3_mT4_P12ihipStream_tbEUlT_E0_NS1_11comp_targetILNS1_3genE10ELNS1_11target_archE1200ELNS1_3gpuE4ELNS1_3repE0EEENS1_30default_config_static_selectorELNS0_4arch9wavefront6targetE1EEEvS14_.has_indirect_call, 0
	.section	.AMDGPU.csdata,"",@progbits
; Kernel info:
; codeLenInByte = 0
; TotalNumSgprs: 4
; NumVgprs: 0
; ScratchSize: 0
; MemoryBound: 0
; FloatMode: 240
; IeeeMode: 1
; LDSByteSize: 0 bytes/workgroup (compile time only)
; SGPRBlocks: 0
; VGPRBlocks: 0
; NumSGPRsForWavesPerEU: 4
; NumVGPRsForWavesPerEU: 1
; Occupancy: 10
; WaveLimiterHint : 0
; COMPUTE_PGM_RSRC2:SCRATCH_EN: 0
; COMPUTE_PGM_RSRC2:USER_SGPR: 6
; COMPUTE_PGM_RSRC2:TRAP_HANDLER: 0
; COMPUTE_PGM_RSRC2:TGID_X_EN: 1
; COMPUTE_PGM_RSRC2:TGID_Y_EN: 0
; COMPUTE_PGM_RSRC2:TGID_Z_EN: 0
; COMPUTE_PGM_RSRC2:TIDIG_COMP_CNT: 0
	.section	.text._ZN7rocprim17ROCPRIM_400000_NS6detail17trampoline_kernelINS0_14default_configENS1_22reduce_config_selectorIN6thrust23THRUST_200600_302600_NS5tupleIblNS6_9null_typeES8_S8_S8_S8_S8_S8_S8_EEEEZNS1_11reduce_implILb1ES3_NS6_12zip_iteratorINS7_INS6_11hip_rocprim26transform_input_iterator_tIbNSD_35transform_pair_of_input_iterators_tIbNS6_6detail15normal_iteratorINS6_10device_ptrIKjEEEESL_NS6_8equal_toIjEEEENSG_9not_fun_tINSD_8identityEEEEENSD_19counting_iterator_tIlEES8_S8_S8_S8_S8_S8_S8_S8_EEEEPS9_S9_NSD_9__find_if7functorIS9_EEEE10hipError_tPvRmT1_T2_T3_mT4_P12ihipStream_tbEUlT_E0_NS1_11comp_targetILNS1_3genE9ELNS1_11target_archE1100ELNS1_3gpuE3ELNS1_3repE0EEENS1_30default_config_static_selectorELNS0_4arch9wavefront6targetE1EEEvS14_,"axG",@progbits,_ZN7rocprim17ROCPRIM_400000_NS6detail17trampoline_kernelINS0_14default_configENS1_22reduce_config_selectorIN6thrust23THRUST_200600_302600_NS5tupleIblNS6_9null_typeES8_S8_S8_S8_S8_S8_S8_EEEEZNS1_11reduce_implILb1ES3_NS6_12zip_iteratorINS7_INS6_11hip_rocprim26transform_input_iterator_tIbNSD_35transform_pair_of_input_iterators_tIbNS6_6detail15normal_iteratorINS6_10device_ptrIKjEEEESL_NS6_8equal_toIjEEEENSG_9not_fun_tINSD_8identityEEEEENSD_19counting_iterator_tIlEES8_S8_S8_S8_S8_S8_S8_S8_EEEEPS9_S9_NSD_9__find_if7functorIS9_EEEE10hipError_tPvRmT1_T2_T3_mT4_P12ihipStream_tbEUlT_E0_NS1_11comp_targetILNS1_3genE9ELNS1_11target_archE1100ELNS1_3gpuE3ELNS1_3repE0EEENS1_30default_config_static_selectorELNS0_4arch9wavefront6targetE1EEEvS14_,comdat
	.protected	_ZN7rocprim17ROCPRIM_400000_NS6detail17trampoline_kernelINS0_14default_configENS1_22reduce_config_selectorIN6thrust23THRUST_200600_302600_NS5tupleIblNS6_9null_typeES8_S8_S8_S8_S8_S8_S8_EEEEZNS1_11reduce_implILb1ES3_NS6_12zip_iteratorINS7_INS6_11hip_rocprim26transform_input_iterator_tIbNSD_35transform_pair_of_input_iterators_tIbNS6_6detail15normal_iteratorINS6_10device_ptrIKjEEEESL_NS6_8equal_toIjEEEENSG_9not_fun_tINSD_8identityEEEEENSD_19counting_iterator_tIlEES8_S8_S8_S8_S8_S8_S8_S8_EEEEPS9_S9_NSD_9__find_if7functorIS9_EEEE10hipError_tPvRmT1_T2_T3_mT4_P12ihipStream_tbEUlT_E0_NS1_11comp_targetILNS1_3genE9ELNS1_11target_archE1100ELNS1_3gpuE3ELNS1_3repE0EEENS1_30default_config_static_selectorELNS0_4arch9wavefront6targetE1EEEvS14_ ; -- Begin function _ZN7rocprim17ROCPRIM_400000_NS6detail17trampoline_kernelINS0_14default_configENS1_22reduce_config_selectorIN6thrust23THRUST_200600_302600_NS5tupleIblNS6_9null_typeES8_S8_S8_S8_S8_S8_S8_EEEEZNS1_11reduce_implILb1ES3_NS6_12zip_iteratorINS7_INS6_11hip_rocprim26transform_input_iterator_tIbNSD_35transform_pair_of_input_iterators_tIbNS6_6detail15normal_iteratorINS6_10device_ptrIKjEEEESL_NS6_8equal_toIjEEEENSG_9not_fun_tINSD_8identityEEEEENSD_19counting_iterator_tIlEES8_S8_S8_S8_S8_S8_S8_S8_EEEEPS9_S9_NSD_9__find_if7functorIS9_EEEE10hipError_tPvRmT1_T2_T3_mT4_P12ihipStream_tbEUlT_E0_NS1_11comp_targetILNS1_3genE9ELNS1_11target_archE1100ELNS1_3gpuE3ELNS1_3repE0EEENS1_30default_config_static_selectorELNS0_4arch9wavefront6targetE1EEEvS14_
	.globl	_ZN7rocprim17ROCPRIM_400000_NS6detail17trampoline_kernelINS0_14default_configENS1_22reduce_config_selectorIN6thrust23THRUST_200600_302600_NS5tupleIblNS6_9null_typeES8_S8_S8_S8_S8_S8_S8_EEEEZNS1_11reduce_implILb1ES3_NS6_12zip_iteratorINS7_INS6_11hip_rocprim26transform_input_iterator_tIbNSD_35transform_pair_of_input_iterators_tIbNS6_6detail15normal_iteratorINS6_10device_ptrIKjEEEESL_NS6_8equal_toIjEEEENSG_9not_fun_tINSD_8identityEEEEENSD_19counting_iterator_tIlEES8_S8_S8_S8_S8_S8_S8_S8_EEEEPS9_S9_NSD_9__find_if7functorIS9_EEEE10hipError_tPvRmT1_T2_T3_mT4_P12ihipStream_tbEUlT_E0_NS1_11comp_targetILNS1_3genE9ELNS1_11target_archE1100ELNS1_3gpuE3ELNS1_3repE0EEENS1_30default_config_static_selectorELNS0_4arch9wavefront6targetE1EEEvS14_
	.p2align	8
	.type	_ZN7rocprim17ROCPRIM_400000_NS6detail17trampoline_kernelINS0_14default_configENS1_22reduce_config_selectorIN6thrust23THRUST_200600_302600_NS5tupleIblNS6_9null_typeES8_S8_S8_S8_S8_S8_S8_EEEEZNS1_11reduce_implILb1ES3_NS6_12zip_iteratorINS7_INS6_11hip_rocprim26transform_input_iterator_tIbNSD_35transform_pair_of_input_iterators_tIbNS6_6detail15normal_iteratorINS6_10device_ptrIKjEEEESL_NS6_8equal_toIjEEEENSG_9not_fun_tINSD_8identityEEEEENSD_19counting_iterator_tIlEES8_S8_S8_S8_S8_S8_S8_S8_EEEEPS9_S9_NSD_9__find_if7functorIS9_EEEE10hipError_tPvRmT1_T2_T3_mT4_P12ihipStream_tbEUlT_E0_NS1_11comp_targetILNS1_3genE9ELNS1_11target_archE1100ELNS1_3gpuE3ELNS1_3repE0EEENS1_30default_config_static_selectorELNS0_4arch9wavefront6targetE1EEEvS14_,@function
_ZN7rocprim17ROCPRIM_400000_NS6detail17trampoline_kernelINS0_14default_configENS1_22reduce_config_selectorIN6thrust23THRUST_200600_302600_NS5tupleIblNS6_9null_typeES8_S8_S8_S8_S8_S8_S8_EEEEZNS1_11reduce_implILb1ES3_NS6_12zip_iteratorINS7_INS6_11hip_rocprim26transform_input_iterator_tIbNSD_35transform_pair_of_input_iterators_tIbNS6_6detail15normal_iteratorINS6_10device_ptrIKjEEEESL_NS6_8equal_toIjEEEENSG_9not_fun_tINSD_8identityEEEEENSD_19counting_iterator_tIlEES8_S8_S8_S8_S8_S8_S8_S8_EEEEPS9_S9_NSD_9__find_if7functorIS9_EEEE10hipError_tPvRmT1_T2_T3_mT4_P12ihipStream_tbEUlT_E0_NS1_11comp_targetILNS1_3genE9ELNS1_11target_archE1100ELNS1_3gpuE3ELNS1_3repE0EEENS1_30default_config_static_selectorELNS0_4arch9wavefront6targetE1EEEvS14_: ; @_ZN7rocprim17ROCPRIM_400000_NS6detail17trampoline_kernelINS0_14default_configENS1_22reduce_config_selectorIN6thrust23THRUST_200600_302600_NS5tupleIblNS6_9null_typeES8_S8_S8_S8_S8_S8_S8_EEEEZNS1_11reduce_implILb1ES3_NS6_12zip_iteratorINS7_INS6_11hip_rocprim26transform_input_iterator_tIbNSD_35transform_pair_of_input_iterators_tIbNS6_6detail15normal_iteratorINS6_10device_ptrIKjEEEESL_NS6_8equal_toIjEEEENSG_9not_fun_tINSD_8identityEEEEENSD_19counting_iterator_tIlEES8_S8_S8_S8_S8_S8_S8_S8_EEEEPS9_S9_NSD_9__find_if7functorIS9_EEEE10hipError_tPvRmT1_T2_T3_mT4_P12ihipStream_tbEUlT_E0_NS1_11comp_targetILNS1_3genE9ELNS1_11target_archE1100ELNS1_3gpuE3ELNS1_3repE0EEENS1_30default_config_static_selectorELNS0_4arch9wavefront6targetE1EEEvS14_
; %bb.0:
	.section	.rodata,"a",@progbits
	.p2align	6, 0x0
	.amdhsa_kernel _ZN7rocprim17ROCPRIM_400000_NS6detail17trampoline_kernelINS0_14default_configENS1_22reduce_config_selectorIN6thrust23THRUST_200600_302600_NS5tupleIblNS6_9null_typeES8_S8_S8_S8_S8_S8_S8_EEEEZNS1_11reduce_implILb1ES3_NS6_12zip_iteratorINS7_INS6_11hip_rocprim26transform_input_iterator_tIbNSD_35transform_pair_of_input_iterators_tIbNS6_6detail15normal_iteratorINS6_10device_ptrIKjEEEESL_NS6_8equal_toIjEEEENSG_9not_fun_tINSD_8identityEEEEENSD_19counting_iterator_tIlEES8_S8_S8_S8_S8_S8_S8_S8_EEEEPS9_S9_NSD_9__find_if7functorIS9_EEEE10hipError_tPvRmT1_T2_T3_mT4_P12ihipStream_tbEUlT_E0_NS1_11comp_targetILNS1_3genE9ELNS1_11target_archE1100ELNS1_3gpuE3ELNS1_3repE0EEENS1_30default_config_static_selectorELNS0_4arch9wavefront6targetE1EEEvS14_
		.amdhsa_group_segment_fixed_size 0
		.amdhsa_private_segment_fixed_size 0
		.amdhsa_kernarg_size 104
		.amdhsa_user_sgpr_count 6
		.amdhsa_user_sgpr_private_segment_buffer 1
		.amdhsa_user_sgpr_dispatch_ptr 0
		.amdhsa_user_sgpr_queue_ptr 0
		.amdhsa_user_sgpr_kernarg_segment_ptr 1
		.amdhsa_user_sgpr_dispatch_id 0
		.amdhsa_user_sgpr_flat_scratch_init 0
		.amdhsa_user_sgpr_private_segment_size 0
		.amdhsa_uses_dynamic_stack 0
		.amdhsa_system_sgpr_private_segment_wavefront_offset 0
		.amdhsa_system_sgpr_workgroup_id_x 1
		.amdhsa_system_sgpr_workgroup_id_y 0
		.amdhsa_system_sgpr_workgroup_id_z 0
		.amdhsa_system_sgpr_workgroup_info 0
		.amdhsa_system_vgpr_workitem_id 0
		.amdhsa_next_free_vgpr 1
		.amdhsa_next_free_sgpr 0
		.amdhsa_reserve_vcc 0
		.amdhsa_reserve_flat_scratch 0
		.amdhsa_float_round_mode_32 0
		.amdhsa_float_round_mode_16_64 0
		.amdhsa_float_denorm_mode_32 3
		.amdhsa_float_denorm_mode_16_64 3
		.amdhsa_dx10_clamp 1
		.amdhsa_ieee_mode 1
		.amdhsa_fp16_overflow 0
		.amdhsa_exception_fp_ieee_invalid_op 0
		.amdhsa_exception_fp_denorm_src 0
		.amdhsa_exception_fp_ieee_div_zero 0
		.amdhsa_exception_fp_ieee_overflow 0
		.amdhsa_exception_fp_ieee_underflow 0
		.amdhsa_exception_fp_ieee_inexact 0
		.amdhsa_exception_int_div_zero 0
	.end_amdhsa_kernel
	.section	.text._ZN7rocprim17ROCPRIM_400000_NS6detail17trampoline_kernelINS0_14default_configENS1_22reduce_config_selectorIN6thrust23THRUST_200600_302600_NS5tupleIblNS6_9null_typeES8_S8_S8_S8_S8_S8_S8_EEEEZNS1_11reduce_implILb1ES3_NS6_12zip_iteratorINS7_INS6_11hip_rocprim26transform_input_iterator_tIbNSD_35transform_pair_of_input_iterators_tIbNS6_6detail15normal_iteratorINS6_10device_ptrIKjEEEESL_NS6_8equal_toIjEEEENSG_9not_fun_tINSD_8identityEEEEENSD_19counting_iterator_tIlEES8_S8_S8_S8_S8_S8_S8_S8_EEEEPS9_S9_NSD_9__find_if7functorIS9_EEEE10hipError_tPvRmT1_T2_T3_mT4_P12ihipStream_tbEUlT_E0_NS1_11comp_targetILNS1_3genE9ELNS1_11target_archE1100ELNS1_3gpuE3ELNS1_3repE0EEENS1_30default_config_static_selectorELNS0_4arch9wavefront6targetE1EEEvS14_,"axG",@progbits,_ZN7rocprim17ROCPRIM_400000_NS6detail17trampoline_kernelINS0_14default_configENS1_22reduce_config_selectorIN6thrust23THRUST_200600_302600_NS5tupleIblNS6_9null_typeES8_S8_S8_S8_S8_S8_S8_EEEEZNS1_11reduce_implILb1ES3_NS6_12zip_iteratorINS7_INS6_11hip_rocprim26transform_input_iterator_tIbNSD_35transform_pair_of_input_iterators_tIbNS6_6detail15normal_iteratorINS6_10device_ptrIKjEEEESL_NS6_8equal_toIjEEEENSG_9not_fun_tINSD_8identityEEEEENSD_19counting_iterator_tIlEES8_S8_S8_S8_S8_S8_S8_S8_EEEEPS9_S9_NSD_9__find_if7functorIS9_EEEE10hipError_tPvRmT1_T2_T3_mT4_P12ihipStream_tbEUlT_E0_NS1_11comp_targetILNS1_3genE9ELNS1_11target_archE1100ELNS1_3gpuE3ELNS1_3repE0EEENS1_30default_config_static_selectorELNS0_4arch9wavefront6targetE1EEEvS14_,comdat
.Lfunc_end490:
	.size	_ZN7rocprim17ROCPRIM_400000_NS6detail17trampoline_kernelINS0_14default_configENS1_22reduce_config_selectorIN6thrust23THRUST_200600_302600_NS5tupleIblNS6_9null_typeES8_S8_S8_S8_S8_S8_S8_EEEEZNS1_11reduce_implILb1ES3_NS6_12zip_iteratorINS7_INS6_11hip_rocprim26transform_input_iterator_tIbNSD_35transform_pair_of_input_iterators_tIbNS6_6detail15normal_iteratorINS6_10device_ptrIKjEEEESL_NS6_8equal_toIjEEEENSG_9not_fun_tINSD_8identityEEEEENSD_19counting_iterator_tIlEES8_S8_S8_S8_S8_S8_S8_S8_EEEEPS9_S9_NSD_9__find_if7functorIS9_EEEE10hipError_tPvRmT1_T2_T3_mT4_P12ihipStream_tbEUlT_E0_NS1_11comp_targetILNS1_3genE9ELNS1_11target_archE1100ELNS1_3gpuE3ELNS1_3repE0EEENS1_30default_config_static_selectorELNS0_4arch9wavefront6targetE1EEEvS14_, .Lfunc_end490-_ZN7rocprim17ROCPRIM_400000_NS6detail17trampoline_kernelINS0_14default_configENS1_22reduce_config_selectorIN6thrust23THRUST_200600_302600_NS5tupleIblNS6_9null_typeES8_S8_S8_S8_S8_S8_S8_EEEEZNS1_11reduce_implILb1ES3_NS6_12zip_iteratorINS7_INS6_11hip_rocprim26transform_input_iterator_tIbNSD_35transform_pair_of_input_iterators_tIbNS6_6detail15normal_iteratorINS6_10device_ptrIKjEEEESL_NS6_8equal_toIjEEEENSG_9not_fun_tINSD_8identityEEEEENSD_19counting_iterator_tIlEES8_S8_S8_S8_S8_S8_S8_S8_EEEEPS9_S9_NSD_9__find_if7functorIS9_EEEE10hipError_tPvRmT1_T2_T3_mT4_P12ihipStream_tbEUlT_E0_NS1_11comp_targetILNS1_3genE9ELNS1_11target_archE1100ELNS1_3gpuE3ELNS1_3repE0EEENS1_30default_config_static_selectorELNS0_4arch9wavefront6targetE1EEEvS14_
                                        ; -- End function
	.set _ZN7rocprim17ROCPRIM_400000_NS6detail17trampoline_kernelINS0_14default_configENS1_22reduce_config_selectorIN6thrust23THRUST_200600_302600_NS5tupleIblNS6_9null_typeES8_S8_S8_S8_S8_S8_S8_EEEEZNS1_11reduce_implILb1ES3_NS6_12zip_iteratorINS7_INS6_11hip_rocprim26transform_input_iterator_tIbNSD_35transform_pair_of_input_iterators_tIbNS6_6detail15normal_iteratorINS6_10device_ptrIKjEEEESL_NS6_8equal_toIjEEEENSG_9not_fun_tINSD_8identityEEEEENSD_19counting_iterator_tIlEES8_S8_S8_S8_S8_S8_S8_S8_EEEEPS9_S9_NSD_9__find_if7functorIS9_EEEE10hipError_tPvRmT1_T2_T3_mT4_P12ihipStream_tbEUlT_E0_NS1_11comp_targetILNS1_3genE9ELNS1_11target_archE1100ELNS1_3gpuE3ELNS1_3repE0EEENS1_30default_config_static_selectorELNS0_4arch9wavefront6targetE1EEEvS14_.num_vgpr, 0
	.set _ZN7rocprim17ROCPRIM_400000_NS6detail17trampoline_kernelINS0_14default_configENS1_22reduce_config_selectorIN6thrust23THRUST_200600_302600_NS5tupleIblNS6_9null_typeES8_S8_S8_S8_S8_S8_S8_EEEEZNS1_11reduce_implILb1ES3_NS6_12zip_iteratorINS7_INS6_11hip_rocprim26transform_input_iterator_tIbNSD_35transform_pair_of_input_iterators_tIbNS6_6detail15normal_iteratorINS6_10device_ptrIKjEEEESL_NS6_8equal_toIjEEEENSG_9not_fun_tINSD_8identityEEEEENSD_19counting_iterator_tIlEES8_S8_S8_S8_S8_S8_S8_S8_EEEEPS9_S9_NSD_9__find_if7functorIS9_EEEE10hipError_tPvRmT1_T2_T3_mT4_P12ihipStream_tbEUlT_E0_NS1_11comp_targetILNS1_3genE9ELNS1_11target_archE1100ELNS1_3gpuE3ELNS1_3repE0EEENS1_30default_config_static_selectorELNS0_4arch9wavefront6targetE1EEEvS14_.num_agpr, 0
	.set _ZN7rocprim17ROCPRIM_400000_NS6detail17trampoline_kernelINS0_14default_configENS1_22reduce_config_selectorIN6thrust23THRUST_200600_302600_NS5tupleIblNS6_9null_typeES8_S8_S8_S8_S8_S8_S8_EEEEZNS1_11reduce_implILb1ES3_NS6_12zip_iteratorINS7_INS6_11hip_rocprim26transform_input_iterator_tIbNSD_35transform_pair_of_input_iterators_tIbNS6_6detail15normal_iteratorINS6_10device_ptrIKjEEEESL_NS6_8equal_toIjEEEENSG_9not_fun_tINSD_8identityEEEEENSD_19counting_iterator_tIlEES8_S8_S8_S8_S8_S8_S8_S8_EEEEPS9_S9_NSD_9__find_if7functorIS9_EEEE10hipError_tPvRmT1_T2_T3_mT4_P12ihipStream_tbEUlT_E0_NS1_11comp_targetILNS1_3genE9ELNS1_11target_archE1100ELNS1_3gpuE3ELNS1_3repE0EEENS1_30default_config_static_selectorELNS0_4arch9wavefront6targetE1EEEvS14_.numbered_sgpr, 0
	.set _ZN7rocprim17ROCPRIM_400000_NS6detail17trampoline_kernelINS0_14default_configENS1_22reduce_config_selectorIN6thrust23THRUST_200600_302600_NS5tupleIblNS6_9null_typeES8_S8_S8_S8_S8_S8_S8_EEEEZNS1_11reduce_implILb1ES3_NS6_12zip_iteratorINS7_INS6_11hip_rocprim26transform_input_iterator_tIbNSD_35transform_pair_of_input_iterators_tIbNS6_6detail15normal_iteratorINS6_10device_ptrIKjEEEESL_NS6_8equal_toIjEEEENSG_9not_fun_tINSD_8identityEEEEENSD_19counting_iterator_tIlEES8_S8_S8_S8_S8_S8_S8_S8_EEEEPS9_S9_NSD_9__find_if7functorIS9_EEEE10hipError_tPvRmT1_T2_T3_mT4_P12ihipStream_tbEUlT_E0_NS1_11comp_targetILNS1_3genE9ELNS1_11target_archE1100ELNS1_3gpuE3ELNS1_3repE0EEENS1_30default_config_static_selectorELNS0_4arch9wavefront6targetE1EEEvS14_.num_named_barrier, 0
	.set _ZN7rocprim17ROCPRIM_400000_NS6detail17trampoline_kernelINS0_14default_configENS1_22reduce_config_selectorIN6thrust23THRUST_200600_302600_NS5tupleIblNS6_9null_typeES8_S8_S8_S8_S8_S8_S8_EEEEZNS1_11reduce_implILb1ES3_NS6_12zip_iteratorINS7_INS6_11hip_rocprim26transform_input_iterator_tIbNSD_35transform_pair_of_input_iterators_tIbNS6_6detail15normal_iteratorINS6_10device_ptrIKjEEEESL_NS6_8equal_toIjEEEENSG_9not_fun_tINSD_8identityEEEEENSD_19counting_iterator_tIlEES8_S8_S8_S8_S8_S8_S8_S8_EEEEPS9_S9_NSD_9__find_if7functorIS9_EEEE10hipError_tPvRmT1_T2_T3_mT4_P12ihipStream_tbEUlT_E0_NS1_11comp_targetILNS1_3genE9ELNS1_11target_archE1100ELNS1_3gpuE3ELNS1_3repE0EEENS1_30default_config_static_selectorELNS0_4arch9wavefront6targetE1EEEvS14_.private_seg_size, 0
	.set _ZN7rocprim17ROCPRIM_400000_NS6detail17trampoline_kernelINS0_14default_configENS1_22reduce_config_selectorIN6thrust23THRUST_200600_302600_NS5tupleIblNS6_9null_typeES8_S8_S8_S8_S8_S8_S8_EEEEZNS1_11reduce_implILb1ES3_NS6_12zip_iteratorINS7_INS6_11hip_rocprim26transform_input_iterator_tIbNSD_35transform_pair_of_input_iterators_tIbNS6_6detail15normal_iteratorINS6_10device_ptrIKjEEEESL_NS6_8equal_toIjEEEENSG_9not_fun_tINSD_8identityEEEEENSD_19counting_iterator_tIlEES8_S8_S8_S8_S8_S8_S8_S8_EEEEPS9_S9_NSD_9__find_if7functorIS9_EEEE10hipError_tPvRmT1_T2_T3_mT4_P12ihipStream_tbEUlT_E0_NS1_11comp_targetILNS1_3genE9ELNS1_11target_archE1100ELNS1_3gpuE3ELNS1_3repE0EEENS1_30default_config_static_selectorELNS0_4arch9wavefront6targetE1EEEvS14_.uses_vcc, 0
	.set _ZN7rocprim17ROCPRIM_400000_NS6detail17trampoline_kernelINS0_14default_configENS1_22reduce_config_selectorIN6thrust23THRUST_200600_302600_NS5tupleIblNS6_9null_typeES8_S8_S8_S8_S8_S8_S8_EEEEZNS1_11reduce_implILb1ES3_NS6_12zip_iteratorINS7_INS6_11hip_rocprim26transform_input_iterator_tIbNSD_35transform_pair_of_input_iterators_tIbNS6_6detail15normal_iteratorINS6_10device_ptrIKjEEEESL_NS6_8equal_toIjEEEENSG_9not_fun_tINSD_8identityEEEEENSD_19counting_iterator_tIlEES8_S8_S8_S8_S8_S8_S8_S8_EEEEPS9_S9_NSD_9__find_if7functorIS9_EEEE10hipError_tPvRmT1_T2_T3_mT4_P12ihipStream_tbEUlT_E0_NS1_11comp_targetILNS1_3genE9ELNS1_11target_archE1100ELNS1_3gpuE3ELNS1_3repE0EEENS1_30default_config_static_selectorELNS0_4arch9wavefront6targetE1EEEvS14_.uses_flat_scratch, 0
	.set _ZN7rocprim17ROCPRIM_400000_NS6detail17trampoline_kernelINS0_14default_configENS1_22reduce_config_selectorIN6thrust23THRUST_200600_302600_NS5tupleIblNS6_9null_typeES8_S8_S8_S8_S8_S8_S8_EEEEZNS1_11reduce_implILb1ES3_NS6_12zip_iteratorINS7_INS6_11hip_rocprim26transform_input_iterator_tIbNSD_35transform_pair_of_input_iterators_tIbNS6_6detail15normal_iteratorINS6_10device_ptrIKjEEEESL_NS6_8equal_toIjEEEENSG_9not_fun_tINSD_8identityEEEEENSD_19counting_iterator_tIlEES8_S8_S8_S8_S8_S8_S8_S8_EEEEPS9_S9_NSD_9__find_if7functorIS9_EEEE10hipError_tPvRmT1_T2_T3_mT4_P12ihipStream_tbEUlT_E0_NS1_11comp_targetILNS1_3genE9ELNS1_11target_archE1100ELNS1_3gpuE3ELNS1_3repE0EEENS1_30default_config_static_selectorELNS0_4arch9wavefront6targetE1EEEvS14_.has_dyn_sized_stack, 0
	.set _ZN7rocprim17ROCPRIM_400000_NS6detail17trampoline_kernelINS0_14default_configENS1_22reduce_config_selectorIN6thrust23THRUST_200600_302600_NS5tupleIblNS6_9null_typeES8_S8_S8_S8_S8_S8_S8_EEEEZNS1_11reduce_implILb1ES3_NS6_12zip_iteratorINS7_INS6_11hip_rocprim26transform_input_iterator_tIbNSD_35transform_pair_of_input_iterators_tIbNS6_6detail15normal_iteratorINS6_10device_ptrIKjEEEESL_NS6_8equal_toIjEEEENSG_9not_fun_tINSD_8identityEEEEENSD_19counting_iterator_tIlEES8_S8_S8_S8_S8_S8_S8_S8_EEEEPS9_S9_NSD_9__find_if7functorIS9_EEEE10hipError_tPvRmT1_T2_T3_mT4_P12ihipStream_tbEUlT_E0_NS1_11comp_targetILNS1_3genE9ELNS1_11target_archE1100ELNS1_3gpuE3ELNS1_3repE0EEENS1_30default_config_static_selectorELNS0_4arch9wavefront6targetE1EEEvS14_.has_recursion, 0
	.set _ZN7rocprim17ROCPRIM_400000_NS6detail17trampoline_kernelINS0_14default_configENS1_22reduce_config_selectorIN6thrust23THRUST_200600_302600_NS5tupleIblNS6_9null_typeES8_S8_S8_S8_S8_S8_S8_EEEEZNS1_11reduce_implILb1ES3_NS6_12zip_iteratorINS7_INS6_11hip_rocprim26transform_input_iterator_tIbNSD_35transform_pair_of_input_iterators_tIbNS6_6detail15normal_iteratorINS6_10device_ptrIKjEEEESL_NS6_8equal_toIjEEEENSG_9not_fun_tINSD_8identityEEEEENSD_19counting_iterator_tIlEES8_S8_S8_S8_S8_S8_S8_S8_EEEEPS9_S9_NSD_9__find_if7functorIS9_EEEE10hipError_tPvRmT1_T2_T3_mT4_P12ihipStream_tbEUlT_E0_NS1_11comp_targetILNS1_3genE9ELNS1_11target_archE1100ELNS1_3gpuE3ELNS1_3repE0EEENS1_30default_config_static_selectorELNS0_4arch9wavefront6targetE1EEEvS14_.has_indirect_call, 0
	.section	.AMDGPU.csdata,"",@progbits
; Kernel info:
; codeLenInByte = 0
; TotalNumSgprs: 4
; NumVgprs: 0
; ScratchSize: 0
; MemoryBound: 0
; FloatMode: 240
; IeeeMode: 1
; LDSByteSize: 0 bytes/workgroup (compile time only)
; SGPRBlocks: 0
; VGPRBlocks: 0
; NumSGPRsForWavesPerEU: 4
; NumVGPRsForWavesPerEU: 1
; Occupancy: 10
; WaveLimiterHint : 0
; COMPUTE_PGM_RSRC2:SCRATCH_EN: 0
; COMPUTE_PGM_RSRC2:USER_SGPR: 6
; COMPUTE_PGM_RSRC2:TRAP_HANDLER: 0
; COMPUTE_PGM_RSRC2:TGID_X_EN: 1
; COMPUTE_PGM_RSRC2:TGID_Y_EN: 0
; COMPUTE_PGM_RSRC2:TGID_Z_EN: 0
; COMPUTE_PGM_RSRC2:TIDIG_COMP_CNT: 0
	.section	.text._ZN7rocprim17ROCPRIM_400000_NS6detail17trampoline_kernelINS0_14default_configENS1_22reduce_config_selectorIN6thrust23THRUST_200600_302600_NS5tupleIblNS6_9null_typeES8_S8_S8_S8_S8_S8_S8_EEEEZNS1_11reduce_implILb1ES3_NS6_12zip_iteratorINS7_INS6_11hip_rocprim26transform_input_iterator_tIbNSD_35transform_pair_of_input_iterators_tIbNS6_6detail15normal_iteratorINS6_10device_ptrIKjEEEESL_NS6_8equal_toIjEEEENSG_9not_fun_tINSD_8identityEEEEENSD_19counting_iterator_tIlEES8_S8_S8_S8_S8_S8_S8_S8_EEEEPS9_S9_NSD_9__find_if7functorIS9_EEEE10hipError_tPvRmT1_T2_T3_mT4_P12ihipStream_tbEUlT_E0_NS1_11comp_targetILNS1_3genE8ELNS1_11target_archE1030ELNS1_3gpuE2ELNS1_3repE0EEENS1_30default_config_static_selectorELNS0_4arch9wavefront6targetE1EEEvS14_,"axG",@progbits,_ZN7rocprim17ROCPRIM_400000_NS6detail17trampoline_kernelINS0_14default_configENS1_22reduce_config_selectorIN6thrust23THRUST_200600_302600_NS5tupleIblNS6_9null_typeES8_S8_S8_S8_S8_S8_S8_EEEEZNS1_11reduce_implILb1ES3_NS6_12zip_iteratorINS7_INS6_11hip_rocprim26transform_input_iterator_tIbNSD_35transform_pair_of_input_iterators_tIbNS6_6detail15normal_iteratorINS6_10device_ptrIKjEEEESL_NS6_8equal_toIjEEEENSG_9not_fun_tINSD_8identityEEEEENSD_19counting_iterator_tIlEES8_S8_S8_S8_S8_S8_S8_S8_EEEEPS9_S9_NSD_9__find_if7functorIS9_EEEE10hipError_tPvRmT1_T2_T3_mT4_P12ihipStream_tbEUlT_E0_NS1_11comp_targetILNS1_3genE8ELNS1_11target_archE1030ELNS1_3gpuE2ELNS1_3repE0EEENS1_30default_config_static_selectorELNS0_4arch9wavefront6targetE1EEEvS14_,comdat
	.protected	_ZN7rocprim17ROCPRIM_400000_NS6detail17trampoline_kernelINS0_14default_configENS1_22reduce_config_selectorIN6thrust23THRUST_200600_302600_NS5tupleIblNS6_9null_typeES8_S8_S8_S8_S8_S8_S8_EEEEZNS1_11reduce_implILb1ES3_NS6_12zip_iteratorINS7_INS6_11hip_rocprim26transform_input_iterator_tIbNSD_35transform_pair_of_input_iterators_tIbNS6_6detail15normal_iteratorINS6_10device_ptrIKjEEEESL_NS6_8equal_toIjEEEENSG_9not_fun_tINSD_8identityEEEEENSD_19counting_iterator_tIlEES8_S8_S8_S8_S8_S8_S8_S8_EEEEPS9_S9_NSD_9__find_if7functorIS9_EEEE10hipError_tPvRmT1_T2_T3_mT4_P12ihipStream_tbEUlT_E0_NS1_11comp_targetILNS1_3genE8ELNS1_11target_archE1030ELNS1_3gpuE2ELNS1_3repE0EEENS1_30default_config_static_selectorELNS0_4arch9wavefront6targetE1EEEvS14_ ; -- Begin function _ZN7rocprim17ROCPRIM_400000_NS6detail17trampoline_kernelINS0_14default_configENS1_22reduce_config_selectorIN6thrust23THRUST_200600_302600_NS5tupleIblNS6_9null_typeES8_S8_S8_S8_S8_S8_S8_EEEEZNS1_11reduce_implILb1ES3_NS6_12zip_iteratorINS7_INS6_11hip_rocprim26transform_input_iterator_tIbNSD_35transform_pair_of_input_iterators_tIbNS6_6detail15normal_iteratorINS6_10device_ptrIKjEEEESL_NS6_8equal_toIjEEEENSG_9not_fun_tINSD_8identityEEEEENSD_19counting_iterator_tIlEES8_S8_S8_S8_S8_S8_S8_S8_EEEEPS9_S9_NSD_9__find_if7functorIS9_EEEE10hipError_tPvRmT1_T2_T3_mT4_P12ihipStream_tbEUlT_E0_NS1_11comp_targetILNS1_3genE8ELNS1_11target_archE1030ELNS1_3gpuE2ELNS1_3repE0EEENS1_30default_config_static_selectorELNS0_4arch9wavefront6targetE1EEEvS14_
	.globl	_ZN7rocprim17ROCPRIM_400000_NS6detail17trampoline_kernelINS0_14default_configENS1_22reduce_config_selectorIN6thrust23THRUST_200600_302600_NS5tupleIblNS6_9null_typeES8_S8_S8_S8_S8_S8_S8_EEEEZNS1_11reduce_implILb1ES3_NS6_12zip_iteratorINS7_INS6_11hip_rocprim26transform_input_iterator_tIbNSD_35transform_pair_of_input_iterators_tIbNS6_6detail15normal_iteratorINS6_10device_ptrIKjEEEESL_NS6_8equal_toIjEEEENSG_9not_fun_tINSD_8identityEEEEENSD_19counting_iterator_tIlEES8_S8_S8_S8_S8_S8_S8_S8_EEEEPS9_S9_NSD_9__find_if7functorIS9_EEEE10hipError_tPvRmT1_T2_T3_mT4_P12ihipStream_tbEUlT_E0_NS1_11comp_targetILNS1_3genE8ELNS1_11target_archE1030ELNS1_3gpuE2ELNS1_3repE0EEENS1_30default_config_static_selectorELNS0_4arch9wavefront6targetE1EEEvS14_
	.p2align	8
	.type	_ZN7rocprim17ROCPRIM_400000_NS6detail17trampoline_kernelINS0_14default_configENS1_22reduce_config_selectorIN6thrust23THRUST_200600_302600_NS5tupleIblNS6_9null_typeES8_S8_S8_S8_S8_S8_S8_EEEEZNS1_11reduce_implILb1ES3_NS6_12zip_iteratorINS7_INS6_11hip_rocprim26transform_input_iterator_tIbNSD_35transform_pair_of_input_iterators_tIbNS6_6detail15normal_iteratorINS6_10device_ptrIKjEEEESL_NS6_8equal_toIjEEEENSG_9not_fun_tINSD_8identityEEEEENSD_19counting_iterator_tIlEES8_S8_S8_S8_S8_S8_S8_S8_EEEEPS9_S9_NSD_9__find_if7functorIS9_EEEE10hipError_tPvRmT1_T2_T3_mT4_P12ihipStream_tbEUlT_E0_NS1_11comp_targetILNS1_3genE8ELNS1_11target_archE1030ELNS1_3gpuE2ELNS1_3repE0EEENS1_30default_config_static_selectorELNS0_4arch9wavefront6targetE1EEEvS14_,@function
_ZN7rocprim17ROCPRIM_400000_NS6detail17trampoline_kernelINS0_14default_configENS1_22reduce_config_selectorIN6thrust23THRUST_200600_302600_NS5tupleIblNS6_9null_typeES8_S8_S8_S8_S8_S8_S8_EEEEZNS1_11reduce_implILb1ES3_NS6_12zip_iteratorINS7_INS6_11hip_rocprim26transform_input_iterator_tIbNSD_35transform_pair_of_input_iterators_tIbNS6_6detail15normal_iteratorINS6_10device_ptrIKjEEEESL_NS6_8equal_toIjEEEENSG_9not_fun_tINSD_8identityEEEEENSD_19counting_iterator_tIlEES8_S8_S8_S8_S8_S8_S8_S8_EEEEPS9_S9_NSD_9__find_if7functorIS9_EEEE10hipError_tPvRmT1_T2_T3_mT4_P12ihipStream_tbEUlT_E0_NS1_11comp_targetILNS1_3genE8ELNS1_11target_archE1030ELNS1_3gpuE2ELNS1_3repE0EEENS1_30default_config_static_selectorELNS0_4arch9wavefront6targetE1EEEvS14_: ; @_ZN7rocprim17ROCPRIM_400000_NS6detail17trampoline_kernelINS0_14default_configENS1_22reduce_config_selectorIN6thrust23THRUST_200600_302600_NS5tupleIblNS6_9null_typeES8_S8_S8_S8_S8_S8_S8_EEEEZNS1_11reduce_implILb1ES3_NS6_12zip_iteratorINS7_INS6_11hip_rocprim26transform_input_iterator_tIbNSD_35transform_pair_of_input_iterators_tIbNS6_6detail15normal_iteratorINS6_10device_ptrIKjEEEESL_NS6_8equal_toIjEEEENSG_9not_fun_tINSD_8identityEEEEENSD_19counting_iterator_tIlEES8_S8_S8_S8_S8_S8_S8_S8_EEEEPS9_S9_NSD_9__find_if7functorIS9_EEEE10hipError_tPvRmT1_T2_T3_mT4_P12ihipStream_tbEUlT_E0_NS1_11comp_targetILNS1_3genE8ELNS1_11target_archE1030ELNS1_3gpuE2ELNS1_3repE0EEENS1_30default_config_static_selectorELNS0_4arch9wavefront6targetE1EEEvS14_
; %bb.0:
	.section	.rodata,"a",@progbits
	.p2align	6, 0x0
	.amdhsa_kernel _ZN7rocprim17ROCPRIM_400000_NS6detail17trampoline_kernelINS0_14default_configENS1_22reduce_config_selectorIN6thrust23THRUST_200600_302600_NS5tupleIblNS6_9null_typeES8_S8_S8_S8_S8_S8_S8_EEEEZNS1_11reduce_implILb1ES3_NS6_12zip_iteratorINS7_INS6_11hip_rocprim26transform_input_iterator_tIbNSD_35transform_pair_of_input_iterators_tIbNS6_6detail15normal_iteratorINS6_10device_ptrIKjEEEESL_NS6_8equal_toIjEEEENSG_9not_fun_tINSD_8identityEEEEENSD_19counting_iterator_tIlEES8_S8_S8_S8_S8_S8_S8_S8_EEEEPS9_S9_NSD_9__find_if7functorIS9_EEEE10hipError_tPvRmT1_T2_T3_mT4_P12ihipStream_tbEUlT_E0_NS1_11comp_targetILNS1_3genE8ELNS1_11target_archE1030ELNS1_3gpuE2ELNS1_3repE0EEENS1_30default_config_static_selectorELNS0_4arch9wavefront6targetE1EEEvS14_
		.amdhsa_group_segment_fixed_size 0
		.amdhsa_private_segment_fixed_size 0
		.amdhsa_kernarg_size 104
		.amdhsa_user_sgpr_count 6
		.amdhsa_user_sgpr_private_segment_buffer 1
		.amdhsa_user_sgpr_dispatch_ptr 0
		.amdhsa_user_sgpr_queue_ptr 0
		.amdhsa_user_sgpr_kernarg_segment_ptr 1
		.amdhsa_user_sgpr_dispatch_id 0
		.amdhsa_user_sgpr_flat_scratch_init 0
		.amdhsa_user_sgpr_private_segment_size 0
		.amdhsa_uses_dynamic_stack 0
		.amdhsa_system_sgpr_private_segment_wavefront_offset 0
		.amdhsa_system_sgpr_workgroup_id_x 1
		.amdhsa_system_sgpr_workgroup_id_y 0
		.amdhsa_system_sgpr_workgroup_id_z 0
		.amdhsa_system_sgpr_workgroup_info 0
		.amdhsa_system_vgpr_workitem_id 0
		.amdhsa_next_free_vgpr 1
		.amdhsa_next_free_sgpr 0
		.amdhsa_reserve_vcc 0
		.amdhsa_reserve_flat_scratch 0
		.amdhsa_float_round_mode_32 0
		.amdhsa_float_round_mode_16_64 0
		.amdhsa_float_denorm_mode_32 3
		.amdhsa_float_denorm_mode_16_64 3
		.amdhsa_dx10_clamp 1
		.amdhsa_ieee_mode 1
		.amdhsa_fp16_overflow 0
		.amdhsa_exception_fp_ieee_invalid_op 0
		.amdhsa_exception_fp_denorm_src 0
		.amdhsa_exception_fp_ieee_div_zero 0
		.amdhsa_exception_fp_ieee_overflow 0
		.amdhsa_exception_fp_ieee_underflow 0
		.amdhsa_exception_fp_ieee_inexact 0
		.amdhsa_exception_int_div_zero 0
	.end_amdhsa_kernel
	.section	.text._ZN7rocprim17ROCPRIM_400000_NS6detail17trampoline_kernelINS0_14default_configENS1_22reduce_config_selectorIN6thrust23THRUST_200600_302600_NS5tupleIblNS6_9null_typeES8_S8_S8_S8_S8_S8_S8_EEEEZNS1_11reduce_implILb1ES3_NS6_12zip_iteratorINS7_INS6_11hip_rocprim26transform_input_iterator_tIbNSD_35transform_pair_of_input_iterators_tIbNS6_6detail15normal_iteratorINS6_10device_ptrIKjEEEESL_NS6_8equal_toIjEEEENSG_9not_fun_tINSD_8identityEEEEENSD_19counting_iterator_tIlEES8_S8_S8_S8_S8_S8_S8_S8_EEEEPS9_S9_NSD_9__find_if7functorIS9_EEEE10hipError_tPvRmT1_T2_T3_mT4_P12ihipStream_tbEUlT_E0_NS1_11comp_targetILNS1_3genE8ELNS1_11target_archE1030ELNS1_3gpuE2ELNS1_3repE0EEENS1_30default_config_static_selectorELNS0_4arch9wavefront6targetE1EEEvS14_,"axG",@progbits,_ZN7rocprim17ROCPRIM_400000_NS6detail17trampoline_kernelINS0_14default_configENS1_22reduce_config_selectorIN6thrust23THRUST_200600_302600_NS5tupleIblNS6_9null_typeES8_S8_S8_S8_S8_S8_S8_EEEEZNS1_11reduce_implILb1ES3_NS6_12zip_iteratorINS7_INS6_11hip_rocprim26transform_input_iterator_tIbNSD_35transform_pair_of_input_iterators_tIbNS6_6detail15normal_iteratorINS6_10device_ptrIKjEEEESL_NS6_8equal_toIjEEEENSG_9not_fun_tINSD_8identityEEEEENSD_19counting_iterator_tIlEES8_S8_S8_S8_S8_S8_S8_S8_EEEEPS9_S9_NSD_9__find_if7functorIS9_EEEE10hipError_tPvRmT1_T2_T3_mT4_P12ihipStream_tbEUlT_E0_NS1_11comp_targetILNS1_3genE8ELNS1_11target_archE1030ELNS1_3gpuE2ELNS1_3repE0EEENS1_30default_config_static_selectorELNS0_4arch9wavefront6targetE1EEEvS14_,comdat
.Lfunc_end491:
	.size	_ZN7rocprim17ROCPRIM_400000_NS6detail17trampoline_kernelINS0_14default_configENS1_22reduce_config_selectorIN6thrust23THRUST_200600_302600_NS5tupleIblNS6_9null_typeES8_S8_S8_S8_S8_S8_S8_EEEEZNS1_11reduce_implILb1ES3_NS6_12zip_iteratorINS7_INS6_11hip_rocprim26transform_input_iterator_tIbNSD_35transform_pair_of_input_iterators_tIbNS6_6detail15normal_iteratorINS6_10device_ptrIKjEEEESL_NS6_8equal_toIjEEEENSG_9not_fun_tINSD_8identityEEEEENSD_19counting_iterator_tIlEES8_S8_S8_S8_S8_S8_S8_S8_EEEEPS9_S9_NSD_9__find_if7functorIS9_EEEE10hipError_tPvRmT1_T2_T3_mT4_P12ihipStream_tbEUlT_E0_NS1_11comp_targetILNS1_3genE8ELNS1_11target_archE1030ELNS1_3gpuE2ELNS1_3repE0EEENS1_30default_config_static_selectorELNS0_4arch9wavefront6targetE1EEEvS14_, .Lfunc_end491-_ZN7rocprim17ROCPRIM_400000_NS6detail17trampoline_kernelINS0_14default_configENS1_22reduce_config_selectorIN6thrust23THRUST_200600_302600_NS5tupleIblNS6_9null_typeES8_S8_S8_S8_S8_S8_S8_EEEEZNS1_11reduce_implILb1ES3_NS6_12zip_iteratorINS7_INS6_11hip_rocprim26transform_input_iterator_tIbNSD_35transform_pair_of_input_iterators_tIbNS6_6detail15normal_iteratorINS6_10device_ptrIKjEEEESL_NS6_8equal_toIjEEEENSG_9not_fun_tINSD_8identityEEEEENSD_19counting_iterator_tIlEES8_S8_S8_S8_S8_S8_S8_S8_EEEEPS9_S9_NSD_9__find_if7functorIS9_EEEE10hipError_tPvRmT1_T2_T3_mT4_P12ihipStream_tbEUlT_E0_NS1_11comp_targetILNS1_3genE8ELNS1_11target_archE1030ELNS1_3gpuE2ELNS1_3repE0EEENS1_30default_config_static_selectorELNS0_4arch9wavefront6targetE1EEEvS14_
                                        ; -- End function
	.set _ZN7rocprim17ROCPRIM_400000_NS6detail17trampoline_kernelINS0_14default_configENS1_22reduce_config_selectorIN6thrust23THRUST_200600_302600_NS5tupleIblNS6_9null_typeES8_S8_S8_S8_S8_S8_S8_EEEEZNS1_11reduce_implILb1ES3_NS6_12zip_iteratorINS7_INS6_11hip_rocprim26transform_input_iterator_tIbNSD_35transform_pair_of_input_iterators_tIbNS6_6detail15normal_iteratorINS6_10device_ptrIKjEEEESL_NS6_8equal_toIjEEEENSG_9not_fun_tINSD_8identityEEEEENSD_19counting_iterator_tIlEES8_S8_S8_S8_S8_S8_S8_S8_EEEEPS9_S9_NSD_9__find_if7functorIS9_EEEE10hipError_tPvRmT1_T2_T3_mT4_P12ihipStream_tbEUlT_E0_NS1_11comp_targetILNS1_3genE8ELNS1_11target_archE1030ELNS1_3gpuE2ELNS1_3repE0EEENS1_30default_config_static_selectorELNS0_4arch9wavefront6targetE1EEEvS14_.num_vgpr, 0
	.set _ZN7rocprim17ROCPRIM_400000_NS6detail17trampoline_kernelINS0_14default_configENS1_22reduce_config_selectorIN6thrust23THRUST_200600_302600_NS5tupleIblNS6_9null_typeES8_S8_S8_S8_S8_S8_S8_EEEEZNS1_11reduce_implILb1ES3_NS6_12zip_iteratorINS7_INS6_11hip_rocprim26transform_input_iterator_tIbNSD_35transform_pair_of_input_iterators_tIbNS6_6detail15normal_iteratorINS6_10device_ptrIKjEEEESL_NS6_8equal_toIjEEEENSG_9not_fun_tINSD_8identityEEEEENSD_19counting_iterator_tIlEES8_S8_S8_S8_S8_S8_S8_S8_EEEEPS9_S9_NSD_9__find_if7functorIS9_EEEE10hipError_tPvRmT1_T2_T3_mT4_P12ihipStream_tbEUlT_E0_NS1_11comp_targetILNS1_3genE8ELNS1_11target_archE1030ELNS1_3gpuE2ELNS1_3repE0EEENS1_30default_config_static_selectorELNS0_4arch9wavefront6targetE1EEEvS14_.num_agpr, 0
	.set _ZN7rocprim17ROCPRIM_400000_NS6detail17trampoline_kernelINS0_14default_configENS1_22reduce_config_selectorIN6thrust23THRUST_200600_302600_NS5tupleIblNS6_9null_typeES8_S8_S8_S8_S8_S8_S8_EEEEZNS1_11reduce_implILb1ES3_NS6_12zip_iteratorINS7_INS6_11hip_rocprim26transform_input_iterator_tIbNSD_35transform_pair_of_input_iterators_tIbNS6_6detail15normal_iteratorINS6_10device_ptrIKjEEEESL_NS6_8equal_toIjEEEENSG_9not_fun_tINSD_8identityEEEEENSD_19counting_iterator_tIlEES8_S8_S8_S8_S8_S8_S8_S8_EEEEPS9_S9_NSD_9__find_if7functorIS9_EEEE10hipError_tPvRmT1_T2_T3_mT4_P12ihipStream_tbEUlT_E0_NS1_11comp_targetILNS1_3genE8ELNS1_11target_archE1030ELNS1_3gpuE2ELNS1_3repE0EEENS1_30default_config_static_selectorELNS0_4arch9wavefront6targetE1EEEvS14_.numbered_sgpr, 0
	.set _ZN7rocprim17ROCPRIM_400000_NS6detail17trampoline_kernelINS0_14default_configENS1_22reduce_config_selectorIN6thrust23THRUST_200600_302600_NS5tupleIblNS6_9null_typeES8_S8_S8_S8_S8_S8_S8_EEEEZNS1_11reduce_implILb1ES3_NS6_12zip_iteratorINS7_INS6_11hip_rocprim26transform_input_iterator_tIbNSD_35transform_pair_of_input_iterators_tIbNS6_6detail15normal_iteratorINS6_10device_ptrIKjEEEESL_NS6_8equal_toIjEEEENSG_9not_fun_tINSD_8identityEEEEENSD_19counting_iterator_tIlEES8_S8_S8_S8_S8_S8_S8_S8_EEEEPS9_S9_NSD_9__find_if7functorIS9_EEEE10hipError_tPvRmT1_T2_T3_mT4_P12ihipStream_tbEUlT_E0_NS1_11comp_targetILNS1_3genE8ELNS1_11target_archE1030ELNS1_3gpuE2ELNS1_3repE0EEENS1_30default_config_static_selectorELNS0_4arch9wavefront6targetE1EEEvS14_.num_named_barrier, 0
	.set _ZN7rocprim17ROCPRIM_400000_NS6detail17trampoline_kernelINS0_14default_configENS1_22reduce_config_selectorIN6thrust23THRUST_200600_302600_NS5tupleIblNS6_9null_typeES8_S8_S8_S8_S8_S8_S8_EEEEZNS1_11reduce_implILb1ES3_NS6_12zip_iteratorINS7_INS6_11hip_rocprim26transform_input_iterator_tIbNSD_35transform_pair_of_input_iterators_tIbNS6_6detail15normal_iteratorINS6_10device_ptrIKjEEEESL_NS6_8equal_toIjEEEENSG_9not_fun_tINSD_8identityEEEEENSD_19counting_iterator_tIlEES8_S8_S8_S8_S8_S8_S8_S8_EEEEPS9_S9_NSD_9__find_if7functorIS9_EEEE10hipError_tPvRmT1_T2_T3_mT4_P12ihipStream_tbEUlT_E0_NS1_11comp_targetILNS1_3genE8ELNS1_11target_archE1030ELNS1_3gpuE2ELNS1_3repE0EEENS1_30default_config_static_selectorELNS0_4arch9wavefront6targetE1EEEvS14_.private_seg_size, 0
	.set _ZN7rocprim17ROCPRIM_400000_NS6detail17trampoline_kernelINS0_14default_configENS1_22reduce_config_selectorIN6thrust23THRUST_200600_302600_NS5tupleIblNS6_9null_typeES8_S8_S8_S8_S8_S8_S8_EEEEZNS1_11reduce_implILb1ES3_NS6_12zip_iteratorINS7_INS6_11hip_rocprim26transform_input_iterator_tIbNSD_35transform_pair_of_input_iterators_tIbNS6_6detail15normal_iteratorINS6_10device_ptrIKjEEEESL_NS6_8equal_toIjEEEENSG_9not_fun_tINSD_8identityEEEEENSD_19counting_iterator_tIlEES8_S8_S8_S8_S8_S8_S8_S8_EEEEPS9_S9_NSD_9__find_if7functorIS9_EEEE10hipError_tPvRmT1_T2_T3_mT4_P12ihipStream_tbEUlT_E0_NS1_11comp_targetILNS1_3genE8ELNS1_11target_archE1030ELNS1_3gpuE2ELNS1_3repE0EEENS1_30default_config_static_selectorELNS0_4arch9wavefront6targetE1EEEvS14_.uses_vcc, 0
	.set _ZN7rocprim17ROCPRIM_400000_NS6detail17trampoline_kernelINS0_14default_configENS1_22reduce_config_selectorIN6thrust23THRUST_200600_302600_NS5tupleIblNS6_9null_typeES8_S8_S8_S8_S8_S8_S8_EEEEZNS1_11reduce_implILb1ES3_NS6_12zip_iteratorINS7_INS6_11hip_rocprim26transform_input_iterator_tIbNSD_35transform_pair_of_input_iterators_tIbNS6_6detail15normal_iteratorINS6_10device_ptrIKjEEEESL_NS6_8equal_toIjEEEENSG_9not_fun_tINSD_8identityEEEEENSD_19counting_iterator_tIlEES8_S8_S8_S8_S8_S8_S8_S8_EEEEPS9_S9_NSD_9__find_if7functorIS9_EEEE10hipError_tPvRmT1_T2_T3_mT4_P12ihipStream_tbEUlT_E0_NS1_11comp_targetILNS1_3genE8ELNS1_11target_archE1030ELNS1_3gpuE2ELNS1_3repE0EEENS1_30default_config_static_selectorELNS0_4arch9wavefront6targetE1EEEvS14_.uses_flat_scratch, 0
	.set _ZN7rocprim17ROCPRIM_400000_NS6detail17trampoline_kernelINS0_14default_configENS1_22reduce_config_selectorIN6thrust23THRUST_200600_302600_NS5tupleIblNS6_9null_typeES8_S8_S8_S8_S8_S8_S8_EEEEZNS1_11reduce_implILb1ES3_NS6_12zip_iteratorINS7_INS6_11hip_rocprim26transform_input_iterator_tIbNSD_35transform_pair_of_input_iterators_tIbNS6_6detail15normal_iteratorINS6_10device_ptrIKjEEEESL_NS6_8equal_toIjEEEENSG_9not_fun_tINSD_8identityEEEEENSD_19counting_iterator_tIlEES8_S8_S8_S8_S8_S8_S8_S8_EEEEPS9_S9_NSD_9__find_if7functorIS9_EEEE10hipError_tPvRmT1_T2_T3_mT4_P12ihipStream_tbEUlT_E0_NS1_11comp_targetILNS1_3genE8ELNS1_11target_archE1030ELNS1_3gpuE2ELNS1_3repE0EEENS1_30default_config_static_selectorELNS0_4arch9wavefront6targetE1EEEvS14_.has_dyn_sized_stack, 0
	.set _ZN7rocprim17ROCPRIM_400000_NS6detail17trampoline_kernelINS0_14default_configENS1_22reduce_config_selectorIN6thrust23THRUST_200600_302600_NS5tupleIblNS6_9null_typeES8_S8_S8_S8_S8_S8_S8_EEEEZNS1_11reduce_implILb1ES3_NS6_12zip_iteratorINS7_INS6_11hip_rocprim26transform_input_iterator_tIbNSD_35transform_pair_of_input_iterators_tIbNS6_6detail15normal_iteratorINS6_10device_ptrIKjEEEESL_NS6_8equal_toIjEEEENSG_9not_fun_tINSD_8identityEEEEENSD_19counting_iterator_tIlEES8_S8_S8_S8_S8_S8_S8_S8_EEEEPS9_S9_NSD_9__find_if7functorIS9_EEEE10hipError_tPvRmT1_T2_T3_mT4_P12ihipStream_tbEUlT_E0_NS1_11comp_targetILNS1_3genE8ELNS1_11target_archE1030ELNS1_3gpuE2ELNS1_3repE0EEENS1_30default_config_static_selectorELNS0_4arch9wavefront6targetE1EEEvS14_.has_recursion, 0
	.set _ZN7rocprim17ROCPRIM_400000_NS6detail17trampoline_kernelINS0_14default_configENS1_22reduce_config_selectorIN6thrust23THRUST_200600_302600_NS5tupleIblNS6_9null_typeES8_S8_S8_S8_S8_S8_S8_EEEEZNS1_11reduce_implILb1ES3_NS6_12zip_iteratorINS7_INS6_11hip_rocprim26transform_input_iterator_tIbNSD_35transform_pair_of_input_iterators_tIbNS6_6detail15normal_iteratorINS6_10device_ptrIKjEEEESL_NS6_8equal_toIjEEEENSG_9not_fun_tINSD_8identityEEEEENSD_19counting_iterator_tIlEES8_S8_S8_S8_S8_S8_S8_S8_EEEEPS9_S9_NSD_9__find_if7functorIS9_EEEE10hipError_tPvRmT1_T2_T3_mT4_P12ihipStream_tbEUlT_E0_NS1_11comp_targetILNS1_3genE8ELNS1_11target_archE1030ELNS1_3gpuE2ELNS1_3repE0EEENS1_30default_config_static_selectorELNS0_4arch9wavefront6targetE1EEEvS14_.has_indirect_call, 0
	.section	.AMDGPU.csdata,"",@progbits
; Kernel info:
; codeLenInByte = 0
; TotalNumSgprs: 4
; NumVgprs: 0
; ScratchSize: 0
; MemoryBound: 0
; FloatMode: 240
; IeeeMode: 1
; LDSByteSize: 0 bytes/workgroup (compile time only)
; SGPRBlocks: 0
; VGPRBlocks: 0
; NumSGPRsForWavesPerEU: 4
; NumVGPRsForWavesPerEU: 1
; Occupancy: 10
; WaveLimiterHint : 0
; COMPUTE_PGM_RSRC2:SCRATCH_EN: 0
; COMPUTE_PGM_RSRC2:USER_SGPR: 6
; COMPUTE_PGM_RSRC2:TRAP_HANDLER: 0
; COMPUTE_PGM_RSRC2:TGID_X_EN: 1
; COMPUTE_PGM_RSRC2:TGID_Y_EN: 0
; COMPUTE_PGM_RSRC2:TGID_Z_EN: 0
; COMPUTE_PGM_RSRC2:TIDIG_COMP_CNT: 0
	.section	.text._ZN7rocprim17ROCPRIM_400000_NS6detail17trampoline_kernelINS0_14default_configENS1_22reduce_config_selectorIN6thrust23THRUST_200600_302600_NS5tupleIblNS6_9null_typeES8_S8_S8_S8_S8_S8_S8_EEEEZNS1_11reduce_implILb1ES3_NS6_12zip_iteratorINS7_INS6_11hip_rocprim26transform_input_iterator_tIbNSD_35transform_pair_of_input_iterators_tIbNS6_6detail15normal_iteratorINS6_10device_ptrIKjEEEESL_NS6_8equal_toIjEEEENSG_9not_fun_tINSD_8identityEEEEENSD_19counting_iterator_tIlEES8_S8_S8_S8_S8_S8_S8_S8_EEEEPS9_S9_NSD_9__find_if7functorIS9_EEEE10hipError_tPvRmT1_T2_T3_mT4_P12ihipStream_tbEUlT_E1_NS1_11comp_targetILNS1_3genE0ELNS1_11target_archE4294967295ELNS1_3gpuE0ELNS1_3repE0EEENS1_30default_config_static_selectorELNS0_4arch9wavefront6targetE1EEEvS14_,"axG",@progbits,_ZN7rocprim17ROCPRIM_400000_NS6detail17trampoline_kernelINS0_14default_configENS1_22reduce_config_selectorIN6thrust23THRUST_200600_302600_NS5tupleIblNS6_9null_typeES8_S8_S8_S8_S8_S8_S8_EEEEZNS1_11reduce_implILb1ES3_NS6_12zip_iteratorINS7_INS6_11hip_rocprim26transform_input_iterator_tIbNSD_35transform_pair_of_input_iterators_tIbNS6_6detail15normal_iteratorINS6_10device_ptrIKjEEEESL_NS6_8equal_toIjEEEENSG_9not_fun_tINSD_8identityEEEEENSD_19counting_iterator_tIlEES8_S8_S8_S8_S8_S8_S8_S8_EEEEPS9_S9_NSD_9__find_if7functorIS9_EEEE10hipError_tPvRmT1_T2_T3_mT4_P12ihipStream_tbEUlT_E1_NS1_11comp_targetILNS1_3genE0ELNS1_11target_archE4294967295ELNS1_3gpuE0ELNS1_3repE0EEENS1_30default_config_static_selectorELNS0_4arch9wavefront6targetE1EEEvS14_,comdat
	.protected	_ZN7rocprim17ROCPRIM_400000_NS6detail17trampoline_kernelINS0_14default_configENS1_22reduce_config_selectorIN6thrust23THRUST_200600_302600_NS5tupleIblNS6_9null_typeES8_S8_S8_S8_S8_S8_S8_EEEEZNS1_11reduce_implILb1ES3_NS6_12zip_iteratorINS7_INS6_11hip_rocprim26transform_input_iterator_tIbNSD_35transform_pair_of_input_iterators_tIbNS6_6detail15normal_iteratorINS6_10device_ptrIKjEEEESL_NS6_8equal_toIjEEEENSG_9not_fun_tINSD_8identityEEEEENSD_19counting_iterator_tIlEES8_S8_S8_S8_S8_S8_S8_S8_EEEEPS9_S9_NSD_9__find_if7functorIS9_EEEE10hipError_tPvRmT1_T2_T3_mT4_P12ihipStream_tbEUlT_E1_NS1_11comp_targetILNS1_3genE0ELNS1_11target_archE4294967295ELNS1_3gpuE0ELNS1_3repE0EEENS1_30default_config_static_selectorELNS0_4arch9wavefront6targetE1EEEvS14_ ; -- Begin function _ZN7rocprim17ROCPRIM_400000_NS6detail17trampoline_kernelINS0_14default_configENS1_22reduce_config_selectorIN6thrust23THRUST_200600_302600_NS5tupleIblNS6_9null_typeES8_S8_S8_S8_S8_S8_S8_EEEEZNS1_11reduce_implILb1ES3_NS6_12zip_iteratorINS7_INS6_11hip_rocprim26transform_input_iterator_tIbNSD_35transform_pair_of_input_iterators_tIbNS6_6detail15normal_iteratorINS6_10device_ptrIKjEEEESL_NS6_8equal_toIjEEEENSG_9not_fun_tINSD_8identityEEEEENSD_19counting_iterator_tIlEES8_S8_S8_S8_S8_S8_S8_S8_EEEEPS9_S9_NSD_9__find_if7functorIS9_EEEE10hipError_tPvRmT1_T2_T3_mT4_P12ihipStream_tbEUlT_E1_NS1_11comp_targetILNS1_3genE0ELNS1_11target_archE4294967295ELNS1_3gpuE0ELNS1_3repE0EEENS1_30default_config_static_selectorELNS0_4arch9wavefront6targetE1EEEvS14_
	.globl	_ZN7rocprim17ROCPRIM_400000_NS6detail17trampoline_kernelINS0_14default_configENS1_22reduce_config_selectorIN6thrust23THRUST_200600_302600_NS5tupleIblNS6_9null_typeES8_S8_S8_S8_S8_S8_S8_EEEEZNS1_11reduce_implILb1ES3_NS6_12zip_iteratorINS7_INS6_11hip_rocprim26transform_input_iterator_tIbNSD_35transform_pair_of_input_iterators_tIbNS6_6detail15normal_iteratorINS6_10device_ptrIKjEEEESL_NS6_8equal_toIjEEEENSG_9not_fun_tINSD_8identityEEEEENSD_19counting_iterator_tIlEES8_S8_S8_S8_S8_S8_S8_S8_EEEEPS9_S9_NSD_9__find_if7functorIS9_EEEE10hipError_tPvRmT1_T2_T3_mT4_P12ihipStream_tbEUlT_E1_NS1_11comp_targetILNS1_3genE0ELNS1_11target_archE4294967295ELNS1_3gpuE0ELNS1_3repE0EEENS1_30default_config_static_selectorELNS0_4arch9wavefront6targetE1EEEvS14_
	.p2align	8
	.type	_ZN7rocprim17ROCPRIM_400000_NS6detail17trampoline_kernelINS0_14default_configENS1_22reduce_config_selectorIN6thrust23THRUST_200600_302600_NS5tupleIblNS6_9null_typeES8_S8_S8_S8_S8_S8_S8_EEEEZNS1_11reduce_implILb1ES3_NS6_12zip_iteratorINS7_INS6_11hip_rocprim26transform_input_iterator_tIbNSD_35transform_pair_of_input_iterators_tIbNS6_6detail15normal_iteratorINS6_10device_ptrIKjEEEESL_NS6_8equal_toIjEEEENSG_9not_fun_tINSD_8identityEEEEENSD_19counting_iterator_tIlEES8_S8_S8_S8_S8_S8_S8_S8_EEEEPS9_S9_NSD_9__find_if7functorIS9_EEEE10hipError_tPvRmT1_T2_T3_mT4_P12ihipStream_tbEUlT_E1_NS1_11comp_targetILNS1_3genE0ELNS1_11target_archE4294967295ELNS1_3gpuE0ELNS1_3repE0EEENS1_30default_config_static_selectorELNS0_4arch9wavefront6targetE1EEEvS14_,@function
_ZN7rocprim17ROCPRIM_400000_NS6detail17trampoline_kernelINS0_14default_configENS1_22reduce_config_selectorIN6thrust23THRUST_200600_302600_NS5tupleIblNS6_9null_typeES8_S8_S8_S8_S8_S8_S8_EEEEZNS1_11reduce_implILb1ES3_NS6_12zip_iteratorINS7_INS6_11hip_rocprim26transform_input_iterator_tIbNSD_35transform_pair_of_input_iterators_tIbNS6_6detail15normal_iteratorINS6_10device_ptrIKjEEEESL_NS6_8equal_toIjEEEENSG_9not_fun_tINSD_8identityEEEEENSD_19counting_iterator_tIlEES8_S8_S8_S8_S8_S8_S8_S8_EEEEPS9_S9_NSD_9__find_if7functorIS9_EEEE10hipError_tPvRmT1_T2_T3_mT4_P12ihipStream_tbEUlT_E1_NS1_11comp_targetILNS1_3genE0ELNS1_11target_archE4294967295ELNS1_3gpuE0ELNS1_3repE0EEENS1_30default_config_static_selectorELNS0_4arch9wavefront6targetE1EEEvS14_: ; @_ZN7rocprim17ROCPRIM_400000_NS6detail17trampoline_kernelINS0_14default_configENS1_22reduce_config_selectorIN6thrust23THRUST_200600_302600_NS5tupleIblNS6_9null_typeES8_S8_S8_S8_S8_S8_S8_EEEEZNS1_11reduce_implILb1ES3_NS6_12zip_iteratorINS7_INS6_11hip_rocprim26transform_input_iterator_tIbNSD_35transform_pair_of_input_iterators_tIbNS6_6detail15normal_iteratorINS6_10device_ptrIKjEEEESL_NS6_8equal_toIjEEEENSG_9not_fun_tINSD_8identityEEEEENSD_19counting_iterator_tIlEES8_S8_S8_S8_S8_S8_S8_S8_EEEEPS9_S9_NSD_9__find_if7functorIS9_EEEE10hipError_tPvRmT1_T2_T3_mT4_P12ihipStream_tbEUlT_E1_NS1_11comp_targetILNS1_3genE0ELNS1_11target_archE4294967295ELNS1_3gpuE0ELNS1_3repE0EEENS1_30default_config_static_selectorELNS0_4arch9wavefront6targetE1EEEvS14_
; %bb.0:
	.section	.rodata,"a",@progbits
	.p2align	6, 0x0
	.amdhsa_kernel _ZN7rocprim17ROCPRIM_400000_NS6detail17trampoline_kernelINS0_14default_configENS1_22reduce_config_selectorIN6thrust23THRUST_200600_302600_NS5tupleIblNS6_9null_typeES8_S8_S8_S8_S8_S8_S8_EEEEZNS1_11reduce_implILb1ES3_NS6_12zip_iteratorINS7_INS6_11hip_rocprim26transform_input_iterator_tIbNSD_35transform_pair_of_input_iterators_tIbNS6_6detail15normal_iteratorINS6_10device_ptrIKjEEEESL_NS6_8equal_toIjEEEENSG_9not_fun_tINSD_8identityEEEEENSD_19counting_iterator_tIlEES8_S8_S8_S8_S8_S8_S8_S8_EEEEPS9_S9_NSD_9__find_if7functorIS9_EEEE10hipError_tPvRmT1_T2_T3_mT4_P12ihipStream_tbEUlT_E1_NS1_11comp_targetILNS1_3genE0ELNS1_11target_archE4294967295ELNS1_3gpuE0ELNS1_3repE0EEENS1_30default_config_static_selectorELNS0_4arch9wavefront6targetE1EEEvS14_
		.amdhsa_group_segment_fixed_size 0
		.amdhsa_private_segment_fixed_size 0
		.amdhsa_kernarg_size 88
		.amdhsa_user_sgpr_count 6
		.amdhsa_user_sgpr_private_segment_buffer 1
		.amdhsa_user_sgpr_dispatch_ptr 0
		.amdhsa_user_sgpr_queue_ptr 0
		.amdhsa_user_sgpr_kernarg_segment_ptr 1
		.amdhsa_user_sgpr_dispatch_id 0
		.amdhsa_user_sgpr_flat_scratch_init 0
		.amdhsa_user_sgpr_private_segment_size 0
		.amdhsa_uses_dynamic_stack 0
		.amdhsa_system_sgpr_private_segment_wavefront_offset 0
		.amdhsa_system_sgpr_workgroup_id_x 1
		.amdhsa_system_sgpr_workgroup_id_y 0
		.amdhsa_system_sgpr_workgroup_id_z 0
		.amdhsa_system_sgpr_workgroup_info 0
		.amdhsa_system_vgpr_workitem_id 0
		.amdhsa_next_free_vgpr 1
		.amdhsa_next_free_sgpr 0
		.amdhsa_reserve_vcc 0
		.amdhsa_reserve_flat_scratch 0
		.amdhsa_float_round_mode_32 0
		.amdhsa_float_round_mode_16_64 0
		.amdhsa_float_denorm_mode_32 3
		.amdhsa_float_denorm_mode_16_64 3
		.amdhsa_dx10_clamp 1
		.amdhsa_ieee_mode 1
		.amdhsa_fp16_overflow 0
		.amdhsa_exception_fp_ieee_invalid_op 0
		.amdhsa_exception_fp_denorm_src 0
		.amdhsa_exception_fp_ieee_div_zero 0
		.amdhsa_exception_fp_ieee_overflow 0
		.amdhsa_exception_fp_ieee_underflow 0
		.amdhsa_exception_fp_ieee_inexact 0
		.amdhsa_exception_int_div_zero 0
	.end_amdhsa_kernel
	.section	.text._ZN7rocprim17ROCPRIM_400000_NS6detail17trampoline_kernelINS0_14default_configENS1_22reduce_config_selectorIN6thrust23THRUST_200600_302600_NS5tupleIblNS6_9null_typeES8_S8_S8_S8_S8_S8_S8_EEEEZNS1_11reduce_implILb1ES3_NS6_12zip_iteratorINS7_INS6_11hip_rocprim26transform_input_iterator_tIbNSD_35transform_pair_of_input_iterators_tIbNS6_6detail15normal_iteratorINS6_10device_ptrIKjEEEESL_NS6_8equal_toIjEEEENSG_9not_fun_tINSD_8identityEEEEENSD_19counting_iterator_tIlEES8_S8_S8_S8_S8_S8_S8_S8_EEEEPS9_S9_NSD_9__find_if7functorIS9_EEEE10hipError_tPvRmT1_T2_T3_mT4_P12ihipStream_tbEUlT_E1_NS1_11comp_targetILNS1_3genE0ELNS1_11target_archE4294967295ELNS1_3gpuE0ELNS1_3repE0EEENS1_30default_config_static_selectorELNS0_4arch9wavefront6targetE1EEEvS14_,"axG",@progbits,_ZN7rocprim17ROCPRIM_400000_NS6detail17trampoline_kernelINS0_14default_configENS1_22reduce_config_selectorIN6thrust23THRUST_200600_302600_NS5tupleIblNS6_9null_typeES8_S8_S8_S8_S8_S8_S8_EEEEZNS1_11reduce_implILb1ES3_NS6_12zip_iteratorINS7_INS6_11hip_rocprim26transform_input_iterator_tIbNSD_35transform_pair_of_input_iterators_tIbNS6_6detail15normal_iteratorINS6_10device_ptrIKjEEEESL_NS6_8equal_toIjEEEENSG_9not_fun_tINSD_8identityEEEEENSD_19counting_iterator_tIlEES8_S8_S8_S8_S8_S8_S8_S8_EEEEPS9_S9_NSD_9__find_if7functorIS9_EEEE10hipError_tPvRmT1_T2_T3_mT4_P12ihipStream_tbEUlT_E1_NS1_11comp_targetILNS1_3genE0ELNS1_11target_archE4294967295ELNS1_3gpuE0ELNS1_3repE0EEENS1_30default_config_static_selectorELNS0_4arch9wavefront6targetE1EEEvS14_,comdat
.Lfunc_end492:
	.size	_ZN7rocprim17ROCPRIM_400000_NS6detail17trampoline_kernelINS0_14default_configENS1_22reduce_config_selectorIN6thrust23THRUST_200600_302600_NS5tupleIblNS6_9null_typeES8_S8_S8_S8_S8_S8_S8_EEEEZNS1_11reduce_implILb1ES3_NS6_12zip_iteratorINS7_INS6_11hip_rocprim26transform_input_iterator_tIbNSD_35transform_pair_of_input_iterators_tIbNS6_6detail15normal_iteratorINS6_10device_ptrIKjEEEESL_NS6_8equal_toIjEEEENSG_9not_fun_tINSD_8identityEEEEENSD_19counting_iterator_tIlEES8_S8_S8_S8_S8_S8_S8_S8_EEEEPS9_S9_NSD_9__find_if7functorIS9_EEEE10hipError_tPvRmT1_T2_T3_mT4_P12ihipStream_tbEUlT_E1_NS1_11comp_targetILNS1_3genE0ELNS1_11target_archE4294967295ELNS1_3gpuE0ELNS1_3repE0EEENS1_30default_config_static_selectorELNS0_4arch9wavefront6targetE1EEEvS14_, .Lfunc_end492-_ZN7rocprim17ROCPRIM_400000_NS6detail17trampoline_kernelINS0_14default_configENS1_22reduce_config_selectorIN6thrust23THRUST_200600_302600_NS5tupleIblNS6_9null_typeES8_S8_S8_S8_S8_S8_S8_EEEEZNS1_11reduce_implILb1ES3_NS6_12zip_iteratorINS7_INS6_11hip_rocprim26transform_input_iterator_tIbNSD_35transform_pair_of_input_iterators_tIbNS6_6detail15normal_iteratorINS6_10device_ptrIKjEEEESL_NS6_8equal_toIjEEEENSG_9not_fun_tINSD_8identityEEEEENSD_19counting_iterator_tIlEES8_S8_S8_S8_S8_S8_S8_S8_EEEEPS9_S9_NSD_9__find_if7functorIS9_EEEE10hipError_tPvRmT1_T2_T3_mT4_P12ihipStream_tbEUlT_E1_NS1_11comp_targetILNS1_3genE0ELNS1_11target_archE4294967295ELNS1_3gpuE0ELNS1_3repE0EEENS1_30default_config_static_selectorELNS0_4arch9wavefront6targetE1EEEvS14_
                                        ; -- End function
	.set _ZN7rocprim17ROCPRIM_400000_NS6detail17trampoline_kernelINS0_14default_configENS1_22reduce_config_selectorIN6thrust23THRUST_200600_302600_NS5tupleIblNS6_9null_typeES8_S8_S8_S8_S8_S8_S8_EEEEZNS1_11reduce_implILb1ES3_NS6_12zip_iteratorINS7_INS6_11hip_rocprim26transform_input_iterator_tIbNSD_35transform_pair_of_input_iterators_tIbNS6_6detail15normal_iteratorINS6_10device_ptrIKjEEEESL_NS6_8equal_toIjEEEENSG_9not_fun_tINSD_8identityEEEEENSD_19counting_iterator_tIlEES8_S8_S8_S8_S8_S8_S8_S8_EEEEPS9_S9_NSD_9__find_if7functorIS9_EEEE10hipError_tPvRmT1_T2_T3_mT4_P12ihipStream_tbEUlT_E1_NS1_11comp_targetILNS1_3genE0ELNS1_11target_archE4294967295ELNS1_3gpuE0ELNS1_3repE0EEENS1_30default_config_static_selectorELNS0_4arch9wavefront6targetE1EEEvS14_.num_vgpr, 0
	.set _ZN7rocprim17ROCPRIM_400000_NS6detail17trampoline_kernelINS0_14default_configENS1_22reduce_config_selectorIN6thrust23THRUST_200600_302600_NS5tupleIblNS6_9null_typeES8_S8_S8_S8_S8_S8_S8_EEEEZNS1_11reduce_implILb1ES3_NS6_12zip_iteratorINS7_INS6_11hip_rocprim26transform_input_iterator_tIbNSD_35transform_pair_of_input_iterators_tIbNS6_6detail15normal_iteratorINS6_10device_ptrIKjEEEESL_NS6_8equal_toIjEEEENSG_9not_fun_tINSD_8identityEEEEENSD_19counting_iterator_tIlEES8_S8_S8_S8_S8_S8_S8_S8_EEEEPS9_S9_NSD_9__find_if7functorIS9_EEEE10hipError_tPvRmT1_T2_T3_mT4_P12ihipStream_tbEUlT_E1_NS1_11comp_targetILNS1_3genE0ELNS1_11target_archE4294967295ELNS1_3gpuE0ELNS1_3repE0EEENS1_30default_config_static_selectorELNS0_4arch9wavefront6targetE1EEEvS14_.num_agpr, 0
	.set _ZN7rocprim17ROCPRIM_400000_NS6detail17trampoline_kernelINS0_14default_configENS1_22reduce_config_selectorIN6thrust23THRUST_200600_302600_NS5tupleIblNS6_9null_typeES8_S8_S8_S8_S8_S8_S8_EEEEZNS1_11reduce_implILb1ES3_NS6_12zip_iteratorINS7_INS6_11hip_rocprim26transform_input_iterator_tIbNSD_35transform_pair_of_input_iterators_tIbNS6_6detail15normal_iteratorINS6_10device_ptrIKjEEEESL_NS6_8equal_toIjEEEENSG_9not_fun_tINSD_8identityEEEEENSD_19counting_iterator_tIlEES8_S8_S8_S8_S8_S8_S8_S8_EEEEPS9_S9_NSD_9__find_if7functorIS9_EEEE10hipError_tPvRmT1_T2_T3_mT4_P12ihipStream_tbEUlT_E1_NS1_11comp_targetILNS1_3genE0ELNS1_11target_archE4294967295ELNS1_3gpuE0ELNS1_3repE0EEENS1_30default_config_static_selectorELNS0_4arch9wavefront6targetE1EEEvS14_.numbered_sgpr, 0
	.set _ZN7rocprim17ROCPRIM_400000_NS6detail17trampoline_kernelINS0_14default_configENS1_22reduce_config_selectorIN6thrust23THRUST_200600_302600_NS5tupleIblNS6_9null_typeES8_S8_S8_S8_S8_S8_S8_EEEEZNS1_11reduce_implILb1ES3_NS6_12zip_iteratorINS7_INS6_11hip_rocprim26transform_input_iterator_tIbNSD_35transform_pair_of_input_iterators_tIbNS6_6detail15normal_iteratorINS6_10device_ptrIKjEEEESL_NS6_8equal_toIjEEEENSG_9not_fun_tINSD_8identityEEEEENSD_19counting_iterator_tIlEES8_S8_S8_S8_S8_S8_S8_S8_EEEEPS9_S9_NSD_9__find_if7functorIS9_EEEE10hipError_tPvRmT1_T2_T3_mT4_P12ihipStream_tbEUlT_E1_NS1_11comp_targetILNS1_3genE0ELNS1_11target_archE4294967295ELNS1_3gpuE0ELNS1_3repE0EEENS1_30default_config_static_selectorELNS0_4arch9wavefront6targetE1EEEvS14_.num_named_barrier, 0
	.set _ZN7rocprim17ROCPRIM_400000_NS6detail17trampoline_kernelINS0_14default_configENS1_22reduce_config_selectorIN6thrust23THRUST_200600_302600_NS5tupleIblNS6_9null_typeES8_S8_S8_S8_S8_S8_S8_EEEEZNS1_11reduce_implILb1ES3_NS6_12zip_iteratorINS7_INS6_11hip_rocprim26transform_input_iterator_tIbNSD_35transform_pair_of_input_iterators_tIbNS6_6detail15normal_iteratorINS6_10device_ptrIKjEEEESL_NS6_8equal_toIjEEEENSG_9not_fun_tINSD_8identityEEEEENSD_19counting_iterator_tIlEES8_S8_S8_S8_S8_S8_S8_S8_EEEEPS9_S9_NSD_9__find_if7functorIS9_EEEE10hipError_tPvRmT1_T2_T3_mT4_P12ihipStream_tbEUlT_E1_NS1_11comp_targetILNS1_3genE0ELNS1_11target_archE4294967295ELNS1_3gpuE0ELNS1_3repE0EEENS1_30default_config_static_selectorELNS0_4arch9wavefront6targetE1EEEvS14_.private_seg_size, 0
	.set _ZN7rocprim17ROCPRIM_400000_NS6detail17trampoline_kernelINS0_14default_configENS1_22reduce_config_selectorIN6thrust23THRUST_200600_302600_NS5tupleIblNS6_9null_typeES8_S8_S8_S8_S8_S8_S8_EEEEZNS1_11reduce_implILb1ES3_NS6_12zip_iteratorINS7_INS6_11hip_rocprim26transform_input_iterator_tIbNSD_35transform_pair_of_input_iterators_tIbNS6_6detail15normal_iteratorINS6_10device_ptrIKjEEEESL_NS6_8equal_toIjEEEENSG_9not_fun_tINSD_8identityEEEEENSD_19counting_iterator_tIlEES8_S8_S8_S8_S8_S8_S8_S8_EEEEPS9_S9_NSD_9__find_if7functorIS9_EEEE10hipError_tPvRmT1_T2_T3_mT4_P12ihipStream_tbEUlT_E1_NS1_11comp_targetILNS1_3genE0ELNS1_11target_archE4294967295ELNS1_3gpuE0ELNS1_3repE0EEENS1_30default_config_static_selectorELNS0_4arch9wavefront6targetE1EEEvS14_.uses_vcc, 0
	.set _ZN7rocprim17ROCPRIM_400000_NS6detail17trampoline_kernelINS0_14default_configENS1_22reduce_config_selectorIN6thrust23THRUST_200600_302600_NS5tupleIblNS6_9null_typeES8_S8_S8_S8_S8_S8_S8_EEEEZNS1_11reduce_implILb1ES3_NS6_12zip_iteratorINS7_INS6_11hip_rocprim26transform_input_iterator_tIbNSD_35transform_pair_of_input_iterators_tIbNS6_6detail15normal_iteratorINS6_10device_ptrIKjEEEESL_NS6_8equal_toIjEEEENSG_9not_fun_tINSD_8identityEEEEENSD_19counting_iterator_tIlEES8_S8_S8_S8_S8_S8_S8_S8_EEEEPS9_S9_NSD_9__find_if7functorIS9_EEEE10hipError_tPvRmT1_T2_T3_mT4_P12ihipStream_tbEUlT_E1_NS1_11comp_targetILNS1_3genE0ELNS1_11target_archE4294967295ELNS1_3gpuE0ELNS1_3repE0EEENS1_30default_config_static_selectorELNS0_4arch9wavefront6targetE1EEEvS14_.uses_flat_scratch, 0
	.set _ZN7rocprim17ROCPRIM_400000_NS6detail17trampoline_kernelINS0_14default_configENS1_22reduce_config_selectorIN6thrust23THRUST_200600_302600_NS5tupleIblNS6_9null_typeES8_S8_S8_S8_S8_S8_S8_EEEEZNS1_11reduce_implILb1ES3_NS6_12zip_iteratorINS7_INS6_11hip_rocprim26transform_input_iterator_tIbNSD_35transform_pair_of_input_iterators_tIbNS6_6detail15normal_iteratorINS6_10device_ptrIKjEEEESL_NS6_8equal_toIjEEEENSG_9not_fun_tINSD_8identityEEEEENSD_19counting_iterator_tIlEES8_S8_S8_S8_S8_S8_S8_S8_EEEEPS9_S9_NSD_9__find_if7functorIS9_EEEE10hipError_tPvRmT1_T2_T3_mT4_P12ihipStream_tbEUlT_E1_NS1_11comp_targetILNS1_3genE0ELNS1_11target_archE4294967295ELNS1_3gpuE0ELNS1_3repE0EEENS1_30default_config_static_selectorELNS0_4arch9wavefront6targetE1EEEvS14_.has_dyn_sized_stack, 0
	.set _ZN7rocprim17ROCPRIM_400000_NS6detail17trampoline_kernelINS0_14default_configENS1_22reduce_config_selectorIN6thrust23THRUST_200600_302600_NS5tupleIblNS6_9null_typeES8_S8_S8_S8_S8_S8_S8_EEEEZNS1_11reduce_implILb1ES3_NS6_12zip_iteratorINS7_INS6_11hip_rocprim26transform_input_iterator_tIbNSD_35transform_pair_of_input_iterators_tIbNS6_6detail15normal_iteratorINS6_10device_ptrIKjEEEESL_NS6_8equal_toIjEEEENSG_9not_fun_tINSD_8identityEEEEENSD_19counting_iterator_tIlEES8_S8_S8_S8_S8_S8_S8_S8_EEEEPS9_S9_NSD_9__find_if7functorIS9_EEEE10hipError_tPvRmT1_T2_T3_mT4_P12ihipStream_tbEUlT_E1_NS1_11comp_targetILNS1_3genE0ELNS1_11target_archE4294967295ELNS1_3gpuE0ELNS1_3repE0EEENS1_30default_config_static_selectorELNS0_4arch9wavefront6targetE1EEEvS14_.has_recursion, 0
	.set _ZN7rocprim17ROCPRIM_400000_NS6detail17trampoline_kernelINS0_14default_configENS1_22reduce_config_selectorIN6thrust23THRUST_200600_302600_NS5tupleIblNS6_9null_typeES8_S8_S8_S8_S8_S8_S8_EEEEZNS1_11reduce_implILb1ES3_NS6_12zip_iteratorINS7_INS6_11hip_rocprim26transform_input_iterator_tIbNSD_35transform_pair_of_input_iterators_tIbNS6_6detail15normal_iteratorINS6_10device_ptrIKjEEEESL_NS6_8equal_toIjEEEENSG_9not_fun_tINSD_8identityEEEEENSD_19counting_iterator_tIlEES8_S8_S8_S8_S8_S8_S8_S8_EEEEPS9_S9_NSD_9__find_if7functorIS9_EEEE10hipError_tPvRmT1_T2_T3_mT4_P12ihipStream_tbEUlT_E1_NS1_11comp_targetILNS1_3genE0ELNS1_11target_archE4294967295ELNS1_3gpuE0ELNS1_3repE0EEENS1_30default_config_static_selectorELNS0_4arch9wavefront6targetE1EEEvS14_.has_indirect_call, 0
	.section	.AMDGPU.csdata,"",@progbits
; Kernel info:
; codeLenInByte = 0
; TotalNumSgprs: 4
; NumVgprs: 0
; ScratchSize: 0
; MemoryBound: 0
; FloatMode: 240
; IeeeMode: 1
; LDSByteSize: 0 bytes/workgroup (compile time only)
; SGPRBlocks: 0
; VGPRBlocks: 0
; NumSGPRsForWavesPerEU: 4
; NumVGPRsForWavesPerEU: 1
; Occupancy: 10
; WaveLimiterHint : 0
; COMPUTE_PGM_RSRC2:SCRATCH_EN: 0
; COMPUTE_PGM_RSRC2:USER_SGPR: 6
; COMPUTE_PGM_RSRC2:TRAP_HANDLER: 0
; COMPUTE_PGM_RSRC2:TGID_X_EN: 1
; COMPUTE_PGM_RSRC2:TGID_Y_EN: 0
; COMPUTE_PGM_RSRC2:TGID_Z_EN: 0
; COMPUTE_PGM_RSRC2:TIDIG_COMP_CNT: 0
	.section	.text._ZN7rocprim17ROCPRIM_400000_NS6detail17trampoline_kernelINS0_14default_configENS1_22reduce_config_selectorIN6thrust23THRUST_200600_302600_NS5tupleIblNS6_9null_typeES8_S8_S8_S8_S8_S8_S8_EEEEZNS1_11reduce_implILb1ES3_NS6_12zip_iteratorINS7_INS6_11hip_rocprim26transform_input_iterator_tIbNSD_35transform_pair_of_input_iterators_tIbNS6_6detail15normal_iteratorINS6_10device_ptrIKjEEEESL_NS6_8equal_toIjEEEENSG_9not_fun_tINSD_8identityEEEEENSD_19counting_iterator_tIlEES8_S8_S8_S8_S8_S8_S8_S8_EEEEPS9_S9_NSD_9__find_if7functorIS9_EEEE10hipError_tPvRmT1_T2_T3_mT4_P12ihipStream_tbEUlT_E1_NS1_11comp_targetILNS1_3genE5ELNS1_11target_archE942ELNS1_3gpuE9ELNS1_3repE0EEENS1_30default_config_static_selectorELNS0_4arch9wavefront6targetE1EEEvS14_,"axG",@progbits,_ZN7rocprim17ROCPRIM_400000_NS6detail17trampoline_kernelINS0_14default_configENS1_22reduce_config_selectorIN6thrust23THRUST_200600_302600_NS5tupleIblNS6_9null_typeES8_S8_S8_S8_S8_S8_S8_EEEEZNS1_11reduce_implILb1ES3_NS6_12zip_iteratorINS7_INS6_11hip_rocprim26transform_input_iterator_tIbNSD_35transform_pair_of_input_iterators_tIbNS6_6detail15normal_iteratorINS6_10device_ptrIKjEEEESL_NS6_8equal_toIjEEEENSG_9not_fun_tINSD_8identityEEEEENSD_19counting_iterator_tIlEES8_S8_S8_S8_S8_S8_S8_S8_EEEEPS9_S9_NSD_9__find_if7functorIS9_EEEE10hipError_tPvRmT1_T2_T3_mT4_P12ihipStream_tbEUlT_E1_NS1_11comp_targetILNS1_3genE5ELNS1_11target_archE942ELNS1_3gpuE9ELNS1_3repE0EEENS1_30default_config_static_selectorELNS0_4arch9wavefront6targetE1EEEvS14_,comdat
	.protected	_ZN7rocprim17ROCPRIM_400000_NS6detail17trampoline_kernelINS0_14default_configENS1_22reduce_config_selectorIN6thrust23THRUST_200600_302600_NS5tupleIblNS6_9null_typeES8_S8_S8_S8_S8_S8_S8_EEEEZNS1_11reduce_implILb1ES3_NS6_12zip_iteratorINS7_INS6_11hip_rocprim26transform_input_iterator_tIbNSD_35transform_pair_of_input_iterators_tIbNS6_6detail15normal_iteratorINS6_10device_ptrIKjEEEESL_NS6_8equal_toIjEEEENSG_9not_fun_tINSD_8identityEEEEENSD_19counting_iterator_tIlEES8_S8_S8_S8_S8_S8_S8_S8_EEEEPS9_S9_NSD_9__find_if7functorIS9_EEEE10hipError_tPvRmT1_T2_T3_mT4_P12ihipStream_tbEUlT_E1_NS1_11comp_targetILNS1_3genE5ELNS1_11target_archE942ELNS1_3gpuE9ELNS1_3repE0EEENS1_30default_config_static_selectorELNS0_4arch9wavefront6targetE1EEEvS14_ ; -- Begin function _ZN7rocprim17ROCPRIM_400000_NS6detail17trampoline_kernelINS0_14default_configENS1_22reduce_config_selectorIN6thrust23THRUST_200600_302600_NS5tupleIblNS6_9null_typeES8_S8_S8_S8_S8_S8_S8_EEEEZNS1_11reduce_implILb1ES3_NS6_12zip_iteratorINS7_INS6_11hip_rocprim26transform_input_iterator_tIbNSD_35transform_pair_of_input_iterators_tIbNS6_6detail15normal_iteratorINS6_10device_ptrIKjEEEESL_NS6_8equal_toIjEEEENSG_9not_fun_tINSD_8identityEEEEENSD_19counting_iterator_tIlEES8_S8_S8_S8_S8_S8_S8_S8_EEEEPS9_S9_NSD_9__find_if7functorIS9_EEEE10hipError_tPvRmT1_T2_T3_mT4_P12ihipStream_tbEUlT_E1_NS1_11comp_targetILNS1_3genE5ELNS1_11target_archE942ELNS1_3gpuE9ELNS1_3repE0EEENS1_30default_config_static_selectorELNS0_4arch9wavefront6targetE1EEEvS14_
	.globl	_ZN7rocprim17ROCPRIM_400000_NS6detail17trampoline_kernelINS0_14default_configENS1_22reduce_config_selectorIN6thrust23THRUST_200600_302600_NS5tupleIblNS6_9null_typeES8_S8_S8_S8_S8_S8_S8_EEEEZNS1_11reduce_implILb1ES3_NS6_12zip_iteratorINS7_INS6_11hip_rocprim26transform_input_iterator_tIbNSD_35transform_pair_of_input_iterators_tIbNS6_6detail15normal_iteratorINS6_10device_ptrIKjEEEESL_NS6_8equal_toIjEEEENSG_9not_fun_tINSD_8identityEEEEENSD_19counting_iterator_tIlEES8_S8_S8_S8_S8_S8_S8_S8_EEEEPS9_S9_NSD_9__find_if7functorIS9_EEEE10hipError_tPvRmT1_T2_T3_mT4_P12ihipStream_tbEUlT_E1_NS1_11comp_targetILNS1_3genE5ELNS1_11target_archE942ELNS1_3gpuE9ELNS1_3repE0EEENS1_30default_config_static_selectorELNS0_4arch9wavefront6targetE1EEEvS14_
	.p2align	8
	.type	_ZN7rocprim17ROCPRIM_400000_NS6detail17trampoline_kernelINS0_14default_configENS1_22reduce_config_selectorIN6thrust23THRUST_200600_302600_NS5tupleIblNS6_9null_typeES8_S8_S8_S8_S8_S8_S8_EEEEZNS1_11reduce_implILb1ES3_NS6_12zip_iteratorINS7_INS6_11hip_rocprim26transform_input_iterator_tIbNSD_35transform_pair_of_input_iterators_tIbNS6_6detail15normal_iteratorINS6_10device_ptrIKjEEEESL_NS6_8equal_toIjEEEENSG_9not_fun_tINSD_8identityEEEEENSD_19counting_iterator_tIlEES8_S8_S8_S8_S8_S8_S8_S8_EEEEPS9_S9_NSD_9__find_if7functorIS9_EEEE10hipError_tPvRmT1_T2_T3_mT4_P12ihipStream_tbEUlT_E1_NS1_11comp_targetILNS1_3genE5ELNS1_11target_archE942ELNS1_3gpuE9ELNS1_3repE0EEENS1_30default_config_static_selectorELNS0_4arch9wavefront6targetE1EEEvS14_,@function
_ZN7rocprim17ROCPRIM_400000_NS6detail17trampoline_kernelINS0_14default_configENS1_22reduce_config_selectorIN6thrust23THRUST_200600_302600_NS5tupleIblNS6_9null_typeES8_S8_S8_S8_S8_S8_S8_EEEEZNS1_11reduce_implILb1ES3_NS6_12zip_iteratorINS7_INS6_11hip_rocprim26transform_input_iterator_tIbNSD_35transform_pair_of_input_iterators_tIbNS6_6detail15normal_iteratorINS6_10device_ptrIKjEEEESL_NS6_8equal_toIjEEEENSG_9not_fun_tINSD_8identityEEEEENSD_19counting_iterator_tIlEES8_S8_S8_S8_S8_S8_S8_S8_EEEEPS9_S9_NSD_9__find_if7functorIS9_EEEE10hipError_tPvRmT1_T2_T3_mT4_P12ihipStream_tbEUlT_E1_NS1_11comp_targetILNS1_3genE5ELNS1_11target_archE942ELNS1_3gpuE9ELNS1_3repE0EEENS1_30default_config_static_selectorELNS0_4arch9wavefront6targetE1EEEvS14_: ; @_ZN7rocprim17ROCPRIM_400000_NS6detail17trampoline_kernelINS0_14default_configENS1_22reduce_config_selectorIN6thrust23THRUST_200600_302600_NS5tupleIblNS6_9null_typeES8_S8_S8_S8_S8_S8_S8_EEEEZNS1_11reduce_implILb1ES3_NS6_12zip_iteratorINS7_INS6_11hip_rocprim26transform_input_iterator_tIbNSD_35transform_pair_of_input_iterators_tIbNS6_6detail15normal_iteratorINS6_10device_ptrIKjEEEESL_NS6_8equal_toIjEEEENSG_9not_fun_tINSD_8identityEEEEENSD_19counting_iterator_tIlEES8_S8_S8_S8_S8_S8_S8_S8_EEEEPS9_S9_NSD_9__find_if7functorIS9_EEEE10hipError_tPvRmT1_T2_T3_mT4_P12ihipStream_tbEUlT_E1_NS1_11comp_targetILNS1_3genE5ELNS1_11target_archE942ELNS1_3gpuE9ELNS1_3repE0EEENS1_30default_config_static_selectorELNS0_4arch9wavefront6targetE1EEEvS14_
; %bb.0:
	.section	.rodata,"a",@progbits
	.p2align	6, 0x0
	.amdhsa_kernel _ZN7rocprim17ROCPRIM_400000_NS6detail17trampoline_kernelINS0_14default_configENS1_22reduce_config_selectorIN6thrust23THRUST_200600_302600_NS5tupleIblNS6_9null_typeES8_S8_S8_S8_S8_S8_S8_EEEEZNS1_11reduce_implILb1ES3_NS6_12zip_iteratorINS7_INS6_11hip_rocprim26transform_input_iterator_tIbNSD_35transform_pair_of_input_iterators_tIbNS6_6detail15normal_iteratorINS6_10device_ptrIKjEEEESL_NS6_8equal_toIjEEEENSG_9not_fun_tINSD_8identityEEEEENSD_19counting_iterator_tIlEES8_S8_S8_S8_S8_S8_S8_S8_EEEEPS9_S9_NSD_9__find_if7functorIS9_EEEE10hipError_tPvRmT1_T2_T3_mT4_P12ihipStream_tbEUlT_E1_NS1_11comp_targetILNS1_3genE5ELNS1_11target_archE942ELNS1_3gpuE9ELNS1_3repE0EEENS1_30default_config_static_selectorELNS0_4arch9wavefront6targetE1EEEvS14_
		.amdhsa_group_segment_fixed_size 0
		.amdhsa_private_segment_fixed_size 0
		.amdhsa_kernarg_size 88
		.amdhsa_user_sgpr_count 6
		.amdhsa_user_sgpr_private_segment_buffer 1
		.amdhsa_user_sgpr_dispatch_ptr 0
		.amdhsa_user_sgpr_queue_ptr 0
		.amdhsa_user_sgpr_kernarg_segment_ptr 1
		.amdhsa_user_sgpr_dispatch_id 0
		.amdhsa_user_sgpr_flat_scratch_init 0
		.amdhsa_user_sgpr_private_segment_size 0
		.amdhsa_uses_dynamic_stack 0
		.amdhsa_system_sgpr_private_segment_wavefront_offset 0
		.amdhsa_system_sgpr_workgroup_id_x 1
		.amdhsa_system_sgpr_workgroup_id_y 0
		.amdhsa_system_sgpr_workgroup_id_z 0
		.amdhsa_system_sgpr_workgroup_info 0
		.amdhsa_system_vgpr_workitem_id 0
		.amdhsa_next_free_vgpr 1
		.amdhsa_next_free_sgpr 0
		.amdhsa_reserve_vcc 0
		.amdhsa_reserve_flat_scratch 0
		.amdhsa_float_round_mode_32 0
		.amdhsa_float_round_mode_16_64 0
		.amdhsa_float_denorm_mode_32 3
		.amdhsa_float_denorm_mode_16_64 3
		.amdhsa_dx10_clamp 1
		.amdhsa_ieee_mode 1
		.amdhsa_fp16_overflow 0
		.amdhsa_exception_fp_ieee_invalid_op 0
		.amdhsa_exception_fp_denorm_src 0
		.amdhsa_exception_fp_ieee_div_zero 0
		.amdhsa_exception_fp_ieee_overflow 0
		.amdhsa_exception_fp_ieee_underflow 0
		.amdhsa_exception_fp_ieee_inexact 0
		.amdhsa_exception_int_div_zero 0
	.end_amdhsa_kernel
	.section	.text._ZN7rocprim17ROCPRIM_400000_NS6detail17trampoline_kernelINS0_14default_configENS1_22reduce_config_selectorIN6thrust23THRUST_200600_302600_NS5tupleIblNS6_9null_typeES8_S8_S8_S8_S8_S8_S8_EEEEZNS1_11reduce_implILb1ES3_NS6_12zip_iteratorINS7_INS6_11hip_rocprim26transform_input_iterator_tIbNSD_35transform_pair_of_input_iterators_tIbNS6_6detail15normal_iteratorINS6_10device_ptrIKjEEEESL_NS6_8equal_toIjEEEENSG_9not_fun_tINSD_8identityEEEEENSD_19counting_iterator_tIlEES8_S8_S8_S8_S8_S8_S8_S8_EEEEPS9_S9_NSD_9__find_if7functorIS9_EEEE10hipError_tPvRmT1_T2_T3_mT4_P12ihipStream_tbEUlT_E1_NS1_11comp_targetILNS1_3genE5ELNS1_11target_archE942ELNS1_3gpuE9ELNS1_3repE0EEENS1_30default_config_static_selectorELNS0_4arch9wavefront6targetE1EEEvS14_,"axG",@progbits,_ZN7rocprim17ROCPRIM_400000_NS6detail17trampoline_kernelINS0_14default_configENS1_22reduce_config_selectorIN6thrust23THRUST_200600_302600_NS5tupleIblNS6_9null_typeES8_S8_S8_S8_S8_S8_S8_EEEEZNS1_11reduce_implILb1ES3_NS6_12zip_iteratorINS7_INS6_11hip_rocprim26transform_input_iterator_tIbNSD_35transform_pair_of_input_iterators_tIbNS6_6detail15normal_iteratorINS6_10device_ptrIKjEEEESL_NS6_8equal_toIjEEEENSG_9not_fun_tINSD_8identityEEEEENSD_19counting_iterator_tIlEES8_S8_S8_S8_S8_S8_S8_S8_EEEEPS9_S9_NSD_9__find_if7functorIS9_EEEE10hipError_tPvRmT1_T2_T3_mT4_P12ihipStream_tbEUlT_E1_NS1_11comp_targetILNS1_3genE5ELNS1_11target_archE942ELNS1_3gpuE9ELNS1_3repE0EEENS1_30default_config_static_selectorELNS0_4arch9wavefront6targetE1EEEvS14_,comdat
.Lfunc_end493:
	.size	_ZN7rocprim17ROCPRIM_400000_NS6detail17trampoline_kernelINS0_14default_configENS1_22reduce_config_selectorIN6thrust23THRUST_200600_302600_NS5tupleIblNS6_9null_typeES8_S8_S8_S8_S8_S8_S8_EEEEZNS1_11reduce_implILb1ES3_NS6_12zip_iteratorINS7_INS6_11hip_rocprim26transform_input_iterator_tIbNSD_35transform_pair_of_input_iterators_tIbNS6_6detail15normal_iteratorINS6_10device_ptrIKjEEEESL_NS6_8equal_toIjEEEENSG_9not_fun_tINSD_8identityEEEEENSD_19counting_iterator_tIlEES8_S8_S8_S8_S8_S8_S8_S8_EEEEPS9_S9_NSD_9__find_if7functorIS9_EEEE10hipError_tPvRmT1_T2_T3_mT4_P12ihipStream_tbEUlT_E1_NS1_11comp_targetILNS1_3genE5ELNS1_11target_archE942ELNS1_3gpuE9ELNS1_3repE0EEENS1_30default_config_static_selectorELNS0_4arch9wavefront6targetE1EEEvS14_, .Lfunc_end493-_ZN7rocprim17ROCPRIM_400000_NS6detail17trampoline_kernelINS0_14default_configENS1_22reduce_config_selectorIN6thrust23THRUST_200600_302600_NS5tupleIblNS6_9null_typeES8_S8_S8_S8_S8_S8_S8_EEEEZNS1_11reduce_implILb1ES3_NS6_12zip_iteratorINS7_INS6_11hip_rocprim26transform_input_iterator_tIbNSD_35transform_pair_of_input_iterators_tIbNS6_6detail15normal_iteratorINS6_10device_ptrIKjEEEESL_NS6_8equal_toIjEEEENSG_9not_fun_tINSD_8identityEEEEENSD_19counting_iterator_tIlEES8_S8_S8_S8_S8_S8_S8_S8_EEEEPS9_S9_NSD_9__find_if7functorIS9_EEEE10hipError_tPvRmT1_T2_T3_mT4_P12ihipStream_tbEUlT_E1_NS1_11comp_targetILNS1_3genE5ELNS1_11target_archE942ELNS1_3gpuE9ELNS1_3repE0EEENS1_30default_config_static_selectorELNS0_4arch9wavefront6targetE1EEEvS14_
                                        ; -- End function
	.set _ZN7rocprim17ROCPRIM_400000_NS6detail17trampoline_kernelINS0_14default_configENS1_22reduce_config_selectorIN6thrust23THRUST_200600_302600_NS5tupleIblNS6_9null_typeES8_S8_S8_S8_S8_S8_S8_EEEEZNS1_11reduce_implILb1ES3_NS6_12zip_iteratorINS7_INS6_11hip_rocprim26transform_input_iterator_tIbNSD_35transform_pair_of_input_iterators_tIbNS6_6detail15normal_iteratorINS6_10device_ptrIKjEEEESL_NS6_8equal_toIjEEEENSG_9not_fun_tINSD_8identityEEEEENSD_19counting_iterator_tIlEES8_S8_S8_S8_S8_S8_S8_S8_EEEEPS9_S9_NSD_9__find_if7functorIS9_EEEE10hipError_tPvRmT1_T2_T3_mT4_P12ihipStream_tbEUlT_E1_NS1_11comp_targetILNS1_3genE5ELNS1_11target_archE942ELNS1_3gpuE9ELNS1_3repE0EEENS1_30default_config_static_selectorELNS0_4arch9wavefront6targetE1EEEvS14_.num_vgpr, 0
	.set _ZN7rocprim17ROCPRIM_400000_NS6detail17trampoline_kernelINS0_14default_configENS1_22reduce_config_selectorIN6thrust23THRUST_200600_302600_NS5tupleIblNS6_9null_typeES8_S8_S8_S8_S8_S8_S8_EEEEZNS1_11reduce_implILb1ES3_NS6_12zip_iteratorINS7_INS6_11hip_rocprim26transform_input_iterator_tIbNSD_35transform_pair_of_input_iterators_tIbNS6_6detail15normal_iteratorINS6_10device_ptrIKjEEEESL_NS6_8equal_toIjEEEENSG_9not_fun_tINSD_8identityEEEEENSD_19counting_iterator_tIlEES8_S8_S8_S8_S8_S8_S8_S8_EEEEPS9_S9_NSD_9__find_if7functorIS9_EEEE10hipError_tPvRmT1_T2_T3_mT4_P12ihipStream_tbEUlT_E1_NS1_11comp_targetILNS1_3genE5ELNS1_11target_archE942ELNS1_3gpuE9ELNS1_3repE0EEENS1_30default_config_static_selectorELNS0_4arch9wavefront6targetE1EEEvS14_.num_agpr, 0
	.set _ZN7rocprim17ROCPRIM_400000_NS6detail17trampoline_kernelINS0_14default_configENS1_22reduce_config_selectorIN6thrust23THRUST_200600_302600_NS5tupleIblNS6_9null_typeES8_S8_S8_S8_S8_S8_S8_EEEEZNS1_11reduce_implILb1ES3_NS6_12zip_iteratorINS7_INS6_11hip_rocprim26transform_input_iterator_tIbNSD_35transform_pair_of_input_iterators_tIbNS6_6detail15normal_iteratorINS6_10device_ptrIKjEEEESL_NS6_8equal_toIjEEEENSG_9not_fun_tINSD_8identityEEEEENSD_19counting_iterator_tIlEES8_S8_S8_S8_S8_S8_S8_S8_EEEEPS9_S9_NSD_9__find_if7functorIS9_EEEE10hipError_tPvRmT1_T2_T3_mT4_P12ihipStream_tbEUlT_E1_NS1_11comp_targetILNS1_3genE5ELNS1_11target_archE942ELNS1_3gpuE9ELNS1_3repE0EEENS1_30default_config_static_selectorELNS0_4arch9wavefront6targetE1EEEvS14_.numbered_sgpr, 0
	.set _ZN7rocprim17ROCPRIM_400000_NS6detail17trampoline_kernelINS0_14default_configENS1_22reduce_config_selectorIN6thrust23THRUST_200600_302600_NS5tupleIblNS6_9null_typeES8_S8_S8_S8_S8_S8_S8_EEEEZNS1_11reduce_implILb1ES3_NS6_12zip_iteratorINS7_INS6_11hip_rocprim26transform_input_iterator_tIbNSD_35transform_pair_of_input_iterators_tIbNS6_6detail15normal_iteratorINS6_10device_ptrIKjEEEESL_NS6_8equal_toIjEEEENSG_9not_fun_tINSD_8identityEEEEENSD_19counting_iterator_tIlEES8_S8_S8_S8_S8_S8_S8_S8_EEEEPS9_S9_NSD_9__find_if7functorIS9_EEEE10hipError_tPvRmT1_T2_T3_mT4_P12ihipStream_tbEUlT_E1_NS1_11comp_targetILNS1_3genE5ELNS1_11target_archE942ELNS1_3gpuE9ELNS1_3repE0EEENS1_30default_config_static_selectorELNS0_4arch9wavefront6targetE1EEEvS14_.num_named_barrier, 0
	.set _ZN7rocprim17ROCPRIM_400000_NS6detail17trampoline_kernelINS0_14default_configENS1_22reduce_config_selectorIN6thrust23THRUST_200600_302600_NS5tupleIblNS6_9null_typeES8_S8_S8_S8_S8_S8_S8_EEEEZNS1_11reduce_implILb1ES3_NS6_12zip_iteratorINS7_INS6_11hip_rocprim26transform_input_iterator_tIbNSD_35transform_pair_of_input_iterators_tIbNS6_6detail15normal_iteratorINS6_10device_ptrIKjEEEESL_NS6_8equal_toIjEEEENSG_9not_fun_tINSD_8identityEEEEENSD_19counting_iterator_tIlEES8_S8_S8_S8_S8_S8_S8_S8_EEEEPS9_S9_NSD_9__find_if7functorIS9_EEEE10hipError_tPvRmT1_T2_T3_mT4_P12ihipStream_tbEUlT_E1_NS1_11comp_targetILNS1_3genE5ELNS1_11target_archE942ELNS1_3gpuE9ELNS1_3repE0EEENS1_30default_config_static_selectorELNS0_4arch9wavefront6targetE1EEEvS14_.private_seg_size, 0
	.set _ZN7rocprim17ROCPRIM_400000_NS6detail17trampoline_kernelINS0_14default_configENS1_22reduce_config_selectorIN6thrust23THRUST_200600_302600_NS5tupleIblNS6_9null_typeES8_S8_S8_S8_S8_S8_S8_EEEEZNS1_11reduce_implILb1ES3_NS6_12zip_iteratorINS7_INS6_11hip_rocprim26transform_input_iterator_tIbNSD_35transform_pair_of_input_iterators_tIbNS6_6detail15normal_iteratorINS6_10device_ptrIKjEEEESL_NS6_8equal_toIjEEEENSG_9not_fun_tINSD_8identityEEEEENSD_19counting_iterator_tIlEES8_S8_S8_S8_S8_S8_S8_S8_EEEEPS9_S9_NSD_9__find_if7functorIS9_EEEE10hipError_tPvRmT1_T2_T3_mT4_P12ihipStream_tbEUlT_E1_NS1_11comp_targetILNS1_3genE5ELNS1_11target_archE942ELNS1_3gpuE9ELNS1_3repE0EEENS1_30default_config_static_selectorELNS0_4arch9wavefront6targetE1EEEvS14_.uses_vcc, 0
	.set _ZN7rocprim17ROCPRIM_400000_NS6detail17trampoline_kernelINS0_14default_configENS1_22reduce_config_selectorIN6thrust23THRUST_200600_302600_NS5tupleIblNS6_9null_typeES8_S8_S8_S8_S8_S8_S8_EEEEZNS1_11reduce_implILb1ES3_NS6_12zip_iteratorINS7_INS6_11hip_rocprim26transform_input_iterator_tIbNSD_35transform_pair_of_input_iterators_tIbNS6_6detail15normal_iteratorINS6_10device_ptrIKjEEEESL_NS6_8equal_toIjEEEENSG_9not_fun_tINSD_8identityEEEEENSD_19counting_iterator_tIlEES8_S8_S8_S8_S8_S8_S8_S8_EEEEPS9_S9_NSD_9__find_if7functorIS9_EEEE10hipError_tPvRmT1_T2_T3_mT4_P12ihipStream_tbEUlT_E1_NS1_11comp_targetILNS1_3genE5ELNS1_11target_archE942ELNS1_3gpuE9ELNS1_3repE0EEENS1_30default_config_static_selectorELNS0_4arch9wavefront6targetE1EEEvS14_.uses_flat_scratch, 0
	.set _ZN7rocprim17ROCPRIM_400000_NS6detail17trampoline_kernelINS0_14default_configENS1_22reduce_config_selectorIN6thrust23THRUST_200600_302600_NS5tupleIblNS6_9null_typeES8_S8_S8_S8_S8_S8_S8_EEEEZNS1_11reduce_implILb1ES3_NS6_12zip_iteratorINS7_INS6_11hip_rocprim26transform_input_iterator_tIbNSD_35transform_pair_of_input_iterators_tIbNS6_6detail15normal_iteratorINS6_10device_ptrIKjEEEESL_NS6_8equal_toIjEEEENSG_9not_fun_tINSD_8identityEEEEENSD_19counting_iterator_tIlEES8_S8_S8_S8_S8_S8_S8_S8_EEEEPS9_S9_NSD_9__find_if7functorIS9_EEEE10hipError_tPvRmT1_T2_T3_mT4_P12ihipStream_tbEUlT_E1_NS1_11comp_targetILNS1_3genE5ELNS1_11target_archE942ELNS1_3gpuE9ELNS1_3repE0EEENS1_30default_config_static_selectorELNS0_4arch9wavefront6targetE1EEEvS14_.has_dyn_sized_stack, 0
	.set _ZN7rocprim17ROCPRIM_400000_NS6detail17trampoline_kernelINS0_14default_configENS1_22reduce_config_selectorIN6thrust23THRUST_200600_302600_NS5tupleIblNS6_9null_typeES8_S8_S8_S8_S8_S8_S8_EEEEZNS1_11reduce_implILb1ES3_NS6_12zip_iteratorINS7_INS6_11hip_rocprim26transform_input_iterator_tIbNSD_35transform_pair_of_input_iterators_tIbNS6_6detail15normal_iteratorINS6_10device_ptrIKjEEEESL_NS6_8equal_toIjEEEENSG_9not_fun_tINSD_8identityEEEEENSD_19counting_iterator_tIlEES8_S8_S8_S8_S8_S8_S8_S8_EEEEPS9_S9_NSD_9__find_if7functorIS9_EEEE10hipError_tPvRmT1_T2_T3_mT4_P12ihipStream_tbEUlT_E1_NS1_11comp_targetILNS1_3genE5ELNS1_11target_archE942ELNS1_3gpuE9ELNS1_3repE0EEENS1_30default_config_static_selectorELNS0_4arch9wavefront6targetE1EEEvS14_.has_recursion, 0
	.set _ZN7rocprim17ROCPRIM_400000_NS6detail17trampoline_kernelINS0_14default_configENS1_22reduce_config_selectorIN6thrust23THRUST_200600_302600_NS5tupleIblNS6_9null_typeES8_S8_S8_S8_S8_S8_S8_EEEEZNS1_11reduce_implILb1ES3_NS6_12zip_iteratorINS7_INS6_11hip_rocprim26transform_input_iterator_tIbNSD_35transform_pair_of_input_iterators_tIbNS6_6detail15normal_iteratorINS6_10device_ptrIKjEEEESL_NS6_8equal_toIjEEEENSG_9not_fun_tINSD_8identityEEEEENSD_19counting_iterator_tIlEES8_S8_S8_S8_S8_S8_S8_S8_EEEEPS9_S9_NSD_9__find_if7functorIS9_EEEE10hipError_tPvRmT1_T2_T3_mT4_P12ihipStream_tbEUlT_E1_NS1_11comp_targetILNS1_3genE5ELNS1_11target_archE942ELNS1_3gpuE9ELNS1_3repE0EEENS1_30default_config_static_selectorELNS0_4arch9wavefront6targetE1EEEvS14_.has_indirect_call, 0
	.section	.AMDGPU.csdata,"",@progbits
; Kernel info:
; codeLenInByte = 0
; TotalNumSgprs: 4
; NumVgprs: 0
; ScratchSize: 0
; MemoryBound: 0
; FloatMode: 240
; IeeeMode: 1
; LDSByteSize: 0 bytes/workgroup (compile time only)
; SGPRBlocks: 0
; VGPRBlocks: 0
; NumSGPRsForWavesPerEU: 4
; NumVGPRsForWavesPerEU: 1
; Occupancy: 10
; WaveLimiterHint : 0
; COMPUTE_PGM_RSRC2:SCRATCH_EN: 0
; COMPUTE_PGM_RSRC2:USER_SGPR: 6
; COMPUTE_PGM_RSRC2:TRAP_HANDLER: 0
; COMPUTE_PGM_RSRC2:TGID_X_EN: 1
; COMPUTE_PGM_RSRC2:TGID_Y_EN: 0
; COMPUTE_PGM_RSRC2:TGID_Z_EN: 0
; COMPUTE_PGM_RSRC2:TIDIG_COMP_CNT: 0
	.section	.text._ZN7rocprim17ROCPRIM_400000_NS6detail17trampoline_kernelINS0_14default_configENS1_22reduce_config_selectorIN6thrust23THRUST_200600_302600_NS5tupleIblNS6_9null_typeES8_S8_S8_S8_S8_S8_S8_EEEEZNS1_11reduce_implILb1ES3_NS6_12zip_iteratorINS7_INS6_11hip_rocprim26transform_input_iterator_tIbNSD_35transform_pair_of_input_iterators_tIbNS6_6detail15normal_iteratorINS6_10device_ptrIKjEEEESL_NS6_8equal_toIjEEEENSG_9not_fun_tINSD_8identityEEEEENSD_19counting_iterator_tIlEES8_S8_S8_S8_S8_S8_S8_S8_EEEEPS9_S9_NSD_9__find_if7functorIS9_EEEE10hipError_tPvRmT1_T2_T3_mT4_P12ihipStream_tbEUlT_E1_NS1_11comp_targetILNS1_3genE4ELNS1_11target_archE910ELNS1_3gpuE8ELNS1_3repE0EEENS1_30default_config_static_selectorELNS0_4arch9wavefront6targetE1EEEvS14_,"axG",@progbits,_ZN7rocprim17ROCPRIM_400000_NS6detail17trampoline_kernelINS0_14default_configENS1_22reduce_config_selectorIN6thrust23THRUST_200600_302600_NS5tupleIblNS6_9null_typeES8_S8_S8_S8_S8_S8_S8_EEEEZNS1_11reduce_implILb1ES3_NS6_12zip_iteratorINS7_INS6_11hip_rocprim26transform_input_iterator_tIbNSD_35transform_pair_of_input_iterators_tIbNS6_6detail15normal_iteratorINS6_10device_ptrIKjEEEESL_NS6_8equal_toIjEEEENSG_9not_fun_tINSD_8identityEEEEENSD_19counting_iterator_tIlEES8_S8_S8_S8_S8_S8_S8_S8_EEEEPS9_S9_NSD_9__find_if7functorIS9_EEEE10hipError_tPvRmT1_T2_T3_mT4_P12ihipStream_tbEUlT_E1_NS1_11comp_targetILNS1_3genE4ELNS1_11target_archE910ELNS1_3gpuE8ELNS1_3repE0EEENS1_30default_config_static_selectorELNS0_4arch9wavefront6targetE1EEEvS14_,comdat
	.protected	_ZN7rocprim17ROCPRIM_400000_NS6detail17trampoline_kernelINS0_14default_configENS1_22reduce_config_selectorIN6thrust23THRUST_200600_302600_NS5tupleIblNS6_9null_typeES8_S8_S8_S8_S8_S8_S8_EEEEZNS1_11reduce_implILb1ES3_NS6_12zip_iteratorINS7_INS6_11hip_rocprim26transform_input_iterator_tIbNSD_35transform_pair_of_input_iterators_tIbNS6_6detail15normal_iteratorINS6_10device_ptrIKjEEEESL_NS6_8equal_toIjEEEENSG_9not_fun_tINSD_8identityEEEEENSD_19counting_iterator_tIlEES8_S8_S8_S8_S8_S8_S8_S8_EEEEPS9_S9_NSD_9__find_if7functorIS9_EEEE10hipError_tPvRmT1_T2_T3_mT4_P12ihipStream_tbEUlT_E1_NS1_11comp_targetILNS1_3genE4ELNS1_11target_archE910ELNS1_3gpuE8ELNS1_3repE0EEENS1_30default_config_static_selectorELNS0_4arch9wavefront6targetE1EEEvS14_ ; -- Begin function _ZN7rocprim17ROCPRIM_400000_NS6detail17trampoline_kernelINS0_14default_configENS1_22reduce_config_selectorIN6thrust23THRUST_200600_302600_NS5tupleIblNS6_9null_typeES8_S8_S8_S8_S8_S8_S8_EEEEZNS1_11reduce_implILb1ES3_NS6_12zip_iteratorINS7_INS6_11hip_rocprim26transform_input_iterator_tIbNSD_35transform_pair_of_input_iterators_tIbNS6_6detail15normal_iteratorINS6_10device_ptrIKjEEEESL_NS6_8equal_toIjEEEENSG_9not_fun_tINSD_8identityEEEEENSD_19counting_iterator_tIlEES8_S8_S8_S8_S8_S8_S8_S8_EEEEPS9_S9_NSD_9__find_if7functorIS9_EEEE10hipError_tPvRmT1_T2_T3_mT4_P12ihipStream_tbEUlT_E1_NS1_11comp_targetILNS1_3genE4ELNS1_11target_archE910ELNS1_3gpuE8ELNS1_3repE0EEENS1_30default_config_static_selectorELNS0_4arch9wavefront6targetE1EEEvS14_
	.globl	_ZN7rocprim17ROCPRIM_400000_NS6detail17trampoline_kernelINS0_14default_configENS1_22reduce_config_selectorIN6thrust23THRUST_200600_302600_NS5tupleIblNS6_9null_typeES8_S8_S8_S8_S8_S8_S8_EEEEZNS1_11reduce_implILb1ES3_NS6_12zip_iteratorINS7_INS6_11hip_rocprim26transform_input_iterator_tIbNSD_35transform_pair_of_input_iterators_tIbNS6_6detail15normal_iteratorINS6_10device_ptrIKjEEEESL_NS6_8equal_toIjEEEENSG_9not_fun_tINSD_8identityEEEEENSD_19counting_iterator_tIlEES8_S8_S8_S8_S8_S8_S8_S8_EEEEPS9_S9_NSD_9__find_if7functorIS9_EEEE10hipError_tPvRmT1_T2_T3_mT4_P12ihipStream_tbEUlT_E1_NS1_11comp_targetILNS1_3genE4ELNS1_11target_archE910ELNS1_3gpuE8ELNS1_3repE0EEENS1_30default_config_static_selectorELNS0_4arch9wavefront6targetE1EEEvS14_
	.p2align	8
	.type	_ZN7rocprim17ROCPRIM_400000_NS6detail17trampoline_kernelINS0_14default_configENS1_22reduce_config_selectorIN6thrust23THRUST_200600_302600_NS5tupleIblNS6_9null_typeES8_S8_S8_S8_S8_S8_S8_EEEEZNS1_11reduce_implILb1ES3_NS6_12zip_iteratorINS7_INS6_11hip_rocprim26transform_input_iterator_tIbNSD_35transform_pair_of_input_iterators_tIbNS6_6detail15normal_iteratorINS6_10device_ptrIKjEEEESL_NS6_8equal_toIjEEEENSG_9not_fun_tINSD_8identityEEEEENSD_19counting_iterator_tIlEES8_S8_S8_S8_S8_S8_S8_S8_EEEEPS9_S9_NSD_9__find_if7functorIS9_EEEE10hipError_tPvRmT1_T2_T3_mT4_P12ihipStream_tbEUlT_E1_NS1_11comp_targetILNS1_3genE4ELNS1_11target_archE910ELNS1_3gpuE8ELNS1_3repE0EEENS1_30default_config_static_selectorELNS0_4arch9wavefront6targetE1EEEvS14_,@function
_ZN7rocprim17ROCPRIM_400000_NS6detail17trampoline_kernelINS0_14default_configENS1_22reduce_config_selectorIN6thrust23THRUST_200600_302600_NS5tupleIblNS6_9null_typeES8_S8_S8_S8_S8_S8_S8_EEEEZNS1_11reduce_implILb1ES3_NS6_12zip_iteratorINS7_INS6_11hip_rocprim26transform_input_iterator_tIbNSD_35transform_pair_of_input_iterators_tIbNS6_6detail15normal_iteratorINS6_10device_ptrIKjEEEESL_NS6_8equal_toIjEEEENSG_9not_fun_tINSD_8identityEEEEENSD_19counting_iterator_tIlEES8_S8_S8_S8_S8_S8_S8_S8_EEEEPS9_S9_NSD_9__find_if7functorIS9_EEEE10hipError_tPvRmT1_T2_T3_mT4_P12ihipStream_tbEUlT_E1_NS1_11comp_targetILNS1_3genE4ELNS1_11target_archE910ELNS1_3gpuE8ELNS1_3repE0EEENS1_30default_config_static_selectorELNS0_4arch9wavefront6targetE1EEEvS14_: ; @_ZN7rocprim17ROCPRIM_400000_NS6detail17trampoline_kernelINS0_14default_configENS1_22reduce_config_selectorIN6thrust23THRUST_200600_302600_NS5tupleIblNS6_9null_typeES8_S8_S8_S8_S8_S8_S8_EEEEZNS1_11reduce_implILb1ES3_NS6_12zip_iteratorINS7_INS6_11hip_rocprim26transform_input_iterator_tIbNSD_35transform_pair_of_input_iterators_tIbNS6_6detail15normal_iteratorINS6_10device_ptrIKjEEEESL_NS6_8equal_toIjEEEENSG_9not_fun_tINSD_8identityEEEEENSD_19counting_iterator_tIlEES8_S8_S8_S8_S8_S8_S8_S8_EEEEPS9_S9_NSD_9__find_if7functorIS9_EEEE10hipError_tPvRmT1_T2_T3_mT4_P12ihipStream_tbEUlT_E1_NS1_11comp_targetILNS1_3genE4ELNS1_11target_archE910ELNS1_3gpuE8ELNS1_3repE0EEENS1_30default_config_static_selectorELNS0_4arch9wavefront6targetE1EEEvS14_
; %bb.0:
	.section	.rodata,"a",@progbits
	.p2align	6, 0x0
	.amdhsa_kernel _ZN7rocprim17ROCPRIM_400000_NS6detail17trampoline_kernelINS0_14default_configENS1_22reduce_config_selectorIN6thrust23THRUST_200600_302600_NS5tupleIblNS6_9null_typeES8_S8_S8_S8_S8_S8_S8_EEEEZNS1_11reduce_implILb1ES3_NS6_12zip_iteratorINS7_INS6_11hip_rocprim26transform_input_iterator_tIbNSD_35transform_pair_of_input_iterators_tIbNS6_6detail15normal_iteratorINS6_10device_ptrIKjEEEESL_NS6_8equal_toIjEEEENSG_9not_fun_tINSD_8identityEEEEENSD_19counting_iterator_tIlEES8_S8_S8_S8_S8_S8_S8_S8_EEEEPS9_S9_NSD_9__find_if7functorIS9_EEEE10hipError_tPvRmT1_T2_T3_mT4_P12ihipStream_tbEUlT_E1_NS1_11comp_targetILNS1_3genE4ELNS1_11target_archE910ELNS1_3gpuE8ELNS1_3repE0EEENS1_30default_config_static_selectorELNS0_4arch9wavefront6targetE1EEEvS14_
		.amdhsa_group_segment_fixed_size 0
		.amdhsa_private_segment_fixed_size 0
		.amdhsa_kernarg_size 88
		.amdhsa_user_sgpr_count 6
		.amdhsa_user_sgpr_private_segment_buffer 1
		.amdhsa_user_sgpr_dispatch_ptr 0
		.amdhsa_user_sgpr_queue_ptr 0
		.amdhsa_user_sgpr_kernarg_segment_ptr 1
		.amdhsa_user_sgpr_dispatch_id 0
		.amdhsa_user_sgpr_flat_scratch_init 0
		.amdhsa_user_sgpr_private_segment_size 0
		.amdhsa_uses_dynamic_stack 0
		.amdhsa_system_sgpr_private_segment_wavefront_offset 0
		.amdhsa_system_sgpr_workgroup_id_x 1
		.amdhsa_system_sgpr_workgroup_id_y 0
		.amdhsa_system_sgpr_workgroup_id_z 0
		.amdhsa_system_sgpr_workgroup_info 0
		.amdhsa_system_vgpr_workitem_id 0
		.amdhsa_next_free_vgpr 1
		.amdhsa_next_free_sgpr 0
		.amdhsa_reserve_vcc 0
		.amdhsa_reserve_flat_scratch 0
		.amdhsa_float_round_mode_32 0
		.amdhsa_float_round_mode_16_64 0
		.amdhsa_float_denorm_mode_32 3
		.amdhsa_float_denorm_mode_16_64 3
		.amdhsa_dx10_clamp 1
		.amdhsa_ieee_mode 1
		.amdhsa_fp16_overflow 0
		.amdhsa_exception_fp_ieee_invalid_op 0
		.amdhsa_exception_fp_denorm_src 0
		.amdhsa_exception_fp_ieee_div_zero 0
		.amdhsa_exception_fp_ieee_overflow 0
		.amdhsa_exception_fp_ieee_underflow 0
		.amdhsa_exception_fp_ieee_inexact 0
		.amdhsa_exception_int_div_zero 0
	.end_amdhsa_kernel
	.section	.text._ZN7rocprim17ROCPRIM_400000_NS6detail17trampoline_kernelINS0_14default_configENS1_22reduce_config_selectorIN6thrust23THRUST_200600_302600_NS5tupleIblNS6_9null_typeES8_S8_S8_S8_S8_S8_S8_EEEEZNS1_11reduce_implILb1ES3_NS6_12zip_iteratorINS7_INS6_11hip_rocprim26transform_input_iterator_tIbNSD_35transform_pair_of_input_iterators_tIbNS6_6detail15normal_iteratorINS6_10device_ptrIKjEEEESL_NS6_8equal_toIjEEEENSG_9not_fun_tINSD_8identityEEEEENSD_19counting_iterator_tIlEES8_S8_S8_S8_S8_S8_S8_S8_EEEEPS9_S9_NSD_9__find_if7functorIS9_EEEE10hipError_tPvRmT1_T2_T3_mT4_P12ihipStream_tbEUlT_E1_NS1_11comp_targetILNS1_3genE4ELNS1_11target_archE910ELNS1_3gpuE8ELNS1_3repE0EEENS1_30default_config_static_selectorELNS0_4arch9wavefront6targetE1EEEvS14_,"axG",@progbits,_ZN7rocprim17ROCPRIM_400000_NS6detail17trampoline_kernelINS0_14default_configENS1_22reduce_config_selectorIN6thrust23THRUST_200600_302600_NS5tupleIblNS6_9null_typeES8_S8_S8_S8_S8_S8_S8_EEEEZNS1_11reduce_implILb1ES3_NS6_12zip_iteratorINS7_INS6_11hip_rocprim26transform_input_iterator_tIbNSD_35transform_pair_of_input_iterators_tIbNS6_6detail15normal_iteratorINS6_10device_ptrIKjEEEESL_NS6_8equal_toIjEEEENSG_9not_fun_tINSD_8identityEEEEENSD_19counting_iterator_tIlEES8_S8_S8_S8_S8_S8_S8_S8_EEEEPS9_S9_NSD_9__find_if7functorIS9_EEEE10hipError_tPvRmT1_T2_T3_mT4_P12ihipStream_tbEUlT_E1_NS1_11comp_targetILNS1_3genE4ELNS1_11target_archE910ELNS1_3gpuE8ELNS1_3repE0EEENS1_30default_config_static_selectorELNS0_4arch9wavefront6targetE1EEEvS14_,comdat
.Lfunc_end494:
	.size	_ZN7rocprim17ROCPRIM_400000_NS6detail17trampoline_kernelINS0_14default_configENS1_22reduce_config_selectorIN6thrust23THRUST_200600_302600_NS5tupleIblNS6_9null_typeES8_S8_S8_S8_S8_S8_S8_EEEEZNS1_11reduce_implILb1ES3_NS6_12zip_iteratorINS7_INS6_11hip_rocprim26transform_input_iterator_tIbNSD_35transform_pair_of_input_iterators_tIbNS6_6detail15normal_iteratorINS6_10device_ptrIKjEEEESL_NS6_8equal_toIjEEEENSG_9not_fun_tINSD_8identityEEEEENSD_19counting_iterator_tIlEES8_S8_S8_S8_S8_S8_S8_S8_EEEEPS9_S9_NSD_9__find_if7functorIS9_EEEE10hipError_tPvRmT1_T2_T3_mT4_P12ihipStream_tbEUlT_E1_NS1_11comp_targetILNS1_3genE4ELNS1_11target_archE910ELNS1_3gpuE8ELNS1_3repE0EEENS1_30default_config_static_selectorELNS0_4arch9wavefront6targetE1EEEvS14_, .Lfunc_end494-_ZN7rocprim17ROCPRIM_400000_NS6detail17trampoline_kernelINS0_14default_configENS1_22reduce_config_selectorIN6thrust23THRUST_200600_302600_NS5tupleIblNS6_9null_typeES8_S8_S8_S8_S8_S8_S8_EEEEZNS1_11reduce_implILb1ES3_NS6_12zip_iteratorINS7_INS6_11hip_rocprim26transform_input_iterator_tIbNSD_35transform_pair_of_input_iterators_tIbNS6_6detail15normal_iteratorINS6_10device_ptrIKjEEEESL_NS6_8equal_toIjEEEENSG_9not_fun_tINSD_8identityEEEEENSD_19counting_iterator_tIlEES8_S8_S8_S8_S8_S8_S8_S8_EEEEPS9_S9_NSD_9__find_if7functorIS9_EEEE10hipError_tPvRmT1_T2_T3_mT4_P12ihipStream_tbEUlT_E1_NS1_11comp_targetILNS1_3genE4ELNS1_11target_archE910ELNS1_3gpuE8ELNS1_3repE0EEENS1_30default_config_static_selectorELNS0_4arch9wavefront6targetE1EEEvS14_
                                        ; -- End function
	.set _ZN7rocprim17ROCPRIM_400000_NS6detail17trampoline_kernelINS0_14default_configENS1_22reduce_config_selectorIN6thrust23THRUST_200600_302600_NS5tupleIblNS6_9null_typeES8_S8_S8_S8_S8_S8_S8_EEEEZNS1_11reduce_implILb1ES3_NS6_12zip_iteratorINS7_INS6_11hip_rocprim26transform_input_iterator_tIbNSD_35transform_pair_of_input_iterators_tIbNS6_6detail15normal_iteratorINS6_10device_ptrIKjEEEESL_NS6_8equal_toIjEEEENSG_9not_fun_tINSD_8identityEEEEENSD_19counting_iterator_tIlEES8_S8_S8_S8_S8_S8_S8_S8_EEEEPS9_S9_NSD_9__find_if7functorIS9_EEEE10hipError_tPvRmT1_T2_T3_mT4_P12ihipStream_tbEUlT_E1_NS1_11comp_targetILNS1_3genE4ELNS1_11target_archE910ELNS1_3gpuE8ELNS1_3repE0EEENS1_30default_config_static_selectorELNS0_4arch9wavefront6targetE1EEEvS14_.num_vgpr, 0
	.set _ZN7rocprim17ROCPRIM_400000_NS6detail17trampoline_kernelINS0_14default_configENS1_22reduce_config_selectorIN6thrust23THRUST_200600_302600_NS5tupleIblNS6_9null_typeES8_S8_S8_S8_S8_S8_S8_EEEEZNS1_11reduce_implILb1ES3_NS6_12zip_iteratorINS7_INS6_11hip_rocprim26transform_input_iterator_tIbNSD_35transform_pair_of_input_iterators_tIbNS6_6detail15normal_iteratorINS6_10device_ptrIKjEEEESL_NS6_8equal_toIjEEEENSG_9not_fun_tINSD_8identityEEEEENSD_19counting_iterator_tIlEES8_S8_S8_S8_S8_S8_S8_S8_EEEEPS9_S9_NSD_9__find_if7functorIS9_EEEE10hipError_tPvRmT1_T2_T3_mT4_P12ihipStream_tbEUlT_E1_NS1_11comp_targetILNS1_3genE4ELNS1_11target_archE910ELNS1_3gpuE8ELNS1_3repE0EEENS1_30default_config_static_selectorELNS0_4arch9wavefront6targetE1EEEvS14_.num_agpr, 0
	.set _ZN7rocprim17ROCPRIM_400000_NS6detail17trampoline_kernelINS0_14default_configENS1_22reduce_config_selectorIN6thrust23THRUST_200600_302600_NS5tupleIblNS6_9null_typeES8_S8_S8_S8_S8_S8_S8_EEEEZNS1_11reduce_implILb1ES3_NS6_12zip_iteratorINS7_INS6_11hip_rocprim26transform_input_iterator_tIbNSD_35transform_pair_of_input_iterators_tIbNS6_6detail15normal_iteratorINS6_10device_ptrIKjEEEESL_NS6_8equal_toIjEEEENSG_9not_fun_tINSD_8identityEEEEENSD_19counting_iterator_tIlEES8_S8_S8_S8_S8_S8_S8_S8_EEEEPS9_S9_NSD_9__find_if7functorIS9_EEEE10hipError_tPvRmT1_T2_T3_mT4_P12ihipStream_tbEUlT_E1_NS1_11comp_targetILNS1_3genE4ELNS1_11target_archE910ELNS1_3gpuE8ELNS1_3repE0EEENS1_30default_config_static_selectorELNS0_4arch9wavefront6targetE1EEEvS14_.numbered_sgpr, 0
	.set _ZN7rocprim17ROCPRIM_400000_NS6detail17trampoline_kernelINS0_14default_configENS1_22reduce_config_selectorIN6thrust23THRUST_200600_302600_NS5tupleIblNS6_9null_typeES8_S8_S8_S8_S8_S8_S8_EEEEZNS1_11reduce_implILb1ES3_NS6_12zip_iteratorINS7_INS6_11hip_rocprim26transform_input_iterator_tIbNSD_35transform_pair_of_input_iterators_tIbNS6_6detail15normal_iteratorINS6_10device_ptrIKjEEEESL_NS6_8equal_toIjEEEENSG_9not_fun_tINSD_8identityEEEEENSD_19counting_iterator_tIlEES8_S8_S8_S8_S8_S8_S8_S8_EEEEPS9_S9_NSD_9__find_if7functorIS9_EEEE10hipError_tPvRmT1_T2_T3_mT4_P12ihipStream_tbEUlT_E1_NS1_11comp_targetILNS1_3genE4ELNS1_11target_archE910ELNS1_3gpuE8ELNS1_3repE0EEENS1_30default_config_static_selectorELNS0_4arch9wavefront6targetE1EEEvS14_.num_named_barrier, 0
	.set _ZN7rocprim17ROCPRIM_400000_NS6detail17trampoline_kernelINS0_14default_configENS1_22reduce_config_selectorIN6thrust23THRUST_200600_302600_NS5tupleIblNS6_9null_typeES8_S8_S8_S8_S8_S8_S8_EEEEZNS1_11reduce_implILb1ES3_NS6_12zip_iteratorINS7_INS6_11hip_rocprim26transform_input_iterator_tIbNSD_35transform_pair_of_input_iterators_tIbNS6_6detail15normal_iteratorINS6_10device_ptrIKjEEEESL_NS6_8equal_toIjEEEENSG_9not_fun_tINSD_8identityEEEEENSD_19counting_iterator_tIlEES8_S8_S8_S8_S8_S8_S8_S8_EEEEPS9_S9_NSD_9__find_if7functorIS9_EEEE10hipError_tPvRmT1_T2_T3_mT4_P12ihipStream_tbEUlT_E1_NS1_11comp_targetILNS1_3genE4ELNS1_11target_archE910ELNS1_3gpuE8ELNS1_3repE0EEENS1_30default_config_static_selectorELNS0_4arch9wavefront6targetE1EEEvS14_.private_seg_size, 0
	.set _ZN7rocprim17ROCPRIM_400000_NS6detail17trampoline_kernelINS0_14default_configENS1_22reduce_config_selectorIN6thrust23THRUST_200600_302600_NS5tupleIblNS6_9null_typeES8_S8_S8_S8_S8_S8_S8_EEEEZNS1_11reduce_implILb1ES3_NS6_12zip_iteratorINS7_INS6_11hip_rocprim26transform_input_iterator_tIbNSD_35transform_pair_of_input_iterators_tIbNS6_6detail15normal_iteratorINS6_10device_ptrIKjEEEESL_NS6_8equal_toIjEEEENSG_9not_fun_tINSD_8identityEEEEENSD_19counting_iterator_tIlEES8_S8_S8_S8_S8_S8_S8_S8_EEEEPS9_S9_NSD_9__find_if7functorIS9_EEEE10hipError_tPvRmT1_T2_T3_mT4_P12ihipStream_tbEUlT_E1_NS1_11comp_targetILNS1_3genE4ELNS1_11target_archE910ELNS1_3gpuE8ELNS1_3repE0EEENS1_30default_config_static_selectorELNS0_4arch9wavefront6targetE1EEEvS14_.uses_vcc, 0
	.set _ZN7rocprim17ROCPRIM_400000_NS6detail17trampoline_kernelINS0_14default_configENS1_22reduce_config_selectorIN6thrust23THRUST_200600_302600_NS5tupleIblNS6_9null_typeES8_S8_S8_S8_S8_S8_S8_EEEEZNS1_11reduce_implILb1ES3_NS6_12zip_iteratorINS7_INS6_11hip_rocprim26transform_input_iterator_tIbNSD_35transform_pair_of_input_iterators_tIbNS6_6detail15normal_iteratorINS6_10device_ptrIKjEEEESL_NS6_8equal_toIjEEEENSG_9not_fun_tINSD_8identityEEEEENSD_19counting_iterator_tIlEES8_S8_S8_S8_S8_S8_S8_S8_EEEEPS9_S9_NSD_9__find_if7functorIS9_EEEE10hipError_tPvRmT1_T2_T3_mT4_P12ihipStream_tbEUlT_E1_NS1_11comp_targetILNS1_3genE4ELNS1_11target_archE910ELNS1_3gpuE8ELNS1_3repE0EEENS1_30default_config_static_selectorELNS0_4arch9wavefront6targetE1EEEvS14_.uses_flat_scratch, 0
	.set _ZN7rocprim17ROCPRIM_400000_NS6detail17trampoline_kernelINS0_14default_configENS1_22reduce_config_selectorIN6thrust23THRUST_200600_302600_NS5tupleIblNS6_9null_typeES8_S8_S8_S8_S8_S8_S8_EEEEZNS1_11reduce_implILb1ES3_NS6_12zip_iteratorINS7_INS6_11hip_rocprim26transform_input_iterator_tIbNSD_35transform_pair_of_input_iterators_tIbNS6_6detail15normal_iteratorINS6_10device_ptrIKjEEEESL_NS6_8equal_toIjEEEENSG_9not_fun_tINSD_8identityEEEEENSD_19counting_iterator_tIlEES8_S8_S8_S8_S8_S8_S8_S8_EEEEPS9_S9_NSD_9__find_if7functorIS9_EEEE10hipError_tPvRmT1_T2_T3_mT4_P12ihipStream_tbEUlT_E1_NS1_11comp_targetILNS1_3genE4ELNS1_11target_archE910ELNS1_3gpuE8ELNS1_3repE0EEENS1_30default_config_static_selectorELNS0_4arch9wavefront6targetE1EEEvS14_.has_dyn_sized_stack, 0
	.set _ZN7rocprim17ROCPRIM_400000_NS6detail17trampoline_kernelINS0_14default_configENS1_22reduce_config_selectorIN6thrust23THRUST_200600_302600_NS5tupleIblNS6_9null_typeES8_S8_S8_S8_S8_S8_S8_EEEEZNS1_11reduce_implILb1ES3_NS6_12zip_iteratorINS7_INS6_11hip_rocprim26transform_input_iterator_tIbNSD_35transform_pair_of_input_iterators_tIbNS6_6detail15normal_iteratorINS6_10device_ptrIKjEEEESL_NS6_8equal_toIjEEEENSG_9not_fun_tINSD_8identityEEEEENSD_19counting_iterator_tIlEES8_S8_S8_S8_S8_S8_S8_S8_EEEEPS9_S9_NSD_9__find_if7functorIS9_EEEE10hipError_tPvRmT1_T2_T3_mT4_P12ihipStream_tbEUlT_E1_NS1_11comp_targetILNS1_3genE4ELNS1_11target_archE910ELNS1_3gpuE8ELNS1_3repE0EEENS1_30default_config_static_selectorELNS0_4arch9wavefront6targetE1EEEvS14_.has_recursion, 0
	.set _ZN7rocprim17ROCPRIM_400000_NS6detail17trampoline_kernelINS0_14default_configENS1_22reduce_config_selectorIN6thrust23THRUST_200600_302600_NS5tupleIblNS6_9null_typeES8_S8_S8_S8_S8_S8_S8_EEEEZNS1_11reduce_implILb1ES3_NS6_12zip_iteratorINS7_INS6_11hip_rocprim26transform_input_iterator_tIbNSD_35transform_pair_of_input_iterators_tIbNS6_6detail15normal_iteratorINS6_10device_ptrIKjEEEESL_NS6_8equal_toIjEEEENSG_9not_fun_tINSD_8identityEEEEENSD_19counting_iterator_tIlEES8_S8_S8_S8_S8_S8_S8_S8_EEEEPS9_S9_NSD_9__find_if7functorIS9_EEEE10hipError_tPvRmT1_T2_T3_mT4_P12ihipStream_tbEUlT_E1_NS1_11comp_targetILNS1_3genE4ELNS1_11target_archE910ELNS1_3gpuE8ELNS1_3repE0EEENS1_30default_config_static_selectorELNS0_4arch9wavefront6targetE1EEEvS14_.has_indirect_call, 0
	.section	.AMDGPU.csdata,"",@progbits
; Kernel info:
; codeLenInByte = 0
; TotalNumSgprs: 4
; NumVgprs: 0
; ScratchSize: 0
; MemoryBound: 0
; FloatMode: 240
; IeeeMode: 1
; LDSByteSize: 0 bytes/workgroup (compile time only)
; SGPRBlocks: 0
; VGPRBlocks: 0
; NumSGPRsForWavesPerEU: 4
; NumVGPRsForWavesPerEU: 1
; Occupancy: 10
; WaveLimiterHint : 0
; COMPUTE_PGM_RSRC2:SCRATCH_EN: 0
; COMPUTE_PGM_RSRC2:USER_SGPR: 6
; COMPUTE_PGM_RSRC2:TRAP_HANDLER: 0
; COMPUTE_PGM_RSRC2:TGID_X_EN: 1
; COMPUTE_PGM_RSRC2:TGID_Y_EN: 0
; COMPUTE_PGM_RSRC2:TGID_Z_EN: 0
; COMPUTE_PGM_RSRC2:TIDIG_COMP_CNT: 0
	.section	.text._ZN7rocprim17ROCPRIM_400000_NS6detail17trampoline_kernelINS0_14default_configENS1_22reduce_config_selectorIN6thrust23THRUST_200600_302600_NS5tupleIblNS6_9null_typeES8_S8_S8_S8_S8_S8_S8_EEEEZNS1_11reduce_implILb1ES3_NS6_12zip_iteratorINS7_INS6_11hip_rocprim26transform_input_iterator_tIbNSD_35transform_pair_of_input_iterators_tIbNS6_6detail15normal_iteratorINS6_10device_ptrIKjEEEESL_NS6_8equal_toIjEEEENSG_9not_fun_tINSD_8identityEEEEENSD_19counting_iterator_tIlEES8_S8_S8_S8_S8_S8_S8_S8_EEEEPS9_S9_NSD_9__find_if7functorIS9_EEEE10hipError_tPvRmT1_T2_T3_mT4_P12ihipStream_tbEUlT_E1_NS1_11comp_targetILNS1_3genE3ELNS1_11target_archE908ELNS1_3gpuE7ELNS1_3repE0EEENS1_30default_config_static_selectorELNS0_4arch9wavefront6targetE1EEEvS14_,"axG",@progbits,_ZN7rocprim17ROCPRIM_400000_NS6detail17trampoline_kernelINS0_14default_configENS1_22reduce_config_selectorIN6thrust23THRUST_200600_302600_NS5tupleIblNS6_9null_typeES8_S8_S8_S8_S8_S8_S8_EEEEZNS1_11reduce_implILb1ES3_NS6_12zip_iteratorINS7_INS6_11hip_rocprim26transform_input_iterator_tIbNSD_35transform_pair_of_input_iterators_tIbNS6_6detail15normal_iteratorINS6_10device_ptrIKjEEEESL_NS6_8equal_toIjEEEENSG_9not_fun_tINSD_8identityEEEEENSD_19counting_iterator_tIlEES8_S8_S8_S8_S8_S8_S8_S8_EEEEPS9_S9_NSD_9__find_if7functorIS9_EEEE10hipError_tPvRmT1_T2_T3_mT4_P12ihipStream_tbEUlT_E1_NS1_11comp_targetILNS1_3genE3ELNS1_11target_archE908ELNS1_3gpuE7ELNS1_3repE0EEENS1_30default_config_static_selectorELNS0_4arch9wavefront6targetE1EEEvS14_,comdat
	.protected	_ZN7rocprim17ROCPRIM_400000_NS6detail17trampoline_kernelINS0_14default_configENS1_22reduce_config_selectorIN6thrust23THRUST_200600_302600_NS5tupleIblNS6_9null_typeES8_S8_S8_S8_S8_S8_S8_EEEEZNS1_11reduce_implILb1ES3_NS6_12zip_iteratorINS7_INS6_11hip_rocprim26transform_input_iterator_tIbNSD_35transform_pair_of_input_iterators_tIbNS6_6detail15normal_iteratorINS6_10device_ptrIKjEEEESL_NS6_8equal_toIjEEEENSG_9not_fun_tINSD_8identityEEEEENSD_19counting_iterator_tIlEES8_S8_S8_S8_S8_S8_S8_S8_EEEEPS9_S9_NSD_9__find_if7functorIS9_EEEE10hipError_tPvRmT1_T2_T3_mT4_P12ihipStream_tbEUlT_E1_NS1_11comp_targetILNS1_3genE3ELNS1_11target_archE908ELNS1_3gpuE7ELNS1_3repE0EEENS1_30default_config_static_selectorELNS0_4arch9wavefront6targetE1EEEvS14_ ; -- Begin function _ZN7rocprim17ROCPRIM_400000_NS6detail17trampoline_kernelINS0_14default_configENS1_22reduce_config_selectorIN6thrust23THRUST_200600_302600_NS5tupleIblNS6_9null_typeES8_S8_S8_S8_S8_S8_S8_EEEEZNS1_11reduce_implILb1ES3_NS6_12zip_iteratorINS7_INS6_11hip_rocprim26transform_input_iterator_tIbNSD_35transform_pair_of_input_iterators_tIbNS6_6detail15normal_iteratorINS6_10device_ptrIKjEEEESL_NS6_8equal_toIjEEEENSG_9not_fun_tINSD_8identityEEEEENSD_19counting_iterator_tIlEES8_S8_S8_S8_S8_S8_S8_S8_EEEEPS9_S9_NSD_9__find_if7functorIS9_EEEE10hipError_tPvRmT1_T2_T3_mT4_P12ihipStream_tbEUlT_E1_NS1_11comp_targetILNS1_3genE3ELNS1_11target_archE908ELNS1_3gpuE7ELNS1_3repE0EEENS1_30default_config_static_selectorELNS0_4arch9wavefront6targetE1EEEvS14_
	.globl	_ZN7rocprim17ROCPRIM_400000_NS6detail17trampoline_kernelINS0_14default_configENS1_22reduce_config_selectorIN6thrust23THRUST_200600_302600_NS5tupleIblNS6_9null_typeES8_S8_S8_S8_S8_S8_S8_EEEEZNS1_11reduce_implILb1ES3_NS6_12zip_iteratorINS7_INS6_11hip_rocprim26transform_input_iterator_tIbNSD_35transform_pair_of_input_iterators_tIbNS6_6detail15normal_iteratorINS6_10device_ptrIKjEEEESL_NS6_8equal_toIjEEEENSG_9not_fun_tINSD_8identityEEEEENSD_19counting_iterator_tIlEES8_S8_S8_S8_S8_S8_S8_S8_EEEEPS9_S9_NSD_9__find_if7functorIS9_EEEE10hipError_tPvRmT1_T2_T3_mT4_P12ihipStream_tbEUlT_E1_NS1_11comp_targetILNS1_3genE3ELNS1_11target_archE908ELNS1_3gpuE7ELNS1_3repE0EEENS1_30default_config_static_selectorELNS0_4arch9wavefront6targetE1EEEvS14_
	.p2align	8
	.type	_ZN7rocprim17ROCPRIM_400000_NS6detail17trampoline_kernelINS0_14default_configENS1_22reduce_config_selectorIN6thrust23THRUST_200600_302600_NS5tupleIblNS6_9null_typeES8_S8_S8_S8_S8_S8_S8_EEEEZNS1_11reduce_implILb1ES3_NS6_12zip_iteratorINS7_INS6_11hip_rocprim26transform_input_iterator_tIbNSD_35transform_pair_of_input_iterators_tIbNS6_6detail15normal_iteratorINS6_10device_ptrIKjEEEESL_NS6_8equal_toIjEEEENSG_9not_fun_tINSD_8identityEEEEENSD_19counting_iterator_tIlEES8_S8_S8_S8_S8_S8_S8_S8_EEEEPS9_S9_NSD_9__find_if7functorIS9_EEEE10hipError_tPvRmT1_T2_T3_mT4_P12ihipStream_tbEUlT_E1_NS1_11comp_targetILNS1_3genE3ELNS1_11target_archE908ELNS1_3gpuE7ELNS1_3repE0EEENS1_30default_config_static_selectorELNS0_4arch9wavefront6targetE1EEEvS14_,@function
_ZN7rocprim17ROCPRIM_400000_NS6detail17trampoline_kernelINS0_14default_configENS1_22reduce_config_selectorIN6thrust23THRUST_200600_302600_NS5tupleIblNS6_9null_typeES8_S8_S8_S8_S8_S8_S8_EEEEZNS1_11reduce_implILb1ES3_NS6_12zip_iteratorINS7_INS6_11hip_rocprim26transform_input_iterator_tIbNSD_35transform_pair_of_input_iterators_tIbNS6_6detail15normal_iteratorINS6_10device_ptrIKjEEEESL_NS6_8equal_toIjEEEENSG_9not_fun_tINSD_8identityEEEEENSD_19counting_iterator_tIlEES8_S8_S8_S8_S8_S8_S8_S8_EEEEPS9_S9_NSD_9__find_if7functorIS9_EEEE10hipError_tPvRmT1_T2_T3_mT4_P12ihipStream_tbEUlT_E1_NS1_11comp_targetILNS1_3genE3ELNS1_11target_archE908ELNS1_3gpuE7ELNS1_3repE0EEENS1_30default_config_static_selectorELNS0_4arch9wavefront6targetE1EEEvS14_: ; @_ZN7rocprim17ROCPRIM_400000_NS6detail17trampoline_kernelINS0_14default_configENS1_22reduce_config_selectorIN6thrust23THRUST_200600_302600_NS5tupleIblNS6_9null_typeES8_S8_S8_S8_S8_S8_S8_EEEEZNS1_11reduce_implILb1ES3_NS6_12zip_iteratorINS7_INS6_11hip_rocprim26transform_input_iterator_tIbNSD_35transform_pair_of_input_iterators_tIbNS6_6detail15normal_iteratorINS6_10device_ptrIKjEEEESL_NS6_8equal_toIjEEEENSG_9not_fun_tINSD_8identityEEEEENSD_19counting_iterator_tIlEES8_S8_S8_S8_S8_S8_S8_S8_EEEEPS9_S9_NSD_9__find_if7functorIS9_EEEE10hipError_tPvRmT1_T2_T3_mT4_P12ihipStream_tbEUlT_E1_NS1_11comp_targetILNS1_3genE3ELNS1_11target_archE908ELNS1_3gpuE7ELNS1_3repE0EEENS1_30default_config_static_selectorELNS0_4arch9wavefront6targetE1EEEvS14_
; %bb.0:
	.section	.rodata,"a",@progbits
	.p2align	6, 0x0
	.amdhsa_kernel _ZN7rocprim17ROCPRIM_400000_NS6detail17trampoline_kernelINS0_14default_configENS1_22reduce_config_selectorIN6thrust23THRUST_200600_302600_NS5tupleIblNS6_9null_typeES8_S8_S8_S8_S8_S8_S8_EEEEZNS1_11reduce_implILb1ES3_NS6_12zip_iteratorINS7_INS6_11hip_rocprim26transform_input_iterator_tIbNSD_35transform_pair_of_input_iterators_tIbNS6_6detail15normal_iteratorINS6_10device_ptrIKjEEEESL_NS6_8equal_toIjEEEENSG_9not_fun_tINSD_8identityEEEEENSD_19counting_iterator_tIlEES8_S8_S8_S8_S8_S8_S8_S8_EEEEPS9_S9_NSD_9__find_if7functorIS9_EEEE10hipError_tPvRmT1_T2_T3_mT4_P12ihipStream_tbEUlT_E1_NS1_11comp_targetILNS1_3genE3ELNS1_11target_archE908ELNS1_3gpuE7ELNS1_3repE0EEENS1_30default_config_static_selectorELNS0_4arch9wavefront6targetE1EEEvS14_
		.amdhsa_group_segment_fixed_size 0
		.amdhsa_private_segment_fixed_size 0
		.amdhsa_kernarg_size 88
		.amdhsa_user_sgpr_count 6
		.amdhsa_user_sgpr_private_segment_buffer 1
		.amdhsa_user_sgpr_dispatch_ptr 0
		.amdhsa_user_sgpr_queue_ptr 0
		.amdhsa_user_sgpr_kernarg_segment_ptr 1
		.amdhsa_user_sgpr_dispatch_id 0
		.amdhsa_user_sgpr_flat_scratch_init 0
		.amdhsa_user_sgpr_private_segment_size 0
		.amdhsa_uses_dynamic_stack 0
		.amdhsa_system_sgpr_private_segment_wavefront_offset 0
		.amdhsa_system_sgpr_workgroup_id_x 1
		.amdhsa_system_sgpr_workgroup_id_y 0
		.amdhsa_system_sgpr_workgroup_id_z 0
		.amdhsa_system_sgpr_workgroup_info 0
		.amdhsa_system_vgpr_workitem_id 0
		.amdhsa_next_free_vgpr 1
		.amdhsa_next_free_sgpr 0
		.amdhsa_reserve_vcc 0
		.amdhsa_reserve_flat_scratch 0
		.amdhsa_float_round_mode_32 0
		.amdhsa_float_round_mode_16_64 0
		.amdhsa_float_denorm_mode_32 3
		.amdhsa_float_denorm_mode_16_64 3
		.amdhsa_dx10_clamp 1
		.amdhsa_ieee_mode 1
		.amdhsa_fp16_overflow 0
		.amdhsa_exception_fp_ieee_invalid_op 0
		.amdhsa_exception_fp_denorm_src 0
		.amdhsa_exception_fp_ieee_div_zero 0
		.amdhsa_exception_fp_ieee_overflow 0
		.amdhsa_exception_fp_ieee_underflow 0
		.amdhsa_exception_fp_ieee_inexact 0
		.amdhsa_exception_int_div_zero 0
	.end_amdhsa_kernel
	.section	.text._ZN7rocprim17ROCPRIM_400000_NS6detail17trampoline_kernelINS0_14default_configENS1_22reduce_config_selectorIN6thrust23THRUST_200600_302600_NS5tupleIblNS6_9null_typeES8_S8_S8_S8_S8_S8_S8_EEEEZNS1_11reduce_implILb1ES3_NS6_12zip_iteratorINS7_INS6_11hip_rocprim26transform_input_iterator_tIbNSD_35transform_pair_of_input_iterators_tIbNS6_6detail15normal_iteratorINS6_10device_ptrIKjEEEESL_NS6_8equal_toIjEEEENSG_9not_fun_tINSD_8identityEEEEENSD_19counting_iterator_tIlEES8_S8_S8_S8_S8_S8_S8_S8_EEEEPS9_S9_NSD_9__find_if7functorIS9_EEEE10hipError_tPvRmT1_T2_T3_mT4_P12ihipStream_tbEUlT_E1_NS1_11comp_targetILNS1_3genE3ELNS1_11target_archE908ELNS1_3gpuE7ELNS1_3repE0EEENS1_30default_config_static_selectorELNS0_4arch9wavefront6targetE1EEEvS14_,"axG",@progbits,_ZN7rocprim17ROCPRIM_400000_NS6detail17trampoline_kernelINS0_14default_configENS1_22reduce_config_selectorIN6thrust23THRUST_200600_302600_NS5tupleIblNS6_9null_typeES8_S8_S8_S8_S8_S8_S8_EEEEZNS1_11reduce_implILb1ES3_NS6_12zip_iteratorINS7_INS6_11hip_rocprim26transform_input_iterator_tIbNSD_35transform_pair_of_input_iterators_tIbNS6_6detail15normal_iteratorINS6_10device_ptrIKjEEEESL_NS6_8equal_toIjEEEENSG_9not_fun_tINSD_8identityEEEEENSD_19counting_iterator_tIlEES8_S8_S8_S8_S8_S8_S8_S8_EEEEPS9_S9_NSD_9__find_if7functorIS9_EEEE10hipError_tPvRmT1_T2_T3_mT4_P12ihipStream_tbEUlT_E1_NS1_11comp_targetILNS1_3genE3ELNS1_11target_archE908ELNS1_3gpuE7ELNS1_3repE0EEENS1_30default_config_static_selectorELNS0_4arch9wavefront6targetE1EEEvS14_,comdat
.Lfunc_end495:
	.size	_ZN7rocprim17ROCPRIM_400000_NS6detail17trampoline_kernelINS0_14default_configENS1_22reduce_config_selectorIN6thrust23THRUST_200600_302600_NS5tupleIblNS6_9null_typeES8_S8_S8_S8_S8_S8_S8_EEEEZNS1_11reduce_implILb1ES3_NS6_12zip_iteratorINS7_INS6_11hip_rocprim26transform_input_iterator_tIbNSD_35transform_pair_of_input_iterators_tIbNS6_6detail15normal_iteratorINS6_10device_ptrIKjEEEESL_NS6_8equal_toIjEEEENSG_9not_fun_tINSD_8identityEEEEENSD_19counting_iterator_tIlEES8_S8_S8_S8_S8_S8_S8_S8_EEEEPS9_S9_NSD_9__find_if7functorIS9_EEEE10hipError_tPvRmT1_T2_T3_mT4_P12ihipStream_tbEUlT_E1_NS1_11comp_targetILNS1_3genE3ELNS1_11target_archE908ELNS1_3gpuE7ELNS1_3repE0EEENS1_30default_config_static_selectorELNS0_4arch9wavefront6targetE1EEEvS14_, .Lfunc_end495-_ZN7rocprim17ROCPRIM_400000_NS6detail17trampoline_kernelINS0_14default_configENS1_22reduce_config_selectorIN6thrust23THRUST_200600_302600_NS5tupleIblNS6_9null_typeES8_S8_S8_S8_S8_S8_S8_EEEEZNS1_11reduce_implILb1ES3_NS6_12zip_iteratorINS7_INS6_11hip_rocprim26transform_input_iterator_tIbNSD_35transform_pair_of_input_iterators_tIbNS6_6detail15normal_iteratorINS6_10device_ptrIKjEEEESL_NS6_8equal_toIjEEEENSG_9not_fun_tINSD_8identityEEEEENSD_19counting_iterator_tIlEES8_S8_S8_S8_S8_S8_S8_S8_EEEEPS9_S9_NSD_9__find_if7functorIS9_EEEE10hipError_tPvRmT1_T2_T3_mT4_P12ihipStream_tbEUlT_E1_NS1_11comp_targetILNS1_3genE3ELNS1_11target_archE908ELNS1_3gpuE7ELNS1_3repE0EEENS1_30default_config_static_selectorELNS0_4arch9wavefront6targetE1EEEvS14_
                                        ; -- End function
	.set _ZN7rocprim17ROCPRIM_400000_NS6detail17trampoline_kernelINS0_14default_configENS1_22reduce_config_selectorIN6thrust23THRUST_200600_302600_NS5tupleIblNS6_9null_typeES8_S8_S8_S8_S8_S8_S8_EEEEZNS1_11reduce_implILb1ES3_NS6_12zip_iteratorINS7_INS6_11hip_rocprim26transform_input_iterator_tIbNSD_35transform_pair_of_input_iterators_tIbNS6_6detail15normal_iteratorINS6_10device_ptrIKjEEEESL_NS6_8equal_toIjEEEENSG_9not_fun_tINSD_8identityEEEEENSD_19counting_iterator_tIlEES8_S8_S8_S8_S8_S8_S8_S8_EEEEPS9_S9_NSD_9__find_if7functorIS9_EEEE10hipError_tPvRmT1_T2_T3_mT4_P12ihipStream_tbEUlT_E1_NS1_11comp_targetILNS1_3genE3ELNS1_11target_archE908ELNS1_3gpuE7ELNS1_3repE0EEENS1_30default_config_static_selectorELNS0_4arch9wavefront6targetE1EEEvS14_.num_vgpr, 0
	.set _ZN7rocprim17ROCPRIM_400000_NS6detail17trampoline_kernelINS0_14default_configENS1_22reduce_config_selectorIN6thrust23THRUST_200600_302600_NS5tupleIblNS6_9null_typeES8_S8_S8_S8_S8_S8_S8_EEEEZNS1_11reduce_implILb1ES3_NS6_12zip_iteratorINS7_INS6_11hip_rocprim26transform_input_iterator_tIbNSD_35transform_pair_of_input_iterators_tIbNS6_6detail15normal_iteratorINS6_10device_ptrIKjEEEESL_NS6_8equal_toIjEEEENSG_9not_fun_tINSD_8identityEEEEENSD_19counting_iterator_tIlEES8_S8_S8_S8_S8_S8_S8_S8_EEEEPS9_S9_NSD_9__find_if7functorIS9_EEEE10hipError_tPvRmT1_T2_T3_mT4_P12ihipStream_tbEUlT_E1_NS1_11comp_targetILNS1_3genE3ELNS1_11target_archE908ELNS1_3gpuE7ELNS1_3repE0EEENS1_30default_config_static_selectorELNS0_4arch9wavefront6targetE1EEEvS14_.num_agpr, 0
	.set _ZN7rocprim17ROCPRIM_400000_NS6detail17trampoline_kernelINS0_14default_configENS1_22reduce_config_selectorIN6thrust23THRUST_200600_302600_NS5tupleIblNS6_9null_typeES8_S8_S8_S8_S8_S8_S8_EEEEZNS1_11reduce_implILb1ES3_NS6_12zip_iteratorINS7_INS6_11hip_rocprim26transform_input_iterator_tIbNSD_35transform_pair_of_input_iterators_tIbNS6_6detail15normal_iteratorINS6_10device_ptrIKjEEEESL_NS6_8equal_toIjEEEENSG_9not_fun_tINSD_8identityEEEEENSD_19counting_iterator_tIlEES8_S8_S8_S8_S8_S8_S8_S8_EEEEPS9_S9_NSD_9__find_if7functorIS9_EEEE10hipError_tPvRmT1_T2_T3_mT4_P12ihipStream_tbEUlT_E1_NS1_11comp_targetILNS1_3genE3ELNS1_11target_archE908ELNS1_3gpuE7ELNS1_3repE0EEENS1_30default_config_static_selectorELNS0_4arch9wavefront6targetE1EEEvS14_.numbered_sgpr, 0
	.set _ZN7rocprim17ROCPRIM_400000_NS6detail17trampoline_kernelINS0_14default_configENS1_22reduce_config_selectorIN6thrust23THRUST_200600_302600_NS5tupleIblNS6_9null_typeES8_S8_S8_S8_S8_S8_S8_EEEEZNS1_11reduce_implILb1ES3_NS6_12zip_iteratorINS7_INS6_11hip_rocprim26transform_input_iterator_tIbNSD_35transform_pair_of_input_iterators_tIbNS6_6detail15normal_iteratorINS6_10device_ptrIKjEEEESL_NS6_8equal_toIjEEEENSG_9not_fun_tINSD_8identityEEEEENSD_19counting_iterator_tIlEES8_S8_S8_S8_S8_S8_S8_S8_EEEEPS9_S9_NSD_9__find_if7functorIS9_EEEE10hipError_tPvRmT1_T2_T3_mT4_P12ihipStream_tbEUlT_E1_NS1_11comp_targetILNS1_3genE3ELNS1_11target_archE908ELNS1_3gpuE7ELNS1_3repE0EEENS1_30default_config_static_selectorELNS0_4arch9wavefront6targetE1EEEvS14_.num_named_barrier, 0
	.set _ZN7rocprim17ROCPRIM_400000_NS6detail17trampoline_kernelINS0_14default_configENS1_22reduce_config_selectorIN6thrust23THRUST_200600_302600_NS5tupleIblNS6_9null_typeES8_S8_S8_S8_S8_S8_S8_EEEEZNS1_11reduce_implILb1ES3_NS6_12zip_iteratorINS7_INS6_11hip_rocprim26transform_input_iterator_tIbNSD_35transform_pair_of_input_iterators_tIbNS6_6detail15normal_iteratorINS6_10device_ptrIKjEEEESL_NS6_8equal_toIjEEEENSG_9not_fun_tINSD_8identityEEEEENSD_19counting_iterator_tIlEES8_S8_S8_S8_S8_S8_S8_S8_EEEEPS9_S9_NSD_9__find_if7functorIS9_EEEE10hipError_tPvRmT1_T2_T3_mT4_P12ihipStream_tbEUlT_E1_NS1_11comp_targetILNS1_3genE3ELNS1_11target_archE908ELNS1_3gpuE7ELNS1_3repE0EEENS1_30default_config_static_selectorELNS0_4arch9wavefront6targetE1EEEvS14_.private_seg_size, 0
	.set _ZN7rocprim17ROCPRIM_400000_NS6detail17trampoline_kernelINS0_14default_configENS1_22reduce_config_selectorIN6thrust23THRUST_200600_302600_NS5tupleIblNS6_9null_typeES8_S8_S8_S8_S8_S8_S8_EEEEZNS1_11reduce_implILb1ES3_NS6_12zip_iteratorINS7_INS6_11hip_rocprim26transform_input_iterator_tIbNSD_35transform_pair_of_input_iterators_tIbNS6_6detail15normal_iteratorINS6_10device_ptrIKjEEEESL_NS6_8equal_toIjEEEENSG_9not_fun_tINSD_8identityEEEEENSD_19counting_iterator_tIlEES8_S8_S8_S8_S8_S8_S8_S8_EEEEPS9_S9_NSD_9__find_if7functorIS9_EEEE10hipError_tPvRmT1_T2_T3_mT4_P12ihipStream_tbEUlT_E1_NS1_11comp_targetILNS1_3genE3ELNS1_11target_archE908ELNS1_3gpuE7ELNS1_3repE0EEENS1_30default_config_static_selectorELNS0_4arch9wavefront6targetE1EEEvS14_.uses_vcc, 0
	.set _ZN7rocprim17ROCPRIM_400000_NS6detail17trampoline_kernelINS0_14default_configENS1_22reduce_config_selectorIN6thrust23THRUST_200600_302600_NS5tupleIblNS6_9null_typeES8_S8_S8_S8_S8_S8_S8_EEEEZNS1_11reduce_implILb1ES3_NS6_12zip_iteratorINS7_INS6_11hip_rocprim26transform_input_iterator_tIbNSD_35transform_pair_of_input_iterators_tIbNS6_6detail15normal_iteratorINS6_10device_ptrIKjEEEESL_NS6_8equal_toIjEEEENSG_9not_fun_tINSD_8identityEEEEENSD_19counting_iterator_tIlEES8_S8_S8_S8_S8_S8_S8_S8_EEEEPS9_S9_NSD_9__find_if7functorIS9_EEEE10hipError_tPvRmT1_T2_T3_mT4_P12ihipStream_tbEUlT_E1_NS1_11comp_targetILNS1_3genE3ELNS1_11target_archE908ELNS1_3gpuE7ELNS1_3repE0EEENS1_30default_config_static_selectorELNS0_4arch9wavefront6targetE1EEEvS14_.uses_flat_scratch, 0
	.set _ZN7rocprim17ROCPRIM_400000_NS6detail17trampoline_kernelINS0_14default_configENS1_22reduce_config_selectorIN6thrust23THRUST_200600_302600_NS5tupleIblNS6_9null_typeES8_S8_S8_S8_S8_S8_S8_EEEEZNS1_11reduce_implILb1ES3_NS6_12zip_iteratorINS7_INS6_11hip_rocprim26transform_input_iterator_tIbNSD_35transform_pair_of_input_iterators_tIbNS6_6detail15normal_iteratorINS6_10device_ptrIKjEEEESL_NS6_8equal_toIjEEEENSG_9not_fun_tINSD_8identityEEEEENSD_19counting_iterator_tIlEES8_S8_S8_S8_S8_S8_S8_S8_EEEEPS9_S9_NSD_9__find_if7functorIS9_EEEE10hipError_tPvRmT1_T2_T3_mT4_P12ihipStream_tbEUlT_E1_NS1_11comp_targetILNS1_3genE3ELNS1_11target_archE908ELNS1_3gpuE7ELNS1_3repE0EEENS1_30default_config_static_selectorELNS0_4arch9wavefront6targetE1EEEvS14_.has_dyn_sized_stack, 0
	.set _ZN7rocprim17ROCPRIM_400000_NS6detail17trampoline_kernelINS0_14default_configENS1_22reduce_config_selectorIN6thrust23THRUST_200600_302600_NS5tupleIblNS6_9null_typeES8_S8_S8_S8_S8_S8_S8_EEEEZNS1_11reduce_implILb1ES3_NS6_12zip_iteratorINS7_INS6_11hip_rocprim26transform_input_iterator_tIbNSD_35transform_pair_of_input_iterators_tIbNS6_6detail15normal_iteratorINS6_10device_ptrIKjEEEESL_NS6_8equal_toIjEEEENSG_9not_fun_tINSD_8identityEEEEENSD_19counting_iterator_tIlEES8_S8_S8_S8_S8_S8_S8_S8_EEEEPS9_S9_NSD_9__find_if7functorIS9_EEEE10hipError_tPvRmT1_T2_T3_mT4_P12ihipStream_tbEUlT_E1_NS1_11comp_targetILNS1_3genE3ELNS1_11target_archE908ELNS1_3gpuE7ELNS1_3repE0EEENS1_30default_config_static_selectorELNS0_4arch9wavefront6targetE1EEEvS14_.has_recursion, 0
	.set _ZN7rocprim17ROCPRIM_400000_NS6detail17trampoline_kernelINS0_14default_configENS1_22reduce_config_selectorIN6thrust23THRUST_200600_302600_NS5tupleIblNS6_9null_typeES8_S8_S8_S8_S8_S8_S8_EEEEZNS1_11reduce_implILb1ES3_NS6_12zip_iteratorINS7_INS6_11hip_rocprim26transform_input_iterator_tIbNSD_35transform_pair_of_input_iterators_tIbNS6_6detail15normal_iteratorINS6_10device_ptrIKjEEEESL_NS6_8equal_toIjEEEENSG_9not_fun_tINSD_8identityEEEEENSD_19counting_iterator_tIlEES8_S8_S8_S8_S8_S8_S8_S8_EEEEPS9_S9_NSD_9__find_if7functorIS9_EEEE10hipError_tPvRmT1_T2_T3_mT4_P12ihipStream_tbEUlT_E1_NS1_11comp_targetILNS1_3genE3ELNS1_11target_archE908ELNS1_3gpuE7ELNS1_3repE0EEENS1_30default_config_static_selectorELNS0_4arch9wavefront6targetE1EEEvS14_.has_indirect_call, 0
	.section	.AMDGPU.csdata,"",@progbits
; Kernel info:
; codeLenInByte = 0
; TotalNumSgprs: 4
; NumVgprs: 0
; ScratchSize: 0
; MemoryBound: 0
; FloatMode: 240
; IeeeMode: 1
; LDSByteSize: 0 bytes/workgroup (compile time only)
; SGPRBlocks: 0
; VGPRBlocks: 0
; NumSGPRsForWavesPerEU: 4
; NumVGPRsForWavesPerEU: 1
; Occupancy: 10
; WaveLimiterHint : 0
; COMPUTE_PGM_RSRC2:SCRATCH_EN: 0
; COMPUTE_PGM_RSRC2:USER_SGPR: 6
; COMPUTE_PGM_RSRC2:TRAP_HANDLER: 0
; COMPUTE_PGM_RSRC2:TGID_X_EN: 1
; COMPUTE_PGM_RSRC2:TGID_Y_EN: 0
; COMPUTE_PGM_RSRC2:TGID_Z_EN: 0
; COMPUTE_PGM_RSRC2:TIDIG_COMP_CNT: 0
	.section	.text._ZN7rocprim17ROCPRIM_400000_NS6detail17trampoline_kernelINS0_14default_configENS1_22reduce_config_selectorIN6thrust23THRUST_200600_302600_NS5tupleIblNS6_9null_typeES8_S8_S8_S8_S8_S8_S8_EEEEZNS1_11reduce_implILb1ES3_NS6_12zip_iteratorINS7_INS6_11hip_rocprim26transform_input_iterator_tIbNSD_35transform_pair_of_input_iterators_tIbNS6_6detail15normal_iteratorINS6_10device_ptrIKjEEEESL_NS6_8equal_toIjEEEENSG_9not_fun_tINSD_8identityEEEEENSD_19counting_iterator_tIlEES8_S8_S8_S8_S8_S8_S8_S8_EEEEPS9_S9_NSD_9__find_if7functorIS9_EEEE10hipError_tPvRmT1_T2_T3_mT4_P12ihipStream_tbEUlT_E1_NS1_11comp_targetILNS1_3genE2ELNS1_11target_archE906ELNS1_3gpuE6ELNS1_3repE0EEENS1_30default_config_static_selectorELNS0_4arch9wavefront6targetE1EEEvS14_,"axG",@progbits,_ZN7rocprim17ROCPRIM_400000_NS6detail17trampoline_kernelINS0_14default_configENS1_22reduce_config_selectorIN6thrust23THRUST_200600_302600_NS5tupleIblNS6_9null_typeES8_S8_S8_S8_S8_S8_S8_EEEEZNS1_11reduce_implILb1ES3_NS6_12zip_iteratorINS7_INS6_11hip_rocprim26transform_input_iterator_tIbNSD_35transform_pair_of_input_iterators_tIbNS6_6detail15normal_iteratorINS6_10device_ptrIKjEEEESL_NS6_8equal_toIjEEEENSG_9not_fun_tINSD_8identityEEEEENSD_19counting_iterator_tIlEES8_S8_S8_S8_S8_S8_S8_S8_EEEEPS9_S9_NSD_9__find_if7functorIS9_EEEE10hipError_tPvRmT1_T2_T3_mT4_P12ihipStream_tbEUlT_E1_NS1_11comp_targetILNS1_3genE2ELNS1_11target_archE906ELNS1_3gpuE6ELNS1_3repE0EEENS1_30default_config_static_selectorELNS0_4arch9wavefront6targetE1EEEvS14_,comdat
	.protected	_ZN7rocprim17ROCPRIM_400000_NS6detail17trampoline_kernelINS0_14default_configENS1_22reduce_config_selectorIN6thrust23THRUST_200600_302600_NS5tupleIblNS6_9null_typeES8_S8_S8_S8_S8_S8_S8_EEEEZNS1_11reduce_implILb1ES3_NS6_12zip_iteratorINS7_INS6_11hip_rocprim26transform_input_iterator_tIbNSD_35transform_pair_of_input_iterators_tIbNS6_6detail15normal_iteratorINS6_10device_ptrIKjEEEESL_NS6_8equal_toIjEEEENSG_9not_fun_tINSD_8identityEEEEENSD_19counting_iterator_tIlEES8_S8_S8_S8_S8_S8_S8_S8_EEEEPS9_S9_NSD_9__find_if7functorIS9_EEEE10hipError_tPvRmT1_T2_T3_mT4_P12ihipStream_tbEUlT_E1_NS1_11comp_targetILNS1_3genE2ELNS1_11target_archE906ELNS1_3gpuE6ELNS1_3repE0EEENS1_30default_config_static_selectorELNS0_4arch9wavefront6targetE1EEEvS14_ ; -- Begin function _ZN7rocprim17ROCPRIM_400000_NS6detail17trampoline_kernelINS0_14default_configENS1_22reduce_config_selectorIN6thrust23THRUST_200600_302600_NS5tupleIblNS6_9null_typeES8_S8_S8_S8_S8_S8_S8_EEEEZNS1_11reduce_implILb1ES3_NS6_12zip_iteratorINS7_INS6_11hip_rocprim26transform_input_iterator_tIbNSD_35transform_pair_of_input_iterators_tIbNS6_6detail15normal_iteratorINS6_10device_ptrIKjEEEESL_NS6_8equal_toIjEEEENSG_9not_fun_tINSD_8identityEEEEENSD_19counting_iterator_tIlEES8_S8_S8_S8_S8_S8_S8_S8_EEEEPS9_S9_NSD_9__find_if7functorIS9_EEEE10hipError_tPvRmT1_T2_T3_mT4_P12ihipStream_tbEUlT_E1_NS1_11comp_targetILNS1_3genE2ELNS1_11target_archE906ELNS1_3gpuE6ELNS1_3repE0EEENS1_30default_config_static_selectorELNS0_4arch9wavefront6targetE1EEEvS14_
	.globl	_ZN7rocprim17ROCPRIM_400000_NS6detail17trampoline_kernelINS0_14default_configENS1_22reduce_config_selectorIN6thrust23THRUST_200600_302600_NS5tupleIblNS6_9null_typeES8_S8_S8_S8_S8_S8_S8_EEEEZNS1_11reduce_implILb1ES3_NS6_12zip_iteratorINS7_INS6_11hip_rocprim26transform_input_iterator_tIbNSD_35transform_pair_of_input_iterators_tIbNS6_6detail15normal_iteratorINS6_10device_ptrIKjEEEESL_NS6_8equal_toIjEEEENSG_9not_fun_tINSD_8identityEEEEENSD_19counting_iterator_tIlEES8_S8_S8_S8_S8_S8_S8_S8_EEEEPS9_S9_NSD_9__find_if7functorIS9_EEEE10hipError_tPvRmT1_T2_T3_mT4_P12ihipStream_tbEUlT_E1_NS1_11comp_targetILNS1_3genE2ELNS1_11target_archE906ELNS1_3gpuE6ELNS1_3repE0EEENS1_30default_config_static_selectorELNS0_4arch9wavefront6targetE1EEEvS14_
	.p2align	8
	.type	_ZN7rocprim17ROCPRIM_400000_NS6detail17trampoline_kernelINS0_14default_configENS1_22reduce_config_selectorIN6thrust23THRUST_200600_302600_NS5tupleIblNS6_9null_typeES8_S8_S8_S8_S8_S8_S8_EEEEZNS1_11reduce_implILb1ES3_NS6_12zip_iteratorINS7_INS6_11hip_rocprim26transform_input_iterator_tIbNSD_35transform_pair_of_input_iterators_tIbNS6_6detail15normal_iteratorINS6_10device_ptrIKjEEEESL_NS6_8equal_toIjEEEENSG_9not_fun_tINSD_8identityEEEEENSD_19counting_iterator_tIlEES8_S8_S8_S8_S8_S8_S8_S8_EEEEPS9_S9_NSD_9__find_if7functorIS9_EEEE10hipError_tPvRmT1_T2_T3_mT4_P12ihipStream_tbEUlT_E1_NS1_11comp_targetILNS1_3genE2ELNS1_11target_archE906ELNS1_3gpuE6ELNS1_3repE0EEENS1_30default_config_static_selectorELNS0_4arch9wavefront6targetE1EEEvS14_,@function
_ZN7rocprim17ROCPRIM_400000_NS6detail17trampoline_kernelINS0_14default_configENS1_22reduce_config_selectorIN6thrust23THRUST_200600_302600_NS5tupleIblNS6_9null_typeES8_S8_S8_S8_S8_S8_S8_EEEEZNS1_11reduce_implILb1ES3_NS6_12zip_iteratorINS7_INS6_11hip_rocprim26transform_input_iterator_tIbNSD_35transform_pair_of_input_iterators_tIbNS6_6detail15normal_iteratorINS6_10device_ptrIKjEEEESL_NS6_8equal_toIjEEEENSG_9not_fun_tINSD_8identityEEEEENSD_19counting_iterator_tIlEES8_S8_S8_S8_S8_S8_S8_S8_EEEEPS9_S9_NSD_9__find_if7functorIS9_EEEE10hipError_tPvRmT1_T2_T3_mT4_P12ihipStream_tbEUlT_E1_NS1_11comp_targetILNS1_3genE2ELNS1_11target_archE906ELNS1_3gpuE6ELNS1_3repE0EEENS1_30default_config_static_selectorELNS0_4arch9wavefront6targetE1EEEvS14_: ; @_ZN7rocprim17ROCPRIM_400000_NS6detail17trampoline_kernelINS0_14default_configENS1_22reduce_config_selectorIN6thrust23THRUST_200600_302600_NS5tupleIblNS6_9null_typeES8_S8_S8_S8_S8_S8_S8_EEEEZNS1_11reduce_implILb1ES3_NS6_12zip_iteratorINS7_INS6_11hip_rocprim26transform_input_iterator_tIbNSD_35transform_pair_of_input_iterators_tIbNS6_6detail15normal_iteratorINS6_10device_ptrIKjEEEESL_NS6_8equal_toIjEEEENSG_9not_fun_tINSD_8identityEEEEENSD_19counting_iterator_tIlEES8_S8_S8_S8_S8_S8_S8_S8_EEEEPS9_S9_NSD_9__find_if7functorIS9_EEEE10hipError_tPvRmT1_T2_T3_mT4_P12ihipStream_tbEUlT_E1_NS1_11comp_targetILNS1_3genE2ELNS1_11target_archE906ELNS1_3gpuE6ELNS1_3repE0EEENS1_30default_config_static_selectorELNS0_4arch9wavefront6targetE1EEEvS14_
; %bb.0:
	s_load_dword s38, s[4:5], 0x4
	s_load_dwordx4 s[24:27], s[4:5], 0x8
	s_load_dwordx4 s[20:23], s[4:5], 0x28
	s_load_dword s33, s[4:5], 0x40
	s_load_dwordx2 s[18:19], s[4:5], 0x48
	s_waitcnt lgkmcnt(0)
	s_cmp_lt_i32 s38, 4
	s_cbranch_scc1 .LBB496_13
; %bb.1:
	s_cmp_gt_i32 s38, 7
	s_cbranch_scc0 .LBB496_14
; %bb.2:
	s_cmp_eq_u32 s38, 8
	s_mov_b64 s[28:29], 0
	s_cbranch_scc0 .LBB496_15
; %bb.3:
	s_mov_b32 s7, 0
	s_lshl_b32 s36, s6, 10
	s_mov_b32 s37, s7
	s_lshr_b64 s[0:1], s[22:23], 10
	s_lshl_b64 s[2:3], s[36:37], 2
	s_add_u32 s30, s24, s2
	s_addc_u32 s31, s25, s3
	s_add_u32 s34, s26, s2
	s_addc_u32 s35, s27, s3
	s_add_u32 s40, s20, s36
	s_addc_u32 s41, s21, 0
	s_cmp_lg_u64 s[0:1], s[6:7]
	s_cbranch_scc0 .LBB496_28
; %bb.4:
	v_lshlrev_b32_e32 v1, 2, v0
	global_load_dword v2, v1, s[30:31] offset:1024
	global_load_dword v3, v1, s[30:31] offset:2048
	;; [unrolled: 1-line block ×14, first 2 shown]
	global_load_dword v16, v1, s[30:31]
	s_nop 0
	global_load_dword v1, v1, s[34:35]
	v_mov_b32_e32 v18, 0x100
	v_mov_b32_e32 v19, 0x80
	;; [unrolled: 1-line block ×7, first 2 shown]
	s_waitcnt vmcnt(13)
	v_cmp_ne_u32_e32 vcc, v2, v4
	v_mbcnt_lo_u32_b32 v4, -1, 0
	s_waitcnt vmcnt(12)
	v_cmp_ne_u32_e64 s[0:1], v3, v5
	v_add_co_u32_e64 v5, s[2:3], s40, v0
	v_mbcnt_hi_u32_b32 v3, -1, v4
	v_addc_co_u32_e64 v17, s[2:3], 0, v17, s[2:3]
	s_waitcnt vmcnt(6)
	v_cmp_ne_u32_e64 s[2:3], v11, v6
	s_waitcnt vmcnt(4)
	v_cmp_ne_u32_e64 s[14:15], v13, v8
	;; [unrolled: 2-line block ×4, first 2 shown]
	v_cndmask_b32_e64 v4, v18, v19, s[10:11]
	s_waitcnt vmcnt(0)
	v_cmp_ne_u32_e64 s[16:17], v16, v1
	s_or_b64 s[10:11], s[16:17], s[10:11]
	s_or_b64 vcc, s[10:11], vcc
	v_cndmask_b32_e64 v6, v20, v21, s[12:13]
	v_cndmask_b32_e64 v1, v4, 0, s[16:17]
	s_or_b64 s[10:11], vcc, s[12:13]
	v_cndmask_b32_e32 v1, v6, v1, vcc
	s_or_b64 vcc, s[10:11], s[0:1]
	v_cmp_ne_u32_e64 s[8:9], v12, v7
	v_cndmask_b32_e64 v7, v22, v23, s[14:15]
	s_or_b64 s[0:1], vcc, s[14:15]
	v_mov_b32_e32 v2, 0x380
	v_cndmask_b32_e32 v1, v7, v1, vcc
	s_or_b64 vcc, s[0:1], s[2:3]
	v_cndmask_b32_e32 v1, v2, v1, vcc
	v_add_co_u32_e64 v1, s[0:1], v5, v1
	v_addc_co_u32_e64 v2, s[0:1], 0, v17, s[0:1]
	s_or_b64 s[0:1], vcc, s[8:9]
	v_mov_b32_dpp v4, v1 quad_perm:[1,0,3,2] row_mask:0xf bank_mask:0xf bound_ctrl:1
	v_mov_b32_dpp v5, v2 quad_perm:[1,0,3,2] row_mask:0xf bank_mask:0xf bound_ctrl:1
	v_cndmask_b32_e64 v6, 0, 1, s[0:1]
	v_cmp_lt_i64_e32 vcc, v[1:2], v[4:5]
	s_and_b64 vcc, s[0:1], vcc
	v_mov_b32_dpp v7, v6 quad_perm:[1,0,3,2] row_mask:0xf bank_mask:0xf bound_ctrl:1
	v_and_b32_e32 v7, 1, v7
	v_cndmask_b32_e32 v4, v4, v1, vcc
	v_cndmask_b32_e32 v5, v5, v2, vcc
	v_cmp_eq_u32_e32 vcc, 1, v7
	v_cndmask_b32_e32 v2, v2, v5, vcc
	v_cndmask_b32_e32 v1, v1, v4, vcc
	v_cndmask_b32_e64 v6, v6, 1, vcc
	v_mov_b32_dpp v5, v2 quad_perm:[2,3,0,1] row_mask:0xf bank_mask:0xf bound_ctrl:1
	v_mov_b32_dpp v4, v1 quad_perm:[2,3,0,1] row_mask:0xf bank_mask:0xf bound_ctrl:1
	v_and_b32_e32 v8, 1, v6
	v_cmp_lt_i64_e64 s[0:1], v[1:2], v[4:5]
	v_mov_b32_dpp v7, v6 quad_perm:[2,3,0,1] row_mask:0xf bank_mask:0xf bound_ctrl:1
	v_cmp_eq_u32_e32 vcc, 1, v8
	v_and_b32_e32 v7, 1, v7
	s_and_b64 vcc, vcc, s[0:1]
	v_cmp_eq_u32_e64 s[2:3], 1, v7
	v_cndmask_b32_e32 v4, v4, v1, vcc
	v_cndmask_b32_e32 v5, v5, v2, vcc
	v_cndmask_b32_e64 v1, v1, v4, s[2:3]
	v_cndmask_b32_e64 v2, v2, v5, s[2:3]
	;; [unrolled: 1-line block ×3, first 2 shown]
	v_mov_b32_dpp v4, v1 row_ror:4 row_mask:0xf bank_mask:0xf bound_ctrl:1
	v_mov_b32_dpp v5, v2 row_ror:4 row_mask:0xf bank_mask:0xf bound_ctrl:1
	v_and_b32_e32 v8, 1, v6
	v_cmp_lt_i64_e64 s[2:3], v[1:2], v[4:5]
	v_mov_b32_dpp v7, v6 row_ror:4 row_mask:0xf bank_mask:0xf bound_ctrl:1
	v_cmp_eq_u32_e32 vcc, 1, v8
	v_and_b32_e32 v7, 1, v7
	s_and_b64 vcc, vcc, s[2:3]
	v_cmp_eq_u32_e64 s[0:1], 1, v7
	v_cndmask_b32_e32 v4, v4, v1, vcc
	v_cndmask_b32_e32 v5, v5, v2, vcc
	v_cndmask_b32_e64 v1, v1, v4, s[0:1]
	v_cndmask_b32_e64 v2, v2, v5, s[0:1]
	;; [unrolled: 1-line block ×3, first 2 shown]
	v_mov_b32_dpp v4, v1 row_ror:8 row_mask:0xf bank_mask:0xf bound_ctrl:1
	v_mov_b32_dpp v5, v2 row_ror:8 row_mask:0xf bank_mask:0xf bound_ctrl:1
	v_and_b32_e32 v8, 1, v6
	v_cmp_lt_i64_e32 vcc, v[1:2], v[4:5]
	v_mov_b32_dpp v7, v6 row_ror:8 row_mask:0xf bank_mask:0xf bound_ctrl:1
	v_cmp_eq_u32_e64 s[8:9], 1, v8
	v_and_b32_e32 v7, 1, v7
	s_and_b64 vcc, s[8:9], vcc
	v_cmp_eq_u32_e64 s[10:11], 1, v7
	v_cndmask_b32_e32 v4, v4, v1, vcc
	v_cndmask_b32_e32 v5, v5, v2, vcc
	v_cndmask_b32_e64 v1, v1, v4, s[10:11]
	v_cndmask_b32_e64 v2, v2, v5, s[10:11]
	;; [unrolled: 1-line block ×3, first 2 shown]
	v_mov_b32_dpp v4, v1 row_bcast:15 row_mask:0xf bank_mask:0xf bound_ctrl:1
	v_mov_b32_dpp v5, v2 row_bcast:15 row_mask:0xf bank_mask:0xf bound_ctrl:1
	v_and_b32_e32 v8, 1, v6
	v_cmp_lt_i64_e64 s[0:1], v[1:2], v[4:5]
	v_mov_b32_dpp v7, v6 row_bcast:15 row_mask:0xf bank_mask:0xf bound_ctrl:1
	v_cmp_eq_u32_e32 vcc, 1, v8
	v_and_b32_e32 v7, 1, v7
	s_and_b64 vcc, vcc, s[0:1]
	v_cmp_eq_u32_e64 s[2:3], 1, v7
	v_cndmask_b32_e32 v4, v4, v1, vcc
	v_cndmask_b32_e32 v5, v5, v2, vcc
	v_cndmask_b32_e64 v2, v2, v5, s[2:3]
	v_cndmask_b32_e64 v1, v1, v4, s[2:3]
	;; [unrolled: 1-line block ×3, first 2 shown]
	v_mov_b32_dpp v5, v2 row_bcast:31 row_mask:0xf bank_mask:0xf bound_ctrl:1
	v_mov_b32_dpp v4, v1 row_bcast:31 row_mask:0xf bank_mask:0xf bound_ctrl:1
	v_and_b32_e32 v8, 1, v6
	v_cmp_lt_i64_e64 s[0:1], v[1:2], v[4:5]
	v_mov_b32_dpp v7, v6 row_bcast:31 row_mask:0xf bank_mask:0xf bound_ctrl:1
	v_cmp_eq_u32_e32 vcc, 1, v8
	v_and_b32_e32 v7, 1, v7
	s_and_b64 vcc, vcc, s[0:1]
	v_cmp_eq_u32_e64 s[2:3], 1, v7
	v_cndmask_b32_e32 v5, v5, v2, vcc
	v_cndmask_b32_e32 v4, v4, v1, vcc
	v_cndmask_b32_e64 v2, v2, v5, s[2:3]
	v_lshlrev_b32_e32 v5, 2, v3
	v_cndmask_b32_e64 v6, v6, 1, s[2:3]
	v_cndmask_b32_e64 v1, v1, v4, s[2:3]
	v_or_b32_e32 v4, 0xfc, v5
	ds_bpermute_b32 v17, v4, v6
	ds_bpermute_b32 v1, v4, v1
	;; [unrolled: 1-line block ×3, first 2 shown]
	v_cmp_eq_u32_e32 vcc, 0, v3
	s_and_saveexec_b64 s[0:1], vcc
	s_cbranch_execz .LBB496_6
; %bb.5:
	v_lshrrev_b32_e32 v4, 2, v0
	v_and_b32_e32 v4, 16, v4
	s_waitcnt lgkmcnt(2)
	ds_write_b8 v4, v17 offset:96
	s_waitcnt lgkmcnt(1)
	ds_write_b64 v4, v[1:2] offset:104
.LBB496_6:
	s_or_b64 exec, exec, s[0:1]
	v_cmp_gt_u32_e32 vcc, 64, v0
	s_waitcnt lgkmcnt(0)
	s_barrier
	s_and_saveexec_b64 s[0:1], vcc
	s_cbranch_execz .LBB496_12
; %bb.7:
	v_and_b32_e32 v1, 1, v3
	v_lshlrev_b32_e32 v1, 4, v1
	ds_read_u8 v7, v1 offset:96
	ds_read_b64 v[3:4], v1 offset:104
	v_or_b32_e32 v2, 4, v5
	s_waitcnt lgkmcnt(1)
	v_and_b32_e32 v1, 0xff, v7
	ds_bpermute_b32 v8, v2, v1
	s_waitcnt lgkmcnt(1)
	ds_bpermute_b32 v5, v2, v3
	ds_bpermute_b32 v6, v2, v4
	s_waitcnt lgkmcnt(2)
	v_and_b32_e32 v1, v7, v8
	v_and_b32_e32 v1, 1, v1
	v_cmp_eq_u32_e32 vcc, 1, v1
                                        ; implicit-def: $vgpr1_vgpr2
	s_and_saveexec_b64 s[2:3], vcc
	s_xor_b64 s[2:3], exec, s[2:3]
	s_cbranch_execz .LBB496_9
; %bb.8:
	s_waitcnt lgkmcnt(0)
	v_cmp_lt_i64_e32 vcc, v[5:6], v[3:4]
                                        ; implicit-def: $vgpr7
                                        ; implicit-def: $vgpr8
	v_cndmask_b32_e32 v2, v4, v6, vcc
	v_cndmask_b32_e32 v1, v3, v5, vcc
                                        ; implicit-def: $vgpr5_vgpr6
                                        ; implicit-def: $vgpr3_vgpr4
.LBB496_9:
	s_or_saveexec_b64 s[2:3], s[2:3]
	v_mov_b32_e32 v17, 1
	s_xor_b64 exec, exec, s[2:3]
	s_cbranch_execz .LBB496_11
; %bb.10:
	v_and_b32_e32 v1, 1, v7
	v_cmp_eq_u32_e32 vcc, 1, v1
	s_waitcnt lgkmcnt(0)
	v_cndmask_b32_e32 v2, v6, v4, vcc
	v_cndmask_b32_e32 v1, v5, v3, vcc
	v_cndmask_b32_e64 v17, v8, 1, vcc
.LBB496_11:
	s_or_b64 exec, exec, s[2:3]
.LBB496_12:
	s_or_b64 exec, exec, s[0:1]
	s_branch .LBB496_145
.LBB496_13:
	s_mov_b64 s[14:15], 0
                                        ; implicit-def: $vgpr3_vgpr4
                                        ; implicit-def: $vgpr5
                                        ; implicit-def: $vgpr1_vgpr2
	s_cbranch_execnz .LBB496_219
	s_branch .LBB496_306
.LBB496_14:
	s_mov_b64 s[28:29], -1
.LBB496_15:
	s_mov_b64 s[14:15], 0
                                        ; implicit-def: $vgpr3_vgpr4
                                        ; implicit-def: $vgpr5
                                        ; implicit-def: $vgpr1_vgpr2
	s_and_b64 vcc, exec, s[28:29]
	s_cbranch_vccz .LBB496_150
.LBB496_16:
	s_cmp_eq_u32 s38, 4
	s_cbranch_scc0 .LBB496_27
; %bb.17:
	s_mov_b32 s7, 0
	s_lshl_b32 s30, s6, 9
	s_mov_b32 s31, s7
	s_lshr_b64 s[0:1], s[22:23], 9
	s_lshl_b64 s[2:3], s[30:31], 2
	s_add_u32 s16, s24, s2
	s_addc_u32 s17, s25, s3
	s_add_u32 s28, s26, s2
	s_addc_u32 s29, s27, s3
	;; [unrolled: 2-line block ×3, first 2 shown]
	s_cmp_lg_u64 s[0:1], s[6:7]
	s_cbranch_scc0 .LBB496_51
; %bb.18:
	v_lshlrev_b32_e32 v1, 2, v0
	global_load_dword v2, v1, s[28:29] offset:512
	s_waitcnt lgkmcnt(0)
	global_load_dword v4, v1, s[16:17] offset:1024
	global_load_dword v6, v1, s[28:29] offset:1024
	global_load_dword v7, v1, s[28:29] offset:1536
	global_load_dword v8, v1, s[16:17] offset:1536
	global_load_dword v9, v1, s[16:17] offset:512
	global_load_dword v10, v1, s[28:29]
	global_load_dword v11, v1, s[16:17]
	v_mov_b32_e32 v1, s34
	v_add_co_u32_e32 v15, vcc, s31, v0
	v_mov_b32_e32 v12, 0x100
	v_mov_b32_e32 v13, 0x80
	v_addc_co_u32_e32 v16, vcc, 0, v1, vcc
	v_mov_b32_e32 v14, 0x180
	v_mbcnt_lo_u32_b32 v3, -1, 0
	v_mbcnt_hi_u32_b32 v3, -1, v3
	v_lshlrev_b32_e32 v5, 2, v3
	v_or_b32_e32 v17, 0xfc, v5
	s_waitcnt vmcnt(5)
	v_cmp_ne_u32_e32 vcc, v4, v6
	s_waitcnt vmcnt(3)
	v_cmp_ne_u32_e64 s[0:1], v8, v7
	s_waitcnt vmcnt(2)
	v_cmp_ne_u32_e64 s[2:3], v9, v2
	v_cndmask_b32_e64 v1, v12, v13, s[2:3]
	s_waitcnt vmcnt(0)
	v_cmp_ne_u32_e64 s[8:9], v11, v10
	s_or_b64 s[2:3], s[8:9], s[2:3]
	v_cndmask_b32_e64 v1, v1, 0, s[8:9]
	s_or_b64 vcc, s[2:3], vcc
	v_cndmask_b32_e32 v1, v14, v1, vcc
	v_add_co_u32_e64 v1, s[2:3], v15, v1
	v_addc_co_u32_e64 v2, s[2:3], 0, v16, s[2:3]
	s_or_b64 s[0:1], vcc, s[0:1]
	v_mov_b32_dpp v6, v1 quad_perm:[1,0,3,2] row_mask:0xf bank_mask:0xf bound_ctrl:1
	v_mov_b32_dpp v7, v2 quad_perm:[1,0,3,2] row_mask:0xf bank_mask:0xf bound_ctrl:1
	v_cndmask_b32_e64 v4, 0, 1, s[0:1]
	v_cmp_lt_i64_e32 vcc, v[1:2], v[6:7]
	s_and_b64 vcc, s[0:1], vcc
	v_mov_b32_dpp v8, v4 quad_perm:[1,0,3,2] row_mask:0xf bank_mask:0xf bound_ctrl:1
	v_and_b32_e32 v8, 1, v8
	v_cndmask_b32_e32 v6, v6, v1, vcc
	v_cndmask_b32_e32 v7, v7, v2, vcc
	v_cmp_eq_u32_e32 vcc, 1, v8
	v_cndmask_b32_e32 v2, v2, v7, vcc
	v_cndmask_b32_e32 v1, v1, v6, vcc
	v_cndmask_b32_e64 v4, v4, 1, vcc
	v_mov_b32_dpp v7, v2 quad_perm:[2,3,0,1] row_mask:0xf bank_mask:0xf bound_ctrl:1
	v_mov_b32_dpp v6, v1 quad_perm:[2,3,0,1] row_mask:0xf bank_mask:0xf bound_ctrl:1
	v_and_b32_e32 v9, 1, v4
	v_cmp_lt_i64_e64 s[0:1], v[1:2], v[6:7]
	v_mov_b32_dpp v8, v4 quad_perm:[2,3,0,1] row_mask:0xf bank_mask:0xf bound_ctrl:1
	v_cmp_eq_u32_e32 vcc, 1, v9
	v_and_b32_e32 v8, 1, v8
	s_and_b64 vcc, vcc, s[0:1]
	v_cmp_eq_u32_e64 s[2:3], 1, v8
	v_cndmask_b32_e32 v6, v6, v1, vcc
	v_cndmask_b32_e32 v7, v7, v2, vcc
	v_cndmask_b32_e64 v1, v1, v6, s[2:3]
	v_cndmask_b32_e64 v2, v2, v7, s[2:3]
	;; [unrolled: 1-line block ×3, first 2 shown]
	v_mov_b32_dpp v6, v1 row_ror:4 row_mask:0xf bank_mask:0xf bound_ctrl:1
	v_mov_b32_dpp v7, v2 row_ror:4 row_mask:0xf bank_mask:0xf bound_ctrl:1
	v_and_b32_e32 v9, 1, v4
	v_cmp_lt_i64_e64 s[2:3], v[1:2], v[6:7]
	v_mov_b32_dpp v8, v4 row_ror:4 row_mask:0xf bank_mask:0xf bound_ctrl:1
	v_cmp_eq_u32_e32 vcc, 1, v9
	v_and_b32_e32 v8, 1, v8
	s_and_b64 vcc, vcc, s[2:3]
	v_cmp_eq_u32_e64 s[0:1], 1, v8
	v_cndmask_b32_e32 v6, v6, v1, vcc
	v_cndmask_b32_e32 v7, v7, v2, vcc
	v_cndmask_b32_e64 v1, v1, v6, s[0:1]
	v_cndmask_b32_e64 v2, v2, v7, s[0:1]
	;; [unrolled: 1-line block ×3, first 2 shown]
	v_mov_b32_dpp v6, v1 row_ror:8 row_mask:0xf bank_mask:0xf bound_ctrl:1
	v_mov_b32_dpp v7, v2 row_ror:8 row_mask:0xf bank_mask:0xf bound_ctrl:1
	v_and_b32_e32 v9, 1, v4
	v_cmp_lt_i64_e64 s[2:3], v[1:2], v[6:7]
	v_mov_b32_dpp v8, v4 row_ror:8 row_mask:0xf bank_mask:0xf bound_ctrl:1
	v_cmp_eq_u32_e64 s[8:9], 1, v9
	v_and_b32_e32 v8, 1, v8
	s_and_b64 s[2:3], s[8:9], s[2:3]
	v_cmp_eq_u32_e64 s[10:11], 1, v8
	v_cndmask_b32_e64 v6, v6, v1, s[2:3]
	v_cndmask_b32_e64 v7, v7, v2, s[2:3]
	;; [unrolled: 1-line block ×5, first 2 shown]
	v_mov_b32_dpp v6, v1 row_bcast:15 row_mask:0xf bank_mask:0xf bound_ctrl:1
	v_mov_b32_dpp v7, v2 row_bcast:15 row_mask:0xf bank_mask:0xf bound_ctrl:1
	v_and_b32_e32 v9, 1, v4
	v_cmp_lt_i64_e64 s[2:3], v[1:2], v[6:7]
	v_mov_b32_dpp v8, v4 row_bcast:15 row_mask:0xf bank_mask:0xf bound_ctrl:1
	v_cmp_eq_u32_e32 vcc, 1, v9
	v_and_b32_e32 v8, 1, v8
	s_and_b64 vcc, vcc, s[2:3]
	v_cmp_eq_u32_e64 s[0:1], 1, v8
	v_cndmask_b32_e32 v6, v6, v1, vcc
	v_cndmask_b32_e32 v7, v7, v2, vcc
	v_cndmask_b32_e64 v4, v4, 1, s[0:1]
	v_cndmask_b32_e64 v1, v1, v6, s[0:1]
	;; [unrolled: 1-line block ×3, first 2 shown]
	v_mov_b32_dpp v8, v4 row_bcast:31 row_mask:0xf bank_mask:0xf bound_ctrl:1
	v_mov_b32_dpp v6, v1 row_bcast:31 row_mask:0xf bank_mask:0xf bound_ctrl:1
	v_mov_b32_dpp v7, v2 row_bcast:31 row_mask:0xf bank_mask:0xf bound_ctrl:1
	v_and_b32_e32 v9, 1, v4
	v_and_b32_e32 v8, 1, v8
	v_cmp_lt_i64_e32 vcc, v[1:2], v[6:7]
	v_cmp_eq_u32_e64 s[12:13], 1, v9
	v_cmp_eq_u32_e64 s[8:9], 1, v8
	v_cndmask_b32_e64 v4, v4, 1, s[8:9]
	s_and_b64 vcc, s[12:13], vcc
	ds_bpermute_b32 v9, v17, v4
	v_cndmask_b32_e32 v4, v6, v1, vcc
	v_cndmask_b32_e32 v6, v7, v2, vcc
	v_cndmask_b32_e64 v1, v1, v4, s[8:9]
	v_cndmask_b32_e64 v2, v2, v6, s[8:9]
	ds_bpermute_b32 v1, v17, v1
	ds_bpermute_b32 v2, v17, v2
	v_cmp_eq_u32_e32 vcc, 0, v3
	s_and_saveexec_b64 s[0:1], vcc
	s_cbranch_execz .LBB496_20
; %bb.19:
	v_lshrrev_b32_e32 v4, 2, v0
	v_and_b32_e32 v4, 16, v4
	s_waitcnt lgkmcnt(2)
	ds_write_b8 v4, v9 offset:64
	s_waitcnt lgkmcnt(1)
	ds_write_b64 v4, v[1:2] offset:72
.LBB496_20:
	s_or_b64 exec, exec, s[0:1]
	v_cmp_gt_u32_e32 vcc, 64, v0
	s_waitcnt lgkmcnt(0)
	s_barrier
	s_and_saveexec_b64 s[0:1], vcc
	s_cbranch_execz .LBB496_26
; %bb.21:
	v_and_b32_e32 v1, 1, v3
	v_lshlrev_b32_e32 v1, 4, v1
	ds_read_u8 v7, v1 offset:64
	ds_read_b64 v[3:4], v1 offset:72
	v_or_b32_e32 v2, 4, v5
	s_waitcnt lgkmcnt(1)
	v_and_b32_e32 v1, 0xff, v7
	ds_bpermute_b32 v8, v2, v1
	s_waitcnt lgkmcnt(1)
	ds_bpermute_b32 v5, v2, v3
	ds_bpermute_b32 v6, v2, v4
	s_waitcnt lgkmcnt(2)
	v_and_b32_e32 v1, v7, v8
	v_and_b32_e32 v1, 1, v1
	v_cmp_eq_u32_e32 vcc, 1, v1
                                        ; implicit-def: $vgpr1_vgpr2
	s_and_saveexec_b64 s[2:3], vcc
	s_xor_b64 s[2:3], exec, s[2:3]
	s_cbranch_execz .LBB496_23
; %bb.22:
	s_waitcnt lgkmcnt(0)
	v_cmp_lt_i64_e32 vcc, v[5:6], v[3:4]
                                        ; implicit-def: $vgpr7
                                        ; implicit-def: $vgpr8
	v_cndmask_b32_e32 v2, v4, v6, vcc
	v_cndmask_b32_e32 v1, v3, v5, vcc
                                        ; implicit-def: $vgpr5_vgpr6
                                        ; implicit-def: $vgpr3_vgpr4
.LBB496_23:
	s_or_saveexec_b64 s[2:3], s[2:3]
	v_mov_b32_e32 v9, 1
	s_xor_b64 exec, exec, s[2:3]
	s_cbranch_execz .LBB496_25
; %bb.24:
	v_and_b32_e32 v1, 1, v7
	v_cmp_eq_u32_e32 vcc, 1, v1
	s_waitcnt lgkmcnt(0)
	v_cndmask_b32_e32 v2, v6, v4, vcc
	v_cndmask_b32_e32 v1, v5, v3, vcc
	v_cndmask_b32_e64 v9, v8, 1, vcc
.LBB496_25:
	s_or_b64 exec, exec, s[2:3]
.LBB496_26:
	s_or_b64 exec, exec, s[0:1]
	s_branch .LBB496_214
.LBB496_27:
                                        ; implicit-def: $vgpr3_vgpr4
                                        ; implicit-def: $vgpr5
                                        ; implicit-def: $vgpr1_vgpr2
	s_branch .LBB496_306
.LBB496_28:
                                        ; implicit-def: $vgpr1_vgpr2
                                        ; implicit-def: $vgpr17
	s_cbranch_execz .LBB496_145
; %bb.29:
	s_sub_i32 s39, s22, s36
	v_mov_b32_e32 v15, 0
	v_mov_b32_e32 v1, 0
	v_cmp_gt_u32_e32 vcc, s39, v0
	v_mov_b32_e32 v24, 0
	v_mov_b32_e32 v16, 0
	;; [unrolled: 1-line block ×4, first 2 shown]
	s_and_saveexec_b64 s[0:1], vcc
	s_cbranch_execz .LBB496_31
; %bb.30:
	v_lshlrev_b32_e32 v1, 2, v0
	global_load_dword v3, v1, s[30:31]
	global_load_dword v4, v1, s[34:35]
	v_mov_b32_e32 v2, s41
	v_add_co_u32_e32 v1, vcc, s40, v0
	v_addc_co_u32_e32 v2, vcc, 0, v2, vcc
	s_waitcnt vmcnt(0)
	v_cmp_ne_u32_e32 vcc, v3, v4
	v_cndmask_b32_e64 v17, 0, 1, vcc
.LBB496_31:
	s_or_b64 exec, exec, s[0:1]
	v_or_b32_e32 v3, 0x80, v0
	v_cmp_gt_u32_e64 s[14:15], s39, v3
	s_and_saveexec_b64 s[0:1], s[14:15]
	s_cbranch_execz .LBB496_33
; %bb.32:
	v_lshlrev_b32_e32 v4, 2, v0
	s_waitcnt lgkmcnt(1)
	global_load_dword v5, v4, s[30:31] offset:512
	s_waitcnt lgkmcnt(0)
	global_load_dword v6, v4, s[34:35] offset:512
	v_mov_b32_e32 v4, s41
	v_add_co_u32_e32 v15, vcc, s40, v3
	v_addc_co_u32_e32 v16, vcc, 0, v4, vcc
	s_waitcnt vmcnt(0)
	v_cmp_ne_u32_e32 vcc, v5, v6
	v_cndmask_b32_e64 v24, 0, 1, vcc
.LBB496_33:
	s_or_b64 exec, exec, s[0:1]
	v_or_b32_e32 v3, 0x100, v0
	v_mov_b32_e32 v11, 0
	v_mov_b32_e32 v13, 0
	v_cmp_gt_u32_e64 s[12:13], s39, v3
	v_mov_b32_e32 v22, 0
	v_mov_b32_e32 v12, 0
	;; [unrolled: 1-line block ×4, first 2 shown]
	s_and_saveexec_b64 s[0:1], s[12:13]
	s_cbranch_execz .LBB496_35
; %bb.34:
	v_lshlrev_b32_e32 v4, 2, v0
	s_waitcnt lgkmcnt(1)
	global_load_dword v5, v4, s[30:31] offset:1024
	s_waitcnt lgkmcnt(0)
	global_load_dword v6, v4, s[34:35] offset:1024
	v_mov_b32_e32 v4, s41
	v_add_co_u32_e32 v13, vcc, s40, v3
	v_addc_co_u32_e32 v14, vcc, 0, v4, vcc
	s_waitcnt vmcnt(0)
	v_cmp_ne_u32_e32 vcc, v5, v6
	v_cndmask_b32_e64 v23, 0, 1, vcc
.LBB496_35:
	s_or_b64 exec, exec, s[0:1]
	v_or_b32_e32 v3, 0x180, v0
	v_cmp_gt_u32_e64 s[10:11], s39, v3
	s_and_saveexec_b64 s[0:1], s[10:11]
	s_cbranch_execz .LBB496_37
; %bb.36:
	v_lshlrev_b32_e32 v4, 2, v0
	s_waitcnt lgkmcnt(1)
	global_load_dword v5, v4, s[30:31] offset:1536
	s_waitcnt lgkmcnt(0)
	global_load_dword v6, v4, s[34:35] offset:1536
	v_mov_b32_e32 v4, s41
	v_add_co_u32_e32 v11, vcc, s40, v3
	v_addc_co_u32_e32 v12, vcc, 0, v4, vcc
	s_waitcnt vmcnt(0)
	v_cmp_ne_u32_e32 vcc, v5, v6
	v_cndmask_b32_e64 v22, 0, 1, vcc
.LBB496_37:
	s_or_b64 exec, exec, s[0:1]
	v_or_b32_e32 v3, 0x200, v0
	v_mov_b32_e32 v7, 0
	v_mov_b32_e32 v9, 0
	v_cmp_gt_u32_e64 s[8:9], s39, v3
	v_mov_b32_e32 v20, 0
	v_mov_b32_e32 v8, 0
	;; [unrolled: 1-line block ×4, first 2 shown]
	s_and_saveexec_b64 s[0:1], s[8:9]
	s_cbranch_execz .LBB496_39
; %bb.38:
	v_lshlrev_b32_e32 v4, 2, v0
	s_waitcnt lgkmcnt(1)
	global_load_dword v5, v4, s[30:31] offset:2048
	s_waitcnt lgkmcnt(0)
	global_load_dword v6, v4, s[34:35] offset:2048
	v_mov_b32_e32 v4, s41
	v_add_co_u32_e32 v9, vcc, s40, v3
	v_addc_co_u32_e32 v10, vcc, 0, v4, vcc
	s_waitcnt vmcnt(0)
	v_cmp_ne_u32_e32 vcc, v5, v6
	v_cndmask_b32_e64 v21, 0, 1, vcc
.LBB496_39:
	s_or_b64 exec, exec, s[0:1]
	v_or_b32_e32 v3, 0x280, v0
	v_cmp_gt_u32_e64 s[2:3], s39, v3
	s_and_saveexec_b64 s[0:1], s[2:3]
	s_cbranch_execz .LBB496_41
; %bb.40:
	v_lshlrev_b32_e32 v4, 2, v0
	s_waitcnt lgkmcnt(1)
	global_load_dword v5, v4, s[30:31] offset:2560
	s_waitcnt lgkmcnt(0)
	global_load_dword v6, v4, s[34:35] offset:2560
	v_mov_b32_e32 v4, s41
	v_add_co_u32_e32 v7, vcc, s40, v3
	v_addc_co_u32_e32 v8, vcc, 0, v4, vcc
	s_waitcnt vmcnt(0)
	v_cmp_ne_u32_e32 vcc, v5, v6
	v_cndmask_b32_e64 v20, 0, 1, vcc
.LBB496_41:
	s_or_b64 exec, exec, s[0:1]
	v_or_b32_e32 v25, 0x300, v0
	v_mov_b32_e32 v3, 0
	s_waitcnt lgkmcnt(0)
	v_mov_b32_e32 v5, 0
	v_cmp_gt_u32_e64 s[0:1], s39, v25
	v_mov_b32_e32 v4, 0
	v_mov_b32_e32 v18, 0
	;; [unrolled: 1-line block ×4, first 2 shown]
	s_and_saveexec_b64 s[16:17], s[0:1]
	s_cbranch_execz .LBB496_43
; %bb.42:
	v_lshlrev_b32_e32 v5, 2, v0
	global_load_dword v19, v5, s[30:31] offset:3072
	global_load_dword v26, v5, s[34:35] offset:3072
	v_mov_b32_e32 v6, s41
	v_add_co_u32_e32 v5, vcc, s40, v25
	v_addc_co_u32_e32 v6, vcc, 0, v6, vcc
	s_waitcnt vmcnt(0)
	v_cmp_ne_u32_e32 vcc, v19, v26
	v_cndmask_b32_e64 v19, 0, 1, vcc
.LBB496_43:
	s_or_b64 exec, exec, s[16:17]
	v_or_b32_e32 v25, 0x380, v0
	v_cmp_gt_u32_e32 vcc, s39, v25
	s_and_saveexec_b64 s[36:37], vcc
	s_cbranch_execnz .LBB496_62
; %bb.44:
	s_or_b64 exec, exec, s[36:37]
	s_and_saveexec_b64 s[30:31], s[14:15]
	s_cbranch_execnz .LBB496_63
.LBB496_45:
	s_or_b64 exec, exec, s[30:31]
	s_and_saveexec_b64 s[16:17], s[12:13]
	s_cbranch_execnz .LBB496_68
.LBB496_46:
	s_or_b64 exec, exec, s[16:17]
	s_and_saveexec_b64 s[14:15], s[10:11]
	s_cbranch_execnz .LBB496_73
.LBB496_47:
	s_or_b64 exec, exec, s[14:15]
	s_and_saveexec_b64 s[12:13], s[8:9]
	s_cbranch_execnz .LBB496_78
.LBB496_48:
	s_or_b64 exec, exec, s[12:13]
	s_and_saveexec_b64 s[10:11], s[2:3]
	s_cbranch_execnz .LBB496_83
.LBB496_49:
	s_or_b64 exec, exec, s[10:11]
	s_and_saveexec_b64 s[8:9], s[0:1]
	s_cbranch_execnz .LBB496_88
.LBB496_50:
	s_or_b64 exec, exec, s[8:9]
	s_and_saveexec_b64 s[2:3], vcc
	s_cbranch_execnz .LBB496_93
	s_branch .LBB496_98
.LBB496_51:
                                        ; implicit-def: $vgpr1_vgpr2
                                        ; implicit-def: $vgpr9
	s_cbranch_execz .LBB496_214
; %bb.52:
	s_sub_i32 s12, s22, s30
	s_waitcnt lgkmcnt(1)
	v_mov_b32_e32 v7, 0
	v_mov_b32_e32 v1, 0
	v_cmp_gt_u32_e32 vcc, s12, v0
	v_mov_b32_e32 v12, 0
	v_mov_b32_e32 v8, 0
	;; [unrolled: 1-line block ×4, first 2 shown]
	s_and_saveexec_b64 s[0:1], vcc
	s_cbranch_execz .LBB496_54
; %bb.53:
	v_lshlrev_b32_e32 v1, 2, v0
	global_load_dword v3, v1, s[16:17]
	s_waitcnt lgkmcnt(0)
	global_load_dword v4, v1, s[28:29]
	v_mov_b32_e32 v2, s34
	v_add_co_u32_e32 v1, vcc, s31, v0
	v_addc_co_u32_e32 v2, vcc, 0, v2, vcc
	s_waitcnt vmcnt(0)
	v_cmp_ne_u32_e32 vcc, v3, v4
	v_cndmask_b32_e64 v9, 0, 1, vcc
.LBB496_54:
	s_or_b64 exec, exec, s[0:1]
	v_or_b32_e32 v3, 0x80, v0
	v_cmp_gt_u32_e64 s[2:3], s12, v3
	s_and_saveexec_b64 s[0:1], s[2:3]
	s_cbranch_execz .LBB496_56
; %bb.55:
	s_waitcnt lgkmcnt(0)
	v_lshlrev_b32_e32 v4, 2, v0
	global_load_dword v5, v4, s[16:17] offset:512
	global_load_dword v6, v4, s[28:29] offset:512
	v_mov_b32_e32 v4, s34
	v_add_co_u32_e32 v7, vcc, s31, v3
	v_addc_co_u32_e32 v8, vcc, 0, v4, vcc
	s_waitcnt vmcnt(0)
	v_cmp_ne_u32_e32 vcc, v5, v6
	v_cndmask_b32_e64 v12, 0, 1, vcc
.LBB496_56:
	s_or_b64 exec, exec, s[0:1]
	v_or_b32_e32 v13, 0x100, v0
	s_waitcnt lgkmcnt(0)
	v_mov_b32_e32 v3, 0
	v_mov_b32_e32 v5, 0
	v_cmp_gt_u32_e64 s[0:1], s12, v13
	v_mov_b32_e32 v10, 0
	v_mov_b32_e32 v4, 0
	;; [unrolled: 1-line block ×4, first 2 shown]
	s_and_saveexec_b64 s[8:9], s[0:1]
	s_cbranch_execz .LBB496_58
; %bb.57:
	v_lshlrev_b32_e32 v5, 2, v0
	global_load_dword v11, v5, s[16:17] offset:1024
	global_load_dword v14, v5, s[28:29] offset:1024
	v_mov_b32_e32 v6, s34
	v_add_co_u32_e32 v5, vcc, s31, v13
	v_addc_co_u32_e32 v6, vcc, 0, v6, vcc
	s_waitcnt vmcnt(0)
	v_cmp_ne_u32_e32 vcc, v11, v14
	v_cndmask_b32_e64 v11, 0, 1, vcc
.LBB496_58:
	s_or_b64 exec, exec, s[8:9]
	v_or_b32_e32 v13, 0x180, v0
	v_cmp_gt_u32_e32 vcc, s12, v13
	s_and_saveexec_b64 s[10:11], vcc
	s_cbranch_execnz .LBB496_151
; %bb.59:
	s_or_b64 exec, exec, s[10:11]
	s_and_saveexec_b64 s[10:11], s[2:3]
	s_cbranch_execnz .LBB496_152
.LBB496_60:
	s_or_b64 exec, exec, s[10:11]
	s_and_saveexec_b64 s[8:9], s[0:1]
	s_cbranch_execnz .LBB496_157
.LBB496_61:
	s_or_b64 exec, exec, s[8:9]
	s_and_saveexec_b64 s[2:3], vcc
	s_cbranch_execnz .LBB496_162
	s_branch .LBB496_167
.LBB496_62:
	v_lshlrev_b32_e32 v3, 2, v0
	global_load_dword v18, v3, s[30:31] offset:3584
	global_load_dword v26, v3, s[34:35] offset:3584
	v_mov_b32_e32 v4, s41
	v_add_co_u32_e64 v3, s[16:17], s40, v25
	v_addc_co_u32_e64 v4, s[16:17], 0, v4, s[16:17]
	s_waitcnt vmcnt(0)
	v_cmp_ne_u32_e64 s[16:17], v18, v26
	v_cndmask_b32_e64 v18, 0, 1, s[16:17]
	s_or_b64 exec, exec, s[36:37]
	s_and_saveexec_b64 s[30:31], s[14:15]
	s_cbranch_execz .LBB496_45
.LBB496_63:
	v_and_b32_e32 v17, 1, v17
	v_cmp_eq_u32_e64 s[14:15], 1, v17
	v_and_b32_e32 v17, 1, v24
	v_cmp_eq_u32_e64 s[16:17], 1, v17
	s_and_b64 s[16:17], s[14:15], s[16:17]
	s_xor_b64 s[16:17], s[16:17], -1
                                        ; implicit-def: $vgpr17
	s_and_saveexec_b64 s[34:35], s[16:17]
	s_xor_b64 s[16:17], exec, s[34:35]
; %bb.64:
	v_and_b32_e32 v17, 0xffff, v24
	v_cndmask_b32_e64 v17, v17, 1, s[14:15]
	v_cndmask_b32_e64 v2, v16, v2, s[14:15]
	;; [unrolled: 1-line block ×3, first 2 shown]
                                        ; implicit-def: $vgpr15_vgpr16
; %bb.65:
	s_andn2_saveexec_b64 s[16:17], s[16:17]
; %bb.66:
	v_cmp_lt_i64_e64 s[14:15], v[15:16], v[1:2]
	v_mov_b32_e32 v17, 1
	v_cndmask_b32_e64 v2, v2, v16, s[14:15]
	v_cndmask_b32_e64 v1, v1, v15, s[14:15]
; %bb.67:
	s_or_b64 exec, exec, s[16:17]
	s_or_b64 exec, exec, s[30:31]
	s_and_saveexec_b64 s[16:17], s[12:13]
	s_cbranch_execz .LBB496_46
.LBB496_68:
	v_and_b32_e32 v15, 1, v17
	v_cmp_eq_u32_e64 s[12:13], 1, v15
	v_and_b32_e32 v15, 1, v23
	v_cmp_eq_u32_e64 s[14:15], 1, v15
	s_and_b64 s[14:15], s[12:13], s[14:15]
	s_xor_b64 s[14:15], s[14:15], -1
                                        ; implicit-def: $vgpr17
	s_and_saveexec_b64 s[30:31], s[14:15]
	s_xor_b64 s[14:15], exec, s[30:31]
; %bb.69:
	v_and_b32_e32 v15, 0xffff, v23
	v_cndmask_b32_e64 v17, v15, 1, s[12:13]
	v_cndmask_b32_e64 v2, v14, v2, s[12:13]
	;; [unrolled: 1-line block ×3, first 2 shown]
                                        ; implicit-def: $vgpr13_vgpr14
; %bb.70:
	s_andn2_saveexec_b64 s[14:15], s[14:15]
; %bb.71:
	v_cmp_lt_i64_e64 s[12:13], v[13:14], v[1:2]
	v_mov_b32_e32 v17, 1
	v_cndmask_b32_e64 v2, v2, v14, s[12:13]
	v_cndmask_b32_e64 v1, v1, v13, s[12:13]
; %bb.72:
	s_or_b64 exec, exec, s[14:15]
	s_or_b64 exec, exec, s[16:17]
	s_and_saveexec_b64 s[14:15], s[10:11]
	s_cbranch_execz .LBB496_47
.LBB496_73:
	v_and_b32_e32 v13, 1, v17
	v_cmp_eq_u32_e64 s[10:11], 1, v13
	v_and_b32_e32 v13, 1, v22
	v_cmp_eq_u32_e64 s[12:13], 1, v13
	s_and_b64 s[12:13], s[10:11], s[12:13]
	s_xor_b64 s[12:13], s[12:13], -1
                                        ; implicit-def: $vgpr17
	s_and_saveexec_b64 s[16:17], s[12:13]
	s_xor_b64 s[12:13], exec, s[16:17]
; %bb.74:
	v_and_b32_e32 v13, 0xffff, v22
	v_cndmask_b32_e64 v17, v13, 1, s[10:11]
	v_cndmask_b32_e64 v2, v12, v2, s[10:11]
	;; [unrolled: 1-line block ×3, first 2 shown]
                                        ; implicit-def: $vgpr11_vgpr12
; %bb.75:
	s_andn2_saveexec_b64 s[12:13], s[12:13]
; %bb.76:
	v_cmp_lt_i64_e64 s[10:11], v[11:12], v[1:2]
	v_mov_b32_e32 v17, 1
	v_cndmask_b32_e64 v2, v2, v12, s[10:11]
	v_cndmask_b32_e64 v1, v1, v11, s[10:11]
; %bb.77:
	s_or_b64 exec, exec, s[12:13]
	s_or_b64 exec, exec, s[14:15]
	s_and_saveexec_b64 s[12:13], s[8:9]
	s_cbranch_execz .LBB496_48
.LBB496_78:
	v_and_b32_e32 v11, 1, v17
	v_cmp_eq_u32_e64 s[8:9], 1, v11
	v_and_b32_e32 v11, 1, v21
	v_cmp_eq_u32_e64 s[10:11], 1, v11
	s_and_b64 s[10:11], s[8:9], s[10:11]
	s_xor_b64 s[10:11], s[10:11], -1
                                        ; implicit-def: $vgpr17
	s_and_saveexec_b64 s[14:15], s[10:11]
	s_xor_b64 s[10:11], exec, s[14:15]
; %bb.79:
	v_and_b32_e32 v11, 0xffff, v21
	v_cndmask_b32_e64 v17, v11, 1, s[8:9]
	v_cndmask_b32_e64 v2, v10, v2, s[8:9]
	;; [unrolled: 1-line block ×3, first 2 shown]
                                        ; implicit-def: $vgpr9_vgpr10
; %bb.80:
	s_andn2_saveexec_b64 s[10:11], s[10:11]
; %bb.81:
	v_cmp_lt_i64_e64 s[8:9], v[9:10], v[1:2]
	v_mov_b32_e32 v17, 1
	v_cndmask_b32_e64 v2, v2, v10, s[8:9]
	v_cndmask_b32_e64 v1, v1, v9, s[8:9]
; %bb.82:
	s_or_b64 exec, exec, s[10:11]
	s_or_b64 exec, exec, s[12:13]
	s_and_saveexec_b64 s[10:11], s[2:3]
	s_cbranch_execz .LBB496_49
.LBB496_83:
	v_and_b32_e32 v9, 1, v17
	v_cmp_eq_u32_e64 s[2:3], 1, v9
	v_and_b32_e32 v9, 1, v20
	v_cmp_eq_u32_e64 s[8:9], 1, v9
	s_and_b64 s[8:9], s[2:3], s[8:9]
	s_xor_b64 s[8:9], s[8:9], -1
                                        ; implicit-def: $vgpr17
	s_and_saveexec_b64 s[12:13], s[8:9]
	s_xor_b64 s[8:9], exec, s[12:13]
; %bb.84:
	v_and_b32_e32 v9, 0xffff, v20
	v_cndmask_b32_e64 v17, v9, 1, s[2:3]
	v_cndmask_b32_e64 v2, v8, v2, s[2:3]
	;; [unrolled: 1-line block ×3, first 2 shown]
                                        ; implicit-def: $vgpr7_vgpr8
; %bb.85:
	s_andn2_saveexec_b64 s[8:9], s[8:9]
; %bb.86:
	v_cmp_lt_i64_e64 s[2:3], v[7:8], v[1:2]
	v_mov_b32_e32 v17, 1
	v_cndmask_b32_e64 v2, v2, v8, s[2:3]
	v_cndmask_b32_e64 v1, v1, v7, s[2:3]
; %bb.87:
	s_or_b64 exec, exec, s[8:9]
	s_or_b64 exec, exec, s[10:11]
	s_and_saveexec_b64 s[8:9], s[0:1]
	s_cbranch_execz .LBB496_50
.LBB496_88:
	v_and_b32_e32 v7, 1, v17
	v_cmp_eq_u32_e64 s[0:1], 1, v7
	v_and_b32_e32 v7, 1, v19
	v_cmp_eq_u32_e64 s[2:3], 1, v7
	s_and_b64 s[2:3], s[0:1], s[2:3]
	s_xor_b64 s[2:3], s[2:3], -1
                                        ; implicit-def: $vgpr17
	s_and_saveexec_b64 s[10:11], s[2:3]
	s_xor_b64 s[2:3], exec, s[10:11]
; %bb.89:
	v_and_b32_e32 v7, 0xffff, v19
	v_cndmask_b32_e64 v17, v7, 1, s[0:1]
	v_cndmask_b32_e64 v2, v6, v2, s[0:1]
	;; [unrolled: 1-line block ×3, first 2 shown]
                                        ; implicit-def: $vgpr5_vgpr6
; %bb.90:
	s_andn2_saveexec_b64 s[2:3], s[2:3]
; %bb.91:
	v_cmp_lt_i64_e64 s[0:1], v[5:6], v[1:2]
	v_mov_b32_e32 v17, 1
	v_cndmask_b32_e64 v2, v2, v6, s[0:1]
	v_cndmask_b32_e64 v1, v1, v5, s[0:1]
; %bb.92:
	s_or_b64 exec, exec, s[2:3]
	s_or_b64 exec, exec, s[8:9]
	s_and_saveexec_b64 s[2:3], vcc
	s_cbranch_execz .LBB496_98
.LBB496_93:
	v_and_b32_e32 v5, 1, v17
	v_cmp_eq_u32_e32 vcc, 1, v5
	v_and_b32_e32 v5, 1, v18
	v_cmp_eq_u32_e64 s[0:1], 1, v5
	s_and_b64 s[0:1], vcc, s[0:1]
	s_xor_b64 s[0:1], s[0:1], -1
                                        ; implicit-def: $vgpr17
	s_and_saveexec_b64 s[8:9], s[0:1]
	s_xor_b64 s[0:1], exec, s[8:9]
; %bb.94:
	v_and_b32_e32 v5, 0xffff, v18
	v_cndmask_b32_e64 v17, v5, 1, vcc
	v_cndmask_b32_e32 v2, v4, v2, vcc
	v_cndmask_b32_e32 v1, v3, v1, vcc
                                        ; implicit-def: $vgpr3_vgpr4
; %bb.95:
	s_andn2_saveexec_b64 s[0:1], s[0:1]
; %bb.96:
	v_cmp_lt_i64_e32 vcc, v[3:4], v[1:2]
	v_mov_b32_e32 v17, 1
	v_cndmask_b32_e32 v2, v2, v4, vcc
	v_cndmask_b32_e32 v1, v1, v3, vcc
; %bb.97:
	s_or_b64 exec, exec, s[0:1]
.LBB496_98:
	s_or_b64 exec, exec, s[2:3]
	v_mbcnt_lo_u32_b32 v3, -1, 0
	v_mbcnt_hi_u32_b32 v5, -1, v3
	v_and_b32_e32 v6, 63, v5
	v_cmp_ne_u32_e32 vcc, 63, v6
	v_addc_co_u32_e32 v3, vcc, 0, v5, vcc
	v_lshlrev_b32_e32 v4, 2, v3
	ds_bpermute_b32 v8, v4, v17
	ds_bpermute_b32 v3, v4, v1
	;; [unrolled: 1-line block ×3, first 2 shown]
	s_min_u32 s8, s39, 0x80
	v_and_b32_e32 v7, 64, v0
	v_sub_u32_e64 v7, s8, v7 clamp
	v_add_u32_e32 v9, 1, v6
	v_cmp_lt_u32_e32 vcc, v9, v7
	s_and_saveexec_b64 s[0:1], vcc
	s_xor_b64 s[0:1], exec, s[0:1]
	s_cbranch_execz .LBB496_104
; %bb.99:
	s_waitcnt lgkmcnt(2)
	v_and_b32_e32 v9, v8, v17
	v_cmp_ne_u32_e32 vcc, 0, v9
	s_and_saveexec_b64 s[2:3], vcc
	s_xor_b64 s[2:3], exec, s[2:3]
	s_cbranch_execz .LBB496_101
; %bb.100:
	s_waitcnt lgkmcnt(0)
	v_cmp_lt_i64_e32 vcc, v[3:4], v[1:2]
                                        ; implicit-def: $vgpr17
                                        ; implicit-def: $vgpr8
	v_cndmask_b32_e32 v2, v2, v4, vcc
	v_cndmask_b32_e32 v1, v1, v3, vcc
                                        ; implicit-def: $vgpr3_vgpr4
.LBB496_101:
	s_or_saveexec_b64 s[2:3], s[2:3]
	v_mov_b32_e32 v9, 1
	s_xor_b64 exec, exec, s[2:3]
	s_cbranch_execz .LBB496_103
; %bb.102:
	v_and_b32_e32 v9, 1, v17
	v_cmp_eq_u32_e32 vcc, 1, v9
	s_waitcnt lgkmcnt(1)
	v_cndmask_b32_e32 v1, v3, v1, vcc
	v_and_b32_e32 v3, 0xff, v8
	s_waitcnt lgkmcnt(0)
	v_cndmask_b32_e32 v2, v4, v2, vcc
	v_cndmask_b32_e64 v9, v3, 1, vcc
.LBB496_103:
	s_or_b64 exec, exec, s[2:3]
	v_mov_b32_e32 v17, v9
.LBB496_104:
	s_or_b64 exec, exec, s[0:1]
	v_cmp_gt_u32_e32 vcc, 62, v6
	s_waitcnt lgkmcnt(1)
	v_cndmask_b32_e64 v3, 0, 2, vcc
	s_waitcnt lgkmcnt(0)
	v_add_lshl_u32 v4, v3, v5, 2
	ds_bpermute_b32 v8, v4, v17
	ds_bpermute_b32 v3, v4, v1
	ds_bpermute_b32 v4, v4, v2
	v_add_u32_e32 v9, 2, v6
	v_cmp_lt_u32_e32 vcc, v9, v7
	s_and_saveexec_b64 s[0:1], vcc
	s_cbranch_execz .LBB496_110
; %bb.105:
	s_waitcnt lgkmcnt(2)
	v_and_b32_e32 v9, v17, v8
	v_and_b32_e32 v9, 1, v9
	v_cmp_eq_u32_e32 vcc, 1, v9
	s_and_saveexec_b64 s[2:3], vcc
	s_xor_b64 s[2:3], exec, s[2:3]
	s_cbranch_execz .LBB496_107
; %bb.106:
	s_waitcnt lgkmcnt(0)
	v_cmp_lt_i64_e32 vcc, v[3:4], v[1:2]
                                        ; implicit-def: $vgpr17
                                        ; implicit-def: $vgpr8
	v_cndmask_b32_e32 v2, v2, v4, vcc
	v_cndmask_b32_e32 v1, v1, v3, vcc
                                        ; implicit-def: $vgpr3_vgpr4
.LBB496_107:
	s_or_saveexec_b64 s[2:3], s[2:3]
	v_mov_b32_e32 v9, 1
	s_xor_b64 exec, exec, s[2:3]
	s_cbranch_execz .LBB496_109
; %bb.108:
	v_and_b32_e32 v9, 1, v17
	v_cmp_eq_u32_e32 vcc, 1, v9
	s_waitcnt lgkmcnt(1)
	v_cndmask_b32_e32 v1, v3, v1, vcc
	v_and_b32_e32 v3, 0xff, v8
	s_waitcnt lgkmcnt(0)
	v_cndmask_b32_e32 v2, v4, v2, vcc
	v_cndmask_b32_e64 v9, v3, 1, vcc
.LBB496_109:
	s_or_b64 exec, exec, s[2:3]
	v_mov_b32_e32 v17, v9
.LBB496_110:
	s_or_b64 exec, exec, s[0:1]
	v_cmp_gt_u32_e32 vcc, 60, v6
	s_waitcnt lgkmcnt(1)
	v_cndmask_b32_e64 v3, 0, 4, vcc
	s_waitcnt lgkmcnt(0)
	v_add_lshl_u32 v4, v3, v5, 2
	ds_bpermute_b32 v8, v4, v17
	ds_bpermute_b32 v3, v4, v1
	ds_bpermute_b32 v4, v4, v2
	v_add_u32_e32 v9, 4, v6
	v_cmp_lt_u32_e32 vcc, v9, v7
	s_and_saveexec_b64 s[0:1], vcc
	s_cbranch_execz .LBB496_116
; %bb.111:
	s_waitcnt lgkmcnt(2)
	v_and_b32_e32 v9, v17, v8
	v_and_b32_e32 v9, 1, v9
	v_cmp_eq_u32_e32 vcc, 1, v9
	s_and_saveexec_b64 s[2:3], vcc
	s_xor_b64 s[2:3], exec, s[2:3]
	s_cbranch_execz .LBB496_113
; %bb.112:
	s_waitcnt lgkmcnt(0)
	v_cmp_lt_i64_e32 vcc, v[3:4], v[1:2]
                                        ; implicit-def: $vgpr17
                                        ; implicit-def: $vgpr8
	v_cndmask_b32_e32 v2, v2, v4, vcc
	v_cndmask_b32_e32 v1, v1, v3, vcc
                                        ; implicit-def: $vgpr3_vgpr4
.LBB496_113:
	s_or_saveexec_b64 s[2:3], s[2:3]
	v_mov_b32_e32 v9, 1
	s_xor_b64 exec, exec, s[2:3]
	s_cbranch_execz .LBB496_115
; %bb.114:
	v_and_b32_e32 v9, 1, v17
	v_cmp_eq_u32_e32 vcc, 1, v9
	s_waitcnt lgkmcnt(1)
	v_cndmask_b32_e32 v1, v3, v1, vcc
	v_and_b32_e32 v3, 0xff, v8
	s_waitcnt lgkmcnt(0)
	v_cndmask_b32_e32 v2, v4, v2, vcc
	v_cndmask_b32_e64 v9, v3, 1, vcc
.LBB496_115:
	s_or_b64 exec, exec, s[2:3]
	v_mov_b32_e32 v17, v9
.LBB496_116:
	;; [unrolled: 47-line block ×4, first 2 shown]
	s_or_b64 exec, exec, s[0:1]
	s_waitcnt lgkmcnt(2)
	v_lshlrev_b32_e32 v8, 2, v5
	s_waitcnt lgkmcnt(0)
	v_or_b32_e32 v4, 0x80, v8
	ds_bpermute_b32 v9, v4, v17
	ds_bpermute_b32 v3, v4, v1
	;; [unrolled: 1-line block ×3, first 2 shown]
	v_add_u32_e32 v6, 32, v6
	v_cmp_lt_u32_e32 vcc, v6, v7
	v_mov_b32_e32 v6, v17
	s_and_saveexec_b64 s[0:1], vcc
	s_cbranch_execz .LBB496_134
; %bb.129:
	s_waitcnt lgkmcnt(2)
	v_and_b32_e32 v6, v17, v9
	v_and_b32_e32 v6, 1, v6
	v_cmp_eq_u32_e32 vcc, 1, v6
	s_and_saveexec_b64 s[2:3], vcc
	s_xor_b64 s[2:3], exec, s[2:3]
	s_cbranch_execz .LBB496_131
; %bb.130:
	s_waitcnt lgkmcnt(0)
	v_cmp_lt_i64_e32 vcc, v[3:4], v[1:2]
                                        ; implicit-def: $vgpr17
                                        ; implicit-def: $vgpr9
	v_cndmask_b32_e32 v2, v2, v4, vcc
	v_cndmask_b32_e32 v1, v1, v3, vcc
                                        ; implicit-def: $vgpr3_vgpr4
.LBB496_131:
	s_or_saveexec_b64 s[2:3], s[2:3]
	v_mov_b32_e32 v6, 1
	s_xor_b64 exec, exec, s[2:3]
	s_cbranch_execz .LBB496_133
; %bb.132:
	v_and_b32_e32 v6, 1, v17
	v_cmp_eq_u32_e32 vcc, 1, v6
	v_cndmask_b32_e64 v6, v9, 1, vcc
	s_waitcnt lgkmcnt(0)
	v_cndmask_b32_e32 v2, v4, v2, vcc
	v_cndmask_b32_e32 v1, v3, v1, vcc
.LBB496_133:
	s_or_b64 exec, exec, s[2:3]
	v_and_b32_e32 v17, 0xff, v6
.LBB496_134:
	s_or_b64 exec, exec, s[0:1]
	v_cmp_eq_u32_e32 vcc, 0, v5
	s_and_saveexec_b64 s[0:1], vcc
	s_cbranch_execz .LBB496_136
; %bb.135:
	s_waitcnt lgkmcnt(1)
	v_lshrrev_b32_e32 v3, 2, v0
	v_and_b32_e32 v3, 16, v3
	ds_write_b8 v3, v6 offset:128
	ds_write_b64 v3, v[1:2] offset:136
.LBB496_136:
	s_or_b64 exec, exec, s[0:1]
	v_cmp_gt_u32_e32 vcc, 2, v0
	s_waitcnt lgkmcnt(0)
	s_barrier
	s_and_saveexec_b64 s[0:1], vcc
	s_cbranch_execz .LBB496_144
; %bb.137:
	v_lshlrev_b32_e32 v1, 4, v5
	ds_read_u8 v6, v1 offset:128
	ds_read_b64 v[1:2], v1 offset:136
	v_or_b32_e32 v4, 4, v8
	s_add_i32 s8, s8, 63
	v_and_b32_e32 v5, 1, v5
	s_waitcnt lgkmcnt(1)
	v_and_b32_e32 v17, 0xff, v6
	s_waitcnt lgkmcnt(0)
	ds_bpermute_b32 v3, v4, v1
	ds_bpermute_b32 v7, v4, v17
	;; [unrolled: 1-line block ×3, first 2 shown]
	s_lshr_b32 s2, s8, 6
	v_add_u32_e32 v5, 1, v5
	v_cmp_gt_u32_e32 vcc, s2, v5
	s_and_saveexec_b64 s[2:3], vcc
	s_cbranch_execz .LBB496_143
; %bb.138:
	s_waitcnt lgkmcnt(1)
	v_and_b32_e32 v5, v17, v7
	v_and_b32_e32 v5, 1, v5
	v_cmp_eq_u32_e32 vcc, 1, v5
	s_and_saveexec_b64 s[8:9], vcc
	s_xor_b64 s[8:9], exec, s[8:9]
	s_cbranch_execz .LBB496_140
; %bb.139:
	s_waitcnt lgkmcnt(0)
	v_cmp_lt_i64_e32 vcc, v[3:4], v[1:2]
                                        ; implicit-def: $vgpr6
                                        ; implicit-def: $vgpr7
	v_cndmask_b32_e32 v2, v2, v4, vcc
	v_cndmask_b32_e32 v1, v1, v3, vcc
                                        ; implicit-def: $vgpr3_vgpr4
.LBB496_140:
	s_or_saveexec_b64 s[8:9], s[8:9]
	v_mov_b32_e32 v17, 1
	s_xor_b64 exec, exec, s[8:9]
	s_cbranch_execz .LBB496_142
; %bb.141:
	v_and_b32_e32 v5, 1, v6
	v_cmp_eq_u32_e32 vcc, 1, v5
	s_waitcnt lgkmcnt(0)
	v_cndmask_b32_e32 v2, v4, v2, vcc
	v_cndmask_b32_e32 v1, v3, v1, vcc
	v_cndmask_b32_e64 v17, v7, 1, vcc
.LBB496_142:
	s_or_b64 exec, exec, s[8:9]
.LBB496_143:
	s_or_b64 exec, exec, s[2:3]
.LBB496_144:
	s_or_b64 exec, exec, s[0:1]
.LBB496_145:
	v_cmp_eq_u32_e32 vcc, 0, v0
	s_mov_b64 s[14:15], 0
                                        ; implicit-def: $vgpr3_vgpr4
                                        ; implicit-def: $vgpr5
	s_and_saveexec_b64 s[0:1], vcc
	s_xor_b64 s[8:9], exec, s[0:1]
	s_cbranch_execz .LBB496_149
; %bb.146:
	s_waitcnt lgkmcnt(0)
	v_mov_b32_e32 v3, s18
	s_cmp_eq_u64 s[22:23], 0
	v_mov_b32_e32 v4, s19
	v_mov_b32_e32 v5, s33
	s_cbranch_scc1 .LBB496_148
; %bb.147:
	v_and_b32_e32 v3, 1, v17
	v_cmp_gt_i64_e64 s[0:1], s[18:19], v[1:2]
	s_bitcmp1_b32 s33, 0
	v_cmp_eq_u32_e32 vcc, 1, v3
	s_cselect_b64 s[2:3], -1, 0
	v_mov_b32_e32 v3, s18
	s_and_b64 vcc, vcc, s[0:1]
	v_mov_b32_e32 v4, s19
	v_cndmask_b32_e32 v3, v3, v1, vcc
	v_cndmask_b32_e32 v4, v4, v2, vcc
	v_cndmask_b32_e64 v5, v17, 1, s[2:3]
	v_cndmask_b32_e64 v4, v2, v4, s[2:3]
	;; [unrolled: 1-line block ×3, first 2 shown]
.LBB496_148:
	s_mov_b64 s[14:15], exec
.LBB496_149:
	s_or_b64 exec, exec, s[8:9]
	v_mov_b32_e32 v1, s6
	v_mov_b32_e32 v2, s7
	s_and_b64 vcc, exec, s[28:29]
	s_cbranch_vccnz .LBB496_16
.LBB496_150:
	s_branch .LBB496_306
.LBB496_151:
	v_lshlrev_b32_e32 v3, 2, v0
	global_load_dword v10, v3, s[16:17] offset:1536
	global_load_dword v14, v3, s[28:29] offset:1536
	v_mov_b32_e32 v4, s34
	v_add_co_u32_e64 v3, s[8:9], s31, v13
	v_addc_co_u32_e64 v4, s[8:9], 0, v4, s[8:9]
	s_waitcnt vmcnt(0)
	v_cmp_ne_u32_e64 s[8:9], v10, v14
	v_cndmask_b32_e64 v10, 0, 1, s[8:9]
	s_or_b64 exec, exec, s[10:11]
	s_and_saveexec_b64 s[10:11], s[2:3]
	s_cbranch_execz .LBB496_60
.LBB496_152:
	v_and_b32_e32 v9, 1, v9
	v_cmp_eq_u32_e64 s[2:3], 1, v9
	v_and_b32_e32 v9, 1, v12
	v_cmp_eq_u32_e64 s[8:9], 1, v9
	s_and_b64 s[8:9], s[2:3], s[8:9]
	s_xor_b64 s[8:9], s[8:9], -1
                                        ; implicit-def: $vgpr9
	s_and_saveexec_b64 s[16:17], s[8:9]
	s_xor_b64 s[8:9], exec, s[16:17]
; %bb.153:
	v_and_b32_e32 v9, 0xffff, v12
	v_cndmask_b32_e64 v9, v9, 1, s[2:3]
	v_cndmask_b32_e64 v2, v8, v2, s[2:3]
	;; [unrolled: 1-line block ×3, first 2 shown]
                                        ; implicit-def: $vgpr7_vgpr8
; %bb.154:
	s_andn2_saveexec_b64 s[8:9], s[8:9]
; %bb.155:
	v_cmp_lt_i64_e64 s[2:3], v[7:8], v[1:2]
	v_mov_b32_e32 v9, 1
	v_cndmask_b32_e64 v2, v2, v8, s[2:3]
	v_cndmask_b32_e64 v1, v1, v7, s[2:3]
; %bb.156:
	s_or_b64 exec, exec, s[8:9]
	s_or_b64 exec, exec, s[10:11]
	s_and_saveexec_b64 s[8:9], s[0:1]
	s_cbranch_execz .LBB496_61
.LBB496_157:
	v_and_b32_e32 v7, 1, v9
	v_cmp_eq_u32_e64 s[0:1], 1, v7
	v_and_b32_e32 v7, 1, v11
	v_cmp_eq_u32_e64 s[2:3], 1, v7
	s_and_b64 s[2:3], s[0:1], s[2:3]
	s_xor_b64 s[2:3], s[2:3], -1
                                        ; implicit-def: $vgpr9
	s_and_saveexec_b64 s[10:11], s[2:3]
	s_xor_b64 s[2:3], exec, s[10:11]
; %bb.158:
	v_and_b32_e32 v7, 0xffff, v11
	v_cndmask_b32_e64 v9, v7, 1, s[0:1]
	v_cndmask_b32_e64 v2, v6, v2, s[0:1]
	;; [unrolled: 1-line block ×3, first 2 shown]
                                        ; implicit-def: $vgpr5_vgpr6
; %bb.159:
	s_andn2_saveexec_b64 s[2:3], s[2:3]
; %bb.160:
	v_cmp_lt_i64_e64 s[0:1], v[5:6], v[1:2]
	v_mov_b32_e32 v9, 1
	v_cndmask_b32_e64 v2, v2, v6, s[0:1]
	v_cndmask_b32_e64 v1, v1, v5, s[0:1]
; %bb.161:
	s_or_b64 exec, exec, s[2:3]
	s_or_b64 exec, exec, s[8:9]
	s_and_saveexec_b64 s[2:3], vcc
	s_cbranch_execz .LBB496_167
.LBB496_162:
	v_and_b32_e32 v5, 1, v9
	v_cmp_eq_u32_e32 vcc, 1, v5
	v_and_b32_e32 v5, 1, v10
	v_cmp_eq_u32_e64 s[0:1], 1, v5
	s_and_b64 s[0:1], vcc, s[0:1]
	s_xor_b64 s[0:1], s[0:1], -1
                                        ; implicit-def: $vgpr9
	s_and_saveexec_b64 s[8:9], s[0:1]
	s_xor_b64 s[0:1], exec, s[8:9]
; %bb.163:
	v_and_b32_e32 v5, 0xffff, v10
	v_cndmask_b32_e64 v9, v5, 1, vcc
	v_cndmask_b32_e32 v2, v4, v2, vcc
	v_cndmask_b32_e32 v1, v3, v1, vcc
                                        ; implicit-def: $vgpr3_vgpr4
; %bb.164:
	s_andn2_saveexec_b64 s[0:1], s[0:1]
; %bb.165:
	v_cmp_lt_i64_e32 vcc, v[3:4], v[1:2]
	v_mov_b32_e32 v9, 1
	v_cndmask_b32_e32 v2, v2, v4, vcc
	v_cndmask_b32_e32 v1, v1, v3, vcc
; %bb.166:
	s_or_b64 exec, exec, s[0:1]
.LBB496_167:
	s_or_b64 exec, exec, s[2:3]
	v_mbcnt_lo_u32_b32 v3, -1, 0
	v_mbcnt_hi_u32_b32 v5, -1, v3
	v_and_b32_e32 v6, 63, v5
	v_cmp_ne_u32_e32 vcc, 63, v6
	v_addc_co_u32_e32 v3, vcc, 0, v5, vcc
	v_lshlrev_b32_e32 v4, 2, v3
	ds_bpermute_b32 v8, v4, v9
	ds_bpermute_b32 v3, v4, v1
	;; [unrolled: 1-line block ×3, first 2 shown]
	s_min_u32 s8, s12, 0x80
	v_and_b32_e32 v7, 64, v0
	v_sub_u32_e64 v7, s8, v7 clamp
	v_add_u32_e32 v10, 1, v6
	v_cmp_lt_u32_e32 vcc, v10, v7
	s_and_saveexec_b64 s[0:1], vcc
	s_xor_b64 s[0:1], exec, s[0:1]
	s_cbranch_execz .LBB496_173
; %bb.168:
	s_waitcnt lgkmcnt(2)
	v_and_b32_e32 v10, v8, v9
	v_cmp_ne_u32_e32 vcc, 0, v10
	s_and_saveexec_b64 s[2:3], vcc
	s_xor_b64 s[2:3], exec, s[2:3]
	s_cbranch_execz .LBB496_170
; %bb.169:
	s_waitcnt lgkmcnt(0)
	v_cmp_lt_i64_e32 vcc, v[3:4], v[1:2]
                                        ; implicit-def: $vgpr9
                                        ; implicit-def: $vgpr8
	v_cndmask_b32_e32 v2, v2, v4, vcc
	v_cndmask_b32_e32 v1, v1, v3, vcc
                                        ; implicit-def: $vgpr3_vgpr4
.LBB496_170:
	s_or_saveexec_b64 s[2:3], s[2:3]
	v_mov_b32_e32 v10, 1
	s_xor_b64 exec, exec, s[2:3]
	s_cbranch_execz .LBB496_172
; %bb.171:
	v_and_b32_e32 v9, 1, v9
	v_cmp_eq_u32_e32 vcc, 1, v9
	s_waitcnt lgkmcnt(1)
	v_cndmask_b32_e32 v1, v3, v1, vcc
	v_and_b32_e32 v3, 0xff, v8
	s_waitcnt lgkmcnt(0)
	v_cndmask_b32_e32 v2, v4, v2, vcc
	v_cndmask_b32_e64 v10, v3, 1, vcc
.LBB496_172:
	s_or_b64 exec, exec, s[2:3]
	v_mov_b32_e32 v9, v10
.LBB496_173:
	s_or_b64 exec, exec, s[0:1]
	v_cmp_gt_u32_e32 vcc, 62, v6
	s_waitcnt lgkmcnt(1)
	v_cndmask_b32_e64 v3, 0, 2, vcc
	s_waitcnt lgkmcnt(0)
	v_add_lshl_u32 v4, v3, v5, 2
	ds_bpermute_b32 v8, v4, v9
	ds_bpermute_b32 v3, v4, v1
	ds_bpermute_b32 v4, v4, v2
	v_add_u32_e32 v10, 2, v6
	v_cmp_lt_u32_e32 vcc, v10, v7
	s_and_saveexec_b64 s[0:1], vcc
	s_cbranch_execz .LBB496_179
; %bb.174:
	s_waitcnt lgkmcnt(2)
	v_and_b32_e32 v10, v9, v8
	v_and_b32_e32 v10, 1, v10
	v_cmp_eq_u32_e32 vcc, 1, v10
	s_and_saveexec_b64 s[2:3], vcc
	s_xor_b64 s[2:3], exec, s[2:3]
	s_cbranch_execz .LBB496_176
; %bb.175:
	s_waitcnt lgkmcnt(0)
	v_cmp_lt_i64_e32 vcc, v[3:4], v[1:2]
                                        ; implicit-def: $vgpr9
                                        ; implicit-def: $vgpr8
	v_cndmask_b32_e32 v2, v2, v4, vcc
	v_cndmask_b32_e32 v1, v1, v3, vcc
                                        ; implicit-def: $vgpr3_vgpr4
.LBB496_176:
	s_or_saveexec_b64 s[2:3], s[2:3]
	v_mov_b32_e32 v10, 1
	s_xor_b64 exec, exec, s[2:3]
	s_cbranch_execz .LBB496_178
; %bb.177:
	v_and_b32_e32 v9, 1, v9
	v_cmp_eq_u32_e32 vcc, 1, v9
	s_waitcnt lgkmcnt(1)
	v_cndmask_b32_e32 v1, v3, v1, vcc
	v_and_b32_e32 v3, 0xff, v8
	s_waitcnt lgkmcnt(0)
	v_cndmask_b32_e32 v2, v4, v2, vcc
	v_cndmask_b32_e64 v10, v3, 1, vcc
.LBB496_178:
	s_or_b64 exec, exec, s[2:3]
	v_mov_b32_e32 v9, v10
.LBB496_179:
	s_or_b64 exec, exec, s[0:1]
	v_cmp_gt_u32_e32 vcc, 60, v6
	s_waitcnt lgkmcnt(1)
	v_cndmask_b32_e64 v3, 0, 4, vcc
	s_waitcnt lgkmcnt(0)
	v_add_lshl_u32 v4, v3, v5, 2
	ds_bpermute_b32 v8, v4, v9
	ds_bpermute_b32 v3, v4, v1
	ds_bpermute_b32 v4, v4, v2
	v_add_u32_e32 v10, 4, v6
	v_cmp_lt_u32_e32 vcc, v10, v7
	s_and_saveexec_b64 s[0:1], vcc
	s_cbranch_execz .LBB496_185
; %bb.180:
	s_waitcnt lgkmcnt(2)
	v_and_b32_e32 v10, v9, v8
	v_and_b32_e32 v10, 1, v10
	v_cmp_eq_u32_e32 vcc, 1, v10
	s_and_saveexec_b64 s[2:3], vcc
	s_xor_b64 s[2:3], exec, s[2:3]
	s_cbranch_execz .LBB496_182
; %bb.181:
	s_waitcnt lgkmcnt(0)
	v_cmp_lt_i64_e32 vcc, v[3:4], v[1:2]
                                        ; implicit-def: $vgpr9
                                        ; implicit-def: $vgpr8
	v_cndmask_b32_e32 v2, v2, v4, vcc
	v_cndmask_b32_e32 v1, v1, v3, vcc
                                        ; implicit-def: $vgpr3_vgpr4
.LBB496_182:
	s_or_saveexec_b64 s[2:3], s[2:3]
	v_mov_b32_e32 v10, 1
	s_xor_b64 exec, exec, s[2:3]
	s_cbranch_execz .LBB496_184
; %bb.183:
	v_and_b32_e32 v9, 1, v9
	v_cmp_eq_u32_e32 vcc, 1, v9
	s_waitcnt lgkmcnt(1)
	v_cndmask_b32_e32 v1, v3, v1, vcc
	v_and_b32_e32 v3, 0xff, v8
	s_waitcnt lgkmcnt(0)
	v_cndmask_b32_e32 v2, v4, v2, vcc
	v_cndmask_b32_e64 v10, v3, 1, vcc
.LBB496_184:
	s_or_b64 exec, exec, s[2:3]
	v_mov_b32_e32 v9, v10
.LBB496_185:
	;; [unrolled: 47-line block ×4, first 2 shown]
	s_or_b64 exec, exec, s[0:1]
	s_waitcnt lgkmcnt(2)
	v_lshlrev_b32_e32 v8, 2, v5
	s_waitcnt lgkmcnt(0)
	v_or_b32_e32 v4, 0x80, v8
	ds_bpermute_b32 v10, v4, v9
	ds_bpermute_b32 v3, v4, v1
	;; [unrolled: 1-line block ×3, first 2 shown]
	v_add_u32_e32 v6, 32, v6
	v_cmp_lt_u32_e32 vcc, v6, v7
	v_mov_b32_e32 v6, v9
	s_and_saveexec_b64 s[0:1], vcc
	s_cbranch_execz .LBB496_203
; %bb.198:
	s_waitcnt lgkmcnt(2)
	v_and_b32_e32 v6, v9, v10
	v_and_b32_e32 v6, 1, v6
	v_cmp_eq_u32_e32 vcc, 1, v6
	s_and_saveexec_b64 s[2:3], vcc
	s_xor_b64 s[2:3], exec, s[2:3]
	s_cbranch_execz .LBB496_200
; %bb.199:
	s_waitcnt lgkmcnt(0)
	v_cmp_lt_i64_e32 vcc, v[3:4], v[1:2]
                                        ; implicit-def: $vgpr9
                                        ; implicit-def: $vgpr10
	v_cndmask_b32_e32 v2, v2, v4, vcc
	v_cndmask_b32_e32 v1, v1, v3, vcc
                                        ; implicit-def: $vgpr3_vgpr4
.LBB496_200:
	s_or_saveexec_b64 s[2:3], s[2:3]
	v_mov_b32_e32 v6, 1
	s_xor_b64 exec, exec, s[2:3]
	s_cbranch_execz .LBB496_202
; %bb.201:
	v_and_b32_e32 v6, 1, v9
	v_cmp_eq_u32_e32 vcc, 1, v6
	v_cndmask_b32_e64 v6, v10, 1, vcc
	s_waitcnt lgkmcnt(0)
	v_cndmask_b32_e32 v2, v4, v2, vcc
	v_cndmask_b32_e32 v1, v3, v1, vcc
.LBB496_202:
	s_or_b64 exec, exec, s[2:3]
	v_and_b32_e32 v9, 0xff, v6
.LBB496_203:
	s_or_b64 exec, exec, s[0:1]
	v_cmp_eq_u32_e32 vcc, 0, v5
	s_and_saveexec_b64 s[0:1], vcc
	s_cbranch_execz .LBB496_205
; %bb.204:
	s_waitcnt lgkmcnt(1)
	v_lshrrev_b32_e32 v3, 2, v0
	v_and_b32_e32 v3, 16, v3
	ds_write_b8 v3, v6 offset:128
	ds_write_b64 v3, v[1:2] offset:136
.LBB496_205:
	s_or_b64 exec, exec, s[0:1]
	v_cmp_gt_u32_e32 vcc, 2, v0
	s_waitcnt lgkmcnt(0)
	s_barrier
	s_and_saveexec_b64 s[0:1], vcc
	s_cbranch_execz .LBB496_213
; %bb.206:
	v_lshlrev_b32_e32 v1, 4, v5
	ds_read_u8 v6, v1 offset:128
	ds_read_b64 v[1:2], v1 offset:136
	v_or_b32_e32 v4, 4, v8
	s_add_i32 s8, s8, 63
	v_and_b32_e32 v5, 1, v5
	s_waitcnt lgkmcnt(1)
	v_and_b32_e32 v9, 0xff, v6
	s_waitcnt lgkmcnt(0)
	ds_bpermute_b32 v3, v4, v1
	ds_bpermute_b32 v7, v4, v9
	;; [unrolled: 1-line block ×3, first 2 shown]
	s_lshr_b32 s2, s8, 6
	v_add_u32_e32 v5, 1, v5
	v_cmp_gt_u32_e32 vcc, s2, v5
	s_and_saveexec_b64 s[2:3], vcc
	s_cbranch_execz .LBB496_212
; %bb.207:
	s_waitcnt lgkmcnt(1)
	v_and_b32_e32 v5, v9, v7
	v_and_b32_e32 v5, 1, v5
	v_cmp_eq_u32_e32 vcc, 1, v5
	s_and_saveexec_b64 s[8:9], vcc
	s_xor_b64 s[8:9], exec, s[8:9]
	s_cbranch_execz .LBB496_209
; %bb.208:
	s_waitcnt lgkmcnt(0)
	v_cmp_lt_i64_e32 vcc, v[3:4], v[1:2]
                                        ; implicit-def: $vgpr6
                                        ; implicit-def: $vgpr7
	v_cndmask_b32_e32 v2, v2, v4, vcc
	v_cndmask_b32_e32 v1, v1, v3, vcc
                                        ; implicit-def: $vgpr3_vgpr4
.LBB496_209:
	s_or_saveexec_b64 s[8:9], s[8:9]
	v_mov_b32_e32 v9, 1
	s_xor_b64 exec, exec, s[8:9]
	s_cbranch_execz .LBB496_211
; %bb.210:
	v_and_b32_e32 v5, 1, v6
	v_cmp_eq_u32_e32 vcc, 1, v5
	s_waitcnt lgkmcnt(0)
	v_cndmask_b32_e32 v2, v4, v2, vcc
	v_cndmask_b32_e32 v1, v3, v1, vcc
	v_cndmask_b32_e64 v9, v7, 1, vcc
.LBB496_211:
	s_or_b64 exec, exec, s[8:9]
.LBB496_212:
	s_or_b64 exec, exec, s[2:3]
.LBB496_213:
	s_or_b64 exec, exec, s[0:1]
.LBB496_214:
	v_cmp_eq_u32_e32 vcc, 0, v0
                                        ; implicit-def: $vgpr3_vgpr4
                                        ; implicit-def: $vgpr5
	s_and_saveexec_b64 s[0:1], vcc
	s_xor_b64 s[8:9], exec, s[0:1]
	s_cbranch_execz .LBB496_218
; %bb.215:
	s_waitcnt lgkmcnt(0)
	v_mov_b32_e32 v3, s18
	s_cmp_eq_u64 s[22:23], 0
	v_mov_b32_e32 v4, s19
	v_mov_b32_e32 v5, s33
	s_cbranch_scc1 .LBB496_217
; %bb.216:
	v_and_b32_e32 v3, 1, v9
	v_cmp_gt_i64_e64 s[0:1], s[18:19], v[1:2]
	s_bitcmp1_b32 s33, 0
	v_cmp_eq_u32_e32 vcc, 1, v3
	s_cselect_b64 s[2:3], -1, 0
	v_mov_b32_e32 v3, s18
	s_and_b64 vcc, vcc, s[0:1]
	v_mov_b32_e32 v4, s19
	v_cndmask_b32_e32 v3, v3, v1, vcc
	v_cndmask_b32_e32 v4, v4, v2, vcc
	v_cndmask_b32_e64 v5, v9, 1, s[2:3]
	v_cndmask_b32_e64 v4, v2, v4, s[2:3]
	;; [unrolled: 1-line block ×3, first 2 shown]
.LBB496_217:
	s_or_b64 s[14:15], s[14:15], exec
.LBB496_218:
	s_or_b64 exec, exec, s[8:9]
	v_mov_b32_e32 v1, s6
	v_mov_b32_e32 v2, s7
	s_branch .LBB496_306
.LBB496_219:
	s_cmp_gt_i32 s38, 1
	s_cbranch_scc0 .LBB496_231
; %bb.220:
	s_cmp_eq_u32 s38, 2
	s_cbranch_scc0 .LBB496_232
; %bb.221:
	s_mov_b32 s7, 0
	s_lshl_b32 s30, s6, 8
	s_mov_b32 s31, s7
	s_lshr_b64 s[0:1], s[22:23], 8
	s_lshl_b64 s[2:3], s[30:31], 2
	s_add_u32 s16, s24, s2
	s_addc_u32 s17, s25, s3
	s_add_u32 s28, s26, s2
	s_addc_u32 s29, s27, s3
	;; [unrolled: 2-line block ×3, first 2 shown]
	s_cmp_lg_u64 s[0:1], s[6:7]
	s_cbranch_scc0 .LBB496_233
; %bb.222:
	v_lshlrev_b32_e32 v1, 2, v0
	global_load_dword v2, v1, s[28:29]
	s_waitcnt lgkmcnt(0)
	global_load_dword v4, v1, s[28:29] offset:512
	global_load_dword v6, v1, s[16:17] offset:512
	global_load_dword v7, v1, s[16:17]
	v_mov_b32_e32 v1, s34
	v_add_co_u32_e32 v8, vcc, s31, v0
	v_addc_co_u32_e32 v1, vcc, 0, v1, vcc
	v_add_co_u32_e32 v9, vcc, 0x80, v8
	v_addc_co_u32_e32 v10, vcc, 0, v1, vcc
	v_mbcnt_lo_u32_b32 v3, -1, 0
	v_mbcnt_hi_u32_b32 v3, -1, v3
	v_lshlrev_b32_e32 v5, 2, v3
	v_or_b32_e32 v11, 0xfc, v5
	s_waitcnt vmcnt(1)
	v_cmp_ne_u32_e32 vcc, v6, v4
	s_waitcnt vmcnt(0)
	v_cmp_ne_u32_e64 s[0:1], v7, v2
	v_cndmask_b32_e64 v2, v10, v1, s[0:1]
	v_cndmask_b32_e64 v1, v9, v8, s[0:1]
	s_or_b64 s[0:1], s[0:1], vcc
	v_mov_b32_dpp v7, v2 quad_perm:[1,0,3,2] row_mask:0xf bank_mask:0xf bound_ctrl:1
	v_mov_b32_dpp v6, v1 quad_perm:[1,0,3,2] row_mask:0xf bank_mask:0xf bound_ctrl:1
	v_cndmask_b32_e64 v4, 0, 1, s[0:1]
	v_cmp_lt_i64_e32 vcc, v[1:2], v[6:7]
	s_and_b64 vcc, s[0:1], vcc
	v_mov_b32_dpp v8, v4 quad_perm:[1,0,3,2] row_mask:0xf bank_mask:0xf bound_ctrl:1
	v_and_b32_e32 v8, 1, v8
	v_cndmask_b32_e32 v6, v6, v1, vcc
	v_cndmask_b32_e32 v7, v7, v2, vcc
	v_cmp_eq_u32_e32 vcc, 1, v8
	v_cndmask_b32_e32 v2, v2, v7, vcc
	v_cndmask_b32_e32 v1, v1, v6, vcc
	v_cndmask_b32_e64 v4, v4, 1, vcc
	v_mov_b32_dpp v7, v2 quad_perm:[2,3,0,1] row_mask:0xf bank_mask:0xf bound_ctrl:1
	v_mov_b32_dpp v6, v1 quad_perm:[2,3,0,1] row_mask:0xf bank_mask:0xf bound_ctrl:1
	v_and_b32_e32 v9, 1, v4
	v_cmp_lt_i64_e64 s[0:1], v[1:2], v[6:7]
	v_mov_b32_dpp v8, v4 quad_perm:[2,3,0,1] row_mask:0xf bank_mask:0xf bound_ctrl:1
	v_cmp_eq_u32_e32 vcc, 1, v9
	v_and_b32_e32 v8, 1, v8
	s_and_b64 vcc, vcc, s[0:1]
	v_cmp_eq_u32_e64 s[2:3], 1, v8
	v_cndmask_b32_e32 v6, v6, v1, vcc
	v_cndmask_b32_e32 v7, v7, v2, vcc
	v_cndmask_b32_e64 v1, v1, v6, s[2:3]
	v_cndmask_b32_e64 v2, v2, v7, s[2:3]
	;; [unrolled: 1-line block ×3, first 2 shown]
	v_mov_b32_dpp v6, v1 row_ror:4 row_mask:0xf bank_mask:0xf bound_ctrl:1
	v_mov_b32_dpp v7, v2 row_ror:4 row_mask:0xf bank_mask:0xf bound_ctrl:1
	v_and_b32_e32 v9, 1, v4
	v_cmp_lt_i64_e64 s[2:3], v[1:2], v[6:7]
	v_mov_b32_dpp v8, v4 row_ror:4 row_mask:0xf bank_mask:0xf bound_ctrl:1
	v_cmp_eq_u32_e32 vcc, 1, v9
	v_and_b32_e32 v8, 1, v8
	s_and_b64 vcc, vcc, s[2:3]
	v_cmp_eq_u32_e64 s[0:1], 1, v8
	v_cndmask_b32_e32 v6, v6, v1, vcc
	v_cndmask_b32_e32 v7, v7, v2, vcc
	v_cndmask_b32_e64 v1, v1, v6, s[0:1]
	v_cndmask_b32_e64 v2, v2, v7, s[0:1]
	;; [unrolled: 1-line block ×3, first 2 shown]
	v_mov_b32_dpp v6, v1 row_ror:8 row_mask:0xf bank_mask:0xf bound_ctrl:1
	v_mov_b32_dpp v7, v2 row_ror:8 row_mask:0xf bank_mask:0xf bound_ctrl:1
	v_and_b32_e32 v9, 1, v4
	v_cmp_lt_i64_e64 s[2:3], v[1:2], v[6:7]
	v_mov_b32_dpp v8, v4 row_ror:8 row_mask:0xf bank_mask:0xf bound_ctrl:1
	v_cmp_eq_u32_e64 s[8:9], 1, v9
	v_and_b32_e32 v8, 1, v8
	s_and_b64 s[2:3], s[8:9], s[2:3]
	v_cmp_eq_u32_e64 s[10:11], 1, v8
	v_cndmask_b32_e64 v6, v6, v1, s[2:3]
	v_cndmask_b32_e64 v7, v7, v2, s[2:3]
	;; [unrolled: 1-line block ×5, first 2 shown]
	v_mov_b32_dpp v8, v4 row_bcast:15 row_mask:0xf bank_mask:0xf bound_ctrl:1
	v_mov_b32_dpp v6, v1 row_bcast:15 row_mask:0xf bank_mask:0xf bound_ctrl:1
	;; [unrolled: 1-line block ×3, first 2 shown]
	v_and_b32_e32 v9, 1, v4
	v_and_b32_e32 v8, 1, v8
	v_cmp_lt_i64_e64 s[2:3], v[1:2], v[6:7]
	v_cmp_eq_u32_e32 vcc, 1, v9
	v_cmp_eq_u32_e64 s[0:1], 1, v8
	v_cndmask_b32_e64 v4, v4, 1, s[0:1]
	s_and_b64 vcc, vcc, s[2:3]
	v_cndmask_b32_e32 v6, v6, v1, vcc
	v_mov_b32_dpp v8, v4 row_bcast:31 row_mask:0xf bank_mask:0xf bound_ctrl:1
	v_cndmask_b32_e32 v7, v7, v2, vcc
	v_and_b32_e32 v9, 1, v4
	v_and_b32_e32 v8, 1, v8
	v_cndmask_b32_e64 v1, v1, v6, s[0:1]
	v_cndmask_b32_e64 v2, v2, v7, s[0:1]
	v_cmp_eq_u32_e64 s[12:13], 1, v9
	v_cmp_eq_u32_e64 s[8:9], 1, v8
	v_mov_b32_dpp v8, v1 row_bcast:31 row_mask:0xf bank_mask:0xf bound_ctrl:1
	v_mov_b32_dpp v9, v2 row_bcast:31 row_mask:0xf bank_mask:0xf bound_ctrl:1
	v_cmp_lt_i64_e32 vcc, v[1:2], v[8:9]
	v_cndmask_b32_e64 v4, v4, 1, s[8:9]
	s_and_b64 vcc, s[12:13], vcc
	ds_bpermute_b32 v7, v11, v4
	v_cndmask_b32_e32 v4, v8, v1, vcc
	v_cndmask_b32_e32 v6, v9, v2, vcc
	v_cndmask_b32_e64 v1, v1, v4, s[8:9]
	v_cndmask_b32_e64 v2, v2, v6, s[8:9]
	ds_bpermute_b32 v1, v11, v1
	ds_bpermute_b32 v2, v11, v2
	v_cmp_eq_u32_e32 vcc, 0, v3
	s_and_saveexec_b64 s[0:1], vcc
	s_cbranch_execz .LBB496_224
; %bb.223:
	v_lshrrev_b32_e32 v4, 2, v0
	v_and_b32_e32 v4, 16, v4
	s_waitcnt lgkmcnt(2)
	ds_write_b8 v4, v7 offset:32
	s_waitcnt lgkmcnt(1)
	ds_write_b64 v4, v[1:2] offset:40
.LBB496_224:
	s_or_b64 exec, exec, s[0:1]
	v_cmp_gt_u32_e32 vcc, 64, v0
	s_waitcnt lgkmcnt(0)
	s_barrier
	s_and_saveexec_b64 s[0:1], vcc
	s_cbranch_execz .LBB496_230
; %bb.225:
	v_and_b32_e32 v1, 1, v3
	v_lshlrev_b32_e32 v1, 4, v1
	ds_read_u8 v8, v1 offset:32
	ds_read_b64 v[3:4], v1 offset:40
	v_or_b32_e32 v2, 4, v5
	s_waitcnt lgkmcnt(1)
	v_and_b32_e32 v1, 0xff, v8
	ds_bpermute_b32 v9, v2, v1
	s_waitcnt lgkmcnt(1)
	ds_bpermute_b32 v5, v2, v3
	ds_bpermute_b32 v6, v2, v4
	s_waitcnt lgkmcnt(2)
	v_and_b32_e32 v1, v8, v9
	v_and_b32_e32 v1, 1, v1
	v_cmp_eq_u32_e32 vcc, 1, v1
                                        ; implicit-def: $vgpr1_vgpr2
	s_and_saveexec_b64 s[2:3], vcc
	s_xor_b64 s[2:3], exec, s[2:3]
	s_cbranch_execz .LBB496_227
; %bb.226:
	s_waitcnt lgkmcnt(0)
	v_cmp_lt_i64_e32 vcc, v[5:6], v[3:4]
                                        ; implicit-def: $vgpr8
                                        ; implicit-def: $vgpr9
	v_cndmask_b32_e32 v2, v4, v6, vcc
	v_cndmask_b32_e32 v1, v3, v5, vcc
                                        ; implicit-def: $vgpr5_vgpr6
                                        ; implicit-def: $vgpr3_vgpr4
.LBB496_227:
	s_or_saveexec_b64 s[2:3], s[2:3]
	v_mov_b32_e32 v7, 1
	s_xor_b64 exec, exec, s[2:3]
	s_cbranch_execz .LBB496_229
; %bb.228:
	v_and_b32_e32 v1, 1, v8
	v_cmp_eq_u32_e32 vcc, 1, v1
	s_waitcnt lgkmcnt(0)
	v_cndmask_b32_e32 v2, v6, v4, vcc
	v_cndmask_b32_e32 v1, v5, v3, vcc
	v_cndmask_b32_e64 v7, v9, 1, vcc
.LBB496_229:
	s_or_b64 exec, exec, s[2:3]
.LBB496_230:
	s_or_b64 exec, exec, s[0:1]
	s_branch .LBB496_285
.LBB496_231:
                                        ; implicit-def: $vgpr3_vgpr4
                                        ; implicit-def: $vgpr5
                                        ; implicit-def: $vgpr1_vgpr2
	s_cbranch_execnz .LBB496_290
	s_branch .LBB496_306
.LBB496_232:
                                        ; implicit-def: $vgpr3_vgpr4
                                        ; implicit-def: $vgpr5
                                        ; implicit-def: $vgpr1_vgpr2
	s_branch .LBB496_306
.LBB496_233:
                                        ; implicit-def: $vgpr1_vgpr2
                                        ; implicit-def: $vgpr7
	s_cbranch_execz .LBB496_285
; %bb.234:
	s_sub_i32 s10, s22, s30
	s_waitcnt lgkmcnt(0)
	v_mov_b32_e32 v3, 0
	v_mov_b32_e32 v1, 0
	v_cmp_gt_u32_e32 vcc, s10, v0
	v_mov_b32_e32 v6, 0
	v_mov_b32_e32 v4, 0
	;; [unrolled: 1-line block ×4, first 2 shown]
	s_and_saveexec_b64 s[0:1], vcc
	s_cbranch_execz .LBB496_236
; %bb.235:
	v_lshlrev_b32_e32 v1, 2, v0
	global_load_dword v5, v1, s[16:17]
	global_load_dword v7, v1, s[28:29]
	v_mov_b32_e32 v2, s34
	v_add_co_u32_e32 v1, vcc, s31, v0
	v_addc_co_u32_e32 v2, vcc, 0, v2, vcc
	s_waitcnt vmcnt(0)
	v_cmp_ne_u32_e32 vcc, v5, v7
	v_cndmask_b32_e64 v5, 0, 1, vcc
.LBB496_236:
	s_or_b64 exec, exec, s[0:1]
	v_or_b32_e32 v7, 0x80, v0
	v_cmp_gt_u32_e32 vcc, s10, v7
	s_and_saveexec_b64 s[2:3], vcc
	s_cbranch_execz .LBB496_238
; %bb.237:
	v_lshlrev_b32_e32 v3, 2, v0
	global_load_dword v6, v3, s[16:17] offset:512
	global_load_dword v8, v3, s[28:29] offset:512
	v_mov_b32_e32 v4, s34
	v_add_co_u32_e64 v3, s[0:1], s31, v7
	v_addc_co_u32_e64 v4, s[0:1], 0, v4, s[0:1]
	s_waitcnt vmcnt(0)
	v_cmp_ne_u32_e64 s[0:1], v6, v8
	v_cndmask_b32_e64 v6, 0, 1, s[0:1]
.LBB496_238:
	s_or_b64 exec, exec, s[2:3]
	v_and_b32_e32 v8, 0xffff, v6
	v_and_b32_e32 v6, 1, v6
	v_cmp_lt_i64_e64 s[2:3], v[3:4], v[1:2]
	v_and_b32_e32 v7, 0xffff, v5
	v_cmp_eq_u32_e64 s[0:1], 1, v6
	v_and_b32_e32 v5, 1, v5
	v_cmp_eq_u32_e64 s[8:9], 1, v5
	s_and_b64 s[0:1], s[0:1], s[2:3]
	v_cndmask_b32_e64 v5, v8, 1, s[8:9]
	v_cndmask_b32_e64 v8, v1, v3, s[0:1]
	;; [unrolled: 1-line block ×3, first 2 shown]
	v_cndmask_b32_e32 v1, v1, v3, vcc
	v_mbcnt_lo_u32_b32 v3, -1, 0
	v_cndmask_b32_e64 v6, v2, v4, s[0:1]
	v_cndmask_b32_e32 v7, v7, v5, vcc
	v_mbcnt_hi_u32_b32 v5, -1, v3
	v_cndmask_b32_e64 v4, v4, v6, s[8:9]
	v_and_b32_e32 v6, 63, v5
	v_cndmask_b32_e32 v2, v2, v4, vcc
	v_cmp_ne_u32_e32 vcc, 63, v6
	v_addc_co_u32_e32 v3, vcc, 0, v5, vcc
	v_lshlrev_b32_e32 v4, 2, v3
	ds_bpermute_b32 v9, v4, v7
	ds_bpermute_b32 v3, v4, v1
	;; [unrolled: 1-line block ×3, first 2 shown]
	s_min_u32 s8, s10, 0x80
	v_and_b32_e32 v8, 64, v0
	v_sub_u32_e64 v8, s8, v8 clamp
	v_add_u32_e32 v10, 1, v6
	v_cmp_lt_u32_e32 vcc, v10, v8
	s_and_saveexec_b64 s[0:1], vcc
	s_cbranch_execz .LBB496_244
; %bb.239:
	s_waitcnt lgkmcnt(2)
	v_and_b32_e32 v10, v9, v7
	v_cmp_ne_u32_e32 vcc, 0, v10
	s_and_saveexec_b64 s[2:3], vcc
	s_xor_b64 s[2:3], exec, s[2:3]
	s_cbranch_execz .LBB496_241
; %bb.240:
	s_waitcnt lgkmcnt(0)
	v_cmp_lt_i64_e32 vcc, v[3:4], v[1:2]
                                        ; implicit-def: $vgpr7
                                        ; implicit-def: $vgpr9
	v_cndmask_b32_e32 v2, v2, v4, vcc
	v_cndmask_b32_e32 v1, v1, v3, vcc
                                        ; implicit-def: $vgpr3_vgpr4
.LBB496_241:
	s_or_saveexec_b64 s[2:3], s[2:3]
	v_mov_b32_e32 v10, 1
	s_xor_b64 exec, exec, s[2:3]
	s_cbranch_execz .LBB496_243
; %bb.242:
	v_and_b32_e32 v7, 1, v7
	v_cmp_eq_u32_e32 vcc, 1, v7
	s_waitcnt lgkmcnt(1)
	v_cndmask_b32_e32 v1, v3, v1, vcc
	v_and_b32_e32 v3, 0xff, v9
	s_waitcnt lgkmcnt(0)
	v_cndmask_b32_e32 v2, v4, v2, vcc
	v_cndmask_b32_e64 v10, v3, 1, vcc
.LBB496_243:
	s_or_b64 exec, exec, s[2:3]
	v_mov_b32_e32 v7, v10
.LBB496_244:
	s_or_b64 exec, exec, s[0:1]
	v_cmp_gt_u32_e32 vcc, 62, v6
	s_waitcnt lgkmcnt(1)
	v_cndmask_b32_e64 v3, 0, 2, vcc
	s_waitcnt lgkmcnt(0)
	v_add_lshl_u32 v4, v3, v5, 2
	ds_bpermute_b32 v9, v4, v7
	ds_bpermute_b32 v3, v4, v1
	ds_bpermute_b32 v4, v4, v2
	v_add_u32_e32 v10, 2, v6
	v_cmp_lt_u32_e32 vcc, v10, v8
	s_and_saveexec_b64 s[0:1], vcc
	s_cbranch_execz .LBB496_250
; %bb.245:
	s_waitcnt lgkmcnt(2)
	v_and_b32_e32 v10, v7, v9
	v_and_b32_e32 v10, 1, v10
	v_cmp_eq_u32_e32 vcc, 1, v10
	s_and_saveexec_b64 s[2:3], vcc
	s_xor_b64 s[2:3], exec, s[2:3]
	s_cbranch_execz .LBB496_247
; %bb.246:
	s_waitcnt lgkmcnt(0)
	v_cmp_lt_i64_e32 vcc, v[3:4], v[1:2]
                                        ; implicit-def: $vgpr7
                                        ; implicit-def: $vgpr9
	v_cndmask_b32_e32 v2, v2, v4, vcc
	v_cndmask_b32_e32 v1, v1, v3, vcc
                                        ; implicit-def: $vgpr3_vgpr4
.LBB496_247:
	s_or_saveexec_b64 s[2:3], s[2:3]
	v_mov_b32_e32 v10, 1
	s_xor_b64 exec, exec, s[2:3]
	s_cbranch_execz .LBB496_249
; %bb.248:
	v_and_b32_e32 v7, 1, v7
	v_cmp_eq_u32_e32 vcc, 1, v7
	s_waitcnt lgkmcnt(1)
	v_cndmask_b32_e32 v1, v3, v1, vcc
	v_and_b32_e32 v3, 0xff, v9
	s_waitcnt lgkmcnt(0)
	v_cndmask_b32_e32 v2, v4, v2, vcc
	v_cndmask_b32_e64 v10, v3, 1, vcc
.LBB496_249:
	s_or_b64 exec, exec, s[2:3]
	v_mov_b32_e32 v7, v10
.LBB496_250:
	s_or_b64 exec, exec, s[0:1]
	v_cmp_gt_u32_e32 vcc, 60, v6
	s_waitcnt lgkmcnt(1)
	v_cndmask_b32_e64 v3, 0, 4, vcc
	s_waitcnt lgkmcnt(0)
	v_add_lshl_u32 v4, v3, v5, 2
	ds_bpermute_b32 v9, v4, v7
	ds_bpermute_b32 v3, v4, v1
	ds_bpermute_b32 v4, v4, v2
	v_add_u32_e32 v10, 4, v6
	v_cmp_lt_u32_e32 vcc, v10, v8
	s_and_saveexec_b64 s[0:1], vcc
	s_cbranch_execz .LBB496_256
; %bb.251:
	s_waitcnt lgkmcnt(2)
	v_and_b32_e32 v10, v7, v9
	v_and_b32_e32 v10, 1, v10
	v_cmp_eq_u32_e32 vcc, 1, v10
	s_and_saveexec_b64 s[2:3], vcc
	s_xor_b64 s[2:3], exec, s[2:3]
	s_cbranch_execz .LBB496_253
; %bb.252:
	s_waitcnt lgkmcnt(0)
	v_cmp_lt_i64_e32 vcc, v[3:4], v[1:2]
                                        ; implicit-def: $vgpr7
                                        ; implicit-def: $vgpr9
	v_cndmask_b32_e32 v2, v2, v4, vcc
	v_cndmask_b32_e32 v1, v1, v3, vcc
                                        ; implicit-def: $vgpr3_vgpr4
.LBB496_253:
	s_or_saveexec_b64 s[2:3], s[2:3]
	v_mov_b32_e32 v10, 1
	s_xor_b64 exec, exec, s[2:3]
	s_cbranch_execz .LBB496_255
; %bb.254:
	v_and_b32_e32 v7, 1, v7
	v_cmp_eq_u32_e32 vcc, 1, v7
	s_waitcnt lgkmcnt(1)
	v_cndmask_b32_e32 v1, v3, v1, vcc
	v_and_b32_e32 v3, 0xff, v9
	s_waitcnt lgkmcnt(0)
	v_cndmask_b32_e32 v2, v4, v2, vcc
	v_cndmask_b32_e64 v10, v3, 1, vcc
.LBB496_255:
	s_or_b64 exec, exec, s[2:3]
	v_mov_b32_e32 v7, v10
.LBB496_256:
	;; [unrolled: 47-line block ×4, first 2 shown]
	s_or_b64 exec, exec, s[0:1]
	s_waitcnt lgkmcnt(2)
	v_lshlrev_b32_e32 v9, 2, v5
	s_waitcnt lgkmcnt(0)
	v_or_b32_e32 v4, 0x80, v9
	ds_bpermute_b32 v10, v4, v7
	ds_bpermute_b32 v3, v4, v1
	;; [unrolled: 1-line block ×3, first 2 shown]
	v_add_u32_e32 v6, 32, v6
	v_cmp_lt_u32_e32 vcc, v6, v8
	v_mov_b32_e32 v6, v7
	s_and_saveexec_b64 s[0:1], vcc
	s_cbranch_execz .LBB496_274
; %bb.269:
	s_waitcnt lgkmcnt(2)
	v_and_b32_e32 v6, v7, v10
	v_and_b32_e32 v6, 1, v6
	v_cmp_eq_u32_e32 vcc, 1, v6
	s_and_saveexec_b64 s[2:3], vcc
	s_xor_b64 s[2:3], exec, s[2:3]
	s_cbranch_execz .LBB496_271
; %bb.270:
	s_waitcnt lgkmcnt(0)
	v_cmp_lt_i64_e32 vcc, v[3:4], v[1:2]
                                        ; implicit-def: $vgpr7
                                        ; implicit-def: $vgpr10
	v_cndmask_b32_e32 v2, v2, v4, vcc
	v_cndmask_b32_e32 v1, v1, v3, vcc
                                        ; implicit-def: $vgpr3_vgpr4
.LBB496_271:
	s_or_saveexec_b64 s[2:3], s[2:3]
	v_mov_b32_e32 v6, 1
	s_xor_b64 exec, exec, s[2:3]
	s_cbranch_execz .LBB496_273
; %bb.272:
	v_and_b32_e32 v6, 1, v7
	v_cmp_eq_u32_e32 vcc, 1, v6
	v_cndmask_b32_e64 v6, v10, 1, vcc
	s_waitcnt lgkmcnt(0)
	v_cndmask_b32_e32 v2, v4, v2, vcc
	v_cndmask_b32_e32 v1, v3, v1, vcc
.LBB496_273:
	s_or_b64 exec, exec, s[2:3]
	v_and_b32_e32 v7, 0xff, v6
.LBB496_274:
	s_or_b64 exec, exec, s[0:1]
	v_cmp_eq_u32_e32 vcc, 0, v5
	s_and_saveexec_b64 s[0:1], vcc
	s_cbranch_execz .LBB496_276
; %bb.275:
	s_waitcnt lgkmcnt(1)
	v_lshrrev_b32_e32 v3, 2, v0
	v_and_b32_e32 v3, 16, v3
	ds_write_b8 v3, v6 offset:128
	ds_write_b64 v3, v[1:2] offset:136
.LBB496_276:
	s_or_b64 exec, exec, s[0:1]
	v_cmp_gt_u32_e32 vcc, 2, v0
	s_waitcnt lgkmcnt(0)
	s_barrier
	s_and_saveexec_b64 s[0:1], vcc
	s_cbranch_execz .LBB496_284
; %bb.277:
	v_lshlrev_b32_e32 v1, 4, v5
	ds_read_u8 v6, v1 offset:128
	ds_read_b64 v[1:2], v1 offset:136
	v_or_b32_e32 v4, 4, v9
	s_add_i32 s8, s8, 63
	v_and_b32_e32 v5, 1, v5
	s_waitcnt lgkmcnt(1)
	v_and_b32_e32 v7, 0xff, v6
	s_waitcnt lgkmcnt(0)
	ds_bpermute_b32 v3, v4, v1
	ds_bpermute_b32 v8, v4, v7
	;; [unrolled: 1-line block ×3, first 2 shown]
	s_lshr_b32 s2, s8, 6
	v_add_u32_e32 v5, 1, v5
	v_cmp_gt_u32_e32 vcc, s2, v5
	s_and_saveexec_b64 s[2:3], vcc
	s_cbranch_execz .LBB496_283
; %bb.278:
	s_waitcnt lgkmcnt(1)
	v_and_b32_e32 v5, v7, v8
	v_and_b32_e32 v5, 1, v5
	v_cmp_eq_u32_e32 vcc, 1, v5
	s_and_saveexec_b64 s[8:9], vcc
	s_xor_b64 s[8:9], exec, s[8:9]
	s_cbranch_execz .LBB496_280
; %bb.279:
	s_waitcnt lgkmcnt(0)
	v_cmp_lt_i64_e32 vcc, v[3:4], v[1:2]
                                        ; implicit-def: $vgpr6
                                        ; implicit-def: $vgpr8
	v_cndmask_b32_e32 v2, v2, v4, vcc
	v_cndmask_b32_e32 v1, v1, v3, vcc
                                        ; implicit-def: $vgpr3_vgpr4
.LBB496_280:
	s_or_saveexec_b64 s[8:9], s[8:9]
	v_mov_b32_e32 v7, 1
	s_xor_b64 exec, exec, s[8:9]
	s_cbranch_execz .LBB496_282
; %bb.281:
	v_and_b32_e32 v5, 1, v6
	v_cmp_eq_u32_e32 vcc, 1, v5
	s_waitcnt lgkmcnt(0)
	v_cndmask_b32_e32 v2, v4, v2, vcc
	v_cndmask_b32_e32 v1, v3, v1, vcc
	v_cndmask_b32_e64 v7, v8, 1, vcc
.LBB496_282:
	s_or_b64 exec, exec, s[8:9]
.LBB496_283:
	s_or_b64 exec, exec, s[2:3]
.LBB496_284:
	s_or_b64 exec, exec, s[0:1]
.LBB496_285:
	v_cmp_eq_u32_e32 vcc, 0, v0
                                        ; implicit-def: $vgpr3_vgpr4
                                        ; implicit-def: $vgpr5
	s_and_saveexec_b64 s[0:1], vcc
	s_xor_b64 s[8:9], exec, s[0:1]
	s_cbranch_execz .LBB496_289
; %bb.286:
	s_waitcnt lgkmcnt(0)
	v_mov_b32_e32 v3, s18
	s_cmp_eq_u64 s[22:23], 0
	v_mov_b32_e32 v4, s19
	v_mov_b32_e32 v5, s33
	s_cbranch_scc1 .LBB496_288
; %bb.287:
	v_and_b32_e32 v3, 1, v7
	v_cmp_gt_i64_e64 s[0:1], s[18:19], v[1:2]
	s_bitcmp1_b32 s33, 0
	v_cmp_eq_u32_e32 vcc, 1, v3
	s_cselect_b64 s[2:3], -1, 0
	v_mov_b32_e32 v3, s18
	s_and_b64 vcc, vcc, s[0:1]
	v_mov_b32_e32 v4, s19
	v_cndmask_b32_e32 v3, v3, v1, vcc
	v_cndmask_b32_e32 v4, v4, v2, vcc
	v_cndmask_b32_e64 v5, v7, 1, s[2:3]
	v_cndmask_b32_e64 v4, v2, v4, s[2:3]
	;; [unrolled: 1-line block ×3, first 2 shown]
.LBB496_288:
	s_or_b64 s[14:15], s[14:15], exec
.LBB496_289:
	s_or_b64 exec, exec, s[8:9]
	v_mov_b32_e32 v1, s6
	v_mov_b32_e32 v2, s7
	s_branch .LBB496_306
.LBB496_290:
	s_cmp_eq_u32 s38, 1
	s_cbranch_scc0 .LBB496_305
; %bb.291:
	s_mov_b32 s9, 0
	s_lshl_b32 s8, s6, 7
	s_mov_b32 s7, s9
	s_lshr_b64 s[0:1], s[22:23], 7
	s_cmp_lg_u64 s[0:1], s[6:7]
	s_cbranch_scc0 .LBB496_309
; %bb.292:
	s_lshl_b64 s[0:1], s[8:9], 2
	s_add_u32 s2, s24, s0
	s_addc_u32 s3, s25, s1
	s_add_u32 s0, s26, s0
	v_lshlrev_b32_e32 v1, 2, v0
	s_addc_u32 s1, s27, s1
	s_waitcnt lgkmcnt(1)
	global_load_dword v5, v1, s[2:3]
	s_waitcnt lgkmcnt(0)
	global_load_dword v6, v1, s[0:1]
	s_add_u32 s0, s20, s8
	s_addc_u32 s1, s21, 0
	v_mov_b32_e32 v2, s1
	v_add_co_u32_e32 v1, vcc, s0, v0
	v_addc_co_u32_e32 v2, vcc, 0, v2, vcc
	s_nop 0
	v_mov_b32_dpp v3, v1 quad_perm:[1,0,3,2] row_mask:0xf bank_mask:0xf bound_ctrl:1
	v_mov_b32_dpp v4, v2 quad_perm:[1,0,3,2] row_mask:0xf bank_mask:0xf bound_ctrl:1
	v_cmp_lt_i64_e32 vcc, v[1:2], v[3:4]
                                        ; implicit-def: $vgpr7
	s_waitcnt vmcnt(0)
	v_cmp_ne_u32_e64 s[0:1], v5, v6
	v_cndmask_b32_e64 v5, 0, 1, s[0:1]
	s_and_b64 vcc, s[0:1], vcc
	v_cndmask_b32_e32 v3, v3, v1, vcc
	v_mov_b32_dpp v5, v5 quad_perm:[1,0,3,2] row_mask:0xf bank_mask:0xf bound_ctrl:1
	v_and_b32_e32 v5, 1, v5
	v_cndmask_b32_e32 v4, v4, v2, vcc
	v_cmp_eq_u32_e32 vcc, 1, v5
	s_or_b64 s[0:1], vcc, s[0:1]
	v_cndmask_b32_e32 v3, v1, v3, vcc
	v_cndmask_b32_e64 v1, 0, 1, s[0:1]
	v_cndmask_b32_e32 v4, v2, v4, vcc
	v_mov_b32_dpp v5, v3 quad_perm:[2,3,0,1] row_mask:0xf bank_mask:0xf bound_ctrl:1
	v_mov_b32_dpp v1, v1 quad_perm:[2,3,0,1] row_mask:0xf bank_mask:0xf bound_ctrl:1
	v_and_b32_e32 v1, 1, v1
	v_cmp_eq_u32_e32 vcc, 1, v1
	s_and_b64 s[2:3], vcc, s[0:1]
	v_mov_b32_dpp v6, v4 quad_perm:[2,3,0,1] row_mask:0xf bank_mask:0xf bound_ctrl:1
	s_xor_b64 s[2:3], s[2:3], -1
                                        ; implicit-def: $vgpr1_vgpr2
	s_and_saveexec_b64 s[10:11], s[2:3]
	s_xor_b64 s[2:3], exec, s[10:11]
; %bb.293:
	s_or_b64 s[0:1], vcc, s[0:1]
	v_cndmask_b32_e32 v2, v4, v6, vcc
	v_cndmask_b32_e32 v1, v3, v5, vcc
	v_cndmask_b32_e64 v7, 0, 1, s[0:1]
                                        ; implicit-def: $vgpr3_vgpr4
                                        ; implicit-def: $vgpr5_vgpr6
; %bb.294:
	s_andn2_saveexec_b64 s[0:1], s[2:3]
; %bb.295:
	v_cmp_lt_i64_e32 vcc, v[3:4], v[5:6]
	v_mov_b32_e32 v7, 1
	v_cndmask_b32_e32 v2, v6, v4, vcc
	v_cndmask_b32_e32 v1, v5, v3, vcc
; %bb.296:
	s_or_b64 exec, exec, s[0:1]
	s_nop 0
	v_mov_b32_dpp v4, v1 row_ror:4 row_mask:0xf bank_mask:0xf bound_ctrl:1
	v_mov_b32_dpp v5, v2 row_ror:4 row_mask:0xf bank_mask:0xf bound_ctrl:1
	v_and_b32_e32 v8, 1, v7
	v_cmp_lt_i64_e64 s[0:1], v[1:2], v[4:5]
	v_mov_b32_dpp v6, v7 row_ror:4 row_mask:0xf bank_mask:0xf bound_ctrl:1
	v_cmp_eq_u32_e32 vcc, 1, v8
	v_and_b32_e32 v6, 1, v6
	s_and_b64 vcc, vcc, s[0:1]
	v_cmp_eq_u32_e64 s[2:3], 1, v6
	v_cndmask_b32_e32 v4, v4, v1, vcc
	v_cndmask_b32_e32 v5, v5, v2, vcc
	v_cndmask_b32_e64 v2, v2, v5, s[2:3]
	v_cndmask_b32_e64 v1, v1, v4, s[2:3]
	;; [unrolled: 1-line block ×3, first 2 shown]
	v_mov_b32_dpp v5, v2 row_ror:8 row_mask:0xf bank_mask:0xf bound_ctrl:1
	v_mov_b32_dpp v4, v1 row_ror:8 row_mask:0xf bank_mask:0xf bound_ctrl:1
	v_and_b32_e32 v8, 1, v6
	v_cmp_lt_i64_e64 s[0:1], v[1:2], v[4:5]
	v_mov_b32_dpp v7, v6 row_ror:8 row_mask:0xf bank_mask:0xf bound_ctrl:1
	v_cmp_eq_u32_e32 vcc, 1, v8
	v_and_b32_e32 v7, 1, v7
	s_and_b64 vcc, vcc, s[0:1]
	v_cmp_eq_u32_e64 s[2:3], 1, v7
	v_cndmask_b32_e32 v4, v4, v1, vcc
	v_cndmask_b32_e32 v5, v5, v2, vcc
	v_cndmask_b32_e64 v2, v2, v5, s[2:3]
	v_cndmask_b32_e64 v1, v1, v4, s[2:3]
	;; [unrolled: 1-line block ×3, first 2 shown]
	v_mov_b32_dpp v5, v2 row_bcast:15 row_mask:0xf bank_mask:0xf bound_ctrl:1
	v_mov_b32_dpp v4, v1 row_bcast:15 row_mask:0xf bank_mask:0xf bound_ctrl:1
	v_and_b32_e32 v8, 1, v6
	v_cmp_lt_i64_e64 s[0:1], v[1:2], v[4:5]
	v_mov_b32_dpp v7, v6 row_bcast:15 row_mask:0xf bank_mask:0xf bound_ctrl:1
	v_cmp_eq_u32_e32 vcc, 1, v8
	v_and_b32_e32 v7, 1, v7
	s_and_b64 vcc, vcc, s[0:1]
	v_cmp_eq_u32_e64 s[2:3], 1, v7
	v_cndmask_b32_e32 v4, v4, v1, vcc
	v_cndmask_b32_e32 v5, v5, v2, vcc
	v_cndmask_b32_e64 v2, v2, v5, s[2:3]
	v_cndmask_b32_e64 v1, v1, v4, s[2:3]
	;; [unrolled: 1-line block ×3, first 2 shown]
	v_mov_b32_dpp v5, v2 row_bcast:31 row_mask:0xf bank_mask:0xf bound_ctrl:1
	v_mov_b32_dpp v4, v1 row_bcast:31 row_mask:0xf bank_mask:0xf bound_ctrl:1
	v_and_b32_e32 v8, 1, v6
	v_cmp_lt_i64_e64 s[0:1], v[1:2], v[4:5]
	v_mov_b32_dpp v7, v6 row_bcast:31 row_mask:0xf bank_mask:0xf bound_ctrl:1
	v_cmp_eq_u32_e32 vcc, 1, v8
	v_mbcnt_lo_u32_b32 v3, -1, 0
	v_and_b32_e32 v7, 1, v7
	s_and_b64 vcc, vcc, s[0:1]
	v_mbcnt_hi_u32_b32 v3, -1, v3
	v_cmp_eq_u32_e64 s[2:3], 1, v7
	v_cndmask_b32_e32 v5, v5, v2, vcc
	v_cndmask_b32_e32 v4, v4, v1, vcc
	v_cndmask_b32_e64 v2, v2, v5, s[2:3]
	v_lshlrev_b32_e32 v5, 2, v3
	v_cndmask_b32_e64 v6, v6, 1, s[2:3]
	v_cndmask_b32_e64 v1, v1, v4, s[2:3]
	v_or_b32_e32 v4, 0xfc, v5
	ds_bpermute_b32 v7, v4, v6
	ds_bpermute_b32 v1, v4, v1
	;; [unrolled: 1-line block ×3, first 2 shown]
	v_cmp_eq_u32_e32 vcc, 0, v3
	s_and_saveexec_b64 s[0:1], vcc
	s_cbranch_execz .LBB496_298
; %bb.297:
	v_lshrrev_b32_e32 v4, 2, v0
	v_and_b32_e32 v4, 16, v4
	s_waitcnt lgkmcnt(2)
	ds_write_b8 v4, v7
	s_waitcnt lgkmcnt(1)
	ds_write_b64 v4, v[1:2] offset:8
.LBB496_298:
	s_or_b64 exec, exec, s[0:1]
	v_cmp_gt_u32_e32 vcc, 64, v0
	s_waitcnt lgkmcnt(0)
	s_barrier
	s_and_saveexec_b64 s[0:1], vcc
	s_cbranch_execz .LBB496_304
; %bb.299:
	v_and_b32_e32 v1, 1, v3
	v_lshlrev_b32_e32 v1, 4, v1
	ds_read_u8 v8, v1
	ds_read_b64 v[3:4], v1 offset:8
	v_or_b32_e32 v2, 4, v5
	s_waitcnt lgkmcnt(1)
	v_and_b32_e32 v1, 0xff, v8
	ds_bpermute_b32 v9, v2, v1
	s_waitcnt lgkmcnt(1)
	ds_bpermute_b32 v5, v2, v3
	ds_bpermute_b32 v6, v2, v4
	s_waitcnt lgkmcnt(2)
	v_and_b32_e32 v1, v8, v9
	v_and_b32_e32 v1, 1, v1
	v_cmp_eq_u32_e32 vcc, 1, v1
                                        ; implicit-def: $vgpr1_vgpr2
	s_and_saveexec_b64 s[2:3], vcc
	s_xor_b64 s[2:3], exec, s[2:3]
	s_cbranch_execz .LBB496_301
; %bb.300:
	s_waitcnt lgkmcnt(0)
	v_cmp_lt_i64_e32 vcc, v[5:6], v[3:4]
                                        ; implicit-def: $vgpr8
                                        ; implicit-def: $vgpr9
	v_cndmask_b32_e32 v2, v4, v6, vcc
	v_cndmask_b32_e32 v1, v3, v5, vcc
                                        ; implicit-def: $vgpr5_vgpr6
                                        ; implicit-def: $vgpr3_vgpr4
.LBB496_301:
	s_or_saveexec_b64 s[2:3], s[2:3]
	v_mov_b32_e32 v7, 1
	s_xor_b64 exec, exec, s[2:3]
	s_cbranch_execz .LBB496_303
; %bb.302:
	v_and_b32_e32 v1, 1, v8
	v_cmp_eq_u32_e32 vcc, 1, v1
	s_waitcnt lgkmcnt(0)
	v_cndmask_b32_e32 v2, v6, v4, vcc
	v_cndmask_b32_e32 v1, v5, v3, vcc
	v_cndmask_b32_e64 v7, v9, 1, vcc
.LBB496_303:
	s_or_b64 exec, exec, s[2:3]
.LBB496_304:
	s_or_b64 exec, exec, s[0:1]
	s_branch .LBB496_359
.LBB496_305:
                                        ; implicit-def: $vgpr3_vgpr4
                                        ; implicit-def: $vgpr5
                                        ; implicit-def: $vgpr1_vgpr2
.LBB496_306:
	s_and_saveexec_b64 s[0:1], s[14:15]
	s_cbranch_execz .LBB496_308
.LBB496_307:
	s_load_dwordx2 s[0:1], s[4:5], 0x38
	v_lshlrev_b64 v[0:1], 4, v[1:2]
	s_waitcnt lgkmcnt(0)
	v_mov_b32_e32 v2, s1
	v_add_co_u32_e32 v0, vcc, s0, v0
	v_addc_co_u32_e32 v1, vcc, v2, v1, vcc
	global_store_byte v[0:1], v5, off
	global_store_dwordx2 v[0:1], v[3:4], off offset:8
.LBB496_308:
	s_endpgm
.LBB496_309:
                                        ; implicit-def: $vgpr1_vgpr2
                                        ; implicit-def: $vgpr7
	s_cbranch_execz .LBB496_359
; %bb.310:
	s_sub_i32 s2, s22, s8
	v_mov_b32_e32 v1, 0
	v_cmp_gt_u32_e32 vcc, s2, v0
	v_mov_b32_e32 v2, 0
	v_mov_b32_e32 v9, 0
	s_and_saveexec_b64 s[0:1], vcc
	s_cbranch_execz .LBB496_312
; %bb.311:
	s_lshl_b64 s[10:11], s[8:9], 2
	s_add_u32 s12, s26, s10
	s_addc_u32 s13, s27, s11
	s_add_u32 s10, s24, s10
	s_addc_u32 s11, s25, s11
	v_lshlrev_b32_e32 v1, 2, v0
	s_waitcnt lgkmcnt(2)
	global_load_dword v3, v1, s[10:11]
	s_waitcnt lgkmcnt(0)
	global_load_dword v4, v1, s[12:13]
	s_add_u32 s3, s20, s8
	s_addc_u32 s8, s21, 0
	v_mov_b32_e32 v2, s8
	v_add_co_u32_e32 v1, vcc, s3, v0
	v_addc_co_u32_e32 v2, vcc, 0, v2, vcc
	s_waitcnt vmcnt(0)
	v_cmp_ne_u32_e32 vcc, v3, v4
	v_cndmask_b32_e64 v9, 0, 1, vcc
.LBB496_312:
	s_or_b64 exec, exec, s[0:1]
	s_waitcnt lgkmcnt(2)
	v_mbcnt_lo_u32_b32 v3, -1, 0
	s_waitcnt lgkmcnt(1)
	v_mbcnt_hi_u32_b32 v5, -1, v3
	s_waitcnt lgkmcnt(0)
	v_and_b32_e32 v6, 63, v5
	v_cmp_ne_u32_e32 vcc, 63, v6
	v_addc_co_u32_e32 v3, vcc, 0, v5, vcc
	v_and_b32_e32 v7, 0xffff, v9
	v_lshlrev_b32_e32 v4, 2, v3
	ds_bpermute_b32 v10, v4, v7
	ds_bpermute_b32 v3, v4, v1
	;; [unrolled: 1-line block ×3, first 2 shown]
	s_min_u32 s8, s2, 0x80
	v_and_b32_e32 v8, 64, v0
	v_sub_u32_e64 v8, s8, v8 clamp
	v_add_u32_e32 v11, 1, v6
	v_cmp_lt_u32_e32 vcc, v11, v8
	s_and_saveexec_b64 s[0:1], vcc
	s_cbranch_execz .LBB496_318
; %bb.313:
	s_waitcnt lgkmcnt(2)
	v_and_b32_e32 v7, v10, v7
	v_and_b32_e32 v7, 1, v7
	v_cmp_eq_u32_e32 vcc, 1, v7
	s_and_saveexec_b64 s[2:3], vcc
	s_xor_b64 s[2:3], exec, s[2:3]
	s_cbranch_execz .LBB496_315
; %bb.314:
	s_waitcnt lgkmcnt(0)
	v_cmp_lt_i64_e32 vcc, v[3:4], v[1:2]
                                        ; implicit-def: $vgpr9
                                        ; implicit-def: $vgpr10
	v_cndmask_b32_e32 v2, v2, v4, vcc
	v_cndmask_b32_e32 v1, v1, v3, vcc
                                        ; implicit-def: $vgpr3_vgpr4
.LBB496_315:
	s_or_saveexec_b64 s[2:3], s[2:3]
	v_mov_b32_e32 v7, 1
	s_xor_b64 exec, exec, s[2:3]
	s_cbranch_execz .LBB496_317
; %bb.316:
	v_and_b32_e32 v7, 1, v9
	v_cmp_eq_u32_e32 vcc, 1, v7
	s_waitcnt lgkmcnt(1)
	v_cndmask_b32_e32 v1, v3, v1, vcc
	v_and_b32_e32 v3, 0xff, v10
	s_waitcnt lgkmcnt(0)
	v_cndmask_b32_e32 v2, v4, v2, vcc
	v_cndmask_b32_e64 v7, v3, 1, vcc
.LBB496_317:
	s_or_b64 exec, exec, s[2:3]
.LBB496_318:
	s_or_b64 exec, exec, s[0:1]
	v_cmp_gt_u32_e32 vcc, 62, v6
	s_waitcnt lgkmcnt(1)
	v_cndmask_b32_e64 v3, 0, 2, vcc
	s_waitcnt lgkmcnt(0)
	v_add_lshl_u32 v4, v3, v5, 2
	ds_bpermute_b32 v9, v4, v7
	ds_bpermute_b32 v3, v4, v1
	ds_bpermute_b32 v4, v4, v2
	v_add_u32_e32 v10, 2, v6
	v_cmp_lt_u32_e32 vcc, v10, v8
	s_and_saveexec_b64 s[0:1], vcc
	s_cbranch_execz .LBB496_324
; %bb.319:
	s_waitcnt lgkmcnt(2)
	v_and_b32_e32 v10, v7, v9
	v_and_b32_e32 v10, 1, v10
	v_cmp_eq_u32_e32 vcc, 1, v10
	s_and_saveexec_b64 s[2:3], vcc
	s_xor_b64 s[2:3], exec, s[2:3]
	s_cbranch_execz .LBB496_321
; %bb.320:
	s_waitcnt lgkmcnt(0)
	v_cmp_lt_i64_e32 vcc, v[3:4], v[1:2]
                                        ; implicit-def: $vgpr7
                                        ; implicit-def: $vgpr9
	v_cndmask_b32_e32 v2, v2, v4, vcc
	v_cndmask_b32_e32 v1, v1, v3, vcc
                                        ; implicit-def: $vgpr3_vgpr4
.LBB496_321:
	s_or_saveexec_b64 s[2:3], s[2:3]
	v_mov_b32_e32 v10, 1
	s_xor_b64 exec, exec, s[2:3]
	s_cbranch_execz .LBB496_323
; %bb.322:
	v_and_b32_e32 v7, 1, v7
	v_cmp_eq_u32_e32 vcc, 1, v7
	s_waitcnt lgkmcnt(1)
	v_cndmask_b32_e32 v1, v3, v1, vcc
	v_and_b32_e32 v3, 0xff, v9
	s_waitcnt lgkmcnt(0)
	v_cndmask_b32_e32 v2, v4, v2, vcc
	v_cndmask_b32_e64 v10, v3, 1, vcc
.LBB496_323:
	s_or_b64 exec, exec, s[2:3]
	v_mov_b32_e32 v7, v10
.LBB496_324:
	s_or_b64 exec, exec, s[0:1]
	v_cmp_gt_u32_e32 vcc, 60, v6
	s_waitcnt lgkmcnt(1)
	v_cndmask_b32_e64 v3, 0, 4, vcc
	s_waitcnt lgkmcnt(0)
	v_add_lshl_u32 v4, v3, v5, 2
	ds_bpermute_b32 v9, v4, v7
	ds_bpermute_b32 v3, v4, v1
	ds_bpermute_b32 v4, v4, v2
	v_add_u32_e32 v10, 4, v6
	v_cmp_lt_u32_e32 vcc, v10, v8
	s_and_saveexec_b64 s[0:1], vcc
	s_cbranch_execz .LBB496_330
; %bb.325:
	s_waitcnt lgkmcnt(2)
	v_and_b32_e32 v10, v7, v9
	v_and_b32_e32 v10, 1, v10
	v_cmp_eq_u32_e32 vcc, 1, v10
	s_and_saveexec_b64 s[2:3], vcc
	s_xor_b64 s[2:3], exec, s[2:3]
	s_cbranch_execz .LBB496_327
; %bb.326:
	s_waitcnt lgkmcnt(0)
	v_cmp_lt_i64_e32 vcc, v[3:4], v[1:2]
                                        ; implicit-def: $vgpr7
                                        ; implicit-def: $vgpr9
	v_cndmask_b32_e32 v2, v2, v4, vcc
	v_cndmask_b32_e32 v1, v1, v3, vcc
                                        ; implicit-def: $vgpr3_vgpr4
.LBB496_327:
	s_or_saveexec_b64 s[2:3], s[2:3]
	v_mov_b32_e32 v10, 1
	s_xor_b64 exec, exec, s[2:3]
	s_cbranch_execz .LBB496_329
; %bb.328:
	v_and_b32_e32 v7, 1, v7
	v_cmp_eq_u32_e32 vcc, 1, v7
	s_waitcnt lgkmcnt(1)
	v_cndmask_b32_e32 v1, v3, v1, vcc
	v_and_b32_e32 v3, 0xff, v9
	s_waitcnt lgkmcnt(0)
	v_cndmask_b32_e32 v2, v4, v2, vcc
	v_cndmask_b32_e64 v10, v3, 1, vcc
.LBB496_329:
	s_or_b64 exec, exec, s[2:3]
	v_mov_b32_e32 v7, v10
.LBB496_330:
	;; [unrolled: 47-line block ×4, first 2 shown]
	s_or_b64 exec, exec, s[0:1]
	s_waitcnt lgkmcnt(2)
	v_lshlrev_b32_e32 v9, 2, v5
	s_waitcnt lgkmcnt(0)
	v_or_b32_e32 v4, 0x80, v9
	ds_bpermute_b32 v10, v4, v7
	ds_bpermute_b32 v3, v4, v1
	;; [unrolled: 1-line block ×3, first 2 shown]
	v_add_u32_e32 v6, 32, v6
	v_cmp_lt_u32_e32 vcc, v6, v8
	v_mov_b32_e32 v6, v7
	s_and_saveexec_b64 s[0:1], vcc
	s_cbranch_execz .LBB496_348
; %bb.343:
	s_waitcnt lgkmcnt(2)
	v_and_b32_e32 v6, v7, v10
	v_and_b32_e32 v6, 1, v6
	v_cmp_eq_u32_e32 vcc, 1, v6
	s_and_saveexec_b64 s[2:3], vcc
	s_xor_b64 s[2:3], exec, s[2:3]
	s_cbranch_execz .LBB496_345
; %bb.344:
	s_waitcnt lgkmcnt(0)
	v_cmp_lt_i64_e32 vcc, v[3:4], v[1:2]
                                        ; implicit-def: $vgpr7
                                        ; implicit-def: $vgpr10
	v_cndmask_b32_e32 v2, v2, v4, vcc
	v_cndmask_b32_e32 v1, v1, v3, vcc
                                        ; implicit-def: $vgpr3_vgpr4
.LBB496_345:
	s_or_saveexec_b64 s[2:3], s[2:3]
	v_mov_b32_e32 v6, 1
	s_xor_b64 exec, exec, s[2:3]
	s_cbranch_execz .LBB496_347
; %bb.346:
	v_and_b32_e32 v6, 1, v7
	v_cmp_eq_u32_e32 vcc, 1, v6
	v_cndmask_b32_e64 v6, v10, 1, vcc
	s_waitcnt lgkmcnt(0)
	v_cndmask_b32_e32 v2, v4, v2, vcc
	v_cndmask_b32_e32 v1, v3, v1, vcc
.LBB496_347:
	s_or_b64 exec, exec, s[2:3]
	v_and_b32_e32 v7, 0xff, v6
.LBB496_348:
	s_or_b64 exec, exec, s[0:1]
	v_cmp_eq_u32_e32 vcc, 0, v5
	s_and_saveexec_b64 s[0:1], vcc
	s_cbranch_execz .LBB496_350
; %bb.349:
	s_waitcnt lgkmcnt(1)
	v_lshrrev_b32_e32 v3, 2, v0
	v_and_b32_e32 v3, 16, v3
	ds_write_b8 v3, v6 offset:128
	ds_write_b64 v3, v[1:2] offset:136
.LBB496_350:
	s_or_b64 exec, exec, s[0:1]
	v_cmp_gt_u32_e32 vcc, 2, v0
	s_waitcnt lgkmcnt(0)
	s_barrier
	s_and_saveexec_b64 s[0:1], vcc
	s_cbranch_execz .LBB496_358
; %bb.351:
	v_lshlrev_b32_e32 v1, 4, v5
	ds_read_u8 v6, v1 offset:128
	ds_read_b64 v[1:2], v1 offset:136
	v_or_b32_e32 v4, 4, v9
	s_add_i32 s8, s8, 63
	v_and_b32_e32 v5, 1, v5
	s_waitcnt lgkmcnt(1)
	v_and_b32_e32 v7, 0xff, v6
	s_waitcnt lgkmcnt(0)
	ds_bpermute_b32 v3, v4, v1
	ds_bpermute_b32 v8, v4, v7
	ds_bpermute_b32 v4, v4, v2
	s_lshr_b32 s2, s8, 6
	v_add_u32_e32 v5, 1, v5
	v_cmp_gt_u32_e32 vcc, s2, v5
	s_and_saveexec_b64 s[2:3], vcc
	s_cbranch_execz .LBB496_357
; %bb.352:
	s_waitcnt lgkmcnt(1)
	v_and_b32_e32 v5, v7, v8
	v_and_b32_e32 v5, 1, v5
	v_cmp_eq_u32_e32 vcc, 1, v5
	s_and_saveexec_b64 s[8:9], vcc
	s_xor_b64 s[8:9], exec, s[8:9]
	s_cbranch_execz .LBB496_354
; %bb.353:
	s_waitcnt lgkmcnt(0)
	v_cmp_lt_i64_e32 vcc, v[3:4], v[1:2]
                                        ; implicit-def: $vgpr6
                                        ; implicit-def: $vgpr8
	v_cndmask_b32_e32 v2, v2, v4, vcc
	v_cndmask_b32_e32 v1, v1, v3, vcc
                                        ; implicit-def: $vgpr3_vgpr4
.LBB496_354:
	s_or_saveexec_b64 s[8:9], s[8:9]
	v_mov_b32_e32 v7, 1
	s_xor_b64 exec, exec, s[8:9]
	s_cbranch_execz .LBB496_356
; %bb.355:
	v_and_b32_e32 v5, 1, v6
	v_cmp_eq_u32_e32 vcc, 1, v5
	s_waitcnt lgkmcnt(0)
	v_cndmask_b32_e32 v2, v4, v2, vcc
	v_cndmask_b32_e32 v1, v3, v1, vcc
	v_cndmask_b32_e64 v7, v8, 1, vcc
.LBB496_356:
	s_or_b64 exec, exec, s[8:9]
.LBB496_357:
	s_or_b64 exec, exec, s[2:3]
.LBB496_358:
	s_or_b64 exec, exec, s[0:1]
.LBB496_359:
	v_cmp_eq_u32_e32 vcc, 0, v0
                                        ; implicit-def: $vgpr3_vgpr4
                                        ; implicit-def: $vgpr5
	s_and_saveexec_b64 s[8:9], vcc
	s_cbranch_execz .LBB496_363
; %bb.360:
	s_waitcnt lgkmcnt(0)
	v_mov_b32_e32 v3, s18
	s_cmp_eq_u64 s[22:23], 0
	v_mov_b32_e32 v4, s19
	v_mov_b32_e32 v5, s33
	s_cbranch_scc1 .LBB496_362
; %bb.361:
	v_and_b32_e32 v0, 1, v7
	v_cmp_gt_i64_e64 s[0:1], s[18:19], v[1:2]
	s_bitcmp1_b32 s33, 0
	v_cmp_eq_u32_e32 vcc, 1, v0
	s_cselect_b64 s[2:3], -1, 0
	v_mov_b32_e32 v0, s18
	s_and_b64 vcc, vcc, s[0:1]
	v_mov_b32_e32 v3, s19
	v_cndmask_b32_e32 v0, v0, v1, vcc
	v_cndmask_b32_e32 v3, v3, v2, vcc
	v_cndmask_b32_e64 v5, v7, 1, s[2:3]
	v_cndmask_b32_e64 v4, v2, v3, s[2:3]
	;; [unrolled: 1-line block ×3, first 2 shown]
.LBB496_362:
	s_or_b64 s[14:15], s[14:15], exec
.LBB496_363:
	s_or_b64 exec, exec, s[8:9]
	v_mov_b32_e32 v1, s6
	v_mov_b32_e32 v2, s7
	s_and_saveexec_b64 s[0:1], s[14:15]
	s_cbranch_execnz .LBB496_307
	s_branch .LBB496_308
	.section	.rodata,"a",@progbits
	.p2align	6, 0x0
	.amdhsa_kernel _ZN7rocprim17ROCPRIM_400000_NS6detail17trampoline_kernelINS0_14default_configENS1_22reduce_config_selectorIN6thrust23THRUST_200600_302600_NS5tupleIblNS6_9null_typeES8_S8_S8_S8_S8_S8_S8_EEEEZNS1_11reduce_implILb1ES3_NS6_12zip_iteratorINS7_INS6_11hip_rocprim26transform_input_iterator_tIbNSD_35transform_pair_of_input_iterators_tIbNS6_6detail15normal_iteratorINS6_10device_ptrIKjEEEESL_NS6_8equal_toIjEEEENSG_9not_fun_tINSD_8identityEEEEENSD_19counting_iterator_tIlEES8_S8_S8_S8_S8_S8_S8_S8_EEEEPS9_S9_NSD_9__find_if7functorIS9_EEEE10hipError_tPvRmT1_T2_T3_mT4_P12ihipStream_tbEUlT_E1_NS1_11comp_targetILNS1_3genE2ELNS1_11target_archE906ELNS1_3gpuE6ELNS1_3repE0EEENS1_30default_config_static_selectorELNS0_4arch9wavefront6targetE1EEEvS14_
		.amdhsa_group_segment_fixed_size 160
		.amdhsa_private_segment_fixed_size 0
		.amdhsa_kernarg_size 88
		.amdhsa_user_sgpr_count 6
		.amdhsa_user_sgpr_private_segment_buffer 1
		.amdhsa_user_sgpr_dispatch_ptr 0
		.amdhsa_user_sgpr_queue_ptr 0
		.amdhsa_user_sgpr_kernarg_segment_ptr 1
		.amdhsa_user_sgpr_dispatch_id 0
		.amdhsa_user_sgpr_flat_scratch_init 0
		.amdhsa_user_sgpr_private_segment_size 0
		.amdhsa_uses_dynamic_stack 0
		.amdhsa_system_sgpr_private_segment_wavefront_offset 0
		.amdhsa_system_sgpr_workgroup_id_x 1
		.amdhsa_system_sgpr_workgroup_id_y 0
		.amdhsa_system_sgpr_workgroup_id_z 0
		.amdhsa_system_sgpr_workgroup_info 0
		.amdhsa_system_vgpr_workitem_id 0
		.amdhsa_next_free_vgpr 27
		.amdhsa_next_free_sgpr 42
		.amdhsa_reserve_vcc 1
		.amdhsa_reserve_flat_scratch 0
		.amdhsa_float_round_mode_32 0
		.amdhsa_float_round_mode_16_64 0
		.amdhsa_float_denorm_mode_32 3
		.amdhsa_float_denorm_mode_16_64 3
		.amdhsa_dx10_clamp 1
		.amdhsa_ieee_mode 1
		.amdhsa_fp16_overflow 0
		.amdhsa_exception_fp_ieee_invalid_op 0
		.amdhsa_exception_fp_denorm_src 0
		.amdhsa_exception_fp_ieee_div_zero 0
		.amdhsa_exception_fp_ieee_overflow 0
		.amdhsa_exception_fp_ieee_underflow 0
		.amdhsa_exception_fp_ieee_inexact 0
		.amdhsa_exception_int_div_zero 0
	.end_amdhsa_kernel
	.section	.text._ZN7rocprim17ROCPRIM_400000_NS6detail17trampoline_kernelINS0_14default_configENS1_22reduce_config_selectorIN6thrust23THRUST_200600_302600_NS5tupleIblNS6_9null_typeES8_S8_S8_S8_S8_S8_S8_EEEEZNS1_11reduce_implILb1ES3_NS6_12zip_iteratorINS7_INS6_11hip_rocprim26transform_input_iterator_tIbNSD_35transform_pair_of_input_iterators_tIbNS6_6detail15normal_iteratorINS6_10device_ptrIKjEEEESL_NS6_8equal_toIjEEEENSG_9not_fun_tINSD_8identityEEEEENSD_19counting_iterator_tIlEES8_S8_S8_S8_S8_S8_S8_S8_EEEEPS9_S9_NSD_9__find_if7functorIS9_EEEE10hipError_tPvRmT1_T2_T3_mT4_P12ihipStream_tbEUlT_E1_NS1_11comp_targetILNS1_3genE2ELNS1_11target_archE906ELNS1_3gpuE6ELNS1_3repE0EEENS1_30default_config_static_selectorELNS0_4arch9wavefront6targetE1EEEvS14_,"axG",@progbits,_ZN7rocprim17ROCPRIM_400000_NS6detail17trampoline_kernelINS0_14default_configENS1_22reduce_config_selectorIN6thrust23THRUST_200600_302600_NS5tupleIblNS6_9null_typeES8_S8_S8_S8_S8_S8_S8_EEEEZNS1_11reduce_implILb1ES3_NS6_12zip_iteratorINS7_INS6_11hip_rocprim26transform_input_iterator_tIbNSD_35transform_pair_of_input_iterators_tIbNS6_6detail15normal_iteratorINS6_10device_ptrIKjEEEESL_NS6_8equal_toIjEEEENSG_9not_fun_tINSD_8identityEEEEENSD_19counting_iterator_tIlEES8_S8_S8_S8_S8_S8_S8_S8_EEEEPS9_S9_NSD_9__find_if7functorIS9_EEEE10hipError_tPvRmT1_T2_T3_mT4_P12ihipStream_tbEUlT_E1_NS1_11comp_targetILNS1_3genE2ELNS1_11target_archE906ELNS1_3gpuE6ELNS1_3repE0EEENS1_30default_config_static_selectorELNS0_4arch9wavefront6targetE1EEEvS14_,comdat
.Lfunc_end496:
	.size	_ZN7rocprim17ROCPRIM_400000_NS6detail17trampoline_kernelINS0_14default_configENS1_22reduce_config_selectorIN6thrust23THRUST_200600_302600_NS5tupleIblNS6_9null_typeES8_S8_S8_S8_S8_S8_S8_EEEEZNS1_11reduce_implILb1ES3_NS6_12zip_iteratorINS7_INS6_11hip_rocprim26transform_input_iterator_tIbNSD_35transform_pair_of_input_iterators_tIbNS6_6detail15normal_iteratorINS6_10device_ptrIKjEEEESL_NS6_8equal_toIjEEEENSG_9not_fun_tINSD_8identityEEEEENSD_19counting_iterator_tIlEES8_S8_S8_S8_S8_S8_S8_S8_EEEEPS9_S9_NSD_9__find_if7functorIS9_EEEE10hipError_tPvRmT1_T2_T3_mT4_P12ihipStream_tbEUlT_E1_NS1_11comp_targetILNS1_3genE2ELNS1_11target_archE906ELNS1_3gpuE6ELNS1_3repE0EEENS1_30default_config_static_selectorELNS0_4arch9wavefront6targetE1EEEvS14_, .Lfunc_end496-_ZN7rocprim17ROCPRIM_400000_NS6detail17trampoline_kernelINS0_14default_configENS1_22reduce_config_selectorIN6thrust23THRUST_200600_302600_NS5tupleIblNS6_9null_typeES8_S8_S8_S8_S8_S8_S8_EEEEZNS1_11reduce_implILb1ES3_NS6_12zip_iteratorINS7_INS6_11hip_rocprim26transform_input_iterator_tIbNSD_35transform_pair_of_input_iterators_tIbNS6_6detail15normal_iteratorINS6_10device_ptrIKjEEEESL_NS6_8equal_toIjEEEENSG_9not_fun_tINSD_8identityEEEEENSD_19counting_iterator_tIlEES8_S8_S8_S8_S8_S8_S8_S8_EEEEPS9_S9_NSD_9__find_if7functorIS9_EEEE10hipError_tPvRmT1_T2_T3_mT4_P12ihipStream_tbEUlT_E1_NS1_11comp_targetILNS1_3genE2ELNS1_11target_archE906ELNS1_3gpuE6ELNS1_3repE0EEENS1_30default_config_static_selectorELNS0_4arch9wavefront6targetE1EEEvS14_
                                        ; -- End function
	.set _ZN7rocprim17ROCPRIM_400000_NS6detail17trampoline_kernelINS0_14default_configENS1_22reduce_config_selectorIN6thrust23THRUST_200600_302600_NS5tupleIblNS6_9null_typeES8_S8_S8_S8_S8_S8_S8_EEEEZNS1_11reduce_implILb1ES3_NS6_12zip_iteratorINS7_INS6_11hip_rocprim26transform_input_iterator_tIbNSD_35transform_pair_of_input_iterators_tIbNS6_6detail15normal_iteratorINS6_10device_ptrIKjEEEESL_NS6_8equal_toIjEEEENSG_9not_fun_tINSD_8identityEEEEENSD_19counting_iterator_tIlEES8_S8_S8_S8_S8_S8_S8_S8_EEEEPS9_S9_NSD_9__find_if7functorIS9_EEEE10hipError_tPvRmT1_T2_T3_mT4_P12ihipStream_tbEUlT_E1_NS1_11comp_targetILNS1_3genE2ELNS1_11target_archE906ELNS1_3gpuE6ELNS1_3repE0EEENS1_30default_config_static_selectorELNS0_4arch9wavefront6targetE1EEEvS14_.num_vgpr, 27
	.set _ZN7rocprim17ROCPRIM_400000_NS6detail17trampoline_kernelINS0_14default_configENS1_22reduce_config_selectorIN6thrust23THRUST_200600_302600_NS5tupleIblNS6_9null_typeES8_S8_S8_S8_S8_S8_S8_EEEEZNS1_11reduce_implILb1ES3_NS6_12zip_iteratorINS7_INS6_11hip_rocprim26transform_input_iterator_tIbNSD_35transform_pair_of_input_iterators_tIbNS6_6detail15normal_iteratorINS6_10device_ptrIKjEEEESL_NS6_8equal_toIjEEEENSG_9not_fun_tINSD_8identityEEEEENSD_19counting_iterator_tIlEES8_S8_S8_S8_S8_S8_S8_S8_EEEEPS9_S9_NSD_9__find_if7functorIS9_EEEE10hipError_tPvRmT1_T2_T3_mT4_P12ihipStream_tbEUlT_E1_NS1_11comp_targetILNS1_3genE2ELNS1_11target_archE906ELNS1_3gpuE6ELNS1_3repE0EEENS1_30default_config_static_selectorELNS0_4arch9wavefront6targetE1EEEvS14_.num_agpr, 0
	.set _ZN7rocprim17ROCPRIM_400000_NS6detail17trampoline_kernelINS0_14default_configENS1_22reduce_config_selectorIN6thrust23THRUST_200600_302600_NS5tupleIblNS6_9null_typeES8_S8_S8_S8_S8_S8_S8_EEEEZNS1_11reduce_implILb1ES3_NS6_12zip_iteratorINS7_INS6_11hip_rocprim26transform_input_iterator_tIbNSD_35transform_pair_of_input_iterators_tIbNS6_6detail15normal_iteratorINS6_10device_ptrIKjEEEESL_NS6_8equal_toIjEEEENSG_9not_fun_tINSD_8identityEEEEENSD_19counting_iterator_tIlEES8_S8_S8_S8_S8_S8_S8_S8_EEEEPS9_S9_NSD_9__find_if7functorIS9_EEEE10hipError_tPvRmT1_T2_T3_mT4_P12ihipStream_tbEUlT_E1_NS1_11comp_targetILNS1_3genE2ELNS1_11target_archE906ELNS1_3gpuE6ELNS1_3repE0EEENS1_30default_config_static_selectorELNS0_4arch9wavefront6targetE1EEEvS14_.numbered_sgpr, 42
	.set _ZN7rocprim17ROCPRIM_400000_NS6detail17trampoline_kernelINS0_14default_configENS1_22reduce_config_selectorIN6thrust23THRUST_200600_302600_NS5tupleIblNS6_9null_typeES8_S8_S8_S8_S8_S8_S8_EEEEZNS1_11reduce_implILb1ES3_NS6_12zip_iteratorINS7_INS6_11hip_rocprim26transform_input_iterator_tIbNSD_35transform_pair_of_input_iterators_tIbNS6_6detail15normal_iteratorINS6_10device_ptrIKjEEEESL_NS6_8equal_toIjEEEENSG_9not_fun_tINSD_8identityEEEEENSD_19counting_iterator_tIlEES8_S8_S8_S8_S8_S8_S8_S8_EEEEPS9_S9_NSD_9__find_if7functorIS9_EEEE10hipError_tPvRmT1_T2_T3_mT4_P12ihipStream_tbEUlT_E1_NS1_11comp_targetILNS1_3genE2ELNS1_11target_archE906ELNS1_3gpuE6ELNS1_3repE0EEENS1_30default_config_static_selectorELNS0_4arch9wavefront6targetE1EEEvS14_.num_named_barrier, 0
	.set _ZN7rocprim17ROCPRIM_400000_NS6detail17trampoline_kernelINS0_14default_configENS1_22reduce_config_selectorIN6thrust23THRUST_200600_302600_NS5tupleIblNS6_9null_typeES8_S8_S8_S8_S8_S8_S8_EEEEZNS1_11reduce_implILb1ES3_NS6_12zip_iteratorINS7_INS6_11hip_rocprim26transform_input_iterator_tIbNSD_35transform_pair_of_input_iterators_tIbNS6_6detail15normal_iteratorINS6_10device_ptrIKjEEEESL_NS6_8equal_toIjEEEENSG_9not_fun_tINSD_8identityEEEEENSD_19counting_iterator_tIlEES8_S8_S8_S8_S8_S8_S8_S8_EEEEPS9_S9_NSD_9__find_if7functorIS9_EEEE10hipError_tPvRmT1_T2_T3_mT4_P12ihipStream_tbEUlT_E1_NS1_11comp_targetILNS1_3genE2ELNS1_11target_archE906ELNS1_3gpuE6ELNS1_3repE0EEENS1_30default_config_static_selectorELNS0_4arch9wavefront6targetE1EEEvS14_.private_seg_size, 0
	.set _ZN7rocprim17ROCPRIM_400000_NS6detail17trampoline_kernelINS0_14default_configENS1_22reduce_config_selectorIN6thrust23THRUST_200600_302600_NS5tupleIblNS6_9null_typeES8_S8_S8_S8_S8_S8_S8_EEEEZNS1_11reduce_implILb1ES3_NS6_12zip_iteratorINS7_INS6_11hip_rocprim26transform_input_iterator_tIbNSD_35transform_pair_of_input_iterators_tIbNS6_6detail15normal_iteratorINS6_10device_ptrIKjEEEESL_NS6_8equal_toIjEEEENSG_9not_fun_tINSD_8identityEEEEENSD_19counting_iterator_tIlEES8_S8_S8_S8_S8_S8_S8_S8_EEEEPS9_S9_NSD_9__find_if7functorIS9_EEEE10hipError_tPvRmT1_T2_T3_mT4_P12ihipStream_tbEUlT_E1_NS1_11comp_targetILNS1_3genE2ELNS1_11target_archE906ELNS1_3gpuE6ELNS1_3repE0EEENS1_30default_config_static_selectorELNS0_4arch9wavefront6targetE1EEEvS14_.uses_vcc, 1
	.set _ZN7rocprim17ROCPRIM_400000_NS6detail17trampoline_kernelINS0_14default_configENS1_22reduce_config_selectorIN6thrust23THRUST_200600_302600_NS5tupleIblNS6_9null_typeES8_S8_S8_S8_S8_S8_S8_EEEEZNS1_11reduce_implILb1ES3_NS6_12zip_iteratorINS7_INS6_11hip_rocprim26transform_input_iterator_tIbNSD_35transform_pair_of_input_iterators_tIbNS6_6detail15normal_iteratorINS6_10device_ptrIKjEEEESL_NS6_8equal_toIjEEEENSG_9not_fun_tINSD_8identityEEEEENSD_19counting_iterator_tIlEES8_S8_S8_S8_S8_S8_S8_S8_EEEEPS9_S9_NSD_9__find_if7functorIS9_EEEE10hipError_tPvRmT1_T2_T3_mT4_P12ihipStream_tbEUlT_E1_NS1_11comp_targetILNS1_3genE2ELNS1_11target_archE906ELNS1_3gpuE6ELNS1_3repE0EEENS1_30default_config_static_selectorELNS0_4arch9wavefront6targetE1EEEvS14_.uses_flat_scratch, 0
	.set _ZN7rocprim17ROCPRIM_400000_NS6detail17trampoline_kernelINS0_14default_configENS1_22reduce_config_selectorIN6thrust23THRUST_200600_302600_NS5tupleIblNS6_9null_typeES8_S8_S8_S8_S8_S8_S8_EEEEZNS1_11reduce_implILb1ES3_NS6_12zip_iteratorINS7_INS6_11hip_rocprim26transform_input_iterator_tIbNSD_35transform_pair_of_input_iterators_tIbNS6_6detail15normal_iteratorINS6_10device_ptrIKjEEEESL_NS6_8equal_toIjEEEENSG_9not_fun_tINSD_8identityEEEEENSD_19counting_iterator_tIlEES8_S8_S8_S8_S8_S8_S8_S8_EEEEPS9_S9_NSD_9__find_if7functorIS9_EEEE10hipError_tPvRmT1_T2_T3_mT4_P12ihipStream_tbEUlT_E1_NS1_11comp_targetILNS1_3genE2ELNS1_11target_archE906ELNS1_3gpuE6ELNS1_3repE0EEENS1_30default_config_static_selectorELNS0_4arch9wavefront6targetE1EEEvS14_.has_dyn_sized_stack, 0
	.set _ZN7rocprim17ROCPRIM_400000_NS6detail17trampoline_kernelINS0_14default_configENS1_22reduce_config_selectorIN6thrust23THRUST_200600_302600_NS5tupleIblNS6_9null_typeES8_S8_S8_S8_S8_S8_S8_EEEEZNS1_11reduce_implILb1ES3_NS6_12zip_iteratorINS7_INS6_11hip_rocprim26transform_input_iterator_tIbNSD_35transform_pair_of_input_iterators_tIbNS6_6detail15normal_iteratorINS6_10device_ptrIKjEEEESL_NS6_8equal_toIjEEEENSG_9not_fun_tINSD_8identityEEEEENSD_19counting_iterator_tIlEES8_S8_S8_S8_S8_S8_S8_S8_EEEEPS9_S9_NSD_9__find_if7functorIS9_EEEE10hipError_tPvRmT1_T2_T3_mT4_P12ihipStream_tbEUlT_E1_NS1_11comp_targetILNS1_3genE2ELNS1_11target_archE906ELNS1_3gpuE6ELNS1_3repE0EEENS1_30default_config_static_selectorELNS0_4arch9wavefront6targetE1EEEvS14_.has_recursion, 0
	.set _ZN7rocprim17ROCPRIM_400000_NS6detail17trampoline_kernelINS0_14default_configENS1_22reduce_config_selectorIN6thrust23THRUST_200600_302600_NS5tupleIblNS6_9null_typeES8_S8_S8_S8_S8_S8_S8_EEEEZNS1_11reduce_implILb1ES3_NS6_12zip_iteratorINS7_INS6_11hip_rocprim26transform_input_iterator_tIbNSD_35transform_pair_of_input_iterators_tIbNS6_6detail15normal_iteratorINS6_10device_ptrIKjEEEESL_NS6_8equal_toIjEEEENSG_9not_fun_tINSD_8identityEEEEENSD_19counting_iterator_tIlEES8_S8_S8_S8_S8_S8_S8_S8_EEEEPS9_S9_NSD_9__find_if7functorIS9_EEEE10hipError_tPvRmT1_T2_T3_mT4_P12ihipStream_tbEUlT_E1_NS1_11comp_targetILNS1_3genE2ELNS1_11target_archE906ELNS1_3gpuE6ELNS1_3repE0EEENS1_30default_config_static_selectorELNS0_4arch9wavefront6targetE1EEEvS14_.has_indirect_call, 0
	.section	.AMDGPU.csdata,"",@progbits
; Kernel info:
; codeLenInByte = 13144
; TotalNumSgprs: 46
; NumVgprs: 27
; ScratchSize: 0
; MemoryBound: 0
; FloatMode: 240
; IeeeMode: 1
; LDSByteSize: 160 bytes/workgroup (compile time only)
; SGPRBlocks: 5
; VGPRBlocks: 6
; NumSGPRsForWavesPerEU: 46
; NumVGPRsForWavesPerEU: 27
; Occupancy: 9
; WaveLimiterHint : 0
; COMPUTE_PGM_RSRC2:SCRATCH_EN: 0
; COMPUTE_PGM_RSRC2:USER_SGPR: 6
; COMPUTE_PGM_RSRC2:TRAP_HANDLER: 0
; COMPUTE_PGM_RSRC2:TGID_X_EN: 1
; COMPUTE_PGM_RSRC2:TGID_Y_EN: 0
; COMPUTE_PGM_RSRC2:TGID_Z_EN: 0
; COMPUTE_PGM_RSRC2:TIDIG_COMP_CNT: 0
	.section	.text._ZN7rocprim17ROCPRIM_400000_NS6detail17trampoline_kernelINS0_14default_configENS1_22reduce_config_selectorIN6thrust23THRUST_200600_302600_NS5tupleIblNS6_9null_typeES8_S8_S8_S8_S8_S8_S8_EEEEZNS1_11reduce_implILb1ES3_NS6_12zip_iteratorINS7_INS6_11hip_rocprim26transform_input_iterator_tIbNSD_35transform_pair_of_input_iterators_tIbNS6_6detail15normal_iteratorINS6_10device_ptrIKjEEEESL_NS6_8equal_toIjEEEENSG_9not_fun_tINSD_8identityEEEEENSD_19counting_iterator_tIlEES8_S8_S8_S8_S8_S8_S8_S8_EEEEPS9_S9_NSD_9__find_if7functorIS9_EEEE10hipError_tPvRmT1_T2_T3_mT4_P12ihipStream_tbEUlT_E1_NS1_11comp_targetILNS1_3genE10ELNS1_11target_archE1201ELNS1_3gpuE5ELNS1_3repE0EEENS1_30default_config_static_selectorELNS0_4arch9wavefront6targetE1EEEvS14_,"axG",@progbits,_ZN7rocprim17ROCPRIM_400000_NS6detail17trampoline_kernelINS0_14default_configENS1_22reduce_config_selectorIN6thrust23THRUST_200600_302600_NS5tupleIblNS6_9null_typeES8_S8_S8_S8_S8_S8_S8_EEEEZNS1_11reduce_implILb1ES3_NS6_12zip_iteratorINS7_INS6_11hip_rocprim26transform_input_iterator_tIbNSD_35transform_pair_of_input_iterators_tIbNS6_6detail15normal_iteratorINS6_10device_ptrIKjEEEESL_NS6_8equal_toIjEEEENSG_9not_fun_tINSD_8identityEEEEENSD_19counting_iterator_tIlEES8_S8_S8_S8_S8_S8_S8_S8_EEEEPS9_S9_NSD_9__find_if7functorIS9_EEEE10hipError_tPvRmT1_T2_T3_mT4_P12ihipStream_tbEUlT_E1_NS1_11comp_targetILNS1_3genE10ELNS1_11target_archE1201ELNS1_3gpuE5ELNS1_3repE0EEENS1_30default_config_static_selectorELNS0_4arch9wavefront6targetE1EEEvS14_,comdat
	.protected	_ZN7rocprim17ROCPRIM_400000_NS6detail17trampoline_kernelINS0_14default_configENS1_22reduce_config_selectorIN6thrust23THRUST_200600_302600_NS5tupleIblNS6_9null_typeES8_S8_S8_S8_S8_S8_S8_EEEEZNS1_11reduce_implILb1ES3_NS6_12zip_iteratorINS7_INS6_11hip_rocprim26transform_input_iterator_tIbNSD_35transform_pair_of_input_iterators_tIbNS6_6detail15normal_iteratorINS6_10device_ptrIKjEEEESL_NS6_8equal_toIjEEEENSG_9not_fun_tINSD_8identityEEEEENSD_19counting_iterator_tIlEES8_S8_S8_S8_S8_S8_S8_S8_EEEEPS9_S9_NSD_9__find_if7functorIS9_EEEE10hipError_tPvRmT1_T2_T3_mT4_P12ihipStream_tbEUlT_E1_NS1_11comp_targetILNS1_3genE10ELNS1_11target_archE1201ELNS1_3gpuE5ELNS1_3repE0EEENS1_30default_config_static_selectorELNS0_4arch9wavefront6targetE1EEEvS14_ ; -- Begin function _ZN7rocprim17ROCPRIM_400000_NS6detail17trampoline_kernelINS0_14default_configENS1_22reduce_config_selectorIN6thrust23THRUST_200600_302600_NS5tupleIblNS6_9null_typeES8_S8_S8_S8_S8_S8_S8_EEEEZNS1_11reduce_implILb1ES3_NS6_12zip_iteratorINS7_INS6_11hip_rocprim26transform_input_iterator_tIbNSD_35transform_pair_of_input_iterators_tIbNS6_6detail15normal_iteratorINS6_10device_ptrIKjEEEESL_NS6_8equal_toIjEEEENSG_9not_fun_tINSD_8identityEEEEENSD_19counting_iterator_tIlEES8_S8_S8_S8_S8_S8_S8_S8_EEEEPS9_S9_NSD_9__find_if7functorIS9_EEEE10hipError_tPvRmT1_T2_T3_mT4_P12ihipStream_tbEUlT_E1_NS1_11comp_targetILNS1_3genE10ELNS1_11target_archE1201ELNS1_3gpuE5ELNS1_3repE0EEENS1_30default_config_static_selectorELNS0_4arch9wavefront6targetE1EEEvS14_
	.globl	_ZN7rocprim17ROCPRIM_400000_NS6detail17trampoline_kernelINS0_14default_configENS1_22reduce_config_selectorIN6thrust23THRUST_200600_302600_NS5tupleIblNS6_9null_typeES8_S8_S8_S8_S8_S8_S8_EEEEZNS1_11reduce_implILb1ES3_NS6_12zip_iteratorINS7_INS6_11hip_rocprim26transform_input_iterator_tIbNSD_35transform_pair_of_input_iterators_tIbNS6_6detail15normal_iteratorINS6_10device_ptrIKjEEEESL_NS6_8equal_toIjEEEENSG_9not_fun_tINSD_8identityEEEEENSD_19counting_iterator_tIlEES8_S8_S8_S8_S8_S8_S8_S8_EEEEPS9_S9_NSD_9__find_if7functorIS9_EEEE10hipError_tPvRmT1_T2_T3_mT4_P12ihipStream_tbEUlT_E1_NS1_11comp_targetILNS1_3genE10ELNS1_11target_archE1201ELNS1_3gpuE5ELNS1_3repE0EEENS1_30default_config_static_selectorELNS0_4arch9wavefront6targetE1EEEvS14_
	.p2align	8
	.type	_ZN7rocprim17ROCPRIM_400000_NS6detail17trampoline_kernelINS0_14default_configENS1_22reduce_config_selectorIN6thrust23THRUST_200600_302600_NS5tupleIblNS6_9null_typeES8_S8_S8_S8_S8_S8_S8_EEEEZNS1_11reduce_implILb1ES3_NS6_12zip_iteratorINS7_INS6_11hip_rocprim26transform_input_iterator_tIbNSD_35transform_pair_of_input_iterators_tIbNS6_6detail15normal_iteratorINS6_10device_ptrIKjEEEESL_NS6_8equal_toIjEEEENSG_9not_fun_tINSD_8identityEEEEENSD_19counting_iterator_tIlEES8_S8_S8_S8_S8_S8_S8_S8_EEEEPS9_S9_NSD_9__find_if7functorIS9_EEEE10hipError_tPvRmT1_T2_T3_mT4_P12ihipStream_tbEUlT_E1_NS1_11comp_targetILNS1_3genE10ELNS1_11target_archE1201ELNS1_3gpuE5ELNS1_3repE0EEENS1_30default_config_static_selectorELNS0_4arch9wavefront6targetE1EEEvS14_,@function
_ZN7rocprim17ROCPRIM_400000_NS6detail17trampoline_kernelINS0_14default_configENS1_22reduce_config_selectorIN6thrust23THRUST_200600_302600_NS5tupleIblNS6_9null_typeES8_S8_S8_S8_S8_S8_S8_EEEEZNS1_11reduce_implILb1ES3_NS6_12zip_iteratorINS7_INS6_11hip_rocprim26transform_input_iterator_tIbNSD_35transform_pair_of_input_iterators_tIbNS6_6detail15normal_iteratorINS6_10device_ptrIKjEEEESL_NS6_8equal_toIjEEEENSG_9not_fun_tINSD_8identityEEEEENSD_19counting_iterator_tIlEES8_S8_S8_S8_S8_S8_S8_S8_EEEEPS9_S9_NSD_9__find_if7functorIS9_EEEE10hipError_tPvRmT1_T2_T3_mT4_P12ihipStream_tbEUlT_E1_NS1_11comp_targetILNS1_3genE10ELNS1_11target_archE1201ELNS1_3gpuE5ELNS1_3repE0EEENS1_30default_config_static_selectorELNS0_4arch9wavefront6targetE1EEEvS14_: ; @_ZN7rocprim17ROCPRIM_400000_NS6detail17trampoline_kernelINS0_14default_configENS1_22reduce_config_selectorIN6thrust23THRUST_200600_302600_NS5tupleIblNS6_9null_typeES8_S8_S8_S8_S8_S8_S8_EEEEZNS1_11reduce_implILb1ES3_NS6_12zip_iteratorINS7_INS6_11hip_rocprim26transform_input_iterator_tIbNSD_35transform_pair_of_input_iterators_tIbNS6_6detail15normal_iteratorINS6_10device_ptrIKjEEEESL_NS6_8equal_toIjEEEENSG_9not_fun_tINSD_8identityEEEEENSD_19counting_iterator_tIlEES8_S8_S8_S8_S8_S8_S8_S8_EEEEPS9_S9_NSD_9__find_if7functorIS9_EEEE10hipError_tPvRmT1_T2_T3_mT4_P12ihipStream_tbEUlT_E1_NS1_11comp_targetILNS1_3genE10ELNS1_11target_archE1201ELNS1_3gpuE5ELNS1_3repE0EEENS1_30default_config_static_selectorELNS0_4arch9wavefront6targetE1EEEvS14_
; %bb.0:
	.section	.rodata,"a",@progbits
	.p2align	6, 0x0
	.amdhsa_kernel _ZN7rocprim17ROCPRIM_400000_NS6detail17trampoline_kernelINS0_14default_configENS1_22reduce_config_selectorIN6thrust23THRUST_200600_302600_NS5tupleIblNS6_9null_typeES8_S8_S8_S8_S8_S8_S8_EEEEZNS1_11reduce_implILb1ES3_NS6_12zip_iteratorINS7_INS6_11hip_rocprim26transform_input_iterator_tIbNSD_35transform_pair_of_input_iterators_tIbNS6_6detail15normal_iteratorINS6_10device_ptrIKjEEEESL_NS6_8equal_toIjEEEENSG_9not_fun_tINSD_8identityEEEEENSD_19counting_iterator_tIlEES8_S8_S8_S8_S8_S8_S8_S8_EEEEPS9_S9_NSD_9__find_if7functorIS9_EEEE10hipError_tPvRmT1_T2_T3_mT4_P12ihipStream_tbEUlT_E1_NS1_11comp_targetILNS1_3genE10ELNS1_11target_archE1201ELNS1_3gpuE5ELNS1_3repE0EEENS1_30default_config_static_selectorELNS0_4arch9wavefront6targetE1EEEvS14_
		.amdhsa_group_segment_fixed_size 0
		.amdhsa_private_segment_fixed_size 0
		.amdhsa_kernarg_size 88
		.amdhsa_user_sgpr_count 6
		.amdhsa_user_sgpr_private_segment_buffer 1
		.amdhsa_user_sgpr_dispatch_ptr 0
		.amdhsa_user_sgpr_queue_ptr 0
		.amdhsa_user_sgpr_kernarg_segment_ptr 1
		.amdhsa_user_sgpr_dispatch_id 0
		.amdhsa_user_sgpr_flat_scratch_init 0
		.amdhsa_user_sgpr_private_segment_size 0
		.amdhsa_uses_dynamic_stack 0
		.amdhsa_system_sgpr_private_segment_wavefront_offset 0
		.amdhsa_system_sgpr_workgroup_id_x 1
		.amdhsa_system_sgpr_workgroup_id_y 0
		.amdhsa_system_sgpr_workgroup_id_z 0
		.amdhsa_system_sgpr_workgroup_info 0
		.amdhsa_system_vgpr_workitem_id 0
		.amdhsa_next_free_vgpr 1
		.amdhsa_next_free_sgpr 0
		.amdhsa_reserve_vcc 0
		.amdhsa_reserve_flat_scratch 0
		.amdhsa_float_round_mode_32 0
		.amdhsa_float_round_mode_16_64 0
		.amdhsa_float_denorm_mode_32 3
		.amdhsa_float_denorm_mode_16_64 3
		.amdhsa_dx10_clamp 1
		.amdhsa_ieee_mode 1
		.amdhsa_fp16_overflow 0
		.amdhsa_exception_fp_ieee_invalid_op 0
		.amdhsa_exception_fp_denorm_src 0
		.amdhsa_exception_fp_ieee_div_zero 0
		.amdhsa_exception_fp_ieee_overflow 0
		.amdhsa_exception_fp_ieee_underflow 0
		.amdhsa_exception_fp_ieee_inexact 0
		.amdhsa_exception_int_div_zero 0
	.end_amdhsa_kernel
	.section	.text._ZN7rocprim17ROCPRIM_400000_NS6detail17trampoline_kernelINS0_14default_configENS1_22reduce_config_selectorIN6thrust23THRUST_200600_302600_NS5tupleIblNS6_9null_typeES8_S8_S8_S8_S8_S8_S8_EEEEZNS1_11reduce_implILb1ES3_NS6_12zip_iteratorINS7_INS6_11hip_rocprim26transform_input_iterator_tIbNSD_35transform_pair_of_input_iterators_tIbNS6_6detail15normal_iteratorINS6_10device_ptrIKjEEEESL_NS6_8equal_toIjEEEENSG_9not_fun_tINSD_8identityEEEEENSD_19counting_iterator_tIlEES8_S8_S8_S8_S8_S8_S8_S8_EEEEPS9_S9_NSD_9__find_if7functorIS9_EEEE10hipError_tPvRmT1_T2_T3_mT4_P12ihipStream_tbEUlT_E1_NS1_11comp_targetILNS1_3genE10ELNS1_11target_archE1201ELNS1_3gpuE5ELNS1_3repE0EEENS1_30default_config_static_selectorELNS0_4arch9wavefront6targetE1EEEvS14_,"axG",@progbits,_ZN7rocprim17ROCPRIM_400000_NS6detail17trampoline_kernelINS0_14default_configENS1_22reduce_config_selectorIN6thrust23THRUST_200600_302600_NS5tupleIblNS6_9null_typeES8_S8_S8_S8_S8_S8_S8_EEEEZNS1_11reduce_implILb1ES3_NS6_12zip_iteratorINS7_INS6_11hip_rocprim26transform_input_iterator_tIbNSD_35transform_pair_of_input_iterators_tIbNS6_6detail15normal_iteratorINS6_10device_ptrIKjEEEESL_NS6_8equal_toIjEEEENSG_9not_fun_tINSD_8identityEEEEENSD_19counting_iterator_tIlEES8_S8_S8_S8_S8_S8_S8_S8_EEEEPS9_S9_NSD_9__find_if7functorIS9_EEEE10hipError_tPvRmT1_T2_T3_mT4_P12ihipStream_tbEUlT_E1_NS1_11comp_targetILNS1_3genE10ELNS1_11target_archE1201ELNS1_3gpuE5ELNS1_3repE0EEENS1_30default_config_static_selectorELNS0_4arch9wavefront6targetE1EEEvS14_,comdat
.Lfunc_end497:
	.size	_ZN7rocprim17ROCPRIM_400000_NS6detail17trampoline_kernelINS0_14default_configENS1_22reduce_config_selectorIN6thrust23THRUST_200600_302600_NS5tupleIblNS6_9null_typeES8_S8_S8_S8_S8_S8_S8_EEEEZNS1_11reduce_implILb1ES3_NS6_12zip_iteratorINS7_INS6_11hip_rocprim26transform_input_iterator_tIbNSD_35transform_pair_of_input_iterators_tIbNS6_6detail15normal_iteratorINS6_10device_ptrIKjEEEESL_NS6_8equal_toIjEEEENSG_9not_fun_tINSD_8identityEEEEENSD_19counting_iterator_tIlEES8_S8_S8_S8_S8_S8_S8_S8_EEEEPS9_S9_NSD_9__find_if7functorIS9_EEEE10hipError_tPvRmT1_T2_T3_mT4_P12ihipStream_tbEUlT_E1_NS1_11comp_targetILNS1_3genE10ELNS1_11target_archE1201ELNS1_3gpuE5ELNS1_3repE0EEENS1_30default_config_static_selectorELNS0_4arch9wavefront6targetE1EEEvS14_, .Lfunc_end497-_ZN7rocprim17ROCPRIM_400000_NS6detail17trampoline_kernelINS0_14default_configENS1_22reduce_config_selectorIN6thrust23THRUST_200600_302600_NS5tupleIblNS6_9null_typeES8_S8_S8_S8_S8_S8_S8_EEEEZNS1_11reduce_implILb1ES3_NS6_12zip_iteratorINS7_INS6_11hip_rocprim26transform_input_iterator_tIbNSD_35transform_pair_of_input_iterators_tIbNS6_6detail15normal_iteratorINS6_10device_ptrIKjEEEESL_NS6_8equal_toIjEEEENSG_9not_fun_tINSD_8identityEEEEENSD_19counting_iterator_tIlEES8_S8_S8_S8_S8_S8_S8_S8_EEEEPS9_S9_NSD_9__find_if7functorIS9_EEEE10hipError_tPvRmT1_T2_T3_mT4_P12ihipStream_tbEUlT_E1_NS1_11comp_targetILNS1_3genE10ELNS1_11target_archE1201ELNS1_3gpuE5ELNS1_3repE0EEENS1_30default_config_static_selectorELNS0_4arch9wavefront6targetE1EEEvS14_
                                        ; -- End function
	.set _ZN7rocprim17ROCPRIM_400000_NS6detail17trampoline_kernelINS0_14default_configENS1_22reduce_config_selectorIN6thrust23THRUST_200600_302600_NS5tupleIblNS6_9null_typeES8_S8_S8_S8_S8_S8_S8_EEEEZNS1_11reduce_implILb1ES3_NS6_12zip_iteratorINS7_INS6_11hip_rocprim26transform_input_iterator_tIbNSD_35transform_pair_of_input_iterators_tIbNS6_6detail15normal_iteratorINS6_10device_ptrIKjEEEESL_NS6_8equal_toIjEEEENSG_9not_fun_tINSD_8identityEEEEENSD_19counting_iterator_tIlEES8_S8_S8_S8_S8_S8_S8_S8_EEEEPS9_S9_NSD_9__find_if7functorIS9_EEEE10hipError_tPvRmT1_T2_T3_mT4_P12ihipStream_tbEUlT_E1_NS1_11comp_targetILNS1_3genE10ELNS1_11target_archE1201ELNS1_3gpuE5ELNS1_3repE0EEENS1_30default_config_static_selectorELNS0_4arch9wavefront6targetE1EEEvS14_.num_vgpr, 0
	.set _ZN7rocprim17ROCPRIM_400000_NS6detail17trampoline_kernelINS0_14default_configENS1_22reduce_config_selectorIN6thrust23THRUST_200600_302600_NS5tupleIblNS6_9null_typeES8_S8_S8_S8_S8_S8_S8_EEEEZNS1_11reduce_implILb1ES3_NS6_12zip_iteratorINS7_INS6_11hip_rocprim26transform_input_iterator_tIbNSD_35transform_pair_of_input_iterators_tIbNS6_6detail15normal_iteratorINS6_10device_ptrIKjEEEESL_NS6_8equal_toIjEEEENSG_9not_fun_tINSD_8identityEEEEENSD_19counting_iterator_tIlEES8_S8_S8_S8_S8_S8_S8_S8_EEEEPS9_S9_NSD_9__find_if7functorIS9_EEEE10hipError_tPvRmT1_T2_T3_mT4_P12ihipStream_tbEUlT_E1_NS1_11comp_targetILNS1_3genE10ELNS1_11target_archE1201ELNS1_3gpuE5ELNS1_3repE0EEENS1_30default_config_static_selectorELNS0_4arch9wavefront6targetE1EEEvS14_.num_agpr, 0
	.set _ZN7rocprim17ROCPRIM_400000_NS6detail17trampoline_kernelINS0_14default_configENS1_22reduce_config_selectorIN6thrust23THRUST_200600_302600_NS5tupleIblNS6_9null_typeES8_S8_S8_S8_S8_S8_S8_EEEEZNS1_11reduce_implILb1ES3_NS6_12zip_iteratorINS7_INS6_11hip_rocprim26transform_input_iterator_tIbNSD_35transform_pair_of_input_iterators_tIbNS6_6detail15normal_iteratorINS6_10device_ptrIKjEEEESL_NS6_8equal_toIjEEEENSG_9not_fun_tINSD_8identityEEEEENSD_19counting_iterator_tIlEES8_S8_S8_S8_S8_S8_S8_S8_EEEEPS9_S9_NSD_9__find_if7functorIS9_EEEE10hipError_tPvRmT1_T2_T3_mT4_P12ihipStream_tbEUlT_E1_NS1_11comp_targetILNS1_3genE10ELNS1_11target_archE1201ELNS1_3gpuE5ELNS1_3repE0EEENS1_30default_config_static_selectorELNS0_4arch9wavefront6targetE1EEEvS14_.numbered_sgpr, 0
	.set _ZN7rocprim17ROCPRIM_400000_NS6detail17trampoline_kernelINS0_14default_configENS1_22reduce_config_selectorIN6thrust23THRUST_200600_302600_NS5tupleIblNS6_9null_typeES8_S8_S8_S8_S8_S8_S8_EEEEZNS1_11reduce_implILb1ES3_NS6_12zip_iteratorINS7_INS6_11hip_rocprim26transform_input_iterator_tIbNSD_35transform_pair_of_input_iterators_tIbNS6_6detail15normal_iteratorINS6_10device_ptrIKjEEEESL_NS6_8equal_toIjEEEENSG_9not_fun_tINSD_8identityEEEEENSD_19counting_iterator_tIlEES8_S8_S8_S8_S8_S8_S8_S8_EEEEPS9_S9_NSD_9__find_if7functorIS9_EEEE10hipError_tPvRmT1_T2_T3_mT4_P12ihipStream_tbEUlT_E1_NS1_11comp_targetILNS1_3genE10ELNS1_11target_archE1201ELNS1_3gpuE5ELNS1_3repE0EEENS1_30default_config_static_selectorELNS0_4arch9wavefront6targetE1EEEvS14_.num_named_barrier, 0
	.set _ZN7rocprim17ROCPRIM_400000_NS6detail17trampoline_kernelINS0_14default_configENS1_22reduce_config_selectorIN6thrust23THRUST_200600_302600_NS5tupleIblNS6_9null_typeES8_S8_S8_S8_S8_S8_S8_EEEEZNS1_11reduce_implILb1ES3_NS6_12zip_iteratorINS7_INS6_11hip_rocprim26transform_input_iterator_tIbNSD_35transform_pair_of_input_iterators_tIbNS6_6detail15normal_iteratorINS6_10device_ptrIKjEEEESL_NS6_8equal_toIjEEEENSG_9not_fun_tINSD_8identityEEEEENSD_19counting_iterator_tIlEES8_S8_S8_S8_S8_S8_S8_S8_EEEEPS9_S9_NSD_9__find_if7functorIS9_EEEE10hipError_tPvRmT1_T2_T3_mT4_P12ihipStream_tbEUlT_E1_NS1_11comp_targetILNS1_3genE10ELNS1_11target_archE1201ELNS1_3gpuE5ELNS1_3repE0EEENS1_30default_config_static_selectorELNS0_4arch9wavefront6targetE1EEEvS14_.private_seg_size, 0
	.set _ZN7rocprim17ROCPRIM_400000_NS6detail17trampoline_kernelINS0_14default_configENS1_22reduce_config_selectorIN6thrust23THRUST_200600_302600_NS5tupleIblNS6_9null_typeES8_S8_S8_S8_S8_S8_S8_EEEEZNS1_11reduce_implILb1ES3_NS6_12zip_iteratorINS7_INS6_11hip_rocprim26transform_input_iterator_tIbNSD_35transform_pair_of_input_iterators_tIbNS6_6detail15normal_iteratorINS6_10device_ptrIKjEEEESL_NS6_8equal_toIjEEEENSG_9not_fun_tINSD_8identityEEEEENSD_19counting_iterator_tIlEES8_S8_S8_S8_S8_S8_S8_S8_EEEEPS9_S9_NSD_9__find_if7functorIS9_EEEE10hipError_tPvRmT1_T2_T3_mT4_P12ihipStream_tbEUlT_E1_NS1_11comp_targetILNS1_3genE10ELNS1_11target_archE1201ELNS1_3gpuE5ELNS1_3repE0EEENS1_30default_config_static_selectorELNS0_4arch9wavefront6targetE1EEEvS14_.uses_vcc, 0
	.set _ZN7rocprim17ROCPRIM_400000_NS6detail17trampoline_kernelINS0_14default_configENS1_22reduce_config_selectorIN6thrust23THRUST_200600_302600_NS5tupleIblNS6_9null_typeES8_S8_S8_S8_S8_S8_S8_EEEEZNS1_11reduce_implILb1ES3_NS6_12zip_iteratorINS7_INS6_11hip_rocprim26transform_input_iterator_tIbNSD_35transform_pair_of_input_iterators_tIbNS6_6detail15normal_iteratorINS6_10device_ptrIKjEEEESL_NS6_8equal_toIjEEEENSG_9not_fun_tINSD_8identityEEEEENSD_19counting_iterator_tIlEES8_S8_S8_S8_S8_S8_S8_S8_EEEEPS9_S9_NSD_9__find_if7functorIS9_EEEE10hipError_tPvRmT1_T2_T3_mT4_P12ihipStream_tbEUlT_E1_NS1_11comp_targetILNS1_3genE10ELNS1_11target_archE1201ELNS1_3gpuE5ELNS1_3repE0EEENS1_30default_config_static_selectorELNS0_4arch9wavefront6targetE1EEEvS14_.uses_flat_scratch, 0
	.set _ZN7rocprim17ROCPRIM_400000_NS6detail17trampoline_kernelINS0_14default_configENS1_22reduce_config_selectorIN6thrust23THRUST_200600_302600_NS5tupleIblNS6_9null_typeES8_S8_S8_S8_S8_S8_S8_EEEEZNS1_11reduce_implILb1ES3_NS6_12zip_iteratorINS7_INS6_11hip_rocprim26transform_input_iterator_tIbNSD_35transform_pair_of_input_iterators_tIbNS6_6detail15normal_iteratorINS6_10device_ptrIKjEEEESL_NS6_8equal_toIjEEEENSG_9not_fun_tINSD_8identityEEEEENSD_19counting_iterator_tIlEES8_S8_S8_S8_S8_S8_S8_S8_EEEEPS9_S9_NSD_9__find_if7functorIS9_EEEE10hipError_tPvRmT1_T2_T3_mT4_P12ihipStream_tbEUlT_E1_NS1_11comp_targetILNS1_3genE10ELNS1_11target_archE1201ELNS1_3gpuE5ELNS1_3repE0EEENS1_30default_config_static_selectorELNS0_4arch9wavefront6targetE1EEEvS14_.has_dyn_sized_stack, 0
	.set _ZN7rocprim17ROCPRIM_400000_NS6detail17trampoline_kernelINS0_14default_configENS1_22reduce_config_selectorIN6thrust23THRUST_200600_302600_NS5tupleIblNS6_9null_typeES8_S8_S8_S8_S8_S8_S8_EEEEZNS1_11reduce_implILb1ES3_NS6_12zip_iteratorINS7_INS6_11hip_rocprim26transform_input_iterator_tIbNSD_35transform_pair_of_input_iterators_tIbNS6_6detail15normal_iteratorINS6_10device_ptrIKjEEEESL_NS6_8equal_toIjEEEENSG_9not_fun_tINSD_8identityEEEEENSD_19counting_iterator_tIlEES8_S8_S8_S8_S8_S8_S8_S8_EEEEPS9_S9_NSD_9__find_if7functorIS9_EEEE10hipError_tPvRmT1_T2_T3_mT4_P12ihipStream_tbEUlT_E1_NS1_11comp_targetILNS1_3genE10ELNS1_11target_archE1201ELNS1_3gpuE5ELNS1_3repE0EEENS1_30default_config_static_selectorELNS0_4arch9wavefront6targetE1EEEvS14_.has_recursion, 0
	.set _ZN7rocprim17ROCPRIM_400000_NS6detail17trampoline_kernelINS0_14default_configENS1_22reduce_config_selectorIN6thrust23THRUST_200600_302600_NS5tupleIblNS6_9null_typeES8_S8_S8_S8_S8_S8_S8_EEEEZNS1_11reduce_implILb1ES3_NS6_12zip_iteratorINS7_INS6_11hip_rocprim26transform_input_iterator_tIbNSD_35transform_pair_of_input_iterators_tIbNS6_6detail15normal_iteratorINS6_10device_ptrIKjEEEESL_NS6_8equal_toIjEEEENSG_9not_fun_tINSD_8identityEEEEENSD_19counting_iterator_tIlEES8_S8_S8_S8_S8_S8_S8_S8_EEEEPS9_S9_NSD_9__find_if7functorIS9_EEEE10hipError_tPvRmT1_T2_T3_mT4_P12ihipStream_tbEUlT_E1_NS1_11comp_targetILNS1_3genE10ELNS1_11target_archE1201ELNS1_3gpuE5ELNS1_3repE0EEENS1_30default_config_static_selectorELNS0_4arch9wavefront6targetE1EEEvS14_.has_indirect_call, 0
	.section	.AMDGPU.csdata,"",@progbits
; Kernel info:
; codeLenInByte = 0
; TotalNumSgprs: 4
; NumVgprs: 0
; ScratchSize: 0
; MemoryBound: 0
; FloatMode: 240
; IeeeMode: 1
; LDSByteSize: 0 bytes/workgroup (compile time only)
; SGPRBlocks: 0
; VGPRBlocks: 0
; NumSGPRsForWavesPerEU: 4
; NumVGPRsForWavesPerEU: 1
; Occupancy: 10
; WaveLimiterHint : 0
; COMPUTE_PGM_RSRC2:SCRATCH_EN: 0
; COMPUTE_PGM_RSRC2:USER_SGPR: 6
; COMPUTE_PGM_RSRC2:TRAP_HANDLER: 0
; COMPUTE_PGM_RSRC2:TGID_X_EN: 1
; COMPUTE_PGM_RSRC2:TGID_Y_EN: 0
; COMPUTE_PGM_RSRC2:TGID_Z_EN: 0
; COMPUTE_PGM_RSRC2:TIDIG_COMP_CNT: 0
	.section	.text._ZN7rocprim17ROCPRIM_400000_NS6detail17trampoline_kernelINS0_14default_configENS1_22reduce_config_selectorIN6thrust23THRUST_200600_302600_NS5tupleIblNS6_9null_typeES8_S8_S8_S8_S8_S8_S8_EEEEZNS1_11reduce_implILb1ES3_NS6_12zip_iteratorINS7_INS6_11hip_rocprim26transform_input_iterator_tIbNSD_35transform_pair_of_input_iterators_tIbNS6_6detail15normal_iteratorINS6_10device_ptrIKjEEEESL_NS6_8equal_toIjEEEENSG_9not_fun_tINSD_8identityEEEEENSD_19counting_iterator_tIlEES8_S8_S8_S8_S8_S8_S8_S8_EEEEPS9_S9_NSD_9__find_if7functorIS9_EEEE10hipError_tPvRmT1_T2_T3_mT4_P12ihipStream_tbEUlT_E1_NS1_11comp_targetILNS1_3genE10ELNS1_11target_archE1200ELNS1_3gpuE4ELNS1_3repE0EEENS1_30default_config_static_selectorELNS0_4arch9wavefront6targetE1EEEvS14_,"axG",@progbits,_ZN7rocprim17ROCPRIM_400000_NS6detail17trampoline_kernelINS0_14default_configENS1_22reduce_config_selectorIN6thrust23THRUST_200600_302600_NS5tupleIblNS6_9null_typeES8_S8_S8_S8_S8_S8_S8_EEEEZNS1_11reduce_implILb1ES3_NS6_12zip_iteratorINS7_INS6_11hip_rocprim26transform_input_iterator_tIbNSD_35transform_pair_of_input_iterators_tIbNS6_6detail15normal_iteratorINS6_10device_ptrIKjEEEESL_NS6_8equal_toIjEEEENSG_9not_fun_tINSD_8identityEEEEENSD_19counting_iterator_tIlEES8_S8_S8_S8_S8_S8_S8_S8_EEEEPS9_S9_NSD_9__find_if7functorIS9_EEEE10hipError_tPvRmT1_T2_T3_mT4_P12ihipStream_tbEUlT_E1_NS1_11comp_targetILNS1_3genE10ELNS1_11target_archE1200ELNS1_3gpuE4ELNS1_3repE0EEENS1_30default_config_static_selectorELNS0_4arch9wavefront6targetE1EEEvS14_,comdat
	.protected	_ZN7rocprim17ROCPRIM_400000_NS6detail17trampoline_kernelINS0_14default_configENS1_22reduce_config_selectorIN6thrust23THRUST_200600_302600_NS5tupleIblNS6_9null_typeES8_S8_S8_S8_S8_S8_S8_EEEEZNS1_11reduce_implILb1ES3_NS6_12zip_iteratorINS7_INS6_11hip_rocprim26transform_input_iterator_tIbNSD_35transform_pair_of_input_iterators_tIbNS6_6detail15normal_iteratorINS6_10device_ptrIKjEEEESL_NS6_8equal_toIjEEEENSG_9not_fun_tINSD_8identityEEEEENSD_19counting_iterator_tIlEES8_S8_S8_S8_S8_S8_S8_S8_EEEEPS9_S9_NSD_9__find_if7functorIS9_EEEE10hipError_tPvRmT1_T2_T3_mT4_P12ihipStream_tbEUlT_E1_NS1_11comp_targetILNS1_3genE10ELNS1_11target_archE1200ELNS1_3gpuE4ELNS1_3repE0EEENS1_30default_config_static_selectorELNS0_4arch9wavefront6targetE1EEEvS14_ ; -- Begin function _ZN7rocprim17ROCPRIM_400000_NS6detail17trampoline_kernelINS0_14default_configENS1_22reduce_config_selectorIN6thrust23THRUST_200600_302600_NS5tupleIblNS6_9null_typeES8_S8_S8_S8_S8_S8_S8_EEEEZNS1_11reduce_implILb1ES3_NS6_12zip_iteratorINS7_INS6_11hip_rocprim26transform_input_iterator_tIbNSD_35transform_pair_of_input_iterators_tIbNS6_6detail15normal_iteratorINS6_10device_ptrIKjEEEESL_NS6_8equal_toIjEEEENSG_9not_fun_tINSD_8identityEEEEENSD_19counting_iterator_tIlEES8_S8_S8_S8_S8_S8_S8_S8_EEEEPS9_S9_NSD_9__find_if7functorIS9_EEEE10hipError_tPvRmT1_T2_T3_mT4_P12ihipStream_tbEUlT_E1_NS1_11comp_targetILNS1_3genE10ELNS1_11target_archE1200ELNS1_3gpuE4ELNS1_3repE0EEENS1_30default_config_static_selectorELNS0_4arch9wavefront6targetE1EEEvS14_
	.globl	_ZN7rocprim17ROCPRIM_400000_NS6detail17trampoline_kernelINS0_14default_configENS1_22reduce_config_selectorIN6thrust23THRUST_200600_302600_NS5tupleIblNS6_9null_typeES8_S8_S8_S8_S8_S8_S8_EEEEZNS1_11reduce_implILb1ES3_NS6_12zip_iteratorINS7_INS6_11hip_rocprim26transform_input_iterator_tIbNSD_35transform_pair_of_input_iterators_tIbNS6_6detail15normal_iteratorINS6_10device_ptrIKjEEEESL_NS6_8equal_toIjEEEENSG_9not_fun_tINSD_8identityEEEEENSD_19counting_iterator_tIlEES8_S8_S8_S8_S8_S8_S8_S8_EEEEPS9_S9_NSD_9__find_if7functorIS9_EEEE10hipError_tPvRmT1_T2_T3_mT4_P12ihipStream_tbEUlT_E1_NS1_11comp_targetILNS1_3genE10ELNS1_11target_archE1200ELNS1_3gpuE4ELNS1_3repE0EEENS1_30default_config_static_selectorELNS0_4arch9wavefront6targetE1EEEvS14_
	.p2align	8
	.type	_ZN7rocprim17ROCPRIM_400000_NS6detail17trampoline_kernelINS0_14default_configENS1_22reduce_config_selectorIN6thrust23THRUST_200600_302600_NS5tupleIblNS6_9null_typeES8_S8_S8_S8_S8_S8_S8_EEEEZNS1_11reduce_implILb1ES3_NS6_12zip_iteratorINS7_INS6_11hip_rocprim26transform_input_iterator_tIbNSD_35transform_pair_of_input_iterators_tIbNS6_6detail15normal_iteratorINS6_10device_ptrIKjEEEESL_NS6_8equal_toIjEEEENSG_9not_fun_tINSD_8identityEEEEENSD_19counting_iterator_tIlEES8_S8_S8_S8_S8_S8_S8_S8_EEEEPS9_S9_NSD_9__find_if7functorIS9_EEEE10hipError_tPvRmT1_T2_T3_mT4_P12ihipStream_tbEUlT_E1_NS1_11comp_targetILNS1_3genE10ELNS1_11target_archE1200ELNS1_3gpuE4ELNS1_3repE0EEENS1_30default_config_static_selectorELNS0_4arch9wavefront6targetE1EEEvS14_,@function
_ZN7rocprim17ROCPRIM_400000_NS6detail17trampoline_kernelINS0_14default_configENS1_22reduce_config_selectorIN6thrust23THRUST_200600_302600_NS5tupleIblNS6_9null_typeES8_S8_S8_S8_S8_S8_S8_EEEEZNS1_11reduce_implILb1ES3_NS6_12zip_iteratorINS7_INS6_11hip_rocprim26transform_input_iterator_tIbNSD_35transform_pair_of_input_iterators_tIbNS6_6detail15normal_iteratorINS6_10device_ptrIKjEEEESL_NS6_8equal_toIjEEEENSG_9not_fun_tINSD_8identityEEEEENSD_19counting_iterator_tIlEES8_S8_S8_S8_S8_S8_S8_S8_EEEEPS9_S9_NSD_9__find_if7functorIS9_EEEE10hipError_tPvRmT1_T2_T3_mT4_P12ihipStream_tbEUlT_E1_NS1_11comp_targetILNS1_3genE10ELNS1_11target_archE1200ELNS1_3gpuE4ELNS1_3repE0EEENS1_30default_config_static_selectorELNS0_4arch9wavefront6targetE1EEEvS14_: ; @_ZN7rocprim17ROCPRIM_400000_NS6detail17trampoline_kernelINS0_14default_configENS1_22reduce_config_selectorIN6thrust23THRUST_200600_302600_NS5tupleIblNS6_9null_typeES8_S8_S8_S8_S8_S8_S8_EEEEZNS1_11reduce_implILb1ES3_NS6_12zip_iteratorINS7_INS6_11hip_rocprim26transform_input_iterator_tIbNSD_35transform_pair_of_input_iterators_tIbNS6_6detail15normal_iteratorINS6_10device_ptrIKjEEEESL_NS6_8equal_toIjEEEENSG_9not_fun_tINSD_8identityEEEEENSD_19counting_iterator_tIlEES8_S8_S8_S8_S8_S8_S8_S8_EEEEPS9_S9_NSD_9__find_if7functorIS9_EEEE10hipError_tPvRmT1_T2_T3_mT4_P12ihipStream_tbEUlT_E1_NS1_11comp_targetILNS1_3genE10ELNS1_11target_archE1200ELNS1_3gpuE4ELNS1_3repE0EEENS1_30default_config_static_selectorELNS0_4arch9wavefront6targetE1EEEvS14_
; %bb.0:
	.section	.rodata,"a",@progbits
	.p2align	6, 0x0
	.amdhsa_kernel _ZN7rocprim17ROCPRIM_400000_NS6detail17trampoline_kernelINS0_14default_configENS1_22reduce_config_selectorIN6thrust23THRUST_200600_302600_NS5tupleIblNS6_9null_typeES8_S8_S8_S8_S8_S8_S8_EEEEZNS1_11reduce_implILb1ES3_NS6_12zip_iteratorINS7_INS6_11hip_rocprim26transform_input_iterator_tIbNSD_35transform_pair_of_input_iterators_tIbNS6_6detail15normal_iteratorINS6_10device_ptrIKjEEEESL_NS6_8equal_toIjEEEENSG_9not_fun_tINSD_8identityEEEEENSD_19counting_iterator_tIlEES8_S8_S8_S8_S8_S8_S8_S8_EEEEPS9_S9_NSD_9__find_if7functorIS9_EEEE10hipError_tPvRmT1_T2_T3_mT4_P12ihipStream_tbEUlT_E1_NS1_11comp_targetILNS1_3genE10ELNS1_11target_archE1200ELNS1_3gpuE4ELNS1_3repE0EEENS1_30default_config_static_selectorELNS0_4arch9wavefront6targetE1EEEvS14_
		.amdhsa_group_segment_fixed_size 0
		.amdhsa_private_segment_fixed_size 0
		.amdhsa_kernarg_size 88
		.amdhsa_user_sgpr_count 6
		.amdhsa_user_sgpr_private_segment_buffer 1
		.amdhsa_user_sgpr_dispatch_ptr 0
		.amdhsa_user_sgpr_queue_ptr 0
		.amdhsa_user_sgpr_kernarg_segment_ptr 1
		.amdhsa_user_sgpr_dispatch_id 0
		.amdhsa_user_sgpr_flat_scratch_init 0
		.amdhsa_user_sgpr_private_segment_size 0
		.amdhsa_uses_dynamic_stack 0
		.amdhsa_system_sgpr_private_segment_wavefront_offset 0
		.amdhsa_system_sgpr_workgroup_id_x 1
		.amdhsa_system_sgpr_workgroup_id_y 0
		.amdhsa_system_sgpr_workgroup_id_z 0
		.amdhsa_system_sgpr_workgroup_info 0
		.amdhsa_system_vgpr_workitem_id 0
		.amdhsa_next_free_vgpr 1
		.amdhsa_next_free_sgpr 0
		.amdhsa_reserve_vcc 0
		.amdhsa_reserve_flat_scratch 0
		.amdhsa_float_round_mode_32 0
		.amdhsa_float_round_mode_16_64 0
		.amdhsa_float_denorm_mode_32 3
		.amdhsa_float_denorm_mode_16_64 3
		.amdhsa_dx10_clamp 1
		.amdhsa_ieee_mode 1
		.amdhsa_fp16_overflow 0
		.amdhsa_exception_fp_ieee_invalid_op 0
		.amdhsa_exception_fp_denorm_src 0
		.amdhsa_exception_fp_ieee_div_zero 0
		.amdhsa_exception_fp_ieee_overflow 0
		.amdhsa_exception_fp_ieee_underflow 0
		.amdhsa_exception_fp_ieee_inexact 0
		.amdhsa_exception_int_div_zero 0
	.end_amdhsa_kernel
	.section	.text._ZN7rocprim17ROCPRIM_400000_NS6detail17trampoline_kernelINS0_14default_configENS1_22reduce_config_selectorIN6thrust23THRUST_200600_302600_NS5tupleIblNS6_9null_typeES8_S8_S8_S8_S8_S8_S8_EEEEZNS1_11reduce_implILb1ES3_NS6_12zip_iteratorINS7_INS6_11hip_rocprim26transform_input_iterator_tIbNSD_35transform_pair_of_input_iterators_tIbNS6_6detail15normal_iteratorINS6_10device_ptrIKjEEEESL_NS6_8equal_toIjEEEENSG_9not_fun_tINSD_8identityEEEEENSD_19counting_iterator_tIlEES8_S8_S8_S8_S8_S8_S8_S8_EEEEPS9_S9_NSD_9__find_if7functorIS9_EEEE10hipError_tPvRmT1_T2_T3_mT4_P12ihipStream_tbEUlT_E1_NS1_11comp_targetILNS1_3genE10ELNS1_11target_archE1200ELNS1_3gpuE4ELNS1_3repE0EEENS1_30default_config_static_selectorELNS0_4arch9wavefront6targetE1EEEvS14_,"axG",@progbits,_ZN7rocprim17ROCPRIM_400000_NS6detail17trampoline_kernelINS0_14default_configENS1_22reduce_config_selectorIN6thrust23THRUST_200600_302600_NS5tupleIblNS6_9null_typeES8_S8_S8_S8_S8_S8_S8_EEEEZNS1_11reduce_implILb1ES3_NS6_12zip_iteratorINS7_INS6_11hip_rocprim26transform_input_iterator_tIbNSD_35transform_pair_of_input_iterators_tIbNS6_6detail15normal_iteratorINS6_10device_ptrIKjEEEESL_NS6_8equal_toIjEEEENSG_9not_fun_tINSD_8identityEEEEENSD_19counting_iterator_tIlEES8_S8_S8_S8_S8_S8_S8_S8_EEEEPS9_S9_NSD_9__find_if7functorIS9_EEEE10hipError_tPvRmT1_T2_T3_mT4_P12ihipStream_tbEUlT_E1_NS1_11comp_targetILNS1_3genE10ELNS1_11target_archE1200ELNS1_3gpuE4ELNS1_3repE0EEENS1_30default_config_static_selectorELNS0_4arch9wavefront6targetE1EEEvS14_,comdat
.Lfunc_end498:
	.size	_ZN7rocprim17ROCPRIM_400000_NS6detail17trampoline_kernelINS0_14default_configENS1_22reduce_config_selectorIN6thrust23THRUST_200600_302600_NS5tupleIblNS6_9null_typeES8_S8_S8_S8_S8_S8_S8_EEEEZNS1_11reduce_implILb1ES3_NS6_12zip_iteratorINS7_INS6_11hip_rocprim26transform_input_iterator_tIbNSD_35transform_pair_of_input_iterators_tIbNS6_6detail15normal_iteratorINS6_10device_ptrIKjEEEESL_NS6_8equal_toIjEEEENSG_9not_fun_tINSD_8identityEEEEENSD_19counting_iterator_tIlEES8_S8_S8_S8_S8_S8_S8_S8_EEEEPS9_S9_NSD_9__find_if7functorIS9_EEEE10hipError_tPvRmT1_T2_T3_mT4_P12ihipStream_tbEUlT_E1_NS1_11comp_targetILNS1_3genE10ELNS1_11target_archE1200ELNS1_3gpuE4ELNS1_3repE0EEENS1_30default_config_static_selectorELNS0_4arch9wavefront6targetE1EEEvS14_, .Lfunc_end498-_ZN7rocprim17ROCPRIM_400000_NS6detail17trampoline_kernelINS0_14default_configENS1_22reduce_config_selectorIN6thrust23THRUST_200600_302600_NS5tupleIblNS6_9null_typeES8_S8_S8_S8_S8_S8_S8_EEEEZNS1_11reduce_implILb1ES3_NS6_12zip_iteratorINS7_INS6_11hip_rocprim26transform_input_iterator_tIbNSD_35transform_pair_of_input_iterators_tIbNS6_6detail15normal_iteratorINS6_10device_ptrIKjEEEESL_NS6_8equal_toIjEEEENSG_9not_fun_tINSD_8identityEEEEENSD_19counting_iterator_tIlEES8_S8_S8_S8_S8_S8_S8_S8_EEEEPS9_S9_NSD_9__find_if7functorIS9_EEEE10hipError_tPvRmT1_T2_T3_mT4_P12ihipStream_tbEUlT_E1_NS1_11comp_targetILNS1_3genE10ELNS1_11target_archE1200ELNS1_3gpuE4ELNS1_3repE0EEENS1_30default_config_static_selectorELNS0_4arch9wavefront6targetE1EEEvS14_
                                        ; -- End function
	.set _ZN7rocprim17ROCPRIM_400000_NS6detail17trampoline_kernelINS0_14default_configENS1_22reduce_config_selectorIN6thrust23THRUST_200600_302600_NS5tupleIblNS6_9null_typeES8_S8_S8_S8_S8_S8_S8_EEEEZNS1_11reduce_implILb1ES3_NS6_12zip_iteratorINS7_INS6_11hip_rocprim26transform_input_iterator_tIbNSD_35transform_pair_of_input_iterators_tIbNS6_6detail15normal_iteratorINS6_10device_ptrIKjEEEESL_NS6_8equal_toIjEEEENSG_9not_fun_tINSD_8identityEEEEENSD_19counting_iterator_tIlEES8_S8_S8_S8_S8_S8_S8_S8_EEEEPS9_S9_NSD_9__find_if7functorIS9_EEEE10hipError_tPvRmT1_T2_T3_mT4_P12ihipStream_tbEUlT_E1_NS1_11comp_targetILNS1_3genE10ELNS1_11target_archE1200ELNS1_3gpuE4ELNS1_3repE0EEENS1_30default_config_static_selectorELNS0_4arch9wavefront6targetE1EEEvS14_.num_vgpr, 0
	.set _ZN7rocprim17ROCPRIM_400000_NS6detail17trampoline_kernelINS0_14default_configENS1_22reduce_config_selectorIN6thrust23THRUST_200600_302600_NS5tupleIblNS6_9null_typeES8_S8_S8_S8_S8_S8_S8_EEEEZNS1_11reduce_implILb1ES3_NS6_12zip_iteratorINS7_INS6_11hip_rocprim26transform_input_iterator_tIbNSD_35transform_pair_of_input_iterators_tIbNS6_6detail15normal_iteratorINS6_10device_ptrIKjEEEESL_NS6_8equal_toIjEEEENSG_9not_fun_tINSD_8identityEEEEENSD_19counting_iterator_tIlEES8_S8_S8_S8_S8_S8_S8_S8_EEEEPS9_S9_NSD_9__find_if7functorIS9_EEEE10hipError_tPvRmT1_T2_T3_mT4_P12ihipStream_tbEUlT_E1_NS1_11comp_targetILNS1_3genE10ELNS1_11target_archE1200ELNS1_3gpuE4ELNS1_3repE0EEENS1_30default_config_static_selectorELNS0_4arch9wavefront6targetE1EEEvS14_.num_agpr, 0
	.set _ZN7rocprim17ROCPRIM_400000_NS6detail17trampoline_kernelINS0_14default_configENS1_22reduce_config_selectorIN6thrust23THRUST_200600_302600_NS5tupleIblNS6_9null_typeES8_S8_S8_S8_S8_S8_S8_EEEEZNS1_11reduce_implILb1ES3_NS6_12zip_iteratorINS7_INS6_11hip_rocprim26transform_input_iterator_tIbNSD_35transform_pair_of_input_iterators_tIbNS6_6detail15normal_iteratorINS6_10device_ptrIKjEEEESL_NS6_8equal_toIjEEEENSG_9not_fun_tINSD_8identityEEEEENSD_19counting_iterator_tIlEES8_S8_S8_S8_S8_S8_S8_S8_EEEEPS9_S9_NSD_9__find_if7functorIS9_EEEE10hipError_tPvRmT1_T2_T3_mT4_P12ihipStream_tbEUlT_E1_NS1_11comp_targetILNS1_3genE10ELNS1_11target_archE1200ELNS1_3gpuE4ELNS1_3repE0EEENS1_30default_config_static_selectorELNS0_4arch9wavefront6targetE1EEEvS14_.numbered_sgpr, 0
	.set _ZN7rocprim17ROCPRIM_400000_NS6detail17trampoline_kernelINS0_14default_configENS1_22reduce_config_selectorIN6thrust23THRUST_200600_302600_NS5tupleIblNS6_9null_typeES8_S8_S8_S8_S8_S8_S8_EEEEZNS1_11reduce_implILb1ES3_NS6_12zip_iteratorINS7_INS6_11hip_rocprim26transform_input_iterator_tIbNSD_35transform_pair_of_input_iterators_tIbNS6_6detail15normal_iteratorINS6_10device_ptrIKjEEEESL_NS6_8equal_toIjEEEENSG_9not_fun_tINSD_8identityEEEEENSD_19counting_iterator_tIlEES8_S8_S8_S8_S8_S8_S8_S8_EEEEPS9_S9_NSD_9__find_if7functorIS9_EEEE10hipError_tPvRmT1_T2_T3_mT4_P12ihipStream_tbEUlT_E1_NS1_11comp_targetILNS1_3genE10ELNS1_11target_archE1200ELNS1_3gpuE4ELNS1_3repE0EEENS1_30default_config_static_selectorELNS0_4arch9wavefront6targetE1EEEvS14_.num_named_barrier, 0
	.set _ZN7rocprim17ROCPRIM_400000_NS6detail17trampoline_kernelINS0_14default_configENS1_22reduce_config_selectorIN6thrust23THRUST_200600_302600_NS5tupleIblNS6_9null_typeES8_S8_S8_S8_S8_S8_S8_EEEEZNS1_11reduce_implILb1ES3_NS6_12zip_iteratorINS7_INS6_11hip_rocprim26transform_input_iterator_tIbNSD_35transform_pair_of_input_iterators_tIbNS6_6detail15normal_iteratorINS6_10device_ptrIKjEEEESL_NS6_8equal_toIjEEEENSG_9not_fun_tINSD_8identityEEEEENSD_19counting_iterator_tIlEES8_S8_S8_S8_S8_S8_S8_S8_EEEEPS9_S9_NSD_9__find_if7functorIS9_EEEE10hipError_tPvRmT1_T2_T3_mT4_P12ihipStream_tbEUlT_E1_NS1_11comp_targetILNS1_3genE10ELNS1_11target_archE1200ELNS1_3gpuE4ELNS1_3repE0EEENS1_30default_config_static_selectorELNS0_4arch9wavefront6targetE1EEEvS14_.private_seg_size, 0
	.set _ZN7rocprim17ROCPRIM_400000_NS6detail17trampoline_kernelINS0_14default_configENS1_22reduce_config_selectorIN6thrust23THRUST_200600_302600_NS5tupleIblNS6_9null_typeES8_S8_S8_S8_S8_S8_S8_EEEEZNS1_11reduce_implILb1ES3_NS6_12zip_iteratorINS7_INS6_11hip_rocprim26transform_input_iterator_tIbNSD_35transform_pair_of_input_iterators_tIbNS6_6detail15normal_iteratorINS6_10device_ptrIKjEEEESL_NS6_8equal_toIjEEEENSG_9not_fun_tINSD_8identityEEEEENSD_19counting_iterator_tIlEES8_S8_S8_S8_S8_S8_S8_S8_EEEEPS9_S9_NSD_9__find_if7functorIS9_EEEE10hipError_tPvRmT1_T2_T3_mT4_P12ihipStream_tbEUlT_E1_NS1_11comp_targetILNS1_3genE10ELNS1_11target_archE1200ELNS1_3gpuE4ELNS1_3repE0EEENS1_30default_config_static_selectorELNS0_4arch9wavefront6targetE1EEEvS14_.uses_vcc, 0
	.set _ZN7rocprim17ROCPRIM_400000_NS6detail17trampoline_kernelINS0_14default_configENS1_22reduce_config_selectorIN6thrust23THRUST_200600_302600_NS5tupleIblNS6_9null_typeES8_S8_S8_S8_S8_S8_S8_EEEEZNS1_11reduce_implILb1ES3_NS6_12zip_iteratorINS7_INS6_11hip_rocprim26transform_input_iterator_tIbNSD_35transform_pair_of_input_iterators_tIbNS6_6detail15normal_iteratorINS6_10device_ptrIKjEEEESL_NS6_8equal_toIjEEEENSG_9not_fun_tINSD_8identityEEEEENSD_19counting_iterator_tIlEES8_S8_S8_S8_S8_S8_S8_S8_EEEEPS9_S9_NSD_9__find_if7functorIS9_EEEE10hipError_tPvRmT1_T2_T3_mT4_P12ihipStream_tbEUlT_E1_NS1_11comp_targetILNS1_3genE10ELNS1_11target_archE1200ELNS1_3gpuE4ELNS1_3repE0EEENS1_30default_config_static_selectorELNS0_4arch9wavefront6targetE1EEEvS14_.uses_flat_scratch, 0
	.set _ZN7rocprim17ROCPRIM_400000_NS6detail17trampoline_kernelINS0_14default_configENS1_22reduce_config_selectorIN6thrust23THRUST_200600_302600_NS5tupleIblNS6_9null_typeES8_S8_S8_S8_S8_S8_S8_EEEEZNS1_11reduce_implILb1ES3_NS6_12zip_iteratorINS7_INS6_11hip_rocprim26transform_input_iterator_tIbNSD_35transform_pair_of_input_iterators_tIbNS6_6detail15normal_iteratorINS6_10device_ptrIKjEEEESL_NS6_8equal_toIjEEEENSG_9not_fun_tINSD_8identityEEEEENSD_19counting_iterator_tIlEES8_S8_S8_S8_S8_S8_S8_S8_EEEEPS9_S9_NSD_9__find_if7functorIS9_EEEE10hipError_tPvRmT1_T2_T3_mT4_P12ihipStream_tbEUlT_E1_NS1_11comp_targetILNS1_3genE10ELNS1_11target_archE1200ELNS1_3gpuE4ELNS1_3repE0EEENS1_30default_config_static_selectorELNS0_4arch9wavefront6targetE1EEEvS14_.has_dyn_sized_stack, 0
	.set _ZN7rocprim17ROCPRIM_400000_NS6detail17trampoline_kernelINS0_14default_configENS1_22reduce_config_selectorIN6thrust23THRUST_200600_302600_NS5tupleIblNS6_9null_typeES8_S8_S8_S8_S8_S8_S8_EEEEZNS1_11reduce_implILb1ES3_NS6_12zip_iteratorINS7_INS6_11hip_rocprim26transform_input_iterator_tIbNSD_35transform_pair_of_input_iterators_tIbNS6_6detail15normal_iteratorINS6_10device_ptrIKjEEEESL_NS6_8equal_toIjEEEENSG_9not_fun_tINSD_8identityEEEEENSD_19counting_iterator_tIlEES8_S8_S8_S8_S8_S8_S8_S8_EEEEPS9_S9_NSD_9__find_if7functorIS9_EEEE10hipError_tPvRmT1_T2_T3_mT4_P12ihipStream_tbEUlT_E1_NS1_11comp_targetILNS1_3genE10ELNS1_11target_archE1200ELNS1_3gpuE4ELNS1_3repE0EEENS1_30default_config_static_selectorELNS0_4arch9wavefront6targetE1EEEvS14_.has_recursion, 0
	.set _ZN7rocprim17ROCPRIM_400000_NS6detail17trampoline_kernelINS0_14default_configENS1_22reduce_config_selectorIN6thrust23THRUST_200600_302600_NS5tupleIblNS6_9null_typeES8_S8_S8_S8_S8_S8_S8_EEEEZNS1_11reduce_implILb1ES3_NS6_12zip_iteratorINS7_INS6_11hip_rocprim26transform_input_iterator_tIbNSD_35transform_pair_of_input_iterators_tIbNS6_6detail15normal_iteratorINS6_10device_ptrIKjEEEESL_NS6_8equal_toIjEEEENSG_9not_fun_tINSD_8identityEEEEENSD_19counting_iterator_tIlEES8_S8_S8_S8_S8_S8_S8_S8_EEEEPS9_S9_NSD_9__find_if7functorIS9_EEEE10hipError_tPvRmT1_T2_T3_mT4_P12ihipStream_tbEUlT_E1_NS1_11comp_targetILNS1_3genE10ELNS1_11target_archE1200ELNS1_3gpuE4ELNS1_3repE0EEENS1_30default_config_static_selectorELNS0_4arch9wavefront6targetE1EEEvS14_.has_indirect_call, 0
	.section	.AMDGPU.csdata,"",@progbits
; Kernel info:
; codeLenInByte = 0
; TotalNumSgprs: 4
; NumVgprs: 0
; ScratchSize: 0
; MemoryBound: 0
; FloatMode: 240
; IeeeMode: 1
; LDSByteSize: 0 bytes/workgroup (compile time only)
; SGPRBlocks: 0
; VGPRBlocks: 0
; NumSGPRsForWavesPerEU: 4
; NumVGPRsForWavesPerEU: 1
; Occupancy: 10
; WaveLimiterHint : 0
; COMPUTE_PGM_RSRC2:SCRATCH_EN: 0
; COMPUTE_PGM_RSRC2:USER_SGPR: 6
; COMPUTE_PGM_RSRC2:TRAP_HANDLER: 0
; COMPUTE_PGM_RSRC2:TGID_X_EN: 1
; COMPUTE_PGM_RSRC2:TGID_Y_EN: 0
; COMPUTE_PGM_RSRC2:TGID_Z_EN: 0
; COMPUTE_PGM_RSRC2:TIDIG_COMP_CNT: 0
	.section	.text._ZN7rocprim17ROCPRIM_400000_NS6detail17trampoline_kernelINS0_14default_configENS1_22reduce_config_selectorIN6thrust23THRUST_200600_302600_NS5tupleIblNS6_9null_typeES8_S8_S8_S8_S8_S8_S8_EEEEZNS1_11reduce_implILb1ES3_NS6_12zip_iteratorINS7_INS6_11hip_rocprim26transform_input_iterator_tIbNSD_35transform_pair_of_input_iterators_tIbNS6_6detail15normal_iteratorINS6_10device_ptrIKjEEEESL_NS6_8equal_toIjEEEENSG_9not_fun_tINSD_8identityEEEEENSD_19counting_iterator_tIlEES8_S8_S8_S8_S8_S8_S8_S8_EEEEPS9_S9_NSD_9__find_if7functorIS9_EEEE10hipError_tPvRmT1_T2_T3_mT4_P12ihipStream_tbEUlT_E1_NS1_11comp_targetILNS1_3genE9ELNS1_11target_archE1100ELNS1_3gpuE3ELNS1_3repE0EEENS1_30default_config_static_selectorELNS0_4arch9wavefront6targetE1EEEvS14_,"axG",@progbits,_ZN7rocprim17ROCPRIM_400000_NS6detail17trampoline_kernelINS0_14default_configENS1_22reduce_config_selectorIN6thrust23THRUST_200600_302600_NS5tupleIblNS6_9null_typeES8_S8_S8_S8_S8_S8_S8_EEEEZNS1_11reduce_implILb1ES3_NS6_12zip_iteratorINS7_INS6_11hip_rocprim26transform_input_iterator_tIbNSD_35transform_pair_of_input_iterators_tIbNS6_6detail15normal_iteratorINS6_10device_ptrIKjEEEESL_NS6_8equal_toIjEEEENSG_9not_fun_tINSD_8identityEEEEENSD_19counting_iterator_tIlEES8_S8_S8_S8_S8_S8_S8_S8_EEEEPS9_S9_NSD_9__find_if7functorIS9_EEEE10hipError_tPvRmT1_T2_T3_mT4_P12ihipStream_tbEUlT_E1_NS1_11comp_targetILNS1_3genE9ELNS1_11target_archE1100ELNS1_3gpuE3ELNS1_3repE0EEENS1_30default_config_static_selectorELNS0_4arch9wavefront6targetE1EEEvS14_,comdat
	.protected	_ZN7rocprim17ROCPRIM_400000_NS6detail17trampoline_kernelINS0_14default_configENS1_22reduce_config_selectorIN6thrust23THRUST_200600_302600_NS5tupleIblNS6_9null_typeES8_S8_S8_S8_S8_S8_S8_EEEEZNS1_11reduce_implILb1ES3_NS6_12zip_iteratorINS7_INS6_11hip_rocprim26transform_input_iterator_tIbNSD_35transform_pair_of_input_iterators_tIbNS6_6detail15normal_iteratorINS6_10device_ptrIKjEEEESL_NS6_8equal_toIjEEEENSG_9not_fun_tINSD_8identityEEEEENSD_19counting_iterator_tIlEES8_S8_S8_S8_S8_S8_S8_S8_EEEEPS9_S9_NSD_9__find_if7functorIS9_EEEE10hipError_tPvRmT1_T2_T3_mT4_P12ihipStream_tbEUlT_E1_NS1_11comp_targetILNS1_3genE9ELNS1_11target_archE1100ELNS1_3gpuE3ELNS1_3repE0EEENS1_30default_config_static_selectorELNS0_4arch9wavefront6targetE1EEEvS14_ ; -- Begin function _ZN7rocprim17ROCPRIM_400000_NS6detail17trampoline_kernelINS0_14default_configENS1_22reduce_config_selectorIN6thrust23THRUST_200600_302600_NS5tupleIblNS6_9null_typeES8_S8_S8_S8_S8_S8_S8_EEEEZNS1_11reduce_implILb1ES3_NS6_12zip_iteratorINS7_INS6_11hip_rocprim26transform_input_iterator_tIbNSD_35transform_pair_of_input_iterators_tIbNS6_6detail15normal_iteratorINS6_10device_ptrIKjEEEESL_NS6_8equal_toIjEEEENSG_9not_fun_tINSD_8identityEEEEENSD_19counting_iterator_tIlEES8_S8_S8_S8_S8_S8_S8_S8_EEEEPS9_S9_NSD_9__find_if7functorIS9_EEEE10hipError_tPvRmT1_T2_T3_mT4_P12ihipStream_tbEUlT_E1_NS1_11comp_targetILNS1_3genE9ELNS1_11target_archE1100ELNS1_3gpuE3ELNS1_3repE0EEENS1_30default_config_static_selectorELNS0_4arch9wavefront6targetE1EEEvS14_
	.globl	_ZN7rocprim17ROCPRIM_400000_NS6detail17trampoline_kernelINS0_14default_configENS1_22reduce_config_selectorIN6thrust23THRUST_200600_302600_NS5tupleIblNS6_9null_typeES8_S8_S8_S8_S8_S8_S8_EEEEZNS1_11reduce_implILb1ES3_NS6_12zip_iteratorINS7_INS6_11hip_rocprim26transform_input_iterator_tIbNSD_35transform_pair_of_input_iterators_tIbNS6_6detail15normal_iteratorINS6_10device_ptrIKjEEEESL_NS6_8equal_toIjEEEENSG_9not_fun_tINSD_8identityEEEEENSD_19counting_iterator_tIlEES8_S8_S8_S8_S8_S8_S8_S8_EEEEPS9_S9_NSD_9__find_if7functorIS9_EEEE10hipError_tPvRmT1_T2_T3_mT4_P12ihipStream_tbEUlT_E1_NS1_11comp_targetILNS1_3genE9ELNS1_11target_archE1100ELNS1_3gpuE3ELNS1_3repE0EEENS1_30default_config_static_selectorELNS0_4arch9wavefront6targetE1EEEvS14_
	.p2align	8
	.type	_ZN7rocprim17ROCPRIM_400000_NS6detail17trampoline_kernelINS0_14default_configENS1_22reduce_config_selectorIN6thrust23THRUST_200600_302600_NS5tupleIblNS6_9null_typeES8_S8_S8_S8_S8_S8_S8_EEEEZNS1_11reduce_implILb1ES3_NS6_12zip_iteratorINS7_INS6_11hip_rocprim26transform_input_iterator_tIbNSD_35transform_pair_of_input_iterators_tIbNS6_6detail15normal_iteratorINS6_10device_ptrIKjEEEESL_NS6_8equal_toIjEEEENSG_9not_fun_tINSD_8identityEEEEENSD_19counting_iterator_tIlEES8_S8_S8_S8_S8_S8_S8_S8_EEEEPS9_S9_NSD_9__find_if7functorIS9_EEEE10hipError_tPvRmT1_T2_T3_mT4_P12ihipStream_tbEUlT_E1_NS1_11comp_targetILNS1_3genE9ELNS1_11target_archE1100ELNS1_3gpuE3ELNS1_3repE0EEENS1_30default_config_static_selectorELNS0_4arch9wavefront6targetE1EEEvS14_,@function
_ZN7rocprim17ROCPRIM_400000_NS6detail17trampoline_kernelINS0_14default_configENS1_22reduce_config_selectorIN6thrust23THRUST_200600_302600_NS5tupleIblNS6_9null_typeES8_S8_S8_S8_S8_S8_S8_EEEEZNS1_11reduce_implILb1ES3_NS6_12zip_iteratorINS7_INS6_11hip_rocprim26transform_input_iterator_tIbNSD_35transform_pair_of_input_iterators_tIbNS6_6detail15normal_iteratorINS6_10device_ptrIKjEEEESL_NS6_8equal_toIjEEEENSG_9not_fun_tINSD_8identityEEEEENSD_19counting_iterator_tIlEES8_S8_S8_S8_S8_S8_S8_S8_EEEEPS9_S9_NSD_9__find_if7functorIS9_EEEE10hipError_tPvRmT1_T2_T3_mT4_P12ihipStream_tbEUlT_E1_NS1_11comp_targetILNS1_3genE9ELNS1_11target_archE1100ELNS1_3gpuE3ELNS1_3repE0EEENS1_30default_config_static_selectorELNS0_4arch9wavefront6targetE1EEEvS14_: ; @_ZN7rocprim17ROCPRIM_400000_NS6detail17trampoline_kernelINS0_14default_configENS1_22reduce_config_selectorIN6thrust23THRUST_200600_302600_NS5tupleIblNS6_9null_typeES8_S8_S8_S8_S8_S8_S8_EEEEZNS1_11reduce_implILb1ES3_NS6_12zip_iteratorINS7_INS6_11hip_rocprim26transform_input_iterator_tIbNSD_35transform_pair_of_input_iterators_tIbNS6_6detail15normal_iteratorINS6_10device_ptrIKjEEEESL_NS6_8equal_toIjEEEENSG_9not_fun_tINSD_8identityEEEEENSD_19counting_iterator_tIlEES8_S8_S8_S8_S8_S8_S8_S8_EEEEPS9_S9_NSD_9__find_if7functorIS9_EEEE10hipError_tPvRmT1_T2_T3_mT4_P12ihipStream_tbEUlT_E1_NS1_11comp_targetILNS1_3genE9ELNS1_11target_archE1100ELNS1_3gpuE3ELNS1_3repE0EEENS1_30default_config_static_selectorELNS0_4arch9wavefront6targetE1EEEvS14_
; %bb.0:
	.section	.rodata,"a",@progbits
	.p2align	6, 0x0
	.amdhsa_kernel _ZN7rocprim17ROCPRIM_400000_NS6detail17trampoline_kernelINS0_14default_configENS1_22reduce_config_selectorIN6thrust23THRUST_200600_302600_NS5tupleIblNS6_9null_typeES8_S8_S8_S8_S8_S8_S8_EEEEZNS1_11reduce_implILb1ES3_NS6_12zip_iteratorINS7_INS6_11hip_rocprim26transform_input_iterator_tIbNSD_35transform_pair_of_input_iterators_tIbNS6_6detail15normal_iteratorINS6_10device_ptrIKjEEEESL_NS6_8equal_toIjEEEENSG_9not_fun_tINSD_8identityEEEEENSD_19counting_iterator_tIlEES8_S8_S8_S8_S8_S8_S8_S8_EEEEPS9_S9_NSD_9__find_if7functorIS9_EEEE10hipError_tPvRmT1_T2_T3_mT4_P12ihipStream_tbEUlT_E1_NS1_11comp_targetILNS1_3genE9ELNS1_11target_archE1100ELNS1_3gpuE3ELNS1_3repE0EEENS1_30default_config_static_selectorELNS0_4arch9wavefront6targetE1EEEvS14_
		.amdhsa_group_segment_fixed_size 0
		.amdhsa_private_segment_fixed_size 0
		.amdhsa_kernarg_size 88
		.amdhsa_user_sgpr_count 6
		.amdhsa_user_sgpr_private_segment_buffer 1
		.amdhsa_user_sgpr_dispatch_ptr 0
		.amdhsa_user_sgpr_queue_ptr 0
		.amdhsa_user_sgpr_kernarg_segment_ptr 1
		.amdhsa_user_sgpr_dispatch_id 0
		.amdhsa_user_sgpr_flat_scratch_init 0
		.amdhsa_user_sgpr_private_segment_size 0
		.amdhsa_uses_dynamic_stack 0
		.amdhsa_system_sgpr_private_segment_wavefront_offset 0
		.amdhsa_system_sgpr_workgroup_id_x 1
		.amdhsa_system_sgpr_workgroup_id_y 0
		.amdhsa_system_sgpr_workgroup_id_z 0
		.amdhsa_system_sgpr_workgroup_info 0
		.amdhsa_system_vgpr_workitem_id 0
		.amdhsa_next_free_vgpr 1
		.amdhsa_next_free_sgpr 0
		.amdhsa_reserve_vcc 0
		.amdhsa_reserve_flat_scratch 0
		.amdhsa_float_round_mode_32 0
		.amdhsa_float_round_mode_16_64 0
		.amdhsa_float_denorm_mode_32 3
		.amdhsa_float_denorm_mode_16_64 3
		.amdhsa_dx10_clamp 1
		.amdhsa_ieee_mode 1
		.amdhsa_fp16_overflow 0
		.amdhsa_exception_fp_ieee_invalid_op 0
		.amdhsa_exception_fp_denorm_src 0
		.amdhsa_exception_fp_ieee_div_zero 0
		.amdhsa_exception_fp_ieee_overflow 0
		.amdhsa_exception_fp_ieee_underflow 0
		.amdhsa_exception_fp_ieee_inexact 0
		.amdhsa_exception_int_div_zero 0
	.end_amdhsa_kernel
	.section	.text._ZN7rocprim17ROCPRIM_400000_NS6detail17trampoline_kernelINS0_14default_configENS1_22reduce_config_selectorIN6thrust23THRUST_200600_302600_NS5tupleIblNS6_9null_typeES8_S8_S8_S8_S8_S8_S8_EEEEZNS1_11reduce_implILb1ES3_NS6_12zip_iteratorINS7_INS6_11hip_rocprim26transform_input_iterator_tIbNSD_35transform_pair_of_input_iterators_tIbNS6_6detail15normal_iteratorINS6_10device_ptrIKjEEEESL_NS6_8equal_toIjEEEENSG_9not_fun_tINSD_8identityEEEEENSD_19counting_iterator_tIlEES8_S8_S8_S8_S8_S8_S8_S8_EEEEPS9_S9_NSD_9__find_if7functorIS9_EEEE10hipError_tPvRmT1_T2_T3_mT4_P12ihipStream_tbEUlT_E1_NS1_11comp_targetILNS1_3genE9ELNS1_11target_archE1100ELNS1_3gpuE3ELNS1_3repE0EEENS1_30default_config_static_selectorELNS0_4arch9wavefront6targetE1EEEvS14_,"axG",@progbits,_ZN7rocprim17ROCPRIM_400000_NS6detail17trampoline_kernelINS0_14default_configENS1_22reduce_config_selectorIN6thrust23THRUST_200600_302600_NS5tupleIblNS6_9null_typeES8_S8_S8_S8_S8_S8_S8_EEEEZNS1_11reduce_implILb1ES3_NS6_12zip_iteratorINS7_INS6_11hip_rocprim26transform_input_iterator_tIbNSD_35transform_pair_of_input_iterators_tIbNS6_6detail15normal_iteratorINS6_10device_ptrIKjEEEESL_NS6_8equal_toIjEEEENSG_9not_fun_tINSD_8identityEEEEENSD_19counting_iterator_tIlEES8_S8_S8_S8_S8_S8_S8_S8_EEEEPS9_S9_NSD_9__find_if7functorIS9_EEEE10hipError_tPvRmT1_T2_T3_mT4_P12ihipStream_tbEUlT_E1_NS1_11comp_targetILNS1_3genE9ELNS1_11target_archE1100ELNS1_3gpuE3ELNS1_3repE0EEENS1_30default_config_static_selectorELNS0_4arch9wavefront6targetE1EEEvS14_,comdat
.Lfunc_end499:
	.size	_ZN7rocprim17ROCPRIM_400000_NS6detail17trampoline_kernelINS0_14default_configENS1_22reduce_config_selectorIN6thrust23THRUST_200600_302600_NS5tupleIblNS6_9null_typeES8_S8_S8_S8_S8_S8_S8_EEEEZNS1_11reduce_implILb1ES3_NS6_12zip_iteratorINS7_INS6_11hip_rocprim26transform_input_iterator_tIbNSD_35transform_pair_of_input_iterators_tIbNS6_6detail15normal_iteratorINS6_10device_ptrIKjEEEESL_NS6_8equal_toIjEEEENSG_9not_fun_tINSD_8identityEEEEENSD_19counting_iterator_tIlEES8_S8_S8_S8_S8_S8_S8_S8_EEEEPS9_S9_NSD_9__find_if7functorIS9_EEEE10hipError_tPvRmT1_T2_T3_mT4_P12ihipStream_tbEUlT_E1_NS1_11comp_targetILNS1_3genE9ELNS1_11target_archE1100ELNS1_3gpuE3ELNS1_3repE0EEENS1_30default_config_static_selectorELNS0_4arch9wavefront6targetE1EEEvS14_, .Lfunc_end499-_ZN7rocprim17ROCPRIM_400000_NS6detail17trampoline_kernelINS0_14default_configENS1_22reduce_config_selectorIN6thrust23THRUST_200600_302600_NS5tupleIblNS6_9null_typeES8_S8_S8_S8_S8_S8_S8_EEEEZNS1_11reduce_implILb1ES3_NS6_12zip_iteratorINS7_INS6_11hip_rocprim26transform_input_iterator_tIbNSD_35transform_pair_of_input_iterators_tIbNS6_6detail15normal_iteratorINS6_10device_ptrIKjEEEESL_NS6_8equal_toIjEEEENSG_9not_fun_tINSD_8identityEEEEENSD_19counting_iterator_tIlEES8_S8_S8_S8_S8_S8_S8_S8_EEEEPS9_S9_NSD_9__find_if7functorIS9_EEEE10hipError_tPvRmT1_T2_T3_mT4_P12ihipStream_tbEUlT_E1_NS1_11comp_targetILNS1_3genE9ELNS1_11target_archE1100ELNS1_3gpuE3ELNS1_3repE0EEENS1_30default_config_static_selectorELNS0_4arch9wavefront6targetE1EEEvS14_
                                        ; -- End function
	.set _ZN7rocprim17ROCPRIM_400000_NS6detail17trampoline_kernelINS0_14default_configENS1_22reduce_config_selectorIN6thrust23THRUST_200600_302600_NS5tupleIblNS6_9null_typeES8_S8_S8_S8_S8_S8_S8_EEEEZNS1_11reduce_implILb1ES3_NS6_12zip_iteratorINS7_INS6_11hip_rocprim26transform_input_iterator_tIbNSD_35transform_pair_of_input_iterators_tIbNS6_6detail15normal_iteratorINS6_10device_ptrIKjEEEESL_NS6_8equal_toIjEEEENSG_9not_fun_tINSD_8identityEEEEENSD_19counting_iterator_tIlEES8_S8_S8_S8_S8_S8_S8_S8_EEEEPS9_S9_NSD_9__find_if7functorIS9_EEEE10hipError_tPvRmT1_T2_T3_mT4_P12ihipStream_tbEUlT_E1_NS1_11comp_targetILNS1_3genE9ELNS1_11target_archE1100ELNS1_3gpuE3ELNS1_3repE0EEENS1_30default_config_static_selectorELNS0_4arch9wavefront6targetE1EEEvS14_.num_vgpr, 0
	.set _ZN7rocprim17ROCPRIM_400000_NS6detail17trampoline_kernelINS0_14default_configENS1_22reduce_config_selectorIN6thrust23THRUST_200600_302600_NS5tupleIblNS6_9null_typeES8_S8_S8_S8_S8_S8_S8_EEEEZNS1_11reduce_implILb1ES3_NS6_12zip_iteratorINS7_INS6_11hip_rocprim26transform_input_iterator_tIbNSD_35transform_pair_of_input_iterators_tIbNS6_6detail15normal_iteratorINS6_10device_ptrIKjEEEESL_NS6_8equal_toIjEEEENSG_9not_fun_tINSD_8identityEEEEENSD_19counting_iterator_tIlEES8_S8_S8_S8_S8_S8_S8_S8_EEEEPS9_S9_NSD_9__find_if7functorIS9_EEEE10hipError_tPvRmT1_T2_T3_mT4_P12ihipStream_tbEUlT_E1_NS1_11comp_targetILNS1_3genE9ELNS1_11target_archE1100ELNS1_3gpuE3ELNS1_3repE0EEENS1_30default_config_static_selectorELNS0_4arch9wavefront6targetE1EEEvS14_.num_agpr, 0
	.set _ZN7rocprim17ROCPRIM_400000_NS6detail17trampoline_kernelINS0_14default_configENS1_22reduce_config_selectorIN6thrust23THRUST_200600_302600_NS5tupleIblNS6_9null_typeES8_S8_S8_S8_S8_S8_S8_EEEEZNS1_11reduce_implILb1ES3_NS6_12zip_iteratorINS7_INS6_11hip_rocprim26transform_input_iterator_tIbNSD_35transform_pair_of_input_iterators_tIbNS6_6detail15normal_iteratorINS6_10device_ptrIKjEEEESL_NS6_8equal_toIjEEEENSG_9not_fun_tINSD_8identityEEEEENSD_19counting_iterator_tIlEES8_S8_S8_S8_S8_S8_S8_S8_EEEEPS9_S9_NSD_9__find_if7functorIS9_EEEE10hipError_tPvRmT1_T2_T3_mT4_P12ihipStream_tbEUlT_E1_NS1_11comp_targetILNS1_3genE9ELNS1_11target_archE1100ELNS1_3gpuE3ELNS1_3repE0EEENS1_30default_config_static_selectorELNS0_4arch9wavefront6targetE1EEEvS14_.numbered_sgpr, 0
	.set _ZN7rocprim17ROCPRIM_400000_NS6detail17trampoline_kernelINS0_14default_configENS1_22reduce_config_selectorIN6thrust23THRUST_200600_302600_NS5tupleIblNS6_9null_typeES8_S8_S8_S8_S8_S8_S8_EEEEZNS1_11reduce_implILb1ES3_NS6_12zip_iteratorINS7_INS6_11hip_rocprim26transform_input_iterator_tIbNSD_35transform_pair_of_input_iterators_tIbNS6_6detail15normal_iteratorINS6_10device_ptrIKjEEEESL_NS6_8equal_toIjEEEENSG_9not_fun_tINSD_8identityEEEEENSD_19counting_iterator_tIlEES8_S8_S8_S8_S8_S8_S8_S8_EEEEPS9_S9_NSD_9__find_if7functorIS9_EEEE10hipError_tPvRmT1_T2_T3_mT4_P12ihipStream_tbEUlT_E1_NS1_11comp_targetILNS1_3genE9ELNS1_11target_archE1100ELNS1_3gpuE3ELNS1_3repE0EEENS1_30default_config_static_selectorELNS0_4arch9wavefront6targetE1EEEvS14_.num_named_barrier, 0
	.set _ZN7rocprim17ROCPRIM_400000_NS6detail17trampoline_kernelINS0_14default_configENS1_22reduce_config_selectorIN6thrust23THRUST_200600_302600_NS5tupleIblNS6_9null_typeES8_S8_S8_S8_S8_S8_S8_EEEEZNS1_11reduce_implILb1ES3_NS6_12zip_iteratorINS7_INS6_11hip_rocprim26transform_input_iterator_tIbNSD_35transform_pair_of_input_iterators_tIbNS6_6detail15normal_iteratorINS6_10device_ptrIKjEEEESL_NS6_8equal_toIjEEEENSG_9not_fun_tINSD_8identityEEEEENSD_19counting_iterator_tIlEES8_S8_S8_S8_S8_S8_S8_S8_EEEEPS9_S9_NSD_9__find_if7functorIS9_EEEE10hipError_tPvRmT1_T2_T3_mT4_P12ihipStream_tbEUlT_E1_NS1_11comp_targetILNS1_3genE9ELNS1_11target_archE1100ELNS1_3gpuE3ELNS1_3repE0EEENS1_30default_config_static_selectorELNS0_4arch9wavefront6targetE1EEEvS14_.private_seg_size, 0
	.set _ZN7rocprim17ROCPRIM_400000_NS6detail17trampoline_kernelINS0_14default_configENS1_22reduce_config_selectorIN6thrust23THRUST_200600_302600_NS5tupleIblNS6_9null_typeES8_S8_S8_S8_S8_S8_S8_EEEEZNS1_11reduce_implILb1ES3_NS6_12zip_iteratorINS7_INS6_11hip_rocprim26transform_input_iterator_tIbNSD_35transform_pair_of_input_iterators_tIbNS6_6detail15normal_iteratorINS6_10device_ptrIKjEEEESL_NS6_8equal_toIjEEEENSG_9not_fun_tINSD_8identityEEEEENSD_19counting_iterator_tIlEES8_S8_S8_S8_S8_S8_S8_S8_EEEEPS9_S9_NSD_9__find_if7functorIS9_EEEE10hipError_tPvRmT1_T2_T3_mT4_P12ihipStream_tbEUlT_E1_NS1_11comp_targetILNS1_3genE9ELNS1_11target_archE1100ELNS1_3gpuE3ELNS1_3repE0EEENS1_30default_config_static_selectorELNS0_4arch9wavefront6targetE1EEEvS14_.uses_vcc, 0
	.set _ZN7rocprim17ROCPRIM_400000_NS6detail17trampoline_kernelINS0_14default_configENS1_22reduce_config_selectorIN6thrust23THRUST_200600_302600_NS5tupleIblNS6_9null_typeES8_S8_S8_S8_S8_S8_S8_EEEEZNS1_11reduce_implILb1ES3_NS6_12zip_iteratorINS7_INS6_11hip_rocprim26transform_input_iterator_tIbNSD_35transform_pair_of_input_iterators_tIbNS6_6detail15normal_iteratorINS6_10device_ptrIKjEEEESL_NS6_8equal_toIjEEEENSG_9not_fun_tINSD_8identityEEEEENSD_19counting_iterator_tIlEES8_S8_S8_S8_S8_S8_S8_S8_EEEEPS9_S9_NSD_9__find_if7functorIS9_EEEE10hipError_tPvRmT1_T2_T3_mT4_P12ihipStream_tbEUlT_E1_NS1_11comp_targetILNS1_3genE9ELNS1_11target_archE1100ELNS1_3gpuE3ELNS1_3repE0EEENS1_30default_config_static_selectorELNS0_4arch9wavefront6targetE1EEEvS14_.uses_flat_scratch, 0
	.set _ZN7rocprim17ROCPRIM_400000_NS6detail17trampoline_kernelINS0_14default_configENS1_22reduce_config_selectorIN6thrust23THRUST_200600_302600_NS5tupleIblNS6_9null_typeES8_S8_S8_S8_S8_S8_S8_EEEEZNS1_11reduce_implILb1ES3_NS6_12zip_iteratorINS7_INS6_11hip_rocprim26transform_input_iterator_tIbNSD_35transform_pair_of_input_iterators_tIbNS6_6detail15normal_iteratorINS6_10device_ptrIKjEEEESL_NS6_8equal_toIjEEEENSG_9not_fun_tINSD_8identityEEEEENSD_19counting_iterator_tIlEES8_S8_S8_S8_S8_S8_S8_S8_EEEEPS9_S9_NSD_9__find_if7functorIS9_EEEE10hipError_tPvRmT1_T2_T3_mT4_P12ihipStream_tbEUlT_E1_NS1_11comp_targetILNS1_3genE9ELNS1_11target_archE1100ELNS1_3gpuE3ELNS1_3repE0EEENS1_30default_config_static_selectorELNS0_4arch9wavefront6targetE1EEEvS14_.has_dyn_sized_stack, 0
	.set _ZN7rocprim17ROCPRIM_400000_NS6detail17trampoline_kernelINS0_14default_configENS1_22reduce_config_selectorIN6thrust23THRUST_200600_302600_NS5tupleIblNS6_9null_typeES8_S8_S8_S8_S8_S8_S8_EEEEZNS1_11reduce_implILb1ES3_NS6_12zip_iteratorINS7_INS6_11hip_rocprim26transform_input_iterator_tIbNSD_35transform_pair_of_input_iterators_tIbNS6_6detail15normal_iteratorINS6_10device_ptrIKjEEEESL_NS6_8equal_toIjEEEENSG_9not_fun_tINSD_8identityEEEEENSD_19counting_iterator_tIlEES8_S8_S8_S8_S8_S8_S8_S8_EEEEPS9_S9_NSD_9__find_if7functorIS9_EEEE10hipError_tPvRmT1_T2_T3_mT4_P12ihipStream_tbEUlT_E1_NS1_11comp_targetILNS1_3genE9ELNS1_11target_archE1100ELNS1_3gpuE3ELNS1_3repE0EEENS1_30default_config_static_selectorELNS0_4arch9wavefront6targetE1EEEvS14_.has_recursion, 0
	.set _ZN7rocprim17ROCPRIM_400000_NS6detail17trampoline_kernelINS0_14default_configENS1_22reduce_config_selectorIN6thrust23THRUST_200600_302600_NS5tupleIblNS6_9null_typeES8_S8_S8_S8_S8_S8_S8_EEEEZNS1_11reduce_implILb1ES3_NS6_12zip_iteratorINS7_INS6_11hip_rocprim26transform_input_iterator_tIbNSD_35transform_pair_of_input_iterators_tIbNS6_6detail15normal_iteratorINS6_10device_ptrIKjEEEESL_NS6_8equal_toIjEEEENSG_9not_fun_tINSD_8identityEEEEENSD_19counting_iterator_tIlEES8_S8_S8_S8_S8_S8_S8_S8_EEEEPS9_S9_NSD_9__find_if7functorIS9_EEEE10hipError_tPvRmT1_T2_T3_mT4_P12ihipStream_tbEUlT_E1_NS1_11comp_targetILNS1_3genE9ELNS1_11target_archE1100ELNS1_3gpuE3ELNS1_3repE0EEENS1_30default_config_static_selectorELNS0_4arch9wavefront6targetE1EEEvS14_.has_indirect_call, 0
	.section	.AMDGPU.csdata,"",@progbits
; Kernel info:
; codeLenInByte = 0
; TotalNumSgprs: 4
; NumVgprs: 0
; ScratchSize: 0
; MemoryBound: 0
; FloatMode: 240
; IeeeMode: 1
; LDSByteSize: 0 bytes/workgroup (compile time only)
; SGPRBlocks: 0
; VGPRBlocks: 0
; NumSGPRsForWavesPerEU: 4
; NumVGPRsForWavesPerEU: 1
; Occupancy: 10
; WaveLimiterHint : 0
; COMPUTE_PGM_RSRC2:SCRATCH_EN: 0
; COMPUTE_PGM_RSRC2:USER_SGPR: 6
; COMPUTE_PGM_RSRC2:TRAP_HANDLER: 0
; COMPUTE_PGM_RSRC2:TGID_X_EN: 1
; COMPUTE_PGM_RSRC2:TGID_Y_EN: 0
; COMPUTE_PGM_RSRC2:TGID_Z_EN: 0
; COMPUTE_PGM_RSRC2:TIDIG_COMP_CNT: 0
	.section	.text._ZN7rocprim17ROCPRIM_400000_NS6detail17trampoline_kernelINS0_14default_configENS1_22reduce_config_selectorIN6thrust23THRUST_200600_302600_NS5tupleIblNS6_9null_typeES8_S8_S8_S8_S8_S8_S8_EEEEZNS1_11reduce_implILb1ES3_NS6_12zip_iteratorINS7_INS6_11hip_rocprim26transform_input_iterator_tIbNSD_35transform_pair_of_input_iterators_tIbNS6_6detail15normal_iteratorINS6_10device_ptrIKjEEEESL_NS6_8equal_toIjEEEENSG_9not_fun_tINSD_8identityEEEEENSD_19counting_iterator_tIlEES8_S8_S8_S8_S8_S8_S8_S8_EEEEPS9_S9_NSD_9__find_if7functorIS9_EEEE10hipError_tPvRmT1_T2_T3_mT4_P12ihipStream_tbEUlT_E1_NS1_11comp_targetILNS1_3genE8ELNS1_11target_archE1030ELNS1_3gpuE2ELNS1_3repE0EEENS1_30default_config_static_selectorELNS0_4arch9wavefront6targetE1EEEvS14_,"axG",@progbits,_ZN7rocprim17ROCPRIM_400000_NS6detail17trampoline_kernelINS0_14default_configENS1_22reduce_config_selectorIN6thrust23THRUST_200600_302600_NS5tupleIblNS6_9null_typeES8_S8_S8_S8_S8_S8_S8_EEEEZNS1_11reduce_implILb1ES3_NS6_12zip_iteratorINS7_INS6_11hip_rocprim26transform_input_iterator_tIbNSD_35transform_pair_of_input_iterators_tIbNS6_6detail15normal_iteratorINS6_10device_ptrIKjEEEESL_NS6_8equal_toIjEEEENSG_9not_fun_tINSD_8identityEEEEENSD_19counting_iterator_tIlEES8_S8_S8_S8_S8_S8_S8_S8_EEEEPS9_S9_NSD_9__find_if7functorIS9_EEEE10hipError_tPvRmT1_T2_T3_mT4_P12ihipStream_tbEUlT_E1_NS1_11comp_targetILNS1_3genE8ELNS1_11target_archE1030ELNS1_3gpuE2ELNS1_3repE0EEENS1_30default_config_static_selectorELNS0_4arch9wavefront6targetE1EEEvS14_,comdat
	.protected	_ZN7rocprim17ROCPRIM_400000_NS6detail17trampoline_kernelINS0_14default_configENS1_22reduce_config_selectorIN6thrust23THRUST_200600_302600_NS5tupleIblNS6_9null_typeES8_S8_S8_S8_S8_S8_S8_EEEEZNS1_11reduce_implILb1ES3_NS6_12zip_iteratorINS7_INS6_11hip_rocprim26transform_input_iterator_tIbNSD_35transform_pair_of_input_iterators_tIbNS6_6detail15normal_iteratorINS6_10device_ptrIKjEEEESL_NS6_8equal_toIjEEEENSG_9not_fun_tINSD_8identityEEEEENSD_19counting_iterator_tIlEES8_S8_S8_S8_S8_S8_S8_S8_EEEEPS9_S9_NSD_9__find_if7functorIS9_EEEE10hipError_tPvRmT1_T2_T3_mT4_P12ihipStream_tbEUlT_E1_NS1_11comp_targetILNS1_3genE8ELNS1_11target_archE1030ELNS1_3gpuE2ELNS1_3repE0EEENS1_30default_config_static_selectorELNS0_4arch9wavefront6targetE1EEEvS14_ ; -- Begin function _ZN7rocprim17ROCPRIM_400000_NS6detail17trampoline_kernelINS0_14default_configENS1_22reduce_config_selectorIN6thrust23THRUST_200600_302600_NS5tupleIblNS6_9null_typeES8_S8_S8_S8_S8_S8_S8_EEEEZNS1_11reduce_implILb1ES3_NS6_12zip_iteratorINS7_INS6_11hip_rocprim26transform_input_iterator_tIbNSD_35transform_pair_of_input_iterators_tIbNS6_6detail15normal_iteratorINS6_10device_ptrIKjEEEESL_NS6_8equal_toIjEEEENSG_9not_fun_tINSD_8identityEEEEENSD_19counting_iterator_tIlEES8_S8_S8_S8_S8_S8_S8_S8_EEEEPS9_S9_NSD_9__find_if7functorIS9_EEEE10hipError_tPvRmT1_T2_T3_mT4_P12ihipStream_tbEUlT_E1_NS1_11comp_targetILNS1_3genE8ELNS1_11target_archE1030ELNS1_3gpuE2ELNS1_3repE0EEENS1_30default_config_static_selectorELNS0_4arch9wavefront6targetE1EEEvS14_
	.globl	_ZN7rocprim17ROCPRIM_400000_NS6detail17trampoline_kernelINS0_14default_configENS1_22reduce_config_selectorIN6thrust23THRUST_200600_302600_NS5tupleIblNS6_9null_typeES8_S8_S8_S8_S8_S8_S8_EEEEZNS1_11reduce_implILb1ES3_NS6_12zip_iteratorINS7_INS6_11hip_rocprim26transform_input_iterator_tIbNSD_35transform_pair_of_input_iterators_tIbNS6_6detail15normal_iteratorINS6_10device_ptrIKjEEEESL_NS6_8equal_toIjEEEENSG_9not_fun_tINSD_8identityEEEEENSD_19counting_iterator_tIlEES8_S8_S8_S8_S8_S8_S8_S8_EEEEPS9_S9_NSD_9__find_if7functorIS9_EEEE10hipError_tPvRmT1_T2_T3_mT4_P12ihipStream_tbEUlT_E1_NS1_11comp_targetILNS1_3genE8ELNS1_11target_archE1030ELNS1_3gpuE2ELNS1_3repE0EEENS1_30default_config_static_selectorELNS0_4arch9wavefront6targetE1EEEvS14_
	.p2align	8
	.type	_ZN7rocprim17ROCPRIM_400000_NS6detail17trampoline_kernelINS0_14default_configENS1_22reduce_config_selectorIN6thrust23THRUST_200600_302600_NS5tupleIblNS6_9null_typeES8_S8_S8_S8_S8_S8_S8_EEEEZNS1_11reduce_implILb1ES3_NS6_12zip_iteratorINS7_INS6_11hip_rocprim26transform_input_iterator_tIbNSD_35transform_pair_of_input_iterators_tIbNS6_6detail15normal_iteratorINS6_10device_ptrIKjEEEESL_NS6_8equal_toIjEEEENSG_9not_fun_tINSD_8identityEEEEENSD_19counting_iterator_tIlEES8_S8_S8_S8_S8_S8_S8_S8_EEEEPS9_S9_NSD_9__find_if7functorIS9_EEEE10hipError_tPvRmT1_T2_T3_mT4_P12ihipStream_tbEUlT_E1_NS1_11comp_targetILNS1_3genE8ELNS1_11target_archE1030ELNS1_3gpuE2ELNS1_3repE0EEENS1_30default_config_static_selectorELNS0_4arch9wavefront6targetE1EEEvS14_,@function
_ZN7rocprim17ROCPRIM_400000_NS6detail17trampoline_kernelINS0_14default_configENS1_22reduce_config_selectorIN6thrust23THRUST_200600_302600_NS5tupleIblNS6_9null_typeES8_S8_S8_S8_S8_S8_S8_EEEEZNS1_11reduce_implILb1ES3_NS6_12zip_iteratorINS7_INS6_11hip_rocprim26transform_input_iterator_tIbNSD_35transform_pair_of_input_iterators_tIbNS6_6detail15normal_iteratorINS6_10device_ptrIKjEEEESL_NS6_8equal_toIjEEEENSG_9not_fun_tINSD_8identityEEEEENSD_19counting_iterator_tIlEES8_S8_S8_S8_S8_S8_S8_S8_EEEEPS9_S9_NSD_9__find_if7functorIS9_EEEE10hipError_tPvRmT1_T2_T3_mT4_P12ihipStream_tbEUlT_E1_NS1_11comp_targetILNS1_3genE8ELNS1_11target_archE1030ELNS1_3gpuE2ELNS1_3repE0EEENS1_30default_config_static_selectorELNS0_4arch9wavefront6targetE1EEEvS14_: ; @_ZN7rocprim17ROCPRIM_400000_NS6detail17trampoline_kernelINS0_14default_configENS1_22reduce_config_selectorIN6thrust23THRUST_200600_302600_NS5tupleIblNS6_9null_typeES8_S8_S8_S8_S8_S8_S8_EEEEZNS1_11reduce_implILb1ES3_NS6_12zip_iteratorINS7_INS6_11hip_rocprim26transform_input_iterator_tIbNSD_35transform_pair_of_input_iterators_tIbNS6_6detail15normal_iteratorINS6_10device_ptrIKjEEEESL_NS6_8equal_toIjEEEENSG_9not_fun_tINSD_8identityEEEEENSD_19counting_iterator_tIlEES8_S8_S8_S8_S8_S8_S8_S8_EEEEPS9_S9_NSD_9__find_if7functorIS9_EEEE10hipError_tPvRmT1_T2_T3_mT4_P12ihipStream_tbEUlT_E1_NS1_11comp_targetILNS1_3genE8ELNS1_11target_archE1030ELNS1_3gpuE2ELNS1_3repE0EEENS1_30default_config_static_selectorELNS0_4arch9wavefront6targetE1EEEvS14_
; %bb.0:
	.section	.rodata,"a",@progbits
	.p2align	6, 0x0
	.amdhsa_kernel _ZN7rocprim17ROCPRIM_400000_NS6detail17trampoline_kernelINS0_14default_configENS1_22reduce_config_selectorIN6thrust23THRUST_200600_302600_NS5tupleIblNS6_9null_typeES8_S8_S8_S8_S8_S8_S8_EEEEZNS1_11reduce_implILb1ES3_NS6_12zip_iteratorINS7_INS6_11hip_rocprim26transform_input_iterator_tIbNSD_35transform_pair_of_input_iterators_tIbNS6_6detail15normal_iteratorINS6_10device_ptrIKjEEEESL_NS6_8equal_toIjEEEENSG_9not_fun_tINSD_8identityEEEEENSD_19counting_iterator_tIlEES8_S8_S8_S8_S8_S8_S8_S8_EEEEPS9_S9_NSD_9__find_if7functorIS9_EEEE10hipError_tPvRmT1_T2_T3_mT4_P12ihipStream_tbEUlT_E1_NS1_11comp_targetILNS1_3genE8ELNS1_11target_archE1030ELNS1_3gpuE2ELNS1_3repE0EEENS1_30default_config_static_selectorELNS0_4arch9wavefront6targetE1EEEvS14_
		.amdhsa_group_segment_fixed_size 0
		.amdhsa_private_segment_fixed_size 0
		.amdhsa_kernarg_size 88
		.amdhsa_user_sgpr_count 6
		.amdhsa_user_sgpr_private_segment_buffer 1
		.amdhsa_user_sgpr_dispatch_ptr 0
		.amdhsa_user_sgpr_queue_ptr 0
		.amdhsa_user_sgpr_kernarg_segment_ptr 1
		.amdhsa_user_sgpr_dispatch_id 0
		.amdhsa_user_sgpr_flat_scratch_init 0
		.amdhsa_user_sgpr_private_segment_size 0
		.amdhsa_uses_dynamic_stack 0
		.amdhsa_system_sgpr_private_segment_wavefront_offset 0
		.amdhsa_system_sgpr_workgroup_id_x 1
		.amdhsa_system_sgpr_workgroup_id_y 0
		.amdhsa_system_sgpr_workgroup_id_z 0
		.amdhsa_system_sgpr_workgroup_info 0
		.amdhsa_system_vgpr_workitem_id 0
		.amdhsa_next_free_vgpr 1
		.amdhsa_next_free_sgpr 0
		.amdhsa_reserve_vcc 0
		.amdhsa_reserve_flat_scratch 0
		.amdhsa_float_round_mode_32 0
		.amdhsa_float_round_mode_16_64 0
		.amdhsa_float_denorm_mode_32 3
		.amdhsa_float_denorm_mode_16_64 3
		.amdhsa_dx10_clamp 1
		.amdhsa_ieee_mode 1
		.amdhsa_fp16_overflow 0
		.amdhsa_exception_fp_ieee_invalid_op 0
		.amdhsa_exception_fp_denorm_src 0
		.amdhsa_exception_fp_ieee_div_zero 0
		.amdhsa_exception_fp_ieee_overflow 0
		.amdhsa_exception_fp_ieee_underflow 0
		.amdhsa_exception_fp_ieee_inexact 0
		.amdhsa_exception_int_div_zero 0
	.end_amdhsa_kernel
	.section	.text._ZN7rocprim17ROCPRIM_400000_NS6detail17trampoline_kernelINS0_14default_configENS1_22reduce_config_selectorIN6thrust23THRUST_200600_302600_NS5tupleIblNS6_9null_typeES8_S8_S8_S8_S8_S8_S8_EEEEZNS1_11reduce_implILb1ES3_NS6_12zip_iteratorINS7_INS6_11hip_rocprim26transform_input_iterator_tIbNSD_35transform_pair_of_input_iterators_tIbNS6_6detail15normal_iteratorINS6_10device_ptrIKjEEEESL_NS6_8equal_toIjEEEENSG_9not_fun_tINSD_8identityEEEEENSD_19counting_iterator_tIlEES8_S8_S8_S8_S8_S8_S8_S8_EEEEPS9_S9_NSD_9__find_if7functorIS9_EEEE10hipError_tPvRmT1_T2_T3_mT4_P12ihipStream_tbEUlT_E1_NS1_11comp_targetILNS1_3genE8ELNS1_11target_archE1030ELNS1_3gpuE2ELNS1_3repE0EEENS1_30default_config_static_selectorELNS0_4arch9wavefront6targetE1EEEvS14_,"axG",@progbits,_ZN7rocprim17ROCPRIM_400000_NS6detail17trampoline_kernelINS0_14default_configENS1_22reduce_config_selectorIN6thrust23THRUST_200600_302600_NS5tupleIblNS6_9null_typeES8_S8_S8_S8_S8_S8_S8_EEEEZNS1_11reduce_implILb1ES3_NS6_12zip_iteratorINS7_INS6_11hip_rocprim26transform_input_iterator_tIbNSD_35transform_pair_of_input_iterators_tIbNS6_6detail15normal_iteratorINS6_10device_ptrIKjEEEESL_NS6_8equal_toIjEEEENSG_9not_fun_tINSD_8identityEEEEENSD_19counting_iterator_tIlEES8_S8_S8_S8_S8_S8_S8_S8_EEEEPS9_S9_NSD_9__find_if7functorIS9_EEEE10hipError_tPvRmT1_T2_T3_mT4_P12ihipStream_tbEUlT_E1_NS1_11comp_targetILNS1_3genE8ELNS1_11target_archE1030ELNS1_3gpuE2ELNS1_3repE0EEENS1_30default_config_static_selectorELNS0_4arch9wavefront6targetE1EEEvS14_,comdat
.Lfunc_end500:
	.size	_ZN7rocprim17ROCPRIM_400000_NS6detail17trampoline_kernelINS0_14default_configENS1_22reduce_config_selectorIN6thrust23THRUST_200600_302600_NS5tupleIblNS6_9null_typeES8_S8_S8_S8_S8_S8_S8_EEEEZNS1_11reduce_implILb1ES3_NS6_12zip_iteratorINS7_INS6_11hip_rocprim26transform_input_iterator_tIbNSD_35transform_pair_of_input_iterators_tIbNS6_6detail15normal_iteratorINS6_10device_ptrIKjEEEESL_NS6_8equal_toIjEEEENSG_9not_fun_tINSD_8identityEEEEENSD_19counting_iterator_tIlEES8_S8_S8_S8_S8_S8_S8_S8_EEEEPS9_S9_NSD_9__find_if7functorIS9_EEEE10hipError_tPvRmT1_T2_T3_mT4_P12ihipStream_tbEUlT_E1_NS1_11comp_targetILNS1_3genE8ELNS1_11target_archE1030ELNS1_3gpuE2ELNS1_3repE0EEENS1_30default_config_static_selectorELNS0_4arch9wavefront6targetE1EEEvS14_, .Lfunc_end500-_ZN7rocprim17ROCPRIM_400000_NS6detail17trampoline_kernelINS0_14default_configENS1_22reduce_config_selectorIN6thrust23THRUST_200600_302600_NS5tupleIblNS6_9null_typeES8_S8_S8_S8_S8_S8_S8_EEEEZNS1_11reduce_implILb1ES3_NS6_12zip_iteratorINS7_INS6_11hip_rocprim26transform_input_iterator_tIbNSD_35transform_pair_of_input_iterators_tIbNS6_6detail15normal_iteratorINS6_10device_ptrIKjEEEESL_NS6_8equal_toIjEEEENSG_9not_fun_tINSD_8identityEEEEENSD_19counting_iterator_tIlEES8_S8_S8_S8_S8_S8_S8_S8_EEEEPS9_S9_NSD_9__find_if7functorIS9_EEEE10hipError_tPvRmT1_T2_T3_mT4_P12ihipStream_tbEUlT_E1_NS1_11comp_targetILNS1_3genE8ELNS1_11target_archE1030ELNS1_3gpuE2ELNS1_3repE0EEENS1_30default_config_static_selectorELNS0_4arch9wavefront6targetE1EEEvS14_
                                        ; -- End function
	.set _ZN7rocprim17ROCPRIM_400000_NS6detail17trampoline_kernelINS0_14default_configENS1_22reduce_config_selectorIN6thrust23THRUST_200600_302600_NS5tupleIblNS6_9null_typeES8_S8_S8_S8_S8_S8_S8_EEEEZNS1_11reduce_implILb1ES3_NS6_12zip_iteratorINS7_INS6_11hip_rocprim26transform_input_iterator_tIbNSD_35transform_pair_of_input_iterators_tIbNS6_6detail15normal_iteratorINS6_10device_ptrIKjEEEESL_NS6_8equal_toIjEEEENSG_9not_fun_tINSD_8identityEEEEENSD_19counting_iterator_tIlEES8_S8_S8_S8_S8_S8_S8_S8_EEEEPS9_S9_NSD_9__find_if7functorIS9_EEEE10hipError_tPvRmT1_T2_T3_mT4_P12ihipStream_tbEUlT_E1_NS1_11comp_targetILNS1_3genE8ELNS1_11target_archE1030ELNS1_3gpuE2ELNS1_3repE0EEENS1_30default_config_static_selectorELNS0_4arch9wavefront6targetE1EEEvS14_.num_vgpr, 0
	.set _ZN7rocprim17ROCPRIM_400000_NS6detail17trampoline_kernelINS0_14default_configENS1_22reduce_config_selectorIN6thrust23THRUST_200600_302600_NS5tupleIblNS6_9null_typeES8_S8_S8_S8_S8_S8_S8_EEEEZNS1_11reduce_implILb1ES3_NS6_12zip_iteratorINS7_INS6_11hip_rocprim26transform_input_iterator_tIbNSD_35transform_pair_of_input_iterators_tIbNS6_6detail15normal_iteratorINS6_10device_ptrIKjEEEESL_NS6_8equal_toIjEEEENSG_9not_fun_tINSD_8identityEEEEENSD_19counting_iterator_tIlEES8_S8_S8_S8_S8_S8_S8_S8_EEEEPS9_S9_NSD_9__find_if7functorIS9_EEEE10hipError_tPvRmT1_T2_T3_mT4_P12ihipStream_tbEUlT_E1_NS1_11comp_targetILNS1_3genE8ELNS1_11target_archE1030ELNS1_3gpuE2ELNS1_3repE0EEENS1_30default_config_static_selectorELNS0_4arch9wavefront6targetE1EEEvS14_.num_agpr, 0
	.set _ZN7rocprim17ROCPRIM_400000_NS6detail17trampoline_kernelINS0_14default_configENS1_22reduce_config_selectorIN6thrust23THRUST_200600_302600_NS5tupleIblNS6_9null_typeES8_S8_S8_S8_S8_S8_S8_EEEEZNS1_11reduce_implILb1ES3_NS6_12zip_iteratorINS7_INS6_11hip_rocprim26transform_input_iterator_tIbNSD_35transform_pair_of_input_iterators_tIbNS6_6detail15normal_iteratorINS6_10device_ptrIKjEEEESL_NS6_8equal_toIjEEEENSG_9not_fun_tINSD_8identityEEEEENSD_19counting_iterator_tIlEES8_S8_S8_S8_S8_S8_S8_S8_EEEEPS9_S9_NSD_9__find_if7functorIS9_EEEE10hipError_tPvRmT1_T2_T3_mT4_P12ihipStream_tbEUlT_E1_NS1_11comp_targetILNS1_3genE8ELNS1_11target_archE1030ELNS1_3gpuE2ELNS1_3repE0EEENS1_30default_config_static_selectorELNS0_4arch9wavefront6targetE1EEEvS14_.numbered_sgpr, 0
	.set _ZN7rocprim17ROCPRIM_400000_NS6detail17trampoline_kernelINS0_14default_configENS1_22reduce_config_selectorIN6thrust23THRUST_200600_302600_NS5tupleIblNS6_9null_typeES8_S8_S8_S8_S8_S8_S8_EEEEZNS1_11reduce_implILb1ES3_NS6_12zip_iteratorINS7_INS6_11hip_rocprim26transform_input_iterator_tIbNSD_35transform_pair_of_input_iterators_tIbNS6_6detail15normal_iteratorINS6_10device_ptrIKjEEEESL_NS6_8equal_toIjEEEENSG_9not_fun_tINSD_8identityEEEEENSD_19counting_iterator_tIlEES8_S8_S8_S8_S8_S8_S8_S8_EEEEPS9_S9_NSD_9__find_if7functorIS9_EEEE10hipError_tPvRmT1_T2_T3_mT4_P12ihipStream_tbEUlT_E1_NS1_11comp_targetILNS1_3genE8ELNS1_11target_archE1030ELNS1_3gpuE2ELNS1_3repE0EEENS1_30default_config_static_selectorELNS0_4arch9wavefront6targetE1EEEvS14_.num_named_barrier, 0
	.set _ZN7rocprim17ROCPRIM_400000_NS6detail17trampoline_kernelINS0_14default_configENS1_22reduce_config_selectorIN6thrust23THRUST_200600_302600_NS5tupleIblNS6_9null_typeES8_S8_S8_S8_S8_S8_S8_EEEEZNS1_11reduce_implILb1ES3_NS6_12zip_iteratorINS7_INS6_11hip_rocprim26transform_input_iterator_tIbNSD_35transform_pair_of_input_iterators_tIbNS6_6detail15normal_iteratorINS6_10device_ptrIKjEEEESL_NS6_8equal_toIjEEEENSG_9not_fun_tINSD_8identityEEEEENSD_19counting_iterator_tIlEES8_S8_S8_S8_S8_S8_S8_S8_EEEEPS9_S9_NSD_9__find_if7functorIS9_EEEE10hipError_tPvRmT1_T2_T3_mT4_P12ihipStream_tbEUlT_E1_NS1_11comp_targetILNS1_3genE8ELNS1_11target_archE1030ELNS1_3gpuE2ELNS1_3repE0EEENS1_30default_config_static_selectorELNS0_4arch9wavefront6targetE1EEEvS14_.private_seg_size, 0
	.set _ZN7rocprim17ROCPRIM_400000_NS6detail17trampoline_kernelINS0_14default_configENS1_22reduce_config_selectorIN6thrust23THRUST_200600_302600_NS5tupleIblNS6_9null_typeES8_S8_S8_S8_S8_S8_S8_EEEEZNS1_11reduce_implILb1ES3_NS6_12zip_iteratorINS7_INS6_11hip_rocprim26transform_input_iterator_tIbNSD_35transform_pair_of_input_iterators_tIbNS6_6detail15normal_iteratorINS6_10device_ptrIKjEEEESL_NS6_8equal_toIjEEEENSG_9not_fun_tINSD_8identityEEEEENSD_19counting_iterator_tIlEES8_S8_S8_S8_S8_S8_S8_S8_EEEEPS9_S9_NSD_9__find_if7functorIS9_EEEE10hipError_tPvRmT1_T2_T3_mT4_P12ihipStream_tbEUlT_E1_NS1_11comp_targetILNS1_3genE8ELNS1_11target_archE1030ELNS1_3gpuE2ELNS1_3repE0EEENS1_30default_config_static_selectorELNS0_4arch9wavefront6targetE1EEEvS14_.uses_vcc, 0
	.set _ZN7rocprim17ROCPRIM_400000_NS6detail17trampoline_kernelINS0_14default_configENS1_22reduce_config_selectorIN6thrust23THRUST_200600_302600_NS5tupleIblNS6_9null_typeES8_S8_S8_S8_S8_S8_S8_EEEEZNS1_11reduce_implILb1ES3_NS6_12zip_iteratorINS7_INS6_11hip_rocprim26transform_input_iterator_tIbNSD_35transform_pair_of_input_iterators_tIbNS6_6detail15normal_iteratorINS6_10device_ptrIKjEEEESL_NS6_8equal_toIjEEEENSG_9not_fun_tINSD_8identityEEEEENSD_19counting_iterator_tIlEES8_S8_S8_S8_S8_S8_S8_S8_EEEEPS9_S9_NSD_9__find_if7functorIS9_EEEE10hipError_tPvRmT1_T2_T3_mT4_P12ihipStream_tbEUlT_E1_NS1_11comp_targetILNS1_3genE8ELNS1_11target_archE1030ELNS1_3gpuE2ELNS1_3repE0EEENS1_30default_config_static_selectorELNS0_4arch9wavefront6targetE1EEEvS14_.uses_flat_scratch, 0
	.set _ZN7rocprim17ROCPRIM_400000_NS6detail17trampoline_kernelINS0_14default_configENS1_22reduce_config_selectorIN6thrust23THRUST_200600_302600_NS5tupleIblNS6_9null_typeES8_S8_S8_S8_S8_S8_S8_EEEEZNS1_11reduce_implILb1ES3_NS6_12zip_iteratorINS7_INS6_11hip_rocprim26transform_input_iterator_tIbNSD_35transform_pair_of_input_iterators_tIbNS6_6detail15normal_iteratorINS6_10device_ptrIKjEEEESL_NS6_8equal_toIjEEEENSG_9not_fun_tINSD_8identityEEEEENSD_19counting_iterator_tIlEES8_S8_S8_S8_S8_S8_S8_S8_EEEEPS9_S9_NSD_9__find_if7functorIS9_EEEE10hipError_tPvRmT1_T2_T3_mT4_P12ihipStream_tbEUlT_E1_NS1_11comp_targetILNS1_3genE8ELNS1_11target_archE1030ELNS1_3gpuE2ELNS1_3repE0EEENS1_30default_config_static_selectorELNS0_4arch9wavefront6targetE1EEEvS14_.has_dyn_sized_stack, 0
	.set _ZN7rocprim17ROCPRIM_400000_NS6detail17trampoline_kernelINS0_14default_configENS1_22reduce_config_selectorIN6thrust23THRUST_200600_302600_NS5tupleIblNS6_9null_typeES8_S8_S8_S8_S8_S8_S8_EEEEZNS1_11reduce_implILb1ES3_NS6_12zip_iteratorINS7_INS6_11hip_rocprim26transform_input_iterator_tIbNSD_35transform_pair_of_input_iterators_tIbNS6_6detail15normal_iteratorINS6_10device_ptrIKjEEEESL_NS6_8equal_toIjEEEENSG_9not_fun_tINSD_8identityEEEEENSD_19counting_iterator_tIlEES8_S8_S8_S8_S8_S8_S8_S8_EEEEPS9_S9_NSD_9__find_if7functorIS9_EEEE10hipError_tPvRmT1_T2_T3_mT4_P12ihipStream_tbEUlT_E1_NS1_11comp_targetILNS1_3genE8ELNS1_11target_archE1030ELNS1_3gpuE2ELNS1_3repE0EEENS1_30default_config_static_selectorELNS0_4arch9wavefront6targetE1EEEvS14_.has_recursion, 0
	.set _ZN7rocprim17ROCPRIM_400000_NS6detail17trampoline_kernelINS0_14default_configENS1_22reduce_config_selectorIN6thrust23THRUST_200600_302600_NS5tupleIblNS6_9null_typeES8_S8_S8_S8_S8_S8_S8_EEEEZNS1_11reduce_implILb1ES3_NS6_12zip_iteratorINS7_INS6_11hip_rocprim26transform_input_iterator_tIbNSD_35transform_pair_of_input_iterators_tIbNS6_6detail15normal_iteratorINS6_10device_ptrIKjEEEESL_NS6_8equal_toIjEEEENSG_9not_fun_tINSD_8identityEEEEENSD_19counting_iterator_tIlEES8_S8_S8_S8_S8_S8_S8_S8_EEEEPS9_S9_NSD_9__find_if7functorIS9_EEEE10hipError_tPvRmT1_T2_T3_mT4_P12ihipStream_tbEUlT_E1_NS1_11comp_targetILNS1_3genE8ELNS1_11target_archE1030ELNS1_3gpuE2ELNS1_3repE0EEENS1_30default_config_static_selectorELNS0_4arch9wavefront6targetE1EEEvS14_.has_indirect_call, 0
	.section	.AMDGPU.csdata,"",@progbits
; Kernel info:
; codeLenInByte = 0
; TotalNumSgprs: 4
; NumVgprs: 0
; ScratchSize: 0
; MemoryBound: 0
; FloatMode: 240
; IeeeMode: 1
; LDSByteSize: 0 bytes/workgroup (compile time only)
; SGPRBlocks: 0
; VGPRBlocks: 0
; NumSGPRsForWavesPerEU: 4
; NumVGPRsForWavesPerEU: 1
; Occupancy: 10
; WaveLimiterHint : 0
; COMPUTE_PGM_RSRC2:SCRATCH_EN: 0
; COMPUTE_PGM_RSRC2:USER_SGPR: 6
; COMPUTE_PGM_RSRC2:TRAP_HANDLER: 0
; COMPUTE_PGM_RSRC2:TGID_X_EN: 1
; COMPUTE_PGM_RSRC2:TGID_Y_EN: 0
; COMPUTE_PGM_RSRC2:TGID_Z_EN: 0
; COMPUTE_PGM_RSRC2:TIDIG_COMP_CNT: 0
	.section	.text._ZN7rocprim17ROCPRIM_400000_NS6detail17trampoline_kernelINS0_14default_configENS1_22reduce_config_selectorIN6thrust23THRUST_200600_302600_NS5tupleIblNS6_9null_typeES8_S8_S8_S8_S8_S8_S8_EEEEZNS1_11reduce_implILb1ES3_NS6_12zip_iteratorINS7_INS6_11hip_rocprim26transform_input_iterator_tIbNSD_35transform_pair_of_input_iterators_tIbNS6_6detail15normal_iteratorINS6_10device_ptrIKtEEEESL_NS6_8equal_toItEEEENSG_9not_fun_tINSD_8identityEEEEENSD_19counting_iterator_tIlEES8_S8_S8_S8_S8_S8_S8_S8_EEEEPS9_S9_NSD_9__find_if7functorIS9_EEEE10hipError_tPvRmT1_T2_T3_mT4_P12ihipStream_tbEUlT_E0_NS1_11comp_targetILNS1_3genE0ELNS1_11target_archE4294967295ELNS1_3gpuE0ELNS1_3repE0EEENS1_30default_config_static_selectorELNS0_4arch9wavefront6targetE1EEEvS14_,"axG",@progbits,_ZN7rocprim17ROCPRIM_400000_NS6detail17trampoline_kernelINS0_14default_configENS1_22reduce_config_selectorIN6thrust23THRUST_200600_302600_NS5tupleIblNS6_9null_typeES8_S8_S8_S8_S8_S8_S8_EEEEZNS1_11reduce_implILb1ES3_NS6_12zip_iteratorINS7_INS6_11hip_rocprim26transform_input_iterator_tIbNSD_35transform_pair_of_input_iterators_tIbNS6_6detail15normal_iteratorINS6_10device_ptrIKtEEEESL_NS6_8equal_toItEEEENSG_9not_fun_tINSD_8identityEEEEENSD_19counting_iterator_tIlEES8_S8_S8_S8_S8_S8_S8_S8_EEEEPS9_S9_NSD_9__find_if7functorIS9_EEEE10hipError_tPvRmT1_T2_T3_mT4_P12ihipStream_tbEUlT_E0_NS1_11comp_targetILNS1_3genE0ELNS1_11target_archE4294967295ELNS1_3gpuE0ELNS1_3repE0EEENS1_30default_config_static_selectorELNS0_4arch9wavefront6targetE1EEEvS14_,comdat
	.protected	_ZN7rocprim17ROCPRIM_400000_NS6detail17trampoline_kernelINS0_14default_configENS1_22reduce_config_selectorIN6thrust23THRUST_200600_302600_NS5tupleIblNS6_9null_typeES8_S8_S8_S8_S8_S8_S8_EEEEZNS1_11reduce_implILb1ES3_NS6_12zip_iteratorINS7_INS6_11hip_rocprim26transform_input_iterator_tIbNSD_35transform_pair_of_input_iterators_tIbNS6_6detail15normal_iteratorINS6_10device_ptrIKtEEEESL_NS6_8equal_toItEEEENSG_9not_fun_tINSD_8identityEEEEENSD_19counting_iterator_tIlEES8_S8_S8_S8_S8_S8_S8_S8_EEEEPS9_S9_NSD_9__find_if7functorIS9_EEEE10hipError_tPvRmT1_T2_T3_mT4_P12ihipStream_tbEUlT_E0_NS1_11comp_targetILNS1_3genE0ELNS1_11target_archE4294967295ELNS1_3gpuE0ELNS1_3repE0EEENS1_30default_config_static_selectorELNS0_4arch9wavefront6targetE1EEEvS14_ ; -- Begin function _ZN7rocprim17ROCPRIM_400000_NS6detail17trampoline_kernelINS0_14default_configENS1_22reduce_config_selectorIN6thrust23THRUST_200600_302600_NS5tupleIblNS6_9null_typeES8_S8_S8_S8_S8_S8_S8_EEEEZNS1_11reduce_implILb1ES3_NS6_12zip_iteratorINS7_INS6_11hip_rocprim26transform_input_iterator_tIbNSD_35transform_pair_of_input_iterators_tIbNS6_6detail15normal_iteratorINS6_10device_ptrIKtEEEESL_NS6_8equal_toItEEEENSG_9not_fun_tINSD_8identityEEEEENSD_19counting_iterator_tIlEES8_S8_S8_S8_S8_S8_S8_S8_EEEEPS9_S9_NSD_9__find_if7functorIS9_EEEE10hipError_tPvRmT1_T2_T3_mT4_P12ihipStream_tbEUlT_E0_NS1_11comp_targetILNS1_3genE0ELNS1_11target_archE4294967295ELNS1_3gpuE0ELNS1_3repE0EEENS1_30default_config_static_selectorELNS0_4arch9wavefront6targetE1EEEvS14_
	.globl	_ZN7rocprim17ROCPRIM_400000_NS6detail17trampoline_kernelINS0_14default_configENS1_22reduce_config_selectorIN6thrust23THRUST_200600_302600_NS5tupleIblNS6_9null_typeES8_S8_S8_S8_S8_S8_S8_EEEEZNS1_11reduce_implILb1ES3_NS6_12zip_iteratorINS7_INS6_11hip_rocprim26transform_input_iterator_tIbNSD_35transform_pair_of_input_iterators_tIbNS6_6detail15normal_iteratorINS6_10device_ptrIKtEEEESL_NS6_8equal_toItEEEENSG_9not_fun_tINSD_8identityEEEEENSD_19counting_iterator_tIlEES8_S8_S8_S8_S8_S8_S8_S8_EEEEPS9_S9_NSD_9__find_if7functorIS9_EEEE10hipError_tPvRmT1_T2_T3_mT4_P12ihipStream_tbEUlT_E0_NS1_11comp_targetILNS1_3genE0ELNS1_11target_archE4294967295ELNS1_3gpuE0ELNS1_3repE0EEENS1_30default_config_static_selectorELNS0_4arch9wavefront6targetE1EEEvS14_
	.p2align	8
	.type	_ZN7rocprim17ROCPRIM_400000_NS6detail17trampoline_kernelINS0_14default_configENS1_22reduce_config_selectorIN6thrust23THRUST_200600_302600_NS5tupleIblNS6_9null_typeES8_S8_S8_S8_S8_S8_S8_EEEEZNS1_11reduce_implILb1ES3_NS6_12zip_iteratorINS7_INS6_11hip_rocprim26transform_input_iterator_tIbNSD_35transform_pair_of_input_iterators_tIbNS6_6detail15normal_iteratorINS6_10device_ptrIKtEEEESL_NS6_8equal_toItEEEENSG_9not_fun_tINSD_8identityEEEEENSD_19counting_iterator_tIlEES8_S8_S8_S8_S8_S8_S8_S8_EEEEPS9_S9_NSD_9__find_if7functorIS9_EEEE10hipError_tPvRmT1_T2_T3_mT4_P12ihipStream_tbEUlT_E0_NS1_11comp_targetILNS1_3genE0ELNS1_11target_archE4294967295ELNS1_3gpuE0ELNS1_3repE0EEENS1_30default_config_static_selectorELNS0_4arch9wavefront6targetE1EEEvS14_,@function
_ZN7rocprim17ROCPRIM_400000_NS6detail17trampoline_kernelINS0_14default_configENS1_22reduce_config_selectorIN6thrust23THRUST_200600_302600_NS5tupleIblNS6_9null_typeES8_S8_S8_S8_S8_S8_S8_EEEEZNS1_11reduce_implILb1ES3_NS6_12zip_iteratorINS7_INS6_11hip_rocprim26transform_input_iterator_tIbNSD_35transform_pair_of_input_iterators_tIbNS6_6detail15normal_iteratorINS6_10device_ptrIKtEEEESL_NS6_8equal_toItEEEENSG_9not_fun_tINSD_8identityEEEEENSD_19counting_iterator_tIlEES8_S8_S8_S8_S8_S8_S8_S8_EEEEPS9_S9_NSD_9__find_if7functorIS9_EEEE10hipError_tPvRmT1_T2_T3_mT4_P12ihipStream_tbEUlT_E0_NS1_11comp_targetILNS1_3genE0ELNS1_11target_archE4294967295ELNS1_3gpuE0ELNS1_3repE0EEENS1_30default_config_static_selectorELNS0_4arch9wavefront6targetE1EEEvS14_: ; @_ZN7rocprim17ROCPRIM_400000_NS6detail17trampoline_kernelINS0_14default_configENS1_22reduce_config_selectorIN6thrust23THRUST_200600_302600_NS5tupleIblNS6_9null_typeES8_S8_S8_S8_S8_S8_S8_EEEEZNS1_11reduce_implILb1ES3_NS6_12zip_iteratorINS7_INS6_11hip_rocprim26transform_input_iterator_tIbNSD_35transform_pair_of_input_iterators_tIbNS6_6detail15normal_iteratorINS6_10device_ptrIKtEEEESL_NS6_8equal_toItEEEENSG_9not_fun_tINSD_8identityEEEEENSD_19counting_iterator_tIlEES8_S8_S8_S8_S8_S8_S8_S8_EEEEPS9_S9_NSD_9__find_if7functorIS9_EEEE10hipError_tPvRmT1_T2_T3_mT4_P12ihipStream_tbEUlT_E0_NS1_11comp_targetILNS1_3genE0ELNS1_11target_archE4294967295ELNS1_3gpuE0ELNS1_3repE0EEENS1_30default_config_static_selectorELNS0_4arch9wavefront6targetE1EEEvS14_
; %bb.0:
	.section	.rodata,"a",@progbits
	.p2align	6, 0x0
	.amdhsa_kernel _ZN7rocprim17ROCPRIM_400000_NS6detail17trampoline_kernelINS0_14default_configENS1_22reduce_config_selectorIN6thrust23THRUST_200600_302600_NS5tupleIblNS6_9null_typeES8_S8_S8_S8_S8_S8_S8_EEEEZNS1_11reduce_implILb1ES3_NS6_12zip_iteratorINS7_INS6_11hip_rocprim26transform_input_iterator_tIbNSD_35transform_pair_of_input_iterators_tIbNS6_6detail15normal_iteratorINS6_10device_ptrIKtEEEESL_NS6_8equal_toItEEEENSG_9not_fun_tINSD_8identityEEEEENSD_19counting_iterator_tIlEES8_S8_S8_S8_S8_S8_S8_S8_EEEEPS9_S9_NSD_9__find_if7functorIS9_EEEE10hipError_tPvRmT1_T2_T3_mT4_P12ihipStream_tbEUlT_E0_NS1_11comp_targetILNS1_3genE0ELNS1_11target_archE4294967295ELNS1_3gpuE0ELNS1_3repE0EEENS1_30default_config_static_selectorELNS0_4arch9wavefront6targetE1EEEvS14_
		.amdhsa_group_segment_fixed_size 0
		.amdhsa_private_segment_fixed_size 0
		.amdhsa_kernarg_size 104
		.amdhsa_user_sgpr_count 6
		.amdhsa_user_sgpr_private_segment_buffer 1
		.amdhsa_user_sgpr_dispatch_ptr 0
		.amdhsa_user_sgpr_queue_ptr 0
		.amdhsa_user_sgpr_kernarg_segment_ptr 1
		.amdhsa_user_sgpr_dispatch_id 0
		.amdhsa_user_sgpr_flat_scratch_init 0
		.amdhsa_user_sgpr_private_segment_size 0
		.amdhsa_uses_dynamic_stack 0
		.amdhsa_system_sgpr_private_segment_wavefront_offset 0
		.amdhsa_system_sgpr_workgroup_id_x 1
		.amdhsa_system_sgpr_workgroup_id_y 0
		.amdhsa_system_sgpr_workgroup_id_z 0
		.amdhsa_system_sgpr_workgroup_info 0
		.amdhsa_system_vgpr_workitem_id 0
		.amdhsa_next_free_vgpr 1
		.amdhsa_next_free_sgpr 0
		.amdhsa_reserve_vcc 0
		.amdhsa_reserve_flat_scratch 0
		.amdhsa_float_round_mode_32 0
		.amdhsa_float_round_mode_16_64 0
		.amdhsa_float_denorm_mode_32 3
		.amdhsa_float_denorm_mode_16_64 3
		.amdhsa_dx10_clamp 1
		.amdhsa_ieee_mode 1
		.amdhsa_fp16_overflow 0
		.amdhsa_exception_fp_ieee_invalid_op 0
		.amdhsa_exception_fp_denorm_src 0
		.amdhsa_exception_fp_ieee_div_zero 0
		.amdhsa_exception_fp_ieee_overflow 0
		.amdhsa_exception_fp_ieee_underflow 0
		.amdhsa_exception_fp_ieee_inexact 0
		.amdhsa_exception_int_div_zero 0
	.end_amdhsa_kernel
	.section	.text._ZN7rocprim17ROCPRIM_400000_NS6detail17trampoline_kernelINS0_14default_configENS1_22reduce_config_selectorIN6thrust23THRUST_200600_302600_NS5tupleIblNS6_9null_typeES8_S8_S8_S8_S8_S8_S8_EEEEZNS1_11reduce_implILb1ES3_NS6_12zip_iteratorINS7_INS6_11hip_rocprim26transform_input_iterator_tIbNSD_35transform_pair_of_input_iterators_tIbNS6_6detail15normal_iteratorINS6_10device_ptrIKtEEEESL_NS6_8equal_toItEEEENSG_9not_fun_tINSD_8identityEEEEENSD_19counting_iterator_tIlEES8_S8_S8_S8_S8_S8_S8_S8_EEEEPS9_S9_NSD_9__find_if7functorIS9_EEEE10hipError_tPvRmT1_T2_T3_mT4_P12ihipStream_tbEUlT_E0_NS1_11comp_targetILNS1_3genE0ELNS1_11target_archE4294967295ELNS1_3gpuE0ELNS1_3repE0EEENS1_30default_config_static_selectorELNS0_4arch9wavefront6targetE1EEEvS14_,"axG",@progbits,_ZN7rocprim17ROCPRIM_400000_NS6detail17trampoline_kernelINS0_14default_configENS1_22reduce_config_selectorIN6thrust23THRUST_200600_302600_NS5tupleIblNS6_9null_typeES8_S8_S8_S8_S8_S8_S8_EEEEZNS1_11reduce_implILb1ES3_NS6_12zip_iteratorINS7_INS6_11hip_rocprim26transform_input_iterator_tIbNSD_35transform_pair_of_input_iterators_tIbNS6_6detail15normal_iteratorINS6_10device_ptrIKtEEEESL_NS6_8equal_toItEEEENSG_9not_fun_tINSD_8identityEEEEENSD_19counting_iterator_tIlEES8_S8_S8_S8_S8_S8_S8_S8_EEEEPS9_S9_NSD_9__find_if7functorIS9_EEEE10hipError_tPvRmT1_T2_T3_mT4_P12ihipStream_tbEUlT_E0_NS1_11comp_targetILNS1_3genE0ELNS1_11target_archE4294967295ELNS1_3gpuE0ELNS1_3repE0EEENS1_30default_config_static_selectorELNS0_4arch9wavefront6targetE1EEEvS14_,comdat
.Lfunc_end501:
	.size	_ZN7rocprim17ROCPRIM_400000_NS6detail17trampoline_kernelINS0_14default_configENS1_22reduce_config_selectorIN6thrust23THRUST_200600_302600_NS5tupleIblNS6_9null_typeES8_S8_S8_S8_S8_S8_S8_EEEEZNS1_11reduce_implILb1ES3_NS6_12zip_iteratorINS7_INS6_11hip_rocprim26transform_input_iterator_tIbNSD_35transform_pair_of_input_iterators_tIbNS6_6detail15normal_iteratorINS6_10device_ptrIKtEEEESL_NS6_8equal_toItEEEENSG_9not_fun_tINSD_8identityEEEEENSD_19counting_iterator_tIlEES8_S8_S8_S8_S8_S8_S8_S8_EEEEPS9_S9_NSD_9__find_if7functorIS9_EEEE10hipError_tPvRmT1_T2_T3_mT4_P12ihipStream_tbEUlT_E0_NS1_11comp_targetILNS1_3genE0ELNS1_11target_archE4294967295ELNS1_3gpuE0ELNS1_3repE0EEENS1_30default_config_static_selectorELNS0_4arch9wavefront6targetE1EEEvS14_, .Lfunc_end501-_ZN7rocprim17ROCPRIM_400000_NS6detail17trampoline_kernelINS0_14default_configENS1_22reduce_config_selectorIN6thrust23THRUST_200600_302600_NS5tupleIblNS6_9null_typeES8_S8_S8_S8_S8_S8_S8_EEEEZNS1_11reduce_implILb1ES3_NS6_12zip_iteratorINS7_INS6_11hip_rocprim26transform_input_iterator_tIbNSD_35transform_pair_of_input_iterators_tIbNS6_6detail15normal_iteratorINS6_10device_ptrIKtEEEESL_NS6_8equal_toItEEEENSG_9not_fun_tINSD_8identityEEEEENSD_19counting_iterator_tIlEES8_S8_S8_S8_S8_S8_S8_S8_EEEEPS9_S9_NSD_9__find_if7functorIS9_EEEE10hipError_tPvRmT1_T2_T3_mT4_P12ihipStream_tbEUlT_E0_NS1_11comp_targetILNS1_3genE0ELNS1_11target_archE4294967295ELNS1_3gpuE0ELNS1_3repE0EEENS1_30default_config_static_selectorELNS0_4arch9wavefront6targetE1EEEvS14_
                                        ; -- End function
	.set _ZN7rocprim17ROCPRIM_400000_NS6detail17trampoline_kernelINS0_14default_configENS1_22reduce_config_selectorIN6thrust23THRUST_200600_302600_NS5tupleIblNS6_9null_typeES8_S8_S8_S8_S8_S8_S8_EEEEZNS1_11reduce_implILb1ES3_NS6_12zip_iteratorINS7_INS6_11hip_rocprim26transform_input_iterator_tIbNSD_35transform_pair_of_input_iterators_tIbNS6_6detail15normal_iteratorINS6_10device_ptrIKtEEEESL_NS6_8equal_toItEEEENSG_9not_fun_tINSD_8identityEEEEENSD_19counting_iterator_tIlEES8_S8_S8_S8_S8_S8_S8_S8_EEEEPS9_S9_NSD_9__find_if7functorIS9_EEEE10hipError_tPvRmT1_T2_T3_mT4_P12ihipStream_tbEUlT_E0_NS1_11comp_targetILNS1_3genE0ELNS1_11target_archE4294967295ELNS1_3gpuE0ELNS1_3repE0EEENS1_30default_config_static_selectorELNS0_4arch9wavefront6targetE1EEEvS14_.num_vgpr, 0
	.set _ZN7rocprim17ROCPRIM_400000_NS6detail17trampoline_kernelINS0_14default_configENS1_22reduce_config_selectorIN6thrust23THRUST_200600_302600_NS5tupleIblNS6_9null_typeES8_S8_S8_S8_S8_S8_S8_EEEEZNS1_11reduce_implILb1ES3_NS6_12zip_iteratorINS7_INS6_11hip_rocprim26transform_input_iterator_tIbNSD_35transform_pair_of_input_iterators_tIbNS6_6detail15normal_iteratorINS6_10device_ptrIKtEEEESL_NS6_8equal_toItEEEENSG_9not_fun_tINSD_8identityEEEEENSD_19counting_iterator_tIlEES8_S8_S8_S8_S8_S8_S8_S8_EEEEPS9_S9_NSD_9__find_if7functorIS9_EEEE10hipError_tPvRmT1_T2_T3_mT4_P12ihipStream_tbEUlT_E0_NS1_11comp_targetILNS1_3genE0ELNS1_11target_archE4294967295ELNS1_3gpuE0ELNS1_3repE0EEENS1_30default_config_static_selectorELNS0_4arch9wavefront6targetE1EEEvS14_.num_agpr, 0
	.set _ZN7rocprim17ROCPRIM_400000_NS6detail17trampoline_kernelINS0_14default_configENS1_22reduce_config_selectorIN6thrust23THRUST_200600_302600_NS5tupleIblNS6_9null_typeES8_S8_S8_S8_S8_S8_S8_EEEEZNS1_11reduce_implILb1ES3_NS6_12zip_iteratorINS7_INS6_11hip_rocprim26transform_input_iterator_tIbNSD_35transform_pair_of_input_iterators_tIbNS6_6detail15normal_iteratorINS6_10device_ptrIKtEEEESL_NS6_8equal_toItEEEENSG_9not_fun_tINSD_8identityEEEEENSD_19counting_iterator_tIlEES8_S8_S8_S8_S8_S8_S8_S8_EEEEPS9_S9_NSD_9__find_if7functorIS9_EEEE10hipError_tPvRmT1_T2_T3_mT4_P12ihipStream_tbEUlT_E0_NS1_11comp_targetILNS1_3genE0ELNS1_11target_archE4294967295ELNS1_3gpuE0ELNS1_3repE0EEENS1_30default_config_static_selectorELNS0_4arch9wavefront6targetE1EEEvS14_.numbered_sgpr, 0
	.set _ZN7rocprim17ROCPRIM_400000_NS6detail17trampoline_kernelINS0_14default_configENS1_22reduce_config_selectorIN6thrust23THRUST_200600_302600_NS5tupleIblNS6_9null_typeES8_S8_S8_S8_S8_S8_S8_EEEEZNS1_11reduce_implILb1ES3_NS6_12zip_iteratorINS7_INS6_11hip_rocprim26transform_input_iterator_tIbNSD_35transform_pair_of_input_iterators_tIbNS6_6detail15normal_iteratorINS6_10device_ptrIKtEEEESL_NS6_8equal_toItEEEENSG_9not_fun_tINSD_8identityEEEEENSD_19counting_iterator_tIlEES8_S8_S8_S8_S8_S8_S8_S8_EEEEPS9_S9_NSD_9__find_if7functorIS9_EEEE10hipError_tPvRmT1_T2_T3_mT4_P12ihipStream_tbEUlT_E0_NS1_11comp_targetILNS1_3genE0ELNS1_11target_archE4294967295ELNS1_3gpuE0ELNS1_3repE0EEENS1_30default_config_static_selectorELNS0_4arch9wavefront6targetE1EEEvS14_.num_named_barrier, 0
	.set _ZN7rocprim17ROCPRIM_400000_NS6detail17trampoline_kernelINS0_14default_configENS1_22reduce_config_selectorIN6thrust23THRUST_200600_302600_NS5tupleIblNS6_9null_typeES8_S8_S8_S8_S8_S8_S8_EEEEZNS1_11reduce_implILb1ES3_NS6_12zip_iteratorINS7_INS6_11hip_rocprim26transform_input_iterator_tIbNSD_35transform_pair_of_input_iterators_tIbNS6_6detail15normal_iteratorINS6_10device_ptrIKtEEEESL_NS6_8equal_toItEEEENSG_9not_fun_tINSD_8identityEEEEENSD_19counting_iterator_tIlEES8_S8_S8_S8_S8_S8_S8_S8_EEEEPS9_S9_NSD_9__find_if7functorIS9_EEEE10hipError_tPvRmT1_T2_T3_mT4_P12ihipStream_tbEUlT_E0_NS1_11comp_targetILNS1_3genE0ELNS1_11target_archE4294967295ELNS1_3gpuE0ELNS1_3repE0EEENS1_30default_config_static_selectorELNS0_4arch9wavefront6targetE1EEEvS14_.private_seg_size, 0
	.set _ZN7rocprim17ROCPRIM_400000_NS6detail17trampoline_kernelINS0_14default_configENS1_22reduce_config_selectorIN6thrust23THRUST_200600_302600_NS5tupleIblNS6_9null_typeES8_S8_S8_S8_S8_S8_S8_EEEEZNS1_11reduce_implILb1ES3_NS6_12zip_iteratorINS7_INS6_11hip_rocprim26transform_input_iterator_tIbNSD_35transform_pair_of_input_iterators_tIbNS6_6detail15normal_iteratorINS6_10device_ptrIKtEEEESL_NS6_8equal_toItEEEENSG_9not_fun_tINSD_8identityEEEEENSD_19counting_iterator_tIlEES8_S8_S8_S8_S8_S8_S8_S8_EEEEPS9_S9_NSD_9__find_if7functorIS9_EEEE10hipError_tPvRmT1_T2_T3_mT4_P12ihipStream_tbEUlT_E0_NS1_11comp_targetILNS1_3genE0ELNS1_11target_archE4294967295ELNS1_3gpuE0ELNS1_3repE0EEENS1_30default_config_static_selectorELNS0_4arch9wavefront6targetE1EEEvS14_.uses_vcc, 0
	.set _ZN7rocprim17ROCPRIM_400000_NS6detail17trampoline_kernelINS0_14default_configENS1_22reduce_config_selectorIN6thrust23THRUST_200600_302600_NS5tupleIblNS6_9null_typeES8_S8_S8_S8_S8_S8_S8_EEEEZNS1_11reduce_implILb1ES3_NS6_12zip_iteratorINS7_INS6_11hip_rocprim26transform_input_iterator_tIbNSD_35transform_pair_of_input_iterators_tIbNS6_6detail15normal_iteratorINS6_10device_ptrIKtEEEESL_NS6_8equal_toItEEEENSG_9not_fun_tINSD_8identityEEEEENSD_19counting_iterator_tIlEES8_S8_S8_S8_S8_S8_S8_S8_EEEEPS9_S9_NSD_9__find_if7functorIS9_EEEE10hipError_tPvRmT1_T2_T3_mT4_P12ihipStream_tbEUlT_E0_NS1_11comp_targetILNS1_3genE0ELNS1_11target_archE4294967295ELNS1_3gpuE0ELNS1_3repE0EEENS1_30default_config_static_selectorELNS0_4arch9wavefront6targetE1EEEvS14_.uses_flat_scratch, 0
	.set _ZN7rocprim17ROCPRIM_400000_NS6detail17trampoline_kernelINS0_14default_configENS1_22reduce_config_selectorIN6thrust23THRUST_200600_302600_NS5tupleIblNS6_9null_typeES8_S8_S8_S8_S8_S8_S8_EEEEZNS1_11reduce_implILb1ES3_NS6_12zip_iteratorINS7_INS6_11hip_rocprim26transform_input_iterator_tIbNSD_35transform_pair_of_input_iterators_tIbNS6_6detail15normal_iteratorINS6_10device_ptrIKtEEEESL_NS6_8equal_toItEEEENSG_9not_fun_tINSD_8identityEEEEENSD_19counting_iterator_tIlEES8_S8_S8_S8_S8_S8_S8_S8_EEEEPS9_S9_NSD_9__find_if7functorIS9_EEEE10hipError_tPvRmT1_T2_T3_mT4_P12ihipStream_tbEUlT_E0_NS1_11comp_targetILNS1_3genE0ELNS1_11target_archE4294967295ELNS1_3gpuE0ELNS1_3repE0EEENS1_30default_config_static_selectorELNS0_4arch9wavefront6targetE1EEEvS14_.has_dyn_sized_stack, 0
	.set _ZN7rocprim17ROCPRIM_400000_NS6detail17trampoline_kernelINS0_14default_configENS1_22reduce_config_selectorIN6thrust23THRUST_200600_302600_NS5tupleIblNS6_9null_typeES8_S8_S8_S8_S8_S8_S8_EEEEZNS1_11reduce_implILb1ES3_NS6_12zip_iteratorINS7_INS6_11hip_rocprim26transform_input_iterator_tIbNSD_35transform_pair_of_input_iterators_tIbNS6_6detail15normal_iteratorINS6_10device_ptrIKtEEEESL_NS6_8equal_toItEEEENSG_9not_fun_tINSD_8identityEEEEENSD_19counting_iterator_tIlEES8_S8_S8_S8_S8_S8_S8_S8_EEEEPS9_S9_NSD_9__find_if7functorIS9_EEEE10hipError_tPvRmT1_T2_T3_mT4_P12ihipStream_tbEUlT_E0_NS1_11comp_targetILNS1_3genE0ELNS1_11target_archE4294967295ELNS1_3gpuE0ELNS1_3repE0EEENS1_30default_config_static_selectorELNS0_4arch9wavefront6targetE1EEEvS14_.has_recursion, 0
	.set _ZN7rocprim17ROCPRIM_400000_NS6detail17trampoline_kernelINS0_14default_configENS1_22reduce_config_selectorIN6thrust23THRUST_200600_302600_NS5tupleIblNS6_9null_typeES8_S8_S8_S8_S8_S8_S8_EEEEZNS1_11reduce_implILb1ES3_NS6_12zip_iteratorINS7_INS6_11hip_rocprim26transform_input_iterator_tIbNSD_35transform_pair_of_input_iterators_tIbNS6_6detail15normal_iteratorINS6_10device_ptrIKtEEEESL_NS6_8equal_toItEEEENSG_9not_fun_tINSD_8identityEEEEENSD_19counting_iterator_tIlEES8_S8_S8_S8_S8_S8_S8_S8_EEEEPS9_S9_NSD_9__find_if7functorIS9_EEEE10hipError_tPvRmT1_T2_T3_mT4_P12ihipStream_tbEUlT_E0_NS1_11comp_targetILNS1_3genE0ELNS1_11target_archE4294967295ELNS1_3gpuE0ELNS1_3repE0EEENS1_30default_config_static_selectorELNS0_4arch9wavefront6targetE1EEEvS14_.has_indirect_call, 0
	.section	.AMDGPU.csdata,"",@progbits
; Kernel info:
; codeLenInByte = 0
; TotalNumSgprs: 4
; NumVgprs: 0
; ScratchSize: 0
; MemoryBound: 0
; FloatMode: 240
; IeeeMode: 1
; LDSByteSize: 0 bytes/workgroup (compile time only)
; SGPRBlocks: 0
; VGPRBlocks: 0
; NumSGPRsForWavesPerEU: 4
; NumVGPRsForWavesPerEU: 1
; Occupancy: 10
; WaveLimiterHint : 0
; COMPUTE_PGM_RSRC2:SCRATCH_EN: 0
; COMPUTE_PGM_RSRC2:USER_SGPR: 6
; COMPUTE_PGM_RSRC2:TRAP_HANDLER: 0
; COMPUTE_PGM_RSRC2:TGID_X_EN: 1
; COMPUTE_PGM_RSRC2:TGID_Y_EN: 0
; COMPUTE_PGM_RSRC2:TGID_Z_EN: 0
; COMPUTE_PGM_RSRC2:TIDIG_COMP_CNT: 0
	.section	.text._ZN7rocprim17ROCPRIM_400000_NS6detail17trampoline_kernelINS0_14default_configENS1_22reduce_config_selectorIN6thrust23THRUST_200600_302600_NS5tupleIblNS6_9null_typeES8_S8_S8_S8_S8_S8_S8_EEEEZNS1_11reduce_implILb1ES3_NS6_12zip_iteratorINS7_INS6_11hip_rocprim26transform_input_iterator_tIbNSD_35transform_pair_of_input_iterators_tIbNS6_6detail15normal_iteratorINS6_10device_ptrIKtEEEESL_NS6_8equal_toItEEEENSG_9not_fun_tINSD_8identityEEEEENSD_19counting_iterator_tIlEES8_S8_S8_S8_S8_S8_S8_S8_EEEEPS9_S9_NSD_9__find_if7functorIS9_EEEE10hipError_tPvRmT1_T2_T3_mT4_P12ihipStream_tbEUlT_E0_NS1_11comp_targetILNS1_3genE5ELNS1_11target_archE942ELNS1_3gpuE9ELNS1_3repE0EEENS1_30default_config_static_selectorELNS0_4arch9wavefront6targetE1EEEvS14_,"axG",@progbits,_ZN7rocprim17ROCPRIM_400000_NS6detail17trampoline_kernelINS0_14default_configENS1_22reduce_config_selectorIN6thrust23THRUST_200600_302600_NS5tupleIblNS6_9null_typeES8_S8_S8_S8_S8_S8_S8_EEEEZNS1_11reduce_implILb1ES3_NS6_12zip_iteratorINS7_INS6_11hip_rocprim26transform_input_iterator_tIbNSD_35transform_pair_of_input_iterators_tIbNS6_6detail15normal_iteratorINS6_10device_ptrIKtEEEESL_NS6_8equal_toItEEEENSG_9not_fun_tINSD_8identityEEEEENSD_19counting_iterator_tIlEES8_S8_S8_S8_S8_S8_S8_S8_EEEEPS9_S9_NSD_9__find_if7functorIS9_EEEE10hipError_tPvRmT1_T2_T3_mT4_P12ihipStream_tbEUlT_E0_NS1_11comp_targetILNS1_3genE5ELNS1_11target_archE942ELNS1_3gpuE9ELNS1_3repE0EEENS1_30default_config_static_selectorELNS0_4arch9wavefront6targetE1EEEvS14_,comdat
	.protected	_ZN7rocprim17ROCPRIM_400000_NS6detail17trampoline_kernelINS0_14default_configENS1_22reduce_config_selectorIN6thrust23THRUST_200600_302600_NS5tupleIblNS6_9null_typeES8_S8_S8_S8_S8_S8_S8_EEEEZNS1_11reduce_implILb1ES3_NS6_12zip_iteratorINS7_INS6_11hip_rocprim26transform_input_iterator_tIbNSD_35transform_pair_of_input_iterators_tIbNS6_6detail15normal_iteratorINS6_10device_ptrIKtEEEESL_NS6_8equal_toItEEEENSG_9not_fun_tINSD_8identityEEEEENSD_19counting_iterator_tIlEES8_S8_S8_S8_S8_S8_S8_S8_EEEEPS9_S9_NSD_9__find_if7functorIS9_EEEE10hipError_tPvRmT1_T2_T3_mT4_P12ihipStream_tbEUlT_E0_NS1_11comp_targetILNS1_3genE5ELNS1_11target_archE942ELNS1_3gpuE9ELNS1_3repE0EEENS1_30default_config_static_selectorELNS0_4arch9wavefront6targetE1EEEvS14_ ; -- Begin function _ZN7rocprim17ROCPRIM_400000_NS6detail17trampoline_kernelINS0_14default_configENS1_22reduce_config_selectorIN6thrust23THRUST_200600_302600_NS5tupleIblNS6_9null_typeES8_S8_S8_S8_S8_S8_S8_EEEEZNS1_11reduce_implILb1ES3_NS6_12zip_iteratorINS7_INS6_11hip_rocprim26transform_input_iterator_tIbNSD_35transform_pair_of_input_iterators_tIbNS6_6detail15normal_iteratorINS6_10device_ptrIKtEEEESL_NS6_8equal_toItEEEENSG_9not_fun_tINSD_8identityEEEEENSD_19counting_iterator_tIlEES8_S8_S8_S8_S8_S8_S8_S8_EEEEPS9_S9_NSD_9__find_if7functorIS9_EEEE10hipError_tPvRmT1_T2_T3_mT4_P12ihipStream_tbEUlT_E0_NS1_11comp_targetILNS1_3genE5ELNS1_11target_archE942ELNS1_3gpuE9ELNS1_3repE0EEENS1_30default_config_static_selectorELNS0_4arch9wavefront6targetE1EEEvS14_
	.globl	_ZN7rocprim17ROCPRIM_400000_NS6detail17trampoline_kernelINS0_14default_configENS1_22reduce_config_selectorIN6thrust23THRUST_200600_302600_NS5tupleIblNS6_9null_typeES8_S8_S8_S8_S8_S8_S8_EEEEZNS1_11reduce_implILb1ES3_NS6_12zip_iteratorINS7_INS6_11hip_rocprim26transform_input_iterator_tIbNSD_35transform_pair_of_input_iterators_tIbNS6_6detail15normal_iteratorINS6_10device_ptrIKtEEEESL_NS6_8equal_toItEEEENSG_9not_fun_tINSD_8identityEEEEENSD_19counting_iterator_tIlEES8_S8_S8_S8_S8_S8_S8_S8_EEEEPS9_S9_NSD_9__find_if7functorIS9_EEEE10hipError_tPvRmT1_T2_T3_mT4_P12ihipStream_tbEUlT_E0_NS1_11comp_targetILNS1_3genE5ELNS1_11target_archE942ELNS1_3gpuE9ELNS1_3repE0EEENS1_30default_config_static_selectorELNS0_4arch9wavefront6targetE1EEEvS14_
	.p2align	8
	.type	_ZN7rocprim17ROCPRIM_400000_NS6detail17trampoline_kernelINS0_14default_configENS1_22reduce_config_selectorIN6thrust23THRUST_200600_302600_NS5tupleIblNS6_9null_typeES8_S8_S8_S8_S8_S8_S8_EEEEZNS1_11reduce_implILb1ES3_NS6_12zip_iteratorINS7_INS6_11hip_rocprim26transform_input_iterator_tIbNSD_35transform_pair_of_input_iterators_tIbNS6_6detail15normal_iteratorINS6_10device_ptrIKtEEEESL_NS6_8equal_toItEEEENSG_9not_fun_tINSD_8identityEEEEENSD_19counting_iterator_tIlEES8_S8_S8_S8_S8_S8_S8_S8_EEEEPS9_S9_NSD_9__find_if7functorIS9_EEEE10hipError_tPvRmT1_T2_T3_mT4_P12ihipStream_tbEUlT_E0_NS1_11comp_targetILNS1_3genE5ELNS1_11target_archE942ELNS1_3gpuE9ELNS1_3repE0EEENS1_30default_config_static_selectorELNS0_4arch9wavefront6targetE1EEEvS14_,@function
_ZN7rocprim17ROCPRIM_400000_NS6detail17trampoline_kernelINS0_14default_configENS1_22reduce_config_selectorIN6thrust23THRUST_200600_302600_NS5tupleIblNS6_9null_typeES8_S8_S8_S8_S8_S8_S8_EEEEZNS1_11reduce_implILb1ES3_NS6_12zip_iteratorINS7_INS6_11hip_rocprim26transform_input_iterator_tIbNSD_35transform_pair_of_input_iterators_tIbNS6_6detail15normal_iteratorINS6_10device_ptrIKtEEEESL_NS6_8equal_toItEEEENSG_9not_fun_tINSD_8identityEEEEENSD_19counting_iterator_tIlEES8_S8_S8_S8_S8_S8_S8_S8_EEEEPS9_S9_NSD_9__find_if7functorIS9_EEEE10hipError_tPvRmT1_T2_T3_mT4_P12ihipStream_tbEUlT_E0_NS1_11comp_targetILNS1_3genE5ELNS1_11target_archE942ELNS1_3gpuE9ELNS1_3repE0EEENS1_30default_config_static_selectorELNS0_4arch9wavefront6targetE1EEEvS14_: ; @_ZN7rocprim17ROCPRIM_400000_NS6detail17trampoline_kernelINS0_14default_configENS1_22reduce_config_selectorIN6thrust23THRUST_200600_302600_NS5tupleIblNS6_9null_typeES8_S8_S8_S8_S8_S8_S8_EEEEZNS1_11reduce_implILb1ES3_NS6_12zip_iteratorINS7_INS6_11hip_rocprim26transform_input_iterator_tIbNSD_35transform_pair_of_input_iterators_tIbNS6_6detail15normal_iteratorINS6_10device_ptrIKtEEEESL_NS6_8equal_toItEEEENSG_9not_fun_tINSD_8identityEEEEENSD_19counting_iterator_tIlEES8_S8_S8_S8_S8_S8_S8_S8_EEEEPS9_S9_NSD_9__find_if7functorIS9_EEEE10hipError_tPvRmT1_T2_T3_mT4_P12ihipStream_tbEUlT_E0_NS1_11comp_targetILNS1_3genE5ELNS1_11target_archE942ELNS1_3gpuE9ELNS1_3repE0EEENS1_30default_config_static_selectorELNS0_4arch9wavefront6targetE1EEEvS14_
; %bb.0:
	.section	.rodata,"a",@progbits
	.p2align	6, 0x0
	.amdhsa_kernel _ZN7rocprim17ROCPRIM_400000_NS6detail17trampoline_kernelINS0_14default_configENS1_22reduce_config_selectorIN6thrust23THRUST_200600_302600_NS5tupleIblNS6_9null_typeES8_S8_S8_S8_S8_S8_S8_EEEEZNS1_11reduce_implILb1ES3_NS6_12zip_iteratorINS7_INS6_11hip_rocprim26transform_input_iterator_tIbNSD_35transform_pair_of_input_iterators_tIbNS6_6detail15normal_iteratorINS6_10device_ptrIKtEEEESL_NS6_8equal_toItEEEENSG_9not_fun_tINSD_8identityEEEEENSD_19counting_iterator_tIlEES8_S8_S8_S8_S8_S8_S8_S8_EEEEPS9_S9_NSD_9__find_if7functorIS9_EEEE10hipError_tPvRmT1_T2_T3_mT4_P12ihipStream_tbEUlT_E0_NS1_11comp_targetILNS1_3genE5ELNS1_11target_archE942ELNS1_3gpuE9ELNS1_3repE0EEENS1_30default_config_static_selectorELNS0_4arch9wavefront6targetE1EEEvS14_
		.amdhsa_group_segment_fixed_size 0
		.amdhsa_private_segment_fixed_size 0
		.amdhsa_kernarg_size 104
		.amdhsa_user_sgpr_count 6
		.amdhsa_user_sgpr_private_segment_buffer 1
		.amdhsa_user_sgpr_dispatch_ptr 0
		.amdhsa_user_sgpr_queue_ptr 0
		.amdhsa_user_sgpr_kernarg_segment_ptr 1
		.amdhsa_user_sgpr_dispatch_id 0
		.amdhsa_user_sgpr_flat_scratch_init 0
		.amdhsa_user_sgpr_private_segment_size 0
		.amdhsa_uses_dynamic_stack 0
		.amdhsa_system_sgpr_private_segment_wavefront_offset 0
		.amdhsa_system_sgpr_workgroup_id_x 1
		.amdhsa_system_sgpr_workgroup_id_y 0
		.amdhsa_system_sgpr_workgroup_id_z 0
		.amdhsa_system_sgpr_workgroup_info 0
		.amdhsa_system_vgpr_workitem_id 0
		.amdhsa_next_free_vgpr 1
		.amdhsa_next_free_sgpr 0
		.amdhsa_reserve_vcc 0
		.amdhsa_reserve_flat_scratch 0
		.amdhsa_float_round_mode_32 0
		.amdhsa_float_round_mode_16_64 0
		.amdhsa_float_denorm_mode_32 3
		.amdhsa_float_denorm_mode_16_64 3
		.amdhsa_dx10_clamp 1
		.amdhsa_ieee_mode 1
		.amdhsa_fp16_overflow 0
		.amdhsa_exception_fp_ieee_invalid_op 0
		.amdhsa_exception_fp_denorm_src 0
		.amdhsa_exception_fp_ieee_div_zero 0
		.amdhsa_exception_fp_ieee_overflow 0
		.amdhsa_exception_fp_ieee_underflow 0
		.amdhsa_exception_fp_ieee_inexact 0
		.amdhsa_exception_int_div_zero 0
	.end_amdhsa_kernel
	.section	.text._ZN7rocprim17ROCPRIM_400000_NS6detail17trampoline_kernelINS0_14default_configENS1_22reduce_config_selectorIN6thrust23THRUST_200600_302600_NS5tupleIblNS6_9null_typeES8_S8_S8_S8_S8_S8_S8_EEEEZNS1_11reduce_implILb1ES3_NS6_12zip_iteratorINS7_INS6_11hip_rocprim26transform_input_iterator_tIbNSD_35transform_pair_of_input_iterators_tIbNS6_6detail15normal_iteratorINS6_10device_ptrIKtEEEESL_NS6_8equal_toItEEEENSG_9not_fun_tINSD_8identityEEEEENSD_19counting_iterator_tIlEES8_S8_S8_S8_S8_S8_S8_S8_EEEEPS9_S9_NSD_9__find_if7functorIS9_EEEE10hipError_tPvRmT1_T2_T3_mT4_P12ihipStream_tbEUlT_E0_NS1_11comp_targetILNS1_3genE5ELNS1_11target_archE942ELNS1_3gpuE9ELNS1_3repE0EEENS1_30default_config_static_selectorELNS0_4arch9wavefront6targetE1EEEvS14_,"axG",@progbits,_ZN7rocprim17ROCPRIM_400000_NS6detail17trampoline_kernelINS0_14default_configENS1_22reduce_config_selectorIN6thrust23THRUST_200600_302600_NS5tupleIblNS6_9null_typeES8_S8_S8_S8_S8_S8_S8_EEEEZNS1_11reduce_implILb1ES3_NS6_12zip_iteratorINS7_INS6_11hip_rocprim26transform_input_iterator_tIbNSD_35transform_pair_of_input_iterators_tIbNS6_6detail15normal_iteratorINS6_10device_ptrIKtEEEESL_NS6_8equal_toItEEEENSG_9not_fun_tINSD_8identityEEEEENSD_19counting_iterator_tIlEES8_S8_S8_S8_S8_S8_S8_S8_EEEEPS9_S9_NSD_9__find_if7functorIS9_EEEE10hipError_tPvRmT1_T2_T3_mT4_P12ihipStream_tbEUlT_E0_NS1_11comp_targetILNS1_3genE5ELNS1_11target_archE942ELNS1_3gpuE9ELNS1_3repE0EEENS1_30default_config_static_selectorELNS0_4arch9wavefront6targetE1EEEvS14_,comdat
.Lfunc_end502:
	.size	_ZN7rocprim17ROCPRIM_400000_NS6detail17trampoline_kernelINS0_14default_configENS1_22reduce_config_selectorIN6thrust23THRUST_200600_302600_NS5tupleIblNS6_9null_typeES8_S8_S8_S8_S8_S8_S8_EEEEZNS1_11reduce_implILb1ES3_NS6_12zip_iteratorINS7_INS6_11hip_rocprim26transform_input_iterator_tIbNSD_35transform_pair_of_input_iterators_tIbNS6_6detail15normal_iteratorINS6_10device_ptrIKtEEEESL_NS6_8equal_toItEEEENSG_9not_fun_tINSD_8identityEEEEENSD_19counting_iterator_tIlEES8_S8_S8_S8_S8_S8_S8_S8_EEEEPS9_S9_NSD_9__find_if7functorIS9_EEEE10hipError_tPvRmT1_T2_T3_mT4_P12ihipStream_tbEUlT_E0_NS1_11comp_targetILNS1_3genE5ELNS1_11target_archE942ELNS1_3gpuE9ELNS1_3repE0EEENS1_30default_config_static_selectorELNS0_4arch9wavefront6targetE1EEEvS14_, .Lfunc_end502-_ZN7rocprim17ROCPRIM_400000_NS6detail17trampoline_kernelINS0_14default_configENS1_22reduce_config_selectorIN6thrust23THRUST_200600_302600_NS5tupleIblNS6_9null_typeES8_S8_S8_S8_S8_S8_S8_EEEEZNS1_11reduce_implILb1ES3_NS6_12zip_iteratorINS7_INS6_11hip_rocprim26transform_input_iterator_tIbNSD_35transform_pair_of_input_iterators_tIbNS6_6detail15normal_iteratorINS6_10device_ptrIKtEEEESL_NS6_8equal_toItEEEENSG_9not_fun_tINSD_8identityEEEEENSD_19counting_iterator_tIlEES8_S8_S8_S8_S8_S8_S8_S8_EEEEPS9_S9_NSD_9__find_if7functorIS9_EEEE10hipError_tPvRmT1_T2_T3_mT4_P12ihipStream_tbEUlT_E0_NS1_11comp_targetILNS1_3genE5ELNS1_11target_archE942ELNS1_3gpuE9ELNS1_3repE0EEENS1_30default_config_static_selectorELNS0_4arch9wavefront6targetE1EEEvS14_
                                        ; -- End function
	.set _ZN7rocprim17ROCPRIM_400000_NS6detail17trampoline_kernelINS0_14default_configENS1_22reduce_config_selectorIN6thrust23THRUST_200600_302600_NS5tupleIblNS6_9null_typeES8_S8_S8_S8_S8_S8_S8_EEEEZNS1_11reduce_implILb1ES3_NS6_12zip_iteratorINS7_INS6_11hip_rocprim26transform_input_iterator_tIbNSD_35transform_pair_of_input_iterators_tIbNS6_6detail15normal_iteratorINS6_10device_ptrIKtEEEESL_NS6_8equal_toItEEEENSG_9not_fun_tINSD_8identityEEEEENSD_19counting_iterator_tIlEES8_S8_S8_S8_S8_S8_S8_S8_EEEEPS9_S9_NSD_9__find_if7functorIS9_EEEE10hipError_tPvRmT1_T2_T3_mT4_P12ihipStream_tbEUlT_E0_NS1_11comp_targetILNS1_3genE5ELNS1_11target_archE942ELNS1_3gpuE9ELNS1_3repE0EEENS1_30default_config_static_selectorELNS0_4arch9wavefront6targetE1EEEvS14_.num_vgpr, 0
	.set _ZN7rocprim17ROCPRIM_400000_NS6detail17trampoline_kernelINS0_14default_configENS1_22reduce_config_selectorIN6thrust23THRUST_200600_302600_NS5tupleIblNS6_9null_typeES8_S8_S8_S8_S8_S8_S8_EEEEZNS1_11reduce_implILb1ES3_NS6_12zip_iteratorINS7_INS6_11hip_rocprim26transform_input_iterator_tIbNSD_35transform_pair_of_input_iterators_tIbNS6_6detail15normal_iteratorINS6_10device_ptrIKtEEEESL_NS6_8equal_toItEEEENSG_9not_fun_tINSD_8identityEEEEENSD_19counting_iterator_tIlEES8_S8_S8_S8_S8_S8_S8_S8_EEEEPS9_S9_NSD_9__find_if7functorIS9_EEEE10hipError_tPvRmT1_T2_T3_mT4_P12ihipStream_tbEUlT_E0_NS1_11comp_targetILNS1_3genE5ELNS1_11target_archE942ELNS1_3gpuE9ELNS1_3repE0EEENS1_30default_config_static_selectorELNS0_4arch9wavefront6targetE1EEEvS14_.num_agpr, 0
	.set _ZN7rocprim17ROCPRIM_400000_NS6detail17trampoline_kernelINS0_14default_configENS1_22reduce_config_selectorIN6thrust23THRUST_200600_302600_NS5tupleIblNS6_9null_typeES8_S8_S8_S8_S8_S8_S8_EEEEZNS1_11reduce_implILb1ES3_NS6_12zip_iteratorINS7_INS6_11hip_rocprim26transform_input_iterator_tIbNSD_35transform_pair_of_input_iterators_tIbNS6_6detail15normal_iteratorINS6_10device_ptrIKtEEEESL_NS6_8equal_toItEEEENSG_9not_fun_tINSD_8identityEEEEENSD_19counting_iterator_tIlEES8_S8_S8_S8_S8_S8_S8_S8_EEEEPS9_S9_NSD_9__find_if7functorIS9_EEEE10hipError_tPvRmT1_T2_T3_mT4_P12ihipStream_tbEUlT_E0_NS1_11comp_targetILNS1_3genE5ELNS1_11target_archE942ELNS1_3gpuE9ELNS1_3repE0EEENS1_30default_config_static_selectorELNS0_4arch9wavefront6targetE1EEEvS14_.numbered_sgpr, 0
	.set _ZN7rocprim17ROCPRIM_400000_NS6detail17trampoline_kernelINS0_14default_configENS1_22reduce_config_selectorIN6thrust23THRUST_200600_302600_NS5tupleIblNS6_9null_typeES8_S8_S8_S8_S8_S8_S8_EEEEZNS1_11reduce_implILb1ES3_NS6_12zip_iteratorINS7_INS6_11hip_rocprim26transform_input_iterator_tIbNSD_35transform_pair_of_input_iterators_tIbNS6_6detail15normal_iteratorINS6_10device_ptrIKtEEEESL_NS6_8equal_toItEEEENSG_9not_fun_tINSD_8identityEEEEENSD_19counting_iterator_tIlEES8_S8_S8_S8_S8_S8_S8_S8_EEEEPS9_S9_NSD_9__find_if7functorIS9_EEEE10hipError_tPvRmT1_T2_T3_mT4_P12ihipStream_tbEUlT_E0_NS1_11comp_targetILNS1_3genE5ELNS1_11target_archE942ELNS1_3gpuE9ELNS1_3repE0EEENS1_30default_config_static_selectorELNS0_4arch9wavefront6targetE1EEEvS14_.num_named_barrier, 0
	.set _ZN7rocprim17ROCPRIM_400000_NS6detail17trampoline_kernelINS0_14default_configENS1_22reduce_config_selectorIN6thrust23THRUST_200600_302600_NS5tupleIblNS6_9null_typeES8_S8_S8_S8_S8_S8_S8_EEEEZNS1_11reduce_implILb1ES3_NS6_12zip_iteratorINS7_INS6_11hip_rocprim26transform_input_iterator_tIbNSD_35transform_pair_of_input_iterators_tIbNS6_6detail15normal_iteratorINS6_10device_ptrIKtEEEESL_NS6_8equal_toItEEEENSG_9not_fun_tINSD_8identityEEEEENSD_19counting_iterator_tIlEES8_S8_S8_S8_S8_S8_S8_S8_EEEEPS9_S9_NSD_9__find_if7functorIS9_EEEE10hipError_tPvRmT1_T2_T3_mT4_P12ihipStream_tbEUlT_E0_NS1_11comp_targetILNS1_3genE5ELNS1_11target_archE942ELNS1_3gpuE9ELNS1_3repE0EEENS1_30default_config_static_selectorELNS0_4arch9wavefront6targetE1EEEvS14_.private_seg_size, 0
	.set _ZN7rocprim17ROCPRIM_400000_NS6detail17trampoline_kernelINS0_14default_configENS1_22reduce_config_selectorIN6thrust23THRUST_200600_302600_NS5tupleIblNS6_9null_typeES8_S8_S8_S8_S8_S8_S8_EEEEZNS1_11reduce_implILb1ES3_NS6_12zip_iteratorINS7_INS6_11hip_rocprim26transform_input_iterator_tIbNSD_35transform_pair_of_input_iterators_tIbNS6_6detail15normal_iteratorINS6_10device_ptrIKtEEEESL_NS6_8equal_toItEEEENSG_9not_fun_tINSD_8identityEEEEENSD_19counting_iterator_tIlEES8_S8_S8_S8_S8_S8_S8_S8_EEEEPS9_S9_NSD_9__find_if7functorIS9_EEEE10hipError_tPvRmT1_T2_T3_mT4_P12ihipStream_tbEUlT_E0_NS1_11comp_targetILNS1_3genE5ELNS1_11target_archE942ELNS1_3gpuE9ELNS1_3repE0EEENS1_30default_config_static_selectorELNS0_4arch9wavefront6targetE1EEEvS14_.uses_vcc, 0
	.set _ZN7rocprim17ROCPRIM_400000_NS6detail17trampoline_kernelINS0_14default_configENS1_22reduce_config_selectorIN6thrust23THRUST_200600_302600_NS5tupleIblNS6_9null_typeES8_S8_S8_S8_S8_S8_S8_EEEEZNS1_11reduce_implILb1ES3_NS6_12zip_iteratorINS7_INS6_11hip_rocprim26transform_input_iterator_tIbNSD_35transform_pair_of_input_iterators_tIbNS6_6detail15normal_iteratorINS6_10device_ptrIKtEEEESL_NS6_8equal_toItEEEENSG_9not_fun_tINSD_8identityEEEEENSD_19counting_iterator_tIlEES8_S8_S8_S8_S8_S8_S8_S8_EEEEPS9_S9_NSD_9__find_if7functorIS9_EEEE10hipError_tPvRmT1_T2_T3_mT4_P12ihipStream_tbEUlT_E0_NS1_11comp_targetILNS1_3genE5ELNS1_11target_archE942ELNS1_3gpuE9ELNS1_3repE0EEENS1_30default_config_static_selectorELNS0_4arch9wavefront6targetE1EEEvS14_.uses_flat_scratch, 0
	.set _ZN7rocprim17ROCPRIM_400000_NS6detail17trampoline_kernelINS0_14default_configENS1_22reduce_config_selectorIN6thrust23THRUST_200600_302600_NS5tupleIblNS6_9null_typeES8_S8_S8_S8_S8_S8_S8_EEEEZNS1_11reduce_implILb1ES3_NS6_12zip_iteratorINS7_INS6_11hip_rocprim26transform_input_iterator_tIbNSD_35transform_pair_of_input_iterators_tIbNS6_6detail15normal_iteratorINS6_10device_ptrIKtEEEESL_NS6_8equal_toItEEEENSG_9not_fun_tINSD_8identityEEEEENSD_19counting_iterator_tIlEES8_S8_S8_S8_S8_S8_S8_S8_EEEEPS9_S9_NSD_9__find_if7functorIS9_EEEE10hipError_tPvRmT1_T2_T3_mT4_P12ihipStream_tbEUlT_E0_NS1_11comp_targetILNS1_3genE5ELNS1_11target_archE942ELNS1_3gpuE9ELNS1_3repE0EEENS1_30default_config_static_selectorELNS0_4arch9wavefront6targetE1EEEvS14_.has_dyn_sized_stack, 0
	.set _ZN7rocprim17ROCPRIM_400000_NS6detail17trampoline_kernelINS0_14default_configENS1_22reduce_config_selectorIN6thrust23THRUST_200600_302600_NS5tupleIblNS6_9null_typeES8_S8_S8_S8_S8_S8_S8_EEEEZNS1_11reduce_implILb1ES3_NS6_12zip_iteratorINS7_INS6_11hip_rocprim26transform_input_iterator_tIbNSD_35transform_pair_of_input_iterators_tIbNS6_6detail15normal_iteratorINS6_10device_ptrIKtEEEESL_NS6_8equal_toItEEEENSG_9not_fun_tINSD_8identityEEEEENSD_19counting_iterator_tIlEES8_S8_S8_S8_S8_S8_S8_S8_EEEEPS9_S9_NSD_9__find_if7functorIS9_EEEE10hipError_tPvRmT1_T2_T3_mT4_P12ihipStream_tbEUlT_E0_NS1_11comp_targetILNS1_3genE5ELNS1_11target_archE942ELNS1_3gpuE9ELNS1_3repE0EEENS1_30default_config_static_selectorELNS0_4arch9wavefront6targetE1EEEvS14_.has_recursion, 0
	.set _ZN7rocprim17ROCPRIM_400000_NS6detail17trampoline_kernelINS0_14default_configENS1_22reduce_config_selectorIN6thrust23THRUST_200600_302600_NS5tupleIblNS6_9null_typeES8_S8_S8_S8_S8_S8_S8_EEEEZNS1_11reduce_implILb1ES3_NS6_12zip_iteratorINS7_INS6_11hip_rocprim26transform_input_iterator_tIbNSD_35transform_pair_of_input_iterators_tIbNS6_6detail15normal_iteratorINS6_10device_ptrIKtEEEESL_NS6_8equal_toItEEEENSG_9not_fun_tINSD_8identityEEEEENSD_19counting_iterator_tIlEES8_S8_S8_S8_S8_S8_S8_S8_EEEEPS9_S9_NSD_9__find_if7functorIS9_EEEE10hipError_tPvRmT1_T2_T3_mT4_P12ihipStream_tbEUlT_E0_NS1_11comp_targetILNS1_3genE5ELNS1_11target_archE942ELNS1_3gpuE9ELNS1_3repE0EEENS1_30default_config_static_selectorELNS0_4arch9wavefront6targetE1EEEvS14_.has_indirect_call, 0
	.section	.AMDGPU.csdata,"",@progbits
; Kernel info:
; codeLenInByte = 0
; TotalNumSgprs: 4
; NumVgprs: 0
; ScratchSize: 0
; MemoryBound: 0
; FloatMode: 240
; IeeeMode: 1
; LDSByteSize: 0 bytes/workgroup (compile time only)
; SGPRBlocks: 0
; VGPRBlocks: 0
; NumSGPRsForWavesPerEU: 4
; NumVGPRsForWavesPerEU: 1
; Occupancy: 10
; WaveLimiterHint : 0
; COMPUTE_PGM_RSRC2:SCRATCH_EN: 0
; COMPUTE_PGM_RSRC2:USER_SGPR: 6
; COMPUTE_PGM_RSRC2:TRAP_HANDLER: 0
; COMPUTE_PGM_RSRC2:TGID_X_EN: 1
; COMPUTE_PGM_RSRC2:TGID_Y_EN: 0
; COMPUTE_PGM_RSRC2:TGID_Z_EN: 0
; COMPUTE_PGM_RSRC2:TIDIG_COMP_CNT: 0
	.section	.text._ZN7rocprim17ROCPRIM_400000_NS6detail17trampoline_kernelINS0_14default_configENS1_22reduce_config_selectorIN6thrust23THRUST_200600_302600_NS5tupleIblNS6_9null_typeES8_S8_S8_S8_S8_S8_S8_EEEEZNS1_11reduce_implILb1ES3_NS6_12zip_iteratorINS7_INS6_11hip_rocprim26transform_input_iterator_tIbNSD_35transform_pair_of_input_iterators_tIbNS6_6detail15normal_iteratorINS6_10device_ptrIKtEEEESL_NS6_8equal_toItEEEENSG_9not_fun_tINSD_8identityEEEEENSD_19counting_iterator_tIlEES8_S8_S8_S8_S8_S8_S8_S8_EEEEPS9_S9_NSD_9__find_if7functorIS9_EEEE10hipError_tPvRmT1_T2_T3_mT4_P12ihipStream_tbEUlT_E0_NS1_11comp_targetILNS1_3genE4ELNS1_11target_archE910ELNS1_3gpuE8ELNS1_3repE0EEENS1_30default_config_static_selectorELNS0_4arch9wavefront6targetE1EEEvS14_,"axG",@progbits,_ZN7rocprim17ROCPRIM_400000_NS6detail17trampoline_kernelINS0_14default_configENS1_22reduce_config_selectorIN6thrust23THRUST_200600_302600_NS5tupleIblNS6_9null_typeES8_S8_S8_S8_S8_S8_S8_EEEEZNS1_11reduce_implILb1ES3_NS6_12zip_iteratorINS7_INS6_11hip_rocprim26transform_input_iterator_tIbNSD_35transform_pair_of_input_iterators_tIbNS6_6detail15normal_iteratorINS6_10device_ptrIKtEEEESL_NS6_8equal_toItEEEENSG_9not_fun_tINSD_8identityEEEEENSD_19counting_iterator_tIlEES8_S8_S8_S8_S8_S8_S8_S8_EEEEPS9_S9_NSD_9__find_if7functorIS9_EEEE10hipError_tPvRmT1_T2_T3_mT4_P12ihipStream_tbEUlT_E0_NS1_11comp_targetILNS1_3genE4ELNS1_11target_archE910ELNS1_3gpuE8ELNS1_3repE0EEENS1_30default_config_static_selectorELNS0_4arch9wavefront6targetE1EEEvS14_,comdat
	.protected	_ZN7rocprim17ROCPRIM_400000_NS6detail17trampoline_kernelINS0_14default_configENS1_22reduce_config_selectorIN6thrust23THRUST_200600_302600_NS5tupleIblNS6_9null_typeES8_S8_S8_S8_S8_S8_S8_EEEEZNS1_11reduce_implILb1ES3_NS6_12zip_iteratorINS7_INS6_11hip_rocprim26transform_input_iterator_tIbNSD_35transform_pair_of_input_iterators_tIbNS6_6detail15normal_iteratorINS6_10device_ptrIKtEEEESL_NS6_8equal_toItEEEENSG_9not_fun_tINSD_8identityEEEEENSD_19counting_iterator_tIlEES8_S8_S8_S8_S8_S8_S8_S8_EEEEPS9_S9_NSD_9__find_if7functorIS9_EEEE10hipError_tPvRmT1_T2_T3_mT4_P12ihipStream_tbEUlT_E0_NS1_11comp_targetILNS1_3genE4ELNS1_11target_archE910ELNS1_3gpuE8ELNS1_3repE0EEENS1_30default_config_static_selectorELNS0_4arch9wavefront6targetE1EEEvS14_ ; -- Begin function _ZN7rocprim17ROCPRIM_400000_NS6detail17trampoline_kernelINS0_14default_configENS1_22reduce_config_selectorIN6thrust23THRUST_200600_302600_NS5tupleIblNS6_9null_typeES8_S8_S8_S8_S8_S8_S8_EEEEZNS1_11reduce_implILb1ES3_NS6_12zip_iteratorINS7_INS6_11hip_rocprim26transform_input_iterator_tIbNSD_35transform_pair_of_input_iterators_tIbNS6_6detail15normal_iteratorINS6_10device_ptrIKtEEEESL_NS6_8equal_toItEEEENSG_9not_fun_tINSD_8identityEEEEENSD_19counting_iterator_tIlEES8_S8_S8_S8_S8_S8_S8_S8_EEEEPS9_S9_NSD_9__find_if7functorIS9_EEEE10hipError_tPvRmT1_T2_T3_mT4_P12ihipStream_tbEUlT_E0_NS1_11comp_targetILNS1_3genE4ELNS1_11target_archE910ELNS1_3gpuE8ELNS1_3repE0EEENS1_30default_config_static_selectorELNS0_4arch9wavefront6targetE1EEEvS14_
	.globl	_ZN7rocprim17ROCPRIM_400000_NS6detail17trampoline_kernelINS0_14default_configENS1_22reduce_config_selectorIN6thrust23THRUST_200600_302600_NS5tupleIblNS6_9null_typeES8_S8_S8_S8_S8_S8_S8_EEEEZNS1_11reduce_implILb1ES3_NS6_12zip_iteratorINS7_INS6_11hip_rocprim26transform_input_iterator_tIbNSD_35transform_pair_of_input_iterators_tIbNS6_6detail15normal_iteratorINS6_10device_ptrIKtEEEESL_NS6_8equal_toItEEEENSG_9not_fun_tINSD_8identityEEEEENSD_19counting_iterator_tIlEES8_S8_S8_S8_S8_S8_S8_S8_EEEEPS9_S9_NSD_9__find_if7functorIS9_EEEE10hipError_tPvRmT1_T2_T3_mT4_P12ihipStream_tbEUlT_E0_NS1_11comp_targetILNS1_3genE4ELNS1_11target_archE910ELNS1_3gpuE8ELNS1_3repE0EEENS1_30default_config_static_selectorELNS0_4arch9wavefront6targetE1EEEvS14_
	.p2align	8
	.type	_ZN7rocprim17ROCPRIM_400000_NS6detail17trampoline_kernelINS0_14default_configENS1_22reduce_config_selectorIN6thrust23THRUST_200600_302600_NS5tupleIblNS6_9null_typeES8_S8_S8_S8_S8_S8_S8_EEEEZNS1_11reduce_implILb1ES3_NS6_12zip_iteratorINS7_INS6_11hip_rocprim26transform_input_iterator_tIbNSD_35transform_pair_of_input_iterators_tIbNS6_6detail15normal_iteratorINS6_10device_ptrIKtEEEESL_NS6_8equal_toItEEEENSG_9not_fun_tINSD_8identityEEEEENSD_19counting_iterator_tIlEES8_S8_S8_S8_S8_S8_S8_S8_EEEEPS9_S9_NSD_9__find_if7functorIS9_EEEE10hipError_tPvRmT1_T2_T3_mT4_P12ihipStream_tbEUlT_E0_NS1_11comp_targetILNS1_3genE4ELNS1_11target_archE910ELNS1_3gpuE8ELNS1_3repE0EEENS1_30default_config_static_selectorELNS0_4arch9wavefront6targetE1EEEvS14_,@function
_ZN7rocprim17ROCPRIM_400000_NS6detail17trampoline_kernelINS0_14default_configENS1_22reduce_config_selectorIN6thrust23THRUST_200600_302600_NS5tupleIblNS6_9null_typeES8_S8_S8_S8_S8_S8_S8_EEEEZNS1_11reduce_implILb1ES3_NS6_12zip_iteratorINS7_INS6_11hip_rocprim26transform_input_iterator_tIbNSD_35transform_pair_of_input_iterators_tIbNS6_6detail15normal_iteratorINS6_10device_ptrIKtEEEESL_NS6_8equal_toItEEEENSG_9not_fun_tINSD_8identityEEEEENSD_19counting_iterator_tIlEES8_S8_S8_S8_S8_S8_S8_S8_EEEEPS9_S9_NSD_9__find_if7functorIS9_EEEE10hipError_tPvRmT1_T2_T3_mT4_P12ihipStream_tbEUlT_E0_NS1_11comp_targetILNS1_3genE4ELNS1_11target_archE910ELNS1_3gpuE8ELNS1_3repE0EEENS1_30default_config_static_selectorELNS0_4arch9wavefront6targetE1EEEvS14_: ; @_ZN7rocprim17ROCPRIM_400000_NS6detail17trampoline_kernelINS0_14default_configENS1_22reduce_config_selectorIN6thrust23THRUST_200600_302600_NS5tupleIblNS6_9null_typeES8_S8_S8_S8_S8_S8_S8_EEEEZNS1_11reduce_implILb1ES3_NS6_12zip_iteratorINS7_INS6_11hip_rocprim26transform_input_iterator_tIbNSD_35transform_pair_of_input_iterators_tIbNS6_6detail15normal_iteratorINS6_10device_ptrIKtEEEESL_NS6_8equal_toItEEEENSG_9not_fun_tINSD_8identityEEEEENSD_19counting_iterator_tIlEES8_S8_S8_S8_S8_S8_S8_S8_EEEEPS9_S9_NSD_9__find_if7functorIS9_EEEE10hipError_tPvRmT1_T2_T3_mT4_P12ihipStream_tbEUlT_E0_NS1_11comp_targetILNS1_3genE4ELNS1_11target_archE910ELNS1_3gpuE8ELNS1_3repE0EEENS1_30default_config_static_selectorELNS0_4arch9wavefront6targetE1EEEvS14_
; %bb.0:
	.section	.rodata,"a",@progbits
	.p2align	6, 0x0
	.amdhsa_kernel _ZN7rocprim17ROCPRIM_400000_NS6detail17trampoline_kernelINS0_14default_configENS1_22reduce_config_selectorIN6thrust23THRUST_200600_302600_NS5tupleIblNS6_9null_typeES8_S8_S8_S8_S8_S8_S8_EEEEZNS1_11reduce_implILb1ES3_NS6_12zip_iteratorINS7_INS6_11hip_rocprim26transform_input_iterator_tIbNSD_35transform_pair_of_input_iterators_tIbNS6_6detail15normal_iteratorINS6_10device_ptrIKtEEEESL_NS6_8equal_toItEEEENSG_9not_fun_tINSD_8identityEEEEENSD_19counting_iterator_tIlEES8_S8_S8_S8_S8_S8_S8_S8_EEEEPS9_S9_NSD_9__find_if7functorIS9_EEEE10hipError_tPvRmT1_T2_T3_mT4_P12ihipStream_tbEUlT_E0_NS1_11comp_targetILNS1_3genE4ELNS1_11target_archE910ELNS1_3gpuE8ELNS1_3repE0EEENS1_30default_config_static_selectorELNS0_4arch9wavefront6targetE1EEEvS14_
		.amdhsa_group_segment_fixed_size 0
		.amdhsa_private_segment_fixed_size 0
		.amdhsa_kernarg_size 104
		.amdhsa_user_sgpr_count 6
		.amdhsa_user_sgpr_private_segment_buffer 1
		.amdhsa_user_sgpr_dispatch_ptr 0
		.amdhsa_user_sgpr_queue_ptr 0
		.amdhsa_user_sgpr_kernarg_segment_ptr 1
		.amdhsa_user_sgpr_dispatch_id 0
		.amdhsa_user_sgpr_flat_scratch_init 0
		.amdhsa_user_sgpr_private_segment_size 0
		.amdhsa_uses_dynamic_stack 0
		.amdhsa_system_sgpr_private_segment_wavefront_offset 0
		.amdhsa_system_sgpr_workgroup_id_x 1
		.amdhsa_system_sgpr_workgroup_id_y 0
		.amdhsa_system_sgpr_workgroup_id_z 0
		.amdhsa_system_sgpr_workgroup_info 0
		.amdhsa_system_vgpr_workitem_id 0
		.amdhsa_next_free_vgpr 1
		.amdhsa_next_free_sgpr 0
		.amdhsa_reserve_vcc 0
		.amdhsa_reserve_flat_scratch 0
		.amdhsa_float_round_mode_32 0
		.amdhsa_float_round_mode_16_64 0
		.amdhsa_float_denorm_mode_32 3
		.amdhsa_float_denorm_mode_16_64 3
		.amdhsa_dx10_clamp 1
		.amdhsa_ieee_mode 1
		.amdhsa_fp16_overflow 0
		.amdhsa_exception_fp_ieee_invalid_op 0
		.amdhsa_exception_fp_denorm_src 0
		.amdhsa_exception_fp_ieee_div_zero 0
		.amdhsa_exception_fp_ieee_overflow 0
		.amdhsa_exception_fp_ieee_underflow 0
		.amdhsa_exception_fp_ieee_inexact 0
		.amdhsa_exception_int_div_zero 0
	.end_amdhsa_kernel
	.section	.text._ZN7rocprim17ROCPRIM_400000_NS6detail17trampoline_kernelINS0_14default_configENS1_22reduce_config_selectorIN6thrust23THRUST_200600_302600_NS5tupleIblNS6_9null_typeES8_S8_S8_S8_S8_S8_S8_EEEEZNS1_11reduce_implILb1ES3_NS6_12zip_iteratorINS7_INS6_11hip_rocprim26transform_input_iterator_tIbNSD_35transform_pair_of_input_iterators_tIbNS6_6detail15normal_iteratorINS6_10device_ptrIKtEEEESL_NS6_8equal_toItEEEENSG_9not_fun_tINSD_8identityEEEEENSD_19counting_iterator_tIlEES8_S8_S8_S8_S8_S8_S8_S8_EEEEPS9_S9_NSD_9__find_if7functorIS9_EEEE10hipError_tPvRmT1_T2_T3_mT4_P12ihipStream_tbEUlT_E0_NS1_11comp_targetILNS1_3genE4ELNS1_11target_archE910ELNS1_3gpuE8ELNS1_3repE0EEENS1_30default_config_static_selectorELNS0_4arch9wavefront6targetE1EEEvS14_,"axG",@progbits,_ZN7rocprim17ROCPRIM_400000_NS6detail17trampoline_kernelINS0_14default_configENS1_22reduce_config_selectorIN6thrust23THRUST_200600_302600_NS5tupleIblNS6_9null_typeES8_S8_S8_S8_S8_S8_S8_EEEEZNS1_11reduce_implILb1ES3_NS6_12zip_iteratorINS7_INS6_11hip_rocprim26transform_input_iterator_tIbNSD_35transform_pair_of_input_iterators_tIbNS6_6detail15normal_iteratorINS6_10device_ptrIKtEEEESL_NS6_8equal_toItEEEENSG_9not_fun_tINSD_8identityEEEEENSD_19counting_iterator_tIlEES8_S8_S8_S8_S8_S8_S8_S8_EEEEPS9_S9_NSD_9__find_if7functorIS9_EEEE10hipError_tPvRmT1_T2_T3_mT4_P12ihipStream_tbEUlT_E0_NS1_11comp_targetILNS1_3genE4ELNS1_11target_archE910ELNS1_3gpuE8ELNS1_3repE0EEENS1_30default_config_static_selectorELNS0_4arch9wavefront6targetE1EEEvS14_,comdat
.Lfunc_end503:
	.size	_ZN7rocprim17ROCPRIM_400000_NS6detail17trampoline_kernelINS0_14default_configENS1_22reduce_config_selectorIN6thrust23THRUST_200600_302600_NS5tupleIblNS6_9null_typeES8_S8_S8_S8_S8_S8_S8_EEEEZNS1_11reduce_implILb1ES3_NS6_12zip_iteratorINS7_INS6_11hip_rocprim26transform_input_iterator_tIbNSD_35transform_pair_of_input_iterators_tIbNS6_6detail15normal_iteratorINS6_10device_ptrIKtEEEESL_NS6_8equal_toItEEEENSG_9not_fun_tINSD_8identityEEEEENSD_19counting_iterator_tIlEES8_S8_S8_S8_S8_S8_S8_S8_EEEEPS9_S9_NSD_9__find_if7functorIS9_EEEE10hipError_tPvRmT1_T2_T3_mT4_P12ihipStream_tbEUlT_E0_NS1_11comp_targetILNS1_3genE4ELNS1_11target_archE910ELNS1_3gpuE8ELNS1_3repE0EEENS1_30default_config_static_selectorELNS0_4arch9wavefront6targetE1EEEvS14_, .Lfunc_end503-_ZN7rocprim17ROCPRIM_400000_NS6detail17trampoline_kernelINS0_14default_configENS1_22reduce_config_selectorIN6thrust23THRUST_200600_302600_NS5tupleIblNS6_9null_typeES8_S8_S8_S8_S8_S8_S8_EEEEZNS1_11reduce_implILb1ES3_NS6_12zip_iteratorINS7_INS6_11hip_rocprim26transform_input_iterator_tIbNSD_35transform_pair_of_input_iterators_tIbNS6_6detail15normal_iteratorINS6_10device_ptrIKtEEEESL_NS6_8equal_toItEEEENSG_9not_fun_tINSD_8identityEEEEENSD_19counting_iterator_tIlEES8_S8_S8_S8_S8_S8_S8_S8_EEEEPS9_S9_NSD_9__find_if7functorIS9_EEEE10hipError_tPvRmT1_T2_T3_mT4_P12ihipStream_tbEUlT_E0_NS1_11comp_targetILNS1_3genE4ELNS1_11target_archE910ELNS1_3gpuE8ELNS1_3repE0EEENS1_30default_config_static_selectorELNS0_4arch9wavefront6targetE1EEEvS14_
                                        ; -- End function
	.set _ZN7rocprim17ROCPRIM_400000_NS6detail17trampoline_kernelINS0_14default_configENS1_22reduce_config_selectorIN6thrust23THRUST_200600_302600_NS5tupleIblNS6_9null_typeES8_S8_S8_S8_S8_S8_S8_EEEEZNS1_11reduce_implILb1ES3_NS6_12zip_iteratorINS7_INS6_11hip_rocprim26transform_input_iterator_tIbNSD_35transform_pair_of_input_iterators_tIbNS6_6detail15normal_iteratorINS6_10device_ptrIKtEEEESL_NS6_8equal_toItEEEENSG_9not_fun_tINSD_8identityEEEEENSD_19counting_iterator_tIlEES8_S8_S8_S8_S8_S8_S8_S8_EEEEPS9_S9_NSD_9__find_if7functorIS9_EEEE10hipError_tPvRmT1_T2_T3_mT4_P12ihipStream_tbEUlT_E0_NS1_11comp_targetILNS1_3genE4ELNS1_11target_archE910ELNS1_3gpuE8ELNS1_3repE0EEENS1_30default_config_static_selectorELNS0_4arch9wavefront6targetE1EEEvS14_.num_vgpr, 0
	.set _ZN7rocprim17ROCPRIM_400000_NS6detail17trampoline_kernelINS0_14default_configENS1_22reduce_config_selectorIN6thrust23THRUST_200600_302600_NS5tupleIblNS6_9null_typeES8_S8_S8_S8_S8_S8_S8_EEEEZNS1_11reduce_implILb1ES3_NS6_12zip_iteratorINS7_INS6_11hip_rocprim26transform_input_iterator_tIbNSD_35transform_pair_of_input_iterators_tIbNS6_6detail15normal_iteratorINS6_10device_ptrIKtEEEESL_NS6_8equal_toItEEEENSG_9not_fun_tINSD_8identityEEEEENSD_19counting_iterator_tIlEES8_S8_S8_S8_S8_S8_S8_S8_EEEEPS9_S9_NSD_9__find_if7functorIS9_EEEE10hipError_tPvRmT1_T2_T3_mT4_P12ihipStream_tbEUlT_E0_NS1_11comp_targetILNS1_3genE4ELNS1_11target_archE910ELNS1_3gpuE8ELNS1_3repE0EEENS1_30default_config_static_selectorELNS0_4arch9wavefront6targetE1EEEvS14_.num_agpr, 0
	.set _ZN7rocprim17ROCPRIM_400000_NS6detail17trampoline_kernelINS0_14default_configENS1_22reduce_config_selectorIN6thrust23THRUST_200600_302600_NS5tupleIblNS6_9null_typeES8_S8_S8_S8_S8_S8_S8_EEEEZNS1_11reduce_implILb1ES3_NS6_12zip_iteratorINS7_INS6_11hip_rocprim26transform_input_iterator_tIbNSD_35transform_pair_of_input_iterators_tIbNS6_6detail15normal_iteratorINS6_10device_ptrIKtEEEESL_NS6_8equal_toItEEEENSG_9not_fun_tINSD_8identityEEEEENSD_19counting_iterator_tIlEES8_S8_S8_S8_S8_S8_S8_S8_EEEEPS9_S9_NSD_9__find_if7functorIS9_EEEE10hipError_tPvRmT1_T2_T3_mT4_P12ihipStream_tbEUlT_E0_NS1_11comp_targetILNS1_3genE4ELNS1_11target_archE910ELNS1_3gpuE8ELNS1_3repE0EEENS1_30default_config_static_selectorELNS0_4arch9wavefront6targetE1EEEvS14_.numbered_sgpr, 0
	.set _ZN7rocprim17ROCPRIM_400000_NS6detail17trampoline_kernelINS0_14default_configENS1_22reduce_config_selectorIN6thrust23THRUST_200600_302600_NS5tupleIblNS6_9null_typeES8_S8_S8_S8_S8_S8_S8_EEEEZNS1_11reduce_implILb1ES3_NS6_12zip_iteratorINS7_INS6_11hip_rocprim26transform_input_iterator_tIbNSD_35transform_pair_of_input_iterators_tIbNS6_6detail15normal_iteratorINS6_10device_ptrIKtEEEESL_NS6_8equal_toItEEEENSG_9not_fun_tINSD_8identityEEEEENSD_19counting_iterator_tIlEES8_S8_S8_S8_S8_S8_S8_S8_EEEEPS9_S9_NSD_9__find_if7functorIS9_EEEE10hipError_tPvRmT1_T2_T3_mT4_P12ihipStream_tbEUlT_E0_NS1_11comp_targetILNS1_3genE4ELNS1_11target_archE910ELNS1_3gpuE8ELNS1_3repE0EEENS1_30default_config_static_selectorELNS0_4arch9wavefront6targetE1EEEvS14_.num_named_barrier, 0
	.set _ZN7rocprim17ROCPRIM_400000_NS6detail17trampoline_kernelINS0_14default_configENS1_22reduce_config_selectorIN6thrust23THRUST_200600_302600_NS5tupleIblNS6_9null_typeES8_S8_S8_S8_S8_S8_S8_EEEEZNS1_11reduce_implILb1ES3_NS6_12zip_iteratorINS7_INS6_11hip_rocprim26transform_input_iterator_tIbNSD_35transform_pair_of_input_iterators_tIbNS6_6detail15normal_iteratorINS6_10device_ptrIKtEEEESL_NS6_8equal_toItEEEENSG_9not_fun_tINSD_8identityEEEEENSD_19counting_iterator_tIlEES8_S8_S8_S8_S8_S8_S8_S8_EEEEPS9_S9_NSD_9__find_if7functorIS9_EEEE10hipError_tPvRmT1_T2_T3_mT4_P12ihipStream_tbEUlT_E0_NS1_11comp_targetILNS1_3genE4ELNS1_11target_archE910ELNS1_3gpuE8ELNS1_3repE0EEENS1_30default_config_static_selectorELNS0_4arch9wavefront6targetE1EEEvS14_.private_seg_size, 0
	.set _ZN7rocprim17ROCPRIM_400000_NS6detail17trampoline_kernelINS0_14default_configENS1_22reduce_config_selectorIN6thrust23THRUST_200600_302600_NS5tupleIblNS6_9null_typeES8_S8_S8_S8_S8_S8_S8_EEEEZNS1_11reduce_implILb1ES3_NS6_12zip_iteratorINS7_INS6_11hip_rocprim26transform_input_iterator_tIbNSD_35transform_pair_of_input_iterators_tIbNS6_6detail15normal_iteratorINS6_10device_ptrIKtEEEESL_NS6_8equal_toItEEEENSG_9not_fun_tINSD_8identityEEEEENSD_19counting_iterator_tIlEES8_S8_S8_S8_S8_S8_S8_S8_EEEEPS9_S9_NSD_9__find_if7functorIS9_EEEE10hipError_tPvRmT1_T2_T3_mT4_P12ihipStream_tbEUlT_E0_NS1_11comp_targetILNS1_3genE4ELNS1_11target_archE910ELNS1_3gpuE8ELNS1_3repE0EEENS1_30default_config_static_selectorELNS0_4arch9wavefront6targetE1EEEvS14_.uses_vcc, 0
	.set _ZN7rocprim17ROCPRIM_400000_NS6detail17trampoline_kernelINS0_14default_configENS1_22reduce_config_selectorIN6thrust23THRUST_200600_302600_NS5tupleIblNS6_9null_typeES8_S8_S8_S8_S8_S8_S8_EEEEZNS1_11reduce_implILb1ES3_NS6_12zip_iteratorINS7_INS6_11hip_rocprim26transform_input_iterator_tIbNSD_35transform_pair_of_input_iterators_tIbNS6_6detail15normal_iteratorINS6_10device_ptrIKtEEEESL_NS6_8equal_toItEEEENSG_9not_fun_tINSD_8identityEEEEENSD_19counting_iterator_tIlEES8_S8_S8_S8_S8_S8_S8_S8_EEEEPS9_S9_NSD_9__find_if7functorIS9_EEEE10hipError_tPvRmT1_T2_T3_mT4_P12ihipStream_tbEUlT_E0_NS1_11comp_targetILNS1_3genE4ELNS1_11target_archE910ELNS1_3gpuE8ELNS1_3repE0EEENS1_30default_config_static_selectorELNS0_4arch9wavefront6targetE1EEEvS14_.uses_flat_scratch, 0
	.set _ZN7rocprim17ROCPRIM_400000_NS6detail17trampoline_kernelINS0_14default_configENS1_22reduce_config_selectorIN6thrust23THRUST_200600_302600_NS5tupleIblNS6_9null_typeES8_S8_S8_S8_S8_S8_S8_EEEEZNS1_11reduce_implILb1ES3_NS6_12zip_iteratorINS7_INS6_11hip_rocprim26transform_input_iterator_tIbNSD_35transform_pair_of_input_iterators_tIbNS6_6detail15normal_iteratorINS6_10device_ptrIKtEEEESL_NS6_8equal_toItEEEENSG_9not_fun_tINSD_8identityEEEEENSD_19counting_iterator_tIlEES8_S8_S8_S8_S8_S8_S8_S8_EEEEPS9_S9_NSD_9__find_if7functorIS9_EEEE10hipError_tPvRmT1_T2_T3_mT4_P12ihipStream_tbEUlT_E0_NS1_11comp_targetILNS1_3genE4ELNS1_11target_archE910ELNS1_3gpuE8ELNS1_3repE0EEENS1_30default_config_static_selectorELNS0_4arch9wavefront6targetE1EEEvS14_.has_dyn_sized_stack, 0
	.set _ZN7rocprim17ROCPRIM_400000_NS6detail17trampoline_kernelINS0_14default_configENS1_22reduce_config_selectorIN6thrust23THRUST_200600_302600_NS5tupleIblNS6_9null_typeES8_S8_S8_S8_S8_S8_S8_EEEEZNS1_11reduce_implILb1ES3_NS6_12zip_iteratorINS7_INS6_11hip_rocprim26transform_input_iterator_tIbNSD_35transform_pair_of_input_iterators_tIbNS6_6detail15normal_iteratorINS6_10device_ptrIKtEEEESL_NS6_8equal_toItEEEENSG_9not_fun_tINSD_8identityEEEEENSD_19counting_iterator_tIlEES8_S8_S8_S8_S8_S8_S8_S8_EEEEPS9_S9_NSD_9__find_if7functorIS9_EEEE10hipError_tPvRmT1_T2_T3_mT4_P12ihipStream_tbEUlT_E0_NS1_11comp_targetILNS1_3genE4ELNS1_11target_archE910ELNS1_3gpuE8ELNS1_3repE0EEENS1_30default_config_static_selectorELNS0_4arch9wavefront6targetE1EEEvS14_.has_recursion, 0
	.set _ZN7rocprim17ROCPRIM_400000_NS6detail17trampoline_kernelINS0_14default_configENS1_22reduce_config_selectorIN6thrust23THRUST_200600_302600_NS5tupleIblNS6_9null_typeES8_S8_S8_S8_S8_S8_S8_EEEEZNS1_11reduce_implILb1ES3_NS6_12zip_iteratorINS7_INS6_11hip_rocprim26transform_input_iterator_tIbNSD_35transform_pair_of_input_iterators_tIbNS6_6detail15normal_iteratorINS6_10device_ptrIKtEEEESL_NS6_8equal_toItEEEENSG_9not_fun_tINSD_8identityEEEEENSD_19counting_iterator_tIlEES8_S8_S8_S8_S8_S8_S8_S8_EEEEPS9_S9_NSD_9__find_if7functorIS9_EEEE10hipError_tPvRmT1_T2_T3_mT4_P12ihipStream_tbEUlT_E0_NS1_11comp_targetILNS1_3genE4ELNS1_11target_archE910ELNS1_3gpuE8ELNS1_3repE0EEENS1_30default_config_static_selectorELNS0_4arch9wavefront6targetE1EEEvS14_.has_indirect_call, 0
	.section	.AMDGPU.csdata,"",@progbits
; Kernel info:
; codeLenInByte = 0
; TotalNumSgprs: 4
; NumVgprs: 0
; ScratchSize: 0
; MemoryBound: 0
; FloatMode: 240
; IeeeMode: 1
; LDSByteSize: 0 bytes/workgroup (compile time only)
; SGPRBlocks: 0
; VGPRBlocks: 0
; NumSGPRsForWavesPerEU: 4
; NumVGPRsForWavesPerEU: 1
; Occupancy: 10
; WaveLimiterHint : 0
; COMPUTE_PGM_RSRC2:SCRATCH_EN: 0
; COMPUTE_PGM_RSRC2:USER_SGPR: 6
; COMPUTE_PGM_RSRC2:TRAP_HANDLER: 0
; COMPUTE_PGM_RSRC2:TGID_X_EN: 1
; COMPUTE_PGM_RSRC2:TGID_Y_EN: 0
; COMPUTE_PGM_RSRC2:TGID_Z_EN: 0
; COMPUTE_PGM_RSRC2:TIDIG_COMP_CNT: 0
	.section	.text._ZN7rocprim17ROCPRIM_400000_NS6detail17trampoline_kernelINS0_14default_configENS1_22reduce_config_selectorIN6thrust23THRUST_200600_302600_NS5tupleIblNS6_9null_typeES8_S8_S8_S8_S8_S8_S8_EEEEZNS1_11reduce_implILb1ES3_NS6_12zip_iteratorINS7_INS6_11hip_rocprim26transform_input_iterator_tIbNSD_35transform_pair_of_input_iterators_tIbNS6_6detail15normal_iteratorINS6_10device_ptrIKtEEEESL_NS6_8equal_toItEEEENSG_9not_fun_tINSD_8identityEEEEENSD_19counting_iterator_tIlEES8_S8_S8_S8_S8_S8_S8_S8_EEEEPS9_S9_NSD_9__find_if7functorIS9_EEEE10hipError_tPvRmT1_T2_T3_mT4_P12ihipStream_tbEUlT_E0_NS1_11comp_targetILNS1_3genE3ELNS1_11target_archE908ELNS1_3gpuE7ELNS1_3repE0EEENS1_30default_config_static_selectorELNS0_4arch9wavefront6targetE1EEEvS14_,"axG",@progbits,_ZN7rocprim17ROCPRIM_400000_NS6detail17trampoline_kernelINS0_14default_configENS1_22reduce_config_selectorIN6thrust23THRUST_200600_302600_NS5tupleIblNS6_9null_typeES8_S8_S8_S8_S8_S8_S8_EEEEZNS1_11reduce_implILb1ES3_NS6_12zip_iteratorINS7_INS6_11hip_rocprim26transform_input_iterator_tIbNSD_35transform_pair_of_input_iterators_tIbNS6_6detail15normal_iteratorINS6_10device_ptrIKtEEEESL_NS6_8equal_toItEEEENSG_9not_fun_tINSD_8identityEEEEENSD_19counting_iterator_tIlEES8_S8_S8_S8_S8_S8_S8_S8_EEEEPS9_S9_NSD_9__find_if7functorIS9_EEEE10hipError_tPvRmT1_T2_T3_mT4_P12ihipStream_tbEUlT_E0_NS1_11comp_targetILNS1_3genE3ELNS1_11target_archE908ELNS1_3gpuE7ELNS1_3repE0EEENS1_30default_config_static_selectorELNS0_4arch9wavefront6targetE1EEEvS14_,comdat
	.protected	_ZN7rocprim17ROCPRIM_400000_NS6detail17trampoline_kernelINS0_14default_configENS1_22reduce_config_selectorIN6thrust23THRUST_200600_302600_NS5tupleIblNS6_9null_typeES8_S8_S8_S8_S8_S8_S8_EEEEZNS1_11reduce_implILb1ES3_NS6_12zip_iteratorINS7_INS6_11hip_rocprim26transform_input_iterator_tIbNSD_35transform_pair_of_input_iterators_tIbNS6_6detail15normal_iteratorINS6_10device_ptrIKtEEEESL_NS6_8equal_toItEEEENSG_9not_fun_tINSD_8identityEEEEENSD_19counting_iterator_tIlEES8_S8_S8_S8_S8_S8_S8_S8_EEEEPS9_S9_NSD_9__find_if7functorIS9_EEEE10hipError_tPvRmT1_T2_T3_mT4_P12ihipStream_tbEUlT_E0_NS1_11comp_targetILNS1_3genE3ELNS1_11target_archE908ELNS1_3gpuE7ELNS1_3repE0EEENS1_30default_config_static_selectorELNS0_4arch9wavefront6targetE1EEEvS14_ ; -- Begin function _ZN7rocprim17ROCPRIM_400000_NS6detail17trampoline_kernelINS0_14default_configENS1_22reduce_config_selectorIN6thrust23THRUST_200600_302600_NS5tupleIblNS6_9null_typeES8_S8_S8_S8_S8_S8_S8_EEEEZNS1_11reduce_implILb1ES3_NS6_12zip_iteratorINS7_INS6_11hip_rocprim26transform_input_iterator_tIbNSD_35transform_pair_of_input_iterators_tIbNS6_6detail15normal_iteratorINS6_10device_ptrIKtEEEESL_NS6_8equal_toItEEEENSG_9not_fun_tINSD_8identityEEEEENSD_19counting_iterator_tIlEES8_S8_S8_S8_S8_S8_S8_S8_EEEEPS9_S9_NSD_9__find_if7functorIS9_EEEE10hipError_tPvRmT1_T2_T3_mT4_P12ihipStream_tbEUlT_E0_NS1_11comp_targetILNS1_3genE3ELNS1_11target_archE908ELNS1_3gpuE7ELNS1_3repE0EEENS1_30default_config_static_selectorELNS0_4arch9wavefront6targetE1EEEvS14_
	.globl	_ZN7rocprim17ROCPRIM_400000_NS6detail17trampoline_kernelINS0_14default_configENS1_22reduce_config_selectorIN6thrust23THRUST_200600_302600_NS5tupleIblNS6_9null_typeES8_S8_S8_S8_S8_S8_S8_EEEEZNS1_11reduce_implILb1ES3_NS6_12zip_iteratorINS7_INS6_11hip_rocprim26transform_input_iterator_tIbNSD_35transform_pair_of_input_iterators_tIbNS6_6detail15normal_iteratorINS6_10device_ptrIKtEEEESL_NS6_8equal_toItEEEENSG_9not_fun_tINSD_8identityEEEEENSD_19counting_iterator_tIlEES8_S8_S8_S8_S8_S8_S8_S8_EEEEPS9_S9_NSD_9__find_if7functorIS9_EEEE10hipError_tPvRmT1_T2_T3_mT4_P12ihipStream_tbEUlT_E0_NS1_11comp_targetILNS1_3genE3ELNS1_11target_archE908ELNS1_3gpuE7ELNS1_3repE0EEENS1_30default_config_static_selectorELNS0_4arch9wavefront6targetE1EEEvS14_
	.p2align	8
	.type	_ZN7rocprim17ROCPRIM_400000_NS6detail17trampoline_kernelINS0_14default_configENS1_22reduce_config_selectorIN6thrust23THRUST_200600_302600_NS5tupleIblNS6_9null_typeES8_S8_S8_S8_S8_S8_S8_EEEEZNS1_11reduce_implILb1ES3_NS6_12zip_iteratorINS7_INS6_11hip_rocprim26transform_input_iterator_tIbNSD_35transform_pair_of_input_iterators_tIbNS6_6detail15normal_iteratorINS6_10device_ptrIKtEEEESL_NS6_8equal_toItEEEENSG_9not_fun_tINSD_8identityEEEEENSD_19counting_iterator_tIlEES8_S8_S8_S8_S8_S8_S8_S8_EEEEPS9_S9_NSD_9__find_if7functorIS9_EEEE10hipError_tPvRmT1_T2_T3_mT4_P12ihipStream_tbEUlT_E0_NS1_11comp_targetILNS1_3genE3ELNS1_11target_archE908ELNS1_3gpuE7ELNS1_3repE0EEENS1_30default_config_static_selectorELNS0_4arch9wavefront6targetE1EEEvS14_,@function
_ZN7rocprim17ROCPRIM_400000_NS6detail17trampoline_kernelINS0_14default_configENS1_22reduce_config_selectorIN6thrust23THRUST_200600_302600_NS5tupleIblNS6_9null_typeES8_S8_S8_S8_S8_S8_S8_EEEEZNS1_11reduce_implILb1ES3_NS6_12zip_iteratorINS7_INS6_11hip_rocprim26transform_input_iterator_tIbNSD_35transform_pair_of_input_iterators_tIbNS6_6detail15normal_iteratorINS6_10device_ptrIKtEEEESL_NS6_8equal_toItEEEENSG_9not_fun_tINSD_8identityEEEEENSD_19counting_iterator_tIlEES8_S8_S8_S8_S8_S8_S8_S8_EEEEPS9_S9_NSD_9__find_if7functorIS9_EEEE10hipError_tPvRmT1_T2_T3_mT4_P12ihipStream_tbEUlT_E0_NS1_11comp_targetILNS1_3genE3ELNS1_11target_archE908ELNS1_3gpuE7ELNS1_3repE0EEENS1_30default_config_static_selectorELNS0_4arch9wavefront6targetE1EEEvS14_: ; @_ZN7rocprim17ROCPRIM_400000_NS6detail17trampoline_kernelINS0_14default_configENS1_22reduce_config_selectorIN6thrust23THRUST_200600_302600_NS5tupleIblNS6_9null_typeES8_S8_S8_S8_S8_S8_S8_EEEEZNS1_11reduce_implILb1ES3_NS6_12zip_iteratorINS7_INS6_11hip_rocprim26transform_input_iterator_tIbNSD_35transform_pair_of_input_iterators_tIbNS6_6detail15normal_iteratorINS6_10device_ptrIKtEEEESL_NS6_8equal_toItEEEENSG_9not_fun_tINSD_8identityEEEEENSD_19counting_iterator_tIlEES8_S8_S8_S8_S8_S8_S8_S8_EEEEPS9_S9_NSD_9__find_if7functorIS9_EEEE10hipError_tPvRmT1_T2_T3_mT4_P12ihipStream_tbEUlT_E0_NS1_11comp_targetILNS1_3genE3ELNS1_11target_archE908ELNS1_3gpuE7ELNS1_3repE0EEENS1_30default_config_static_selectorELNS0_4arch9wavefront6targetE1EEEvS14_
; %bb.0:
	.section	.rodata,"a",@progbits
	.p2align	6, 0x0
	.amdhsa_kernel _ZN7rocprim17ROCPRIM_400000_NS6detail17trampoline_kernelINS0_14default_configENS1_22reduce_config_selectorIN6thrust23THRUST_200600_302600_NS5tupleIblNS6_9null_typeES8_S8_S8_S8_S8_S8_S8_EEEEZNS1_11reduce_implILb1ES3_NS6_12zip_iteratorINS7_INS6_11hip_rocprim26transform_input_iterator_tIbNSD_35transform_pair_of_input_iterators_tIbNS6_6detail15normal_iteratorINS6_10device_ptrIKtEEEESL_NS6_8equal_toItEEEENSG_9not_fun_tINSD_8identityEEEEENSD_19counting_iterator_tIlEES8_S8_S8_S8_S8_S8_S8_S8_EEEEPS9_S9_NSD_9__find_if7functorIS9_EEEE10hipError_tPvRmT1_T2_T3_mT4_P12ihipStream_tbEUlT_E0_NS1_11comp_targetILNS1_3genE3ELNS1_11target_archE908ELNS1_3gpuE7ELNS1_3repE0EEENS1_30default_config_static_selectorELNS0_4arch9wavefront6targetE1EEEvS14_
		.amdhsa_group_segment_fixed_size 0
		.amdhsa_private_segment_fixed_size 0
		.amdhsa_kernarg_size 104
		.amdhsa_user_sgpr_count 6
		.amdhsa_user_sgpr_private_segment_buffer 1
		.amdhsa_user_sgpr_dispatch_ptr 0
		.amdhsa_user_sgpr_queue_ptr 0
		.amdhsa_user_sgpr_kernarg_segment_ptr 1
		.amdhsa_user_sgpr_dispatch_id 0
		.amdhsa_user_sgpr_flat_scratch_init 0
		.amdhsa_user_sgpr_private_segment_size 0
		.amdhsa_uses_dynamic_stack 0
		.amdhsa_system_sgpr_private_segment_wavefront_offset 0
		.amdhsa_system_sgpr_workgroup_id_x 1
		.amdhsa_system_sgpr_workgroup_id_y 0
		.amdhsa_system_sgpr_workgroup_id_z 0
		.amdhsa_system_sgpr_workgroup_info 0
		.amdhsa_system_vgpr_workitem_id 0
		.amdhsa_next_free_vgpr 1
		.amdhsa_next_free_sgpr 0
		.amdhsa_reserve_vcc 0
		.amdhsa_reserve_flat_scratch 0
		.amdhsa_float_round_mode_32 0
		.amdhsa_float_round_mode_16_64 0
		.amdhsa_float_denorm_mode_32 3
		.amdhsa_float_denorm_mode_16_64 3
		.amdhsa_dx10_clamp 1
		.amdhsa_ieee_mode 1
		.amdhsa_fp16_overflow 0
		.amdhsa_exception_fp_ieee_invalid_op 0
		.amdhsa_exception_fp_denorm_src 0
		.amdhsa_exception_fp_ieee_div_zero 0
		.amdhsa_exception_fp_ieee_overflow 0
		.amdhsa_exception_fp_ieee_underflow 0
		.amdhsa_exception_fp_ieee_inexact 0
		.amdhsa_exception_int_div_zero 0
	.end_amdhsa_kernel
	.section	.text._ZN7rocprim17ROCPRIM_400000_NS6detail17trampoline_kernelINS0_14default_configENS1_22reduce_config_selectorIN6thrust23THRUST_200600_302600_NS5tupleIblNS6_9null_typeES8_S8_S8_S8_S8_S8_S8_EEEEZNS1_11reduce_implILb1ES3_NS6_12zip_iteratorINS7_INS6_11hip_rocprim26transform_input_iterator_tIbNSD_35transform_pair_of_input_iterators_tIbNS6_6detail15normal_iteratorINS6_10device_ptrIKtEEEESL_NS6_8equal_toItEEEENSG_9not_fun_tINSD_8identityEEEEENSD_19counting_iterator_tIlEES8_S8_S8_S8_S8_S8_S8_S8_EEEEPS9_S9_NSD_9__find_if7functorIS9_EEEE10hipError_tPvRmT1_T2_T3_mT4_P12ihipStream_tbEUlT_E0_NS1_11comp_targetILNS1_3genE3ELNS1_11target_archE908ELNS1_3gpuE7ELNS1_3repE0EEENS1_30default_config_static_selectorELNS0_4arch9wavefront6targetE1EEEvS14_,"axG",@progbits,_ZN7rocprim17ROCPRIM_400000_NS6detail17trampoline_kernelINS0_14default_configENS1_22reduce_config_selectorIN6thrust23THRUST_200600_302600_NS5tupleIblNS6_9null_typeES8_S8_S8_S8_S8_S8_S8_EEEEZNS1_11reduce_implILb1ES3_NS6_12zip_iteratorINS7_INS6_11hip_rocprim26transform_input_iterator_tIbNSD_35transform_pair_of_input_iterators_tIbNS6_6detail15normal_iteratorINS6_10device_ptrIKtEEEESL_NS6_8equal_toItEEEENSG_9not_fun_tINSD_8identityEEEEENSD_19counting_iterator_tIlEES8_S8_S8_S8_S8_S8_S8_S8_EEEEPS9_S9_NSD_9__find_if7functorIS9_EEEE10hipError_tPvRmT1_T2_T3_mT4_P12ihipStream_tbEUlT_E0_NS1_11comp_targetILNS1_3genE3ELNS1_11target_archE908ELNS1_3gpuE7ELNS1_3repE0EEENS1_30default_config_static_selectorELNS0_4arch9wavefront6targetE1EEEvS14_,comdat
.Lfunc_end504:
	.size	_ZN7rocprim17ROCPRIM_400000_NS6detail17trampoline_kernelINS0_14default_configENS1_22reduce_config_selectorIN6thrust23THRUST_200600_302600_NS5tupleIblNS6_9null_typeES8_S8_S8_S8_S8_S8_S8_EEEEZNS1_11reduce_implILb1ES3_NS6_12zip_iteratorINS7_INS6_11hip_rocprim26transform_input_iterator_tIbNSD_35transform_pair_of_input_iterators_tIbNS6_6detail15normal_iteratorINS6_10device_ptrIKtEEEESL_NS6_8equal_toItEEEENSG_9not_fun_tINSD_8identityEEEEENSD_19counting_iterator_tIlEES8_S8_S8_S8_S8_S8_S8_S8_EEEEPS9_S9_NSD_9__find_if7functorIS9_EEEE10hipError_tPvRmT1_T2_T3_mT4_P12ihipStream_tbEUlT_E0_NS1_11comp_targetILNS1_3genE3ELNS1_11target_archE908ELNS1_3gpuE7ELNS1_3repE0EEENS1_30default_config_static_selectorELNS0_4arch9wavefront6targetE1EEEvS14_, .Lfunc_end504-_ZN7rocprim17ROCPRIM_400000_NS6detail17trampoline_kernelINS0_14default_configENS1_22reduce_config_selectorIN6thrust23THRUST_200600_302600_NS5tupleIblNS6_9null_typeES8_S8_S8_S8_S8_S8_S8_EEEEZNS1_11reduce_implILb1ES3_NS6_12zip_iteratorINS7_INS6_11hip_rocprim26transform_input_iterator_tIbNSD_35transform_pair_of_input_iterators_tIbNS6_6detail15normal_iteratorINS6_10device_ptrIKtEEEESL_NS6_8equal_toItEEEENSG_9not_fun_tINSD_8identityEEEEENSD_19counting_iterator_tIlEES8_S8_S8_S8_S8_S8_S8_S8_EEEEPS9_S9_NSD_9__find_if7functorIS9_EEEE10hipError_tPvRmT1_T2_T3_mT4_P12ihipStream_tbEUlT_E0_NS1_11comp_targetILNS1_3genE3ELNS1_11target_archE908ELNS1_3gpuE7ELNS1_3repE0EEENS1_30default_config_static_selectorELNS0_4arch9wavefront6targetE1EEEvS14_
                                        ; -- End function
	.set _ZN7rocprim17ROCPRIM_400000_NS6detail17trampoline_kernelINS0_14default_configENS1_22reduce_config_selectorIN6thrust23THRUST_200600_302600_NS5tupleIblNS6_9null_typeES8_S8_S8_S8_S8_S8_S8_EEEEZNS1_11reduce_implILb1ES3_NS6_12zip_iteratorINS7_INS6_11hip_rocprim26transform_input_iterator_tIbNSD_35transform_pair_of_input_iterators_tIbNS6_6detail15normal_iteratorINS6_10device_ptrIKtEEEESL_NS6_8equal_toItEEEENSG_9not_fun_tINSD_8identityEEEEENSD_19counting_iterator_tIlEES8_S8_S8_S8_S8_S8_S8_S8_EEEEPS9_S9_NSD_9__find_if7functorIS9_EEEE10hipError_tPvRmT1_T2_T3_mT4_P12ihipStream_tbEUlT_E0_NS1_11comp_targetILNS1_3genE3ELNS1_11target_archE908ELNS1_3gpuE7ELNS1_3repE0EEENS1_30default_config_static_selectorELNS0_4arch9wavefront6targetE1EEEvS14_.num_vgpr, 0
	.set _ZN7rocprim17ROCPRIM_400000_NS6detail17trampoline_kernelINS0_14default_configENS1_22reduce_config_selectorIN6thrust23THRUST_200600_302600_NS5tupleIblNS6_9null_typeES8_S8_S8_S8_S8_S8_S8_EEEEZNS1_11reduce_implILb1ES3_NS6_12zip_iteratorINS7_INS6_11hip_rocprim26transform_input_iterator_tIbNSD_35transform_pair_of_input_iterators_tIbNS6_6detail15normal_iteratorINS6_10device_ptrIKtEEEESL_NS6_8equal_toItEEEENSG_9not_fun_tINSD_8identityEEEEENSD_19counting_iterator_tIlEES8_S8_S8_S8_S8_S8_S8_S8_EEEEPS9_S9_NSD_9__find_if7functorIS9_EEEE10hipError_tPvRmT1_T2_T3_mT4_P12ihipStream_tbEUlT_E0_NS1_11comp_targetILNS1_3genE3ELNS1_11target_archE908ELNS1_3gpuE7ELNS1_3repE0EEENS1_30default_config_static_selectorELNS0_4arch9wavefront6targetE1EEEvS14_.num_agpr, 0
	.set _ZN7rocprim17ROCPRIM_400000_NS6detail17trampoline_kernelINS0_14default_configENS1_22reduce_config_selectorIN6thrust23THRUST_200600_302600_NS5tupleIblNS6_9null_typeES8_S8_S8_S8_S8_S8_S8_EEEEZNS1_11reduce_implILb1ES3_NS6_12zip_iteratorINS7_INS6_11hip_rocprim26transform_input_iterator_tIbNSD_35transform_pair_of_input_iterators_tIbNS6_6detail15normal_iteratorINS6_10device_ptrIKtEEEESL_NS6_8equal_toItEEEENSG_9not_fun_tINSD_8identityEEEEENSD_19counting_iterator_tIlEES8_S8_S8_S8_S8_S8_S8_S8_EEEEPS9_S9_NSD_9__find_if7functorIS9_EEEE10hipError_tPvRmT1_T2_T3_mT4_P12ihipStream_tbEUlT_E0_NS1_11comp_targetILNS1_3genE3ELNS1_11target_archE908ELNS1_3gpuE7ELNS1_3repE0EEENS1_30default_config_static_selectorELNS0_4arch9wavefront6targetE1EEEvS14_.numbered_sgpr, 0
	.set _ZN7rocprim17ROCPRIM_400000_NS6detail17trampoline_kernelINS0_14default_configENS1_22reduce_config_selectorIN6thrust23THRUST_200600_302600_NS5tupleIblNS6_9null_typeES8_S8_S8_S8_S8_S8_S8_EEEEZNS1_11reduce_implILb1ES3_NS6_12zip_iteratorINS7_INS6_11hip_rocprim26transform_input_iterator_tIbNSD_35transform_pair_of_input_iterators_tIbNS6_6detail15normal_iteratorINS6_10device_ptrIKtEEEESL_NS6_8equal_toItEEEENSG_9not_fun_tINSD_8identityEEEEENSD_19counting_iterator_tIlEES8_S8_S8_S8_S8_S8_S8_S8_EEEEPS9_S9_NSD_9__find_if7functorIS9_EEEE10hipError_tPvRmT1_T2_T3_mT4_P12ihipStream_tbEUlT_E0_NS1_11comp_targetILNS1_3genE3ELNS1_11target_archE908ELNS1_3gpuE7ELNS1_3repE0EEENS1_30default_config_static_selectorELNS0_4arch9wavefront6targetE1EEEvS14_.num_named_barrier, 0
	.set _ZN7rocprim17ROCPRIM_400000_NS6detail17trampoline_kernelINS0_14default_configENS1_22reduce_config_selectorIN6thrust23THRUST_200600_302600_NS5tupleIblNS6_9null_typeES8_S8_S8_S8_S8_S8_S8_EEEEZNS1_11reduce_implILb1ES3_NS6_12zip_iteratorINS7_INS6_11hip_rocprim26transform_input_iterator_tIbNSD_35transform_pair_of_input_iterators_tIbNS6_6detail15normal_iteratorINS6_10device_ptrIKtEEEESL_NS6_8equal_toItEEEENSG_9not_fun_tINSD_8identityEEEEENSD_19counting_iterator_tIlEES8_S8_S8_S8_S8_S8_S8_S8_EEEEPS9_S9_NSD_9__find_if7functorIS9_EEEE10hipError_tPvRmT1_T2_T3_mT4_P12ihipStream_tbEUlT_E0_NS1_11comp_targetILNS1_3genE3ELNS1_11target_archE908ELNS1_3gpuE7ELNS1_3repE0EEENS1_30default_config_static_selectorELNS0_4arch9wavefront6targetE1EEEvS14_.private_seg_size, 0
	.set _ZN7rocprim17ROCPRIM_400000_NS6detail17trampoline_kernelINS0_14default_configENS1_22reduce_config_selectorIN6thrust23THRUST_200600_302600_NS5tupleIblNS6_9null_typeES8_S8_S8_S8_S8_S8_S8_EEEEZNS1_11reduce_implILb1ES3_NS6_12zip_iteratorINS7_INS6_11hip_rocprim26transform_input_iterator_tIbNSD_35transform_pair_of_input_iterators_tIbNS6_6detail15normal_iteratorINS6_10device_ptrIKtEEEESL_NS6_8equal_toItEEEENSG_9not_fun_tINSD_8identityEEEEENSD_19counting_iterator_tIlEES8_S8_S8_S8_S8_S8_S8_S8_EEEEPS9_S9_NSD_9__find_if7functorIS9_EEEE10hipError_tPvRmT1_T2_T3_mT4_P12ihipStream_tbEUlT_E0_NS1_11comp_targetILNS1_3genE3ELNS1_11target_archE908ELNS1_3gpuE7ELNS1_3repE0EEENS1_30default_config_static_selectorELNS0_4arch9wavefront6targetE1EEEvS14_.uses_vcc, 0
	.set _ZN7rocprim17ROCPRIM_400000_NS6detail17trampoline_kernelINS0_14default_configENS1_22reduce_config_selectorIN6thrust23THRUST_200600_302600_NS5tupleIblNS6_9null_typeES8_S8_S8_S8_S8_S8_S8_EEEEZNS1_11reduce_implILb1ES3_NS6_12zip_iteratorINS7_INS6_11hip_rocprim26transform_input_iterator_tIbNSD_35transform_pair_of_input_iterators_tIbNS6_6detail15normal_iteratorINS6_10device_ptrIKtEEEESL_NS6_8equal_toItEEEENSG_9not_fun_tINSD_8identityEEEEENSD_19counting_iterator_tIlEES8_S8_S8_S8_S8_S8_S8_S8_EEEEPS9_S9_NSD_9__find_if7functorIS9_EEEE10hipError_tPvRmT1_T2_T3_mT4_P12ihipStream_tbEUlT_E0_NS1_11comp_targetILNS1_3genE3ELNS1_11target_archE908ELNS1_3gpuE7ELNS1_3repE0EEENS1_30default_config_static_selectorELNS0_4arch9wavefront6targetE1EEEvS14_.uses_flat_scratch, 0
	.set _ZN7rocprim17ROCPRIM_400000_NS6detail17trampoline_kernelINS0_14default_configENS1_22reduce_config_selectorIN6thrust23THRUST_200600_302600_NS5tupleIblNS6_9null_typeES8_S8_S8_S8_S8_S8_S8_EEEEZNS1_11reduce_implILb1ES3_NS6_12zip_iteratorINS7_INS6_11hip_rocprim26transform_input_iterator_tIbNSD_35transform_pair_of_input_iterators_tIbNS6_6detail15normal_iteratorINS6_10device_ptrIKtEEEESL_NS6_8equal_toItEEEENSG_9not_fun_tINSD_8identityEEEEENSD_19counting_iterator_tIlEES8_S8_S8_S8_S8_S8_S8_S8_EEEEPS9_S9_NSD_9__find_if7functorIS9_EEEE10hipError_tPvRmT1_T2_T3_mT4_P12ihipStream_tbEUlT_E0_NS1_11comp_targetILNS1_3genE3ELNS1_11target_archE908ELNS1_3gpuE7ELNS1_3repE0EEENS1_30default_config_static_selectorELNS0_4arch9wavefront6targetE1EEEvS14_.has_dyn_sized_stack, 0
	.set _ZN7rocprim17ROCPRIM_400000_NS6detail17trampoline_kernelINS0_14default_configENS1_22reduce_config_selectorIN6thrust23THRUST_200600_302600_NS5tupleIblNS6_9null_typeES8_S8_S8_S8_S8_S8_S8_EEEEZNS1_11reduce_implILb1ES3_NS6_12zip_iteratorINS7_INS6_11hip_rocprim26transform_input_iterator_tIbNSD_35transform_pair_of_input_iterators_tIbNS6_6detail15normal_iteratorINS6_10device_ptrIKtEEEESL_NS6_8equal_toItEEEENSG_9not_fun_tINSD_8identityEEEEENSD_19counting_iterator_tIlEES8_S8_S8_S8_S8_S8_S8_S8_EEEEPS9_S9_NSD_9__find_if7functorIS9_EEEE10hipError_tPvRmT1_T2_T3_mT4_P12ihipStream_tbEUlT_E0_NS1_11comp_targetILNS1_3genE3ELNS1_11target_archE908ELNS1_3gpuE7ELNS1_3repE0EEENS1_30default_config_static_selectorELNS0_4arch9wavefront6targetE1EEEvS14_.has_recursion, 0
	.set _ZN7rocprim17ROCPRIM_400000_NS6detail17trampoline_kernelINS0_14default_configENS1_22reduce_config_selectorIN6thrust23THRUST_200600_302600_NS5tupleIblNS6_9null_typeES8_S8_S8_S8_S8_S8_S8_EEEEZNS1_11reduce_implILb1ES3_NS6_12zip_iteratorINS7_INS6_11hip_rocprim26transform_input_iterator_tIbNSD_35transform_pair_of_input_iterators_tIbNS6_6detail15normal_iteratorINS6_10device_ptrIKtEEEESL_NS6_8equal_toItEEEENSG_9not_fun_tINSD_8identityEEEEENSD_19counting_iterator_tIlEES8_S8_S8_S8_S8_S8_S8_S8_EEEEPS9_S9_NSD_9__find_if7functorIS9_EEEE10hipError_tPvRmT1_T2_T3_mT4_P12ihipStream_tbEUlT_E0_NS1_11comp_targetILNS1_3genE3ELNS1_11target_archE908ELNS1_3gpuE7ELNS1_3repE0EEENS1_30default_config_static_selectorELNS0_4arch9wavefront6targetE1EEEvS14_.has_indirect_call, 0
	.section	.AMDGPU.csdata,"",@progbits
; Kernel info:
; codeLenInByte = 0
; TotalNumSgprs: 4
; NumVgprs: 0
; ScratchSize: 0
; MemoryBound: 0
; FloatMode: 240
; IeeeMode: 1
; LDSByteSize: 0 bytes/workgroup (compile time only)
; SGPRBlocks: 0
; VGPRBlocks: 0
; NumSGPRsForWavesPerEU: 4
; NumVGPRsForWavesPerEU: 1
; Occupancy: 10
; WaveLimiterHint : 0
; COMPUTE_PGM_RSRC2:SCRATCH_EN: 0
; COMPUTE_PGM_RSRC2:USER_SGPR: 6
; COMPUTE_PGM_RSRC2:TRAP_HANDLER: 0
; COMPUTE_PGM_RSRC2:TGID_X_EN: 1
; COMPUTE_PGM_RSRC2:TGID_Y_EN: 0
; COMPUTE_PGM_RSRC2:TGID_Z_EN: 0
; COMPUTE_PGM_RSRC2:TIDIG_COMP_CNT: 0
	.section	.text._ZN7rocprim17ROCPRIM_400000_NS6detail17trampoline_kernelINS0_14default_configENS1_22reduce_config_selectorIN6thrust23THRUST_200600_302600_NS5tupleIblNS6_9null_typeES8_S8_S8_S8_S8_S8_S8_EEEEZNS1_11reduce_implILb1ES3_NS6_12zip_iteratorINS7_INS6_11hip_rocprim26transform_input_iterator_tIbNSD_35transform_pair_of_input_iterators_tIbNS6_6detail15normal_iteratorINS6_10device_ptrIKtEEEESL_NS6_8equal_toItEEEENSG_9not_fun_tINSD_8identityEEEEENSD_19counting_iterator_tIlEES8_S8_S8_S8_S8_S8_S8_S8_EEEEPS9_S9_NSD_9__find_if7functorIS9_EEEE10hipError_tPvRmT1_T2_T3_mT4_P12ihipStream_tbEUlT_E0_NS1_11comp_targetILNS1_3genE2ELNS1_11target_archE906ELNS1_3gpuE6ELNS1_3repE0EEENS1_30default_config_static_selectorELNS0_4arch9wavefront6targetE1EEEvS14_,"axG",@progbits,_ZN7rocprim17ROCPRIM_400000_NS6detail17trampoline_kernelINS0_14default_configENS1_22reduce_config_selectorIN6thrust23THRUST_200600_302600_NS5tupleIblNS6_9null_typeES8_S8_S8_S8_S8_S8_S8_EEEEZNS1_11reduce_implILb1ES3_NS6_12zip_iteratorINS7_INS6_11hip_rocprim26transform_input_iterator_tIbNSD_35transform_pair_of_input_iterators_tIbNS6_6detail15normal_iteratorINS6_10device_ptrIKtEEEESL_NS6_8equal_toItEEEENSG_9not_fun_tINSD_8identityEEEEENSD_19counting_iterator_tIlEES8_S8_S8_S8_S8_S8_S8_S8_EEEEPS9_S9_NSD_9__find_if7functorIS9_EEEE10hipError_tPvRmT1_T2_T3_mT4_P12ihipStream_tbEUlT_E0_NS1_11comp_targetILNS1_3genE2ELNS1_11target_archE906ELNS1_3gpuE6ELNS1_3repE0EEENS1_30default_config_static_selectorELNS0_4arch9wavefront6targetE1EEEvS14_,comdat
	.protected	_ZN7rocprim17ROCPRIM_400000_NS6detail17trampoline_kernelINS0_14default_configENS1_22reduce_config_selectorIN6thrust23THRUST_200600_302600_NS5tupleIblNS6_9null_typeES8_S8_S8_S8_S8_S8_S8_EEEEZNS1_11reduce_implILb1ES3_NS6_12zip_iteratorINS7_INS6_11hip_rocprim26transform_input_iterator_tIbNSD_35transform_pair_of_input_iterators_tIbNS6_6detail15normal_iteratorINS6_10device_ptrIKtEEEESL_NS6_8equal_toItEEEENSG_9not_fun_tINSD_8identityEEEEENSD_19counting_iterator_tIlEES8_S8_S8_S8_S8_S8_S8_S8_EEEEPS9_S9_NSD_9__find_if7functorIS9_EEEE10hipError_tPvRmT1_T2_T3_mT4_P12ihipStream_tbEUlT_E0_NS1_11comp_targetILNS1_3genE2ELNS1_11target_archE906ELNS1_3gpuE6ELNS1_3repE0EEENS1_30default_config_static_selectorELNS0_4arch9wavefront6targetE1EEEvS14_ ; -- Begin function _ZN7rocprim17ROCPRIM_400000_NS6detail17trampoline_kernelINS0_14default_configENS1_22reduce_config_selectorIN6thrust23THRUST_200600_302600_NS5tupleIblNS6_9null_typeES8_S8_S8_S8_S8_S8_S8_EEEEZNS1_11reduce_implILb1ES3_NS6_12zip_iteratorINS7_INS6_11hip_rocprim26transform_input_iterator_tIbNSD_35transform_pair_of_input_iterators_tIbNS6_6detail15normal_iteratorINS6_10device_ptrIKtEEEESL_NS6_8equal_toItEEEENSG_9not_fun_tINSD_8identityEEEEENSD_19counting_iterator_tIlEES8_S8_S8_S8_S8_S8_S8_S8_EEEEPS9_S9_NSD_9__find_if7functorIS9_EEEE10hipError_tPvRmT1_T2_T3_mT4_P12ihipStream_tbEUlT_E0_NS1_11comp_targetILNS1_3genE2ELNS1_11target_archE906ELNS1_3gpuE6ELNS1_3repE0EEENS1_30default_config_static_selectorELNS0_4arch9wavefront6targetE1EEEvS14_
	.globl	_ZN7rocprim17ROCPRIM_400000_NS6detail17trampoline_kernelINS0_14default_configENS1_22reduce_config_selectorIN6thrust23THRUST_200600_302600_NS5tupleIblNS6_9null_typeES8_S8_S8_S8_S8_S8_S8_EEEEZNS1_11reduce_implILb1ES3_NS6_12zip_iteratorINS7_INS6_11hip_rocprim26transform_input_iterator_tIbNSD_35transform_pair_of_input_iterators_tIbNS6_6detail15normal_iteratorINS6_10device_ptrIKtEEEESL_NS6_8equal_toItEEEENSG_9not_fun_tINSD_8identityEEEEENSD_19counting_iterator_tIlEES8_S8_S8_S8_S8_S8_S8_S8_EEEEPS9_S9_NSD_9__find_if7functorIS9_EEEE10hipError_tPvRmT1_T2_T3_mT4_P12ihipStream_tbEUlT_E0_NS1_11comp_targetILNS1_3genE2ELNS1_11target_archE906ELNS1_3gpuE6ELNS1_3repE0EEENS1_30default_config_static_selectorELNS0_4arch9wavefront6targetE1EEEvS14_
	.p2align	8
	.type	_ZN7rocprim17ROCPRIM_400000_NS6detail17trampoline_kernelINS0_14default_configENS1_22reduce_config_selectorIN6thrust23THRUST_200600_302600_NS5tupleIblNS6_9null_typeES8_S8_S8_S8_S8_S8_S8_EEEEZNS1_11reduce_implILb1ES3_NS6_12zip_iteratorINS7_INS6_11hip_rocprim26transform_input_iterator_tIbNSD_35transform_pair_of_input_iterators_tIbNS6_6detail15normal_iteratorINS6_10device_ptrIKtEEEESL_NS6_8equal_toItEEEENSG_9not_fun_tINSD_8identityEEEEENSD_19counting_iterator_tIlEES8_S8_S8_S8_S8_S8_S8_S8_EEEEPS9_S9_NSD_9__find_if7functorIS9_EEEE10hipError_tPvRmT1_T2_T3_mT4_P12ihipStream_tbEUlT_E0_NS1_11comp_targetILNS1_3genE2ELNS1_11target_archE906ELNS1_3gpuE6ELNS1_3repE0EEENS1_30default_config_static_selectorELNS0_4arch9wavefront6targetE1EEEvS14_,@function
_ZN7rocprim17ROCPRIM_400000_NS6detail17trampoline_kernelINS0_14default_configENS1_22reduce_config_selectorIN6thrust23THRUST_200600_302600_NS5tupleIblNS6_9null_typeES8_S8_S8_S8_S8_S8_S8_EEEEZNS1_11reduce_implILb1ES3_NS6_12zip_iteratorINS7_INS6_11hip_rocprim26transform_input_iterator_tIbNSD_35transform_pair_of_input_iterators_tIbNS6_6detail15normal_iteratorINS6_10device_ptrIKtEEEESL_NS6_8equal_toItEEEENSG_9not_fun_tINSD_8identityEEEEENSD_19counting_iterator_tIlEES8_S8_S8_S8_S8_S8_S8_S8_EEEEPS9_S9_NSD_9__find_if7functorIS9_EEEE10hipError_tPvRmT1_T2_T3_mT4_P12ihipStream_tbEUlT_E0_NS1_11comp_targetILNS1_3genE2ELNS1_11target_archE906ELNS1_3gpuE6ELNS1_3repE0EEENS1_30default_config_static_selectorELNS0_4arch9wavefront6targetE1EEEvS14_: ; @_ZN7rocprim17ROCPRIM_400000_NS6detail17trampoline_kernelINS0_14default_configENS1_22reduce_config_selectorIN6thrust23THRUST_200600_302600_NS5tupleIblNS6_9null_typeES8_S8_S8_S8_S8_S8_S8_EEEEZNS1_11reduce_implILb1ES3_NS6_12zip_iteratorINS7_INS6_11hip_rocprim26transform_input_iterator_tIbNSD_35transform_pair_of_input_iterators_tIbNS6_6detail15normal_iteratorINS6_10device_ptrIKtEEEESL_NS6_8equal_toItEEEENSG_9not_fun_tINSD_8identityEEEEENSD_19counting_iterator_tIlEES8_S8_S8_S8_S8_S8_S8_S8_EEEEPS9_S9_NSD_9__find_if7functorIS9_EEEE10hipError_tPvRmT1_T2_T3_mT4_P12ihipStream_tbEUlT_E0_NS1_11comp_targetILNS1_3genE2ELNS1_11target_archE906ELNS1_3gpuE6ELNS1_3repE0EEENS1_30default_config_static_selectorELNS0_4arch9wavefront6targetE1EEEvS14_
; %bb.0:
	s_load_dwordx8 s[12:19], s[4:5], 0x20
	s_load_dwordx4 s[0:3], s[4:5], 0x0
	s_load_dwordx4 s[20:23], s[4:5], 0x40
	s_mov_b32 s29, 0
	s_mov_b32 s7, s29
	s_waitcnt lgkmcnt(0)
	s_lshl_b64 s[8:9], s[14:15], 1
	s_add_u32 s10, s0, s8
	s_addc_u32 s11, s1, s9
	s_add_u32 s8, s2, s8
	s_addc_u32 s9, s3, s9
	s_lshl_b32 s28, s6, 8
	s_lshr_b64 s[0:1], s[16:17], 8
	s_lshl_b64 s[2:3], s[28:29], 1
	s_add_u32 s24, s10, s2
	s_addc_u32 s25, s11, s3
	s_add_u32 s26, s8, s2
	s_addc_u32 s27, s9, s3
	s_add_u32 s2, s12, s28
	s_addc_u32 s3, s13, 0
	s_add_u32 s14, s2, s14
	s_addc_u32 s15, s3, s15
	s_cmp_lg_u64 s[0:1], s[6:7]
	v_lshlrev_b32_e32 v9, 1, v0
	v_mbcnt_lo_u32_b32 v8, -1, 0
	s_cbranch_scc0 .LBB505_10
; %bb.1:
	global_load_ushort v1, v9, s[26:27]
	global_load_ushort v2, v9, s[26:27] offset:256
	global_load_ushort v4, v9, s[24:25] offset:256
	global_load_ushort v6, v9, s[24:25]
	v_mov_b32_e32 v5, s15
	v_add_co_u32_e32 v7, vcc, s14, v0
	v_addc_co_u32_e32 v10, vcc, 0, v5, vcc
	v_add_co_u32_e32 v11, vcc, 0x80, v7
	v_addc_co_u32_e32 v12, vcc, 0, v10, vcc
	v_mbcnt_hi_u32_b32 v3, -1, v8
	v_lshlrev_b32_e32 v5, 2, v3
	v_or_b32_e32 v13, 0xfc, v5
	s_waitcnt vmcnt(1)
	v_cmp_ne_u16_e32 vcc, v4, v2
	s_waitcnt vmcnt(0)
	v_cmp_ne_u16_e64 s[0:1], v6, v1
	v_cndmask_b32_e64 v2, v12, v10, s[0:1]
	v_cndmask_b32_e64 v1, v11, v7, s[0:1]
	s_or_b64 s[0:1], s[0:1], vcc
	v_mov_b32_dpp v7, v2 quad_perm:[1,0,3,2] row_mask:0xf bank_mask:0xf bound_ctrl:1
	v_mov_b32_dpp v6, v1 quad_perm:[1,0,3,2] row_mask:0xf bank_mask:0xf bound_ctrl:1
	v_cndmask_b32_e64 v4, 0, 1, s[0:1]
	v_cmp_lt_i64_e32 vcc, v[1:2], v[6:7]
	s_and_b64 vcc, s[0:1], vcc
	v_mov_b32_dpp v10, v4 quad_perm:[1,0,3,2] row_mask:0xf bank_mask:0xf bound_ctrl:1
	v_and_b32_e32 v10, 1, v10
	v_cndmask_b32_e32 v6, v6, v1, vcc
	v_cndmask_b32_e32 v7, v7, v2, vcc
	v_cmp_eq_u32_e32 vcc, 1, v10
	v_cndmask_b32_e32 v2, v2, v7, vcc
	v_cndmask_b32_e32 v1, v1, v6, vcc
	v_cndmask_b32_e64 v4, v4, 1, vcc
	v_mov_b32_dpp v7, v2 quad_perm:[2,3,0,1] row_mask:0xf bank_mask:0xf bound_ctrl:1
	v_mov_b32_dpp v6, v1 quad_perm:[2,3,0,1] row_mask:0xf bank_mask:0xf bound_ctrl:1
	v_and_b32_e32 v11, 1, v4
	v_cmp_lt_i64_e64 s[0:1], v[1:2], v[6:7]
	v_mov_b32_dpp v10, v4 quad_perm:[2,3,0,1] row_mask:0xf bank_mask:0xf bound_ctrl:1
	v_cmp_eq_u32_e32 vcc, 1, v11
	v_and_b32_e32 v10, 1, v10
	s_and_b64 vcc, vcc, s[0:1]
	v_cmp_eq_u32_e64 s[2:3], 1, v10
	v_cndmask_b32_e32 v6, v6, v1, vcc
	v_cndmask_b32_e32 v7, v7, v2, vcc
	v_cndmask_b32_e64 v1, v1, v6, s[2:3]
	v_cndmask_b32_e64 v2, v2, v7, s[2:3]
	v_cndmask_b32_e64 v4, v4, 1, s[2:3]
	v_mov_b32_dpp v6, v1 row_ror:4 row_mask:0xf bank_mask:0xf bound_ctrl:1
	v_mov_b32_dpp v7, v2 row_ror:4 row_mask:0xf bank_mask:0xf bound_ctrl:1
	v_and_b32_e32 v11, 1, v4
	v_cmp_lt_i64_e64 s[2:3], v[1:2], v[6:7]
	v_mov_b32_dpp v10, v4 row_ror:4 row_mask:0xf bank_mask:0xf bound_ctrl:1
	v_cmp_eq_u32_e32 vcc, 1, v11
	v_and_b32_e32 v10, 1, v10
	s_and_b64 vcc, vcc, s[2:3]
	v_cmp_eq_u32_e64 s[0:1], 1, v10
	v_cndmask_b32_e32 v6, v6, v1, vcc
	v_cndmask_b32_e32 v7, v7, v2, vcc
	v_cndmask_b32_e64 v1, v1, v6, s[0:1]
	v_cndmask_b32_e64 v2, v2, v7, s[0:1]
	;; [unrolled: 1-line block ×3, first 2 shown]
	v_mov_b32_dpp v6, v1 row_ror:8 row_mask:0xf bank_mask:0xf bound_ctrl:1
	v_mov_b32_dpp v7, v2 row_ror:8 row_mask:0xf bank_mask:0xf bound_ctrl:1
	v_and_b32_e32 v11, 1, v4
	v_cmp_lt_i64_e64 s[2:3], v[1:2], v[6:7]
	v_mov_b32_dpp v10, v4 row_ror:8 row_mask:0xf bank_mask:0xf bound_ctrl:1
	v_cmp_eq_u32_e64 s[8:9], 1, v11
	v_and_b32_e32 v10, 1, v10
	s_and_b64 s[2:3], s[8:9], s[2:3]
	v_cmp_eq_u32_e64 s[10:11], 1, v10
	v_cndmask_b32_e64 v6, v6, v1, s[2:3]
	v_cndmask_b32_e64 v7, v7, v2, s[2:3]
	;; [unrolled: 1-line block ×5, first 2 shown]
	v_mov_b32_dpp v10, v4 row_bcast:15 row_mask:0xf bank_mask:0xf bound_ctrl:1
	v_mov_b32_dpp v6, v1 row_bcast:15 row_mask:0xf bank_mask:0xf bound_ctrl:1
	;; [unrolled: 1-line block ×3, first 2 shown]
	v_and_b32_e32 v11, 1, v4
	v_and_b32_e32 v10, 1, v10
	v_cmp_lt_i64_e64 s[2:3], v[1:2], v[6:7]
	v_cmp_eq_u32_e32 vcc, 1, v11
	v_cmp_eq_u32_e64 s[0:1], 1, v10
	v_cndmask_b32_e64 v4, v4, 1, s[0:1]
	s_and_b64 vcc, vcc, s[2:3]
	v_cndmask_b32_e32 v6, v6, v1, vcc
	v_mov_b32_dpp v10, v4 row_bcast:31 row_mask:0xf bank_mask:0xf bound_ctrl:1
	v_cndmask_b32_e32 v7, v7, v2, vcc
	v_and_b32_e32 v11, 1, v4
	v_and_b32_e32 v10, 1, v10
	v_cndmask_b32_e64 v1, v1, v6, s[0:1]
	v_cndmask_b32_e64 v2, v2, v7, s[0:1]
	v_cmp_eq_u32_e64 s[12:13], 1, v11
	v_cmp_eq_u32_e64 s[8:9], 1, v10
	v_mov_b32_dpp v10, v1 row_bcast:31 row_mask:0xf bank_mask:0xf bound_ctrl:1
	v_mov_b32_dpp v11, v2 row_bcast:31 row_mask:0xf bank_mask:0xf bound_ctrl:1
	v_cmp_lt_i64_e32 vcc, v[1:2], v[10:11]
	v_cndmask_b32_e64 v4, v4, 1, s[8:9]
	s_and_b64 vcc, s[12:13], vcc
	ds_bpermute_b32 v7, v13, v4
	v_cndmask_b32_e32 v4, v10, v1, vcc
	v_cndmask_b32_e32 v6, v11, v2, vcc
	v_cndmask_b32_e64 v1, v1, v4, s[8:9]
	v_cndmask_b32_e64 v2, v2, v6, s[8:9]
	ds_bpermute_b32 v1, v13, v1
	ds_bpermute_b32 v2, v13, v2
	v_cmp_eq_u32_e32 vcc, 0, v3
	s_and_saveexec_b64 s[0:1], vcc
	s_cbranch_execz .LBB505_3
; %bb.2:
	v_lshrrev_b32_e32 v4, 2, v0
	v_and_b32_e32 v4, 16, v4
	s_waitcnt lgkmcnt(2)
	ds_write_b8 v4, v7
	s_waitcnt lgkmcnt(1)
	ds_write_b64 v4, v[1:2] offset:8
.LBB505_3:
	s_or_b64 exec, exec, s[0:1]
	v_cmp_gt_u32_e32 vcc, 64, v0
	s_waitcnt lgkmcnt(0)
	s_barrier
	s_and_saveexec_b64 s[0:1], vcc
	s_cbranch_execz .LBB505_9
; %bb.4:
	v_and_b32_e32 v1, 1, v3
	v_lshlrev_b32_e32 v1, 4, v1
	ds_read_u8 v10, v1
	ds_read_b64 v[3:4], v1 offset:8
	v_or_b32_e32 v2, 4, v5
	s_waitcnt lgkmcnt(1)
	v_and_b32_e32 v1, 0xff, v10
	ds_bpermute_b32 v11, v2, v1
	s_waitcnt lgkmcnt(1)
	ds_bpermute_b32 v5, v2, v3
	ds_bpermute_b32 v6, v2, v4
	s_waitcnt lgkmcnt(2)
	v_and_b32_e32 v1, v10, v11
	v_and_b32_e32 v1, 1, v1
	v_cmp_eq_u32_e32 vcc, 1, v1
                                        ; implicit-def: $vgpr1_vgpr2
	s_and_saveexec_b64 s[2:3], vcc
	s_xor_b64 s[2:3], exec, s[2:3]
	s_cbranch_execz .LBB505_6
; %bb.5:
	s_waitcnt lgkmcnt(0)
	v_cmp_lt_i64_e32 vcc, v[5:6], v[3:4]
                                        ; implicit-def: $vgpr10
                                        ; implicit-def: $vgpr11
	v_cndmask_b32_e32 v2, v4, v6, vcc
	v_cndmask_b32_e32 v1, v3, v5, vcc
                                        ; implicit-def: $vgpr5_vgpr6
                                        ; implicit-def: $vgpr3_vgpr4
.LBB505_6:
	s_or_saveexec_b64 s[2:3], s[2:3]
	v_mov_b32_e32 v7, 1
	s_xor_b64 exec, exec, s[2:3]
	s_cbranch_execz .LBB505_8
; %bb.7:
	v_and_b32_e32 v1, 1, v10
	v_cmp_eq_u32_e32 vcc, 1, v1
	s_waitcnt lgkmcnt(0)
	v_cndmask_b32_e32 v2, v6, v4, vcc
	v_cndmask_b32_e32 v1, v5, v3, vcc
	v_cndmask_b32_e64 v7, v11, 1, vcc
.LBB505_8:
	s_or_b64 exec, exec, s[2:3]
.LBB505_9:
	s_or_b64 exec, exec, s[0:1]
	s_load_dword s10, s[4:5], 0x50
	s_load_dwordx2 s[8:9], s[4:5], 0x58
	s_branch .LBB505_62
.LBB505_10:
                                        ; implicit-def: $vgpr1_vgpr2
                                        ; implicit-def: $vgpr7
	s_load_dword s10, s[4:5], 0x50
	s_load_dwordx2 s[8:9], s[4:5], 0x58
	s_cbranch_execz .LBB505_62
; %bb.11:
	s_sub_i32 s11, s16, s28
	v_mov_b32_e32 v3, 0
	v_mov_b32_e32 v1, 0
	v_cmp_gt_u32_e32 vcc, s11, v0
	s_waitcnt lgkmcnt(0)
	v_mov_b32_e32 v6, 0
	v_mov_b32_e32 v4, 0
	;; [unrolled: 1-line block ×4, first 2 shown]
	s_and_saveexec_b64 s[0:1], vcc
	s_cbranch_execz .LBB505_13
; %bb.12:
	global_load_ushort v5, v9, s[24:25]
	global_load_ushort v7, v9, s[26:27]
	v_mov_b32_e32 v2, s15
	v_add_co_u32_e32 v1, vcc, s14, v0
	v_addc_co_u32_e32 v2, vcc, 0, v2, vcc
	s_waitcnt vmcnt(0)
	v_cmp_ne_u16_e32 vcc, v5, v7
	v_cndmask_b32_e64 v5, 0, 1, vcc
.LBB505_13:
	s_or_b64 exec, exec, s[0:1]
	v_or_b32_e32 v7, 0x80, v0
	v_cmp_gt_u32_e32 vcc, s11, v7
	s_and_saveexec_b64 s[2:3], vcc
	s_cbranch_execz .LBB505_15
; %bb.14:
	global_load_ushort v6, v9, s[24:25] offset:256
	global_load_ushort v10, v9, s[26:27] offset:256
	v_mov_b32_e32 v4, s15
	v_add_co_u32_e64 v3, s[0:1], s14, v7
	v_addc_co_u32_e64 v4, s[0:1], 0, v4, s[0:1]
	s_waitcnt vmcnt(0)
	v_cmp_ne_u16_e64 s[0:1], v6, v10
	v_cndmask_b32_e64 v6, 0, 1, s[0:1]
.LBB505_15:
	s_or_b64 exec, exec, s[2:3]
	v_and_b32_e32 v7, 0xffff, v5
	v_and_b32_e32 v9, 0xffff, v6
	;; [unrolled: 1-line block ×4, first 2 shown]
	v_cmp_lt_i64_e64 s[2:3], v[3:4], v[1:2]
	v_cmp_eq_u32_e64 s[0:1], 1, v6
	v_cmp_eq_u32_e64 s[4:5], 1, v5
	v_cndmask_b32_e64 v5, v9, 1, s[4:5]
	s_and_b64 s[0:1], s[0:1], s[2:3]
	v_cndmask_b32_e64 v6, v2, v4, s[0:1]
	v_cndmask_b32_e64 v9, v1, v3, s[0:1]
	v_cndmask_b32_e32 v7, v7, v5, vcc
	v_mbcnt_hi_u32_b32 v5, -1, v8
	v_cndmask_b32_e64 v3, v3, v9, s[4:5]
	v_cndmask_b32_e64 v4, v4, v6, s[4:5]
	v_and_b32_e32 v6, 63, v5
	v_cndmask_b32_e32 v2, v2, v4, vcc
	v_cndmask_b32_e32 v1, v1, v3, vcc
	v_cmp_ne_u32_e32 vcc, 63, v6
	v_addc_co_u32_e32 v3, vcc, 0, v5, vcc
	v_lshlrev_b32_e32 v4, 2, v3
	ds_bpermute_b32 v9, v4, v7
	ds_bpermute_b32 v3, v4, v1
	;; [unrolled: 1-line block ×3, first 2 shown]
	s_min_u32 s4, s11, 0x80
	v_and_b32_e32 v8, 64, v0
	v_sub_u32_e64 v8, s4, v8 clamp
	v_add_u32_e32 v10, 1, v6
	v_cmp_lt_u32_e32 vcc, v10, v8
	s_and_saveexec_b64 s[0:1], vcc
	s_cbranch_execz .LBB505_21
; %bb.16:
	s_waitcnt lgkmcnt(2)
	v_and_b32_e32 v10, v9, v7
	v_cmp_ne_u32_e32 vcc, 0, v10
	s_and_saveexec_b64 s[2:3], vcc
	s_xor_b64 s[2:3], exec, s[2:3]
	s_cbranch_execz .LBB505_18
; %bb.17:
	s_waitcnt lgkmcnt(0)
	v_cmp_lt_i64_e32 vcc, v[3:4], v[1:2]
                                        ; implicit-def: $vgpr7
                                        ; implicit-def: $vgpr9
	v_cndmask_b32_e32 v2, v2, v4, vcc
	v_cndmask_b32_e32 v1, v1, v3, vcc
                                        ; implicit-def: $vgpr3_vgpr4
.LBB505_18:
	s_or_saveexec_b64 s[2:3], s[2:3]
	v_mov_b32_e32 v10, 1
	s_xor_b64 exec, exec, s[2:3]
	s_cbranch_execz .LBB505_20
; %bb.19:
	v_and_b32_e32 v7, 1, v7
	v_cmp_eq_u32_e32 vcc, 1, v7
	s_waitcnt lgkmcnt(1)
	v_cndmask_b32_e32 v1, v3, v1, vcc
	v_and_b32_e32 v3, 0xff, v9
	s_waitcnt lgkmcnt(0)
	v_cndmask_b32_e32 v2, v4, v2, vcc
	v_cndmask_b32_e64 v10, v3, 1, vcc
.LBB505_20:
	s_or_b64 exec, exec, s[2:3]
	v_mov_b32_e32 v7, v10
.LBB505_21:
	s_or_b64 exec, exec, s[0:1]
	v_cmp_gt_u32_e32 vcc, 62, v6
	s_waitcnt lgkmcnt(1)
	v_cndmask_b32_e64 v3, 0, 2, vcc
	s_waitcnt lgkmcnt(0)
	v_add_lshl_u32 v4, v3, v5, 2
	ds_bpermute_b32 v9, v4, v7
	ds_bpermute_b32 v3, v4, v1
	ds_bpermute_b32 v4, v4, v2
	v_add_u32_e32 v10, 2, v6
	v_cmp_lt_u32_e32 vcc, v10, v8
	s_and_saveexec_b64 s[0:1], vcc
	s_cbranch_execz .LBB505_27
; %bb.22:
	s_waitcnt lgkmcnt(2)
	v_and_b32_e32 v10, v7, v9
	v_and_b32_e32 v10, 1, v10
	v_cmp_eq_u32_e32 vcc, 1, v10
	s_and_saveexec_b64 s[2:3], vcc
	s_xor_b64 s[2:3], exec, s[2:3]
	s_cbranch_execz .LBB505_24
; %bb.23:
	s_waitcnt lgkmcnt(0)
	v_cmp_lt_i64_e32 vcc, v[3:4], v[1:2]
                                        ; implicit-def: $vgpr7
                                        ; implicit-def: $vgpr9
	v_cndmask_b32_e32 v2, v2, v4, vcc
	v_cndmask_b32_e32 v1, v1, v3, vcc
                                        ; implicit-def: $vgpr3_vgpr4
.LBB505_24:
	s_or_saveexec_b64 s[2:3], s[2:3]
	v_mov_b32_e32 v10, 1
	s_xor_b64 exec, exec, s[2:3]
	s_cbranch_execz .LBB505_26
; %bb.25:
	v_and_b32_e32 v7, 1, v7
	v_cmp_eq_u32_e32 vcc, 1, v7
	s_waitcnt lgkmcnt(1)
	v_cndmask_b32_e32 v1, v3, v1, vcc
	v_and_b32_e32 v3, 0xff, v9
	s_waitcnt lgkmcnt(0)
	v_cndmask_b32_e32 v2, v4, v2, vcc
	v_cndmask_b32_e64 v10, v3, 1, vcc
.LBB505_26:
	s_or_b64 exec, exec, s[2:3]
	v_mov_b32_e32 v7, v10
.LBB505_27:
	s_or_b64 exec, exec, s[0:1]
	v_cmp_gt_u32_e32 vcc, 60, v6
	s_waitcnt lgkmcnt(1)
	v_cndmask_b32_e64 v3, 0, 4, vcc
	s_waitcnt lgkmcnt(0)
	v_add_lshl_u32 v4, v3, v5, 2
	ds_bpermute_b32 v9, v4, v7
	ds_bpermute_b32 v3, v4, v1
	ds_bpermute_b32 v4, v4, v2
	v_add_u32_e32 v10, 4, v6
	v_cmp_lt_u32_e32 vcc, v10, v8
	s_and_saveexec_b64 s[0:1], vcc
	s_cbranch_execz .LBB505_33
; %bb.28:
	s_waitcnt lgkmcnt(2)
	v_and_b32_e32 v10, v7, v9
	v_and_b32_e32 v10, 1, v10
	v_cmp_eq_u32_e32 vcc, 1, v10
	s_and_saveexec_b64 s[2:3], vcc
	s_xor_b64 s[2:3], exec, s[2:3]
	s_cbranch_execz .LBB505_30
; %bb.29:
	s_waitcnt lgkmcnt(0)
	v_cmp_lt_i64_e32 vcc, v[3:4], v[1:2]
                                        ; implicit-def: $vgpr7
                                        ; implicit-def: $vgpr9
	v_cndmask_b32_e32 v2, v2, v4, vcc
	v_cndmask_b32_e32 v1, v1, v3, vcc
                                        ; implicit-def: $vgpr3_vgpr4
.LBB505_30:
	s_or_saveexec_b64 s[2:3], s[2:3]
	v_mov_b32_e32 v10, 1
	s_xor_b64 exec, exec, s[2:3]
	s_cbranch_execz .LBB505_32
; %bb.31:
	v_and_b32_e32 v7, 1, v7
	v_cmp_eq_u32_e32 vcc, 1, v7
	s_waitcnt lgkmcnt(1)
	v_cndmask_b32_e32 v1, v3, v1, vcc
	v_and_b32_e32 v3, 0xff, v9
	s_waitcnt lgkmcnt(0)
	v_cndmask_b32_e32 v2, v4, v2, vcc
	v_cndmask_b32_e64 v10, v3, 1, vcc
.LBB505_32:
	s_or_b64 exec, exec, s[2:3]
	v_mov_b32_e32 v7, v10
.LBB505_33:
	s_or_b64 exec, exec, s[0:1]
	v_cmp_gt_u32_e32 vcc, 56, v6
	s_waitcnt lgkmcnt(1)
	v_cndmask_b32_e64 v3, 0, 8, vcc
	s_waitcnt lgkmcnt(0)
	v_add_lshl_u32 v4, v3, v5, 2
	ds_bpermute_b32 v9, v4, v7
	ds_bpermute_b32 v3, v4, v1
	ds_bpermute_b32 v4, v4, v2
	v_add_u32_e32 v10, 8, v6
	v_cmp_lt_u32_e32 vcc, v10, v8
	s_and_saveexec_b64 s[0:1], vcc
	s_cbranch_execz .LBB505_39
; %bb.34:
	s_waitcnt lgkmcnt(2)
	v_and_b32_e32 v10, v7, v9
	v_and_b32_e32 v10, 1, v10
	v_cmp_eq_u32_e32 vcc, 1, v10
	s_and_saveexec_b64 s[2:3], vcc
	s_xor_b64 s[2:3], exec, s[2:3]
	s_cbranch_execz .LBB505_36
; %bb.35:
	s_waitcnt lgkmcnt(0)
	v_cmp_lt_i64_e32 vcc, v[3:4], v[1:2]
                                        ; implicit-def: $vgpr7
                                        ; implicit-def: $vgpr9
	v_cndmask_b32_e32 v2, v2, v4, vcc
	v_cndmask_b32_e32 v1, v1, v3, vcc
                                        ; implicit-def: $vgpr3_vgpr4
.LBB505_36:
	s_or_saveexec_b64 s[2:3], s[2:3]
	v_mov_b32_e32 v10, 1
	s_xor_b64 exec, exec, s[2:3]
	s_cbranch_execz .LBB505_38
; %bb.37:
	v_and_b32_e32 v7, 1, v7
	v_cmp_eq_u32_e32 vcc, 1, v7
	s_waitcnt lgkmcnt(1)
	v_cndmask_b32_e32 v1, v3, v1, vcc
	v_and_b32_e32 v3, 0xff, v9
	s_waitcnt lgkmcnt(0)
	v_cndmask_b32_e32 v2, v4, v2, vcc
	v_cndmask_b32_e64 v10, v3, 1, vcc
.LBB505_38:
	s_or_b64 exec, exec, s[2:3]
	v_mov_b32_e32 v7, v10
.LBB505_39:
	s_or_b64 exec, exec, s[0:1]
	v_cmp_gt_u32_e32 vcc, 48, v6
	s_waitcnt lgkmcnt(1)
	v_cndmask_b32_e64 v3, 0, 16, vcc
	s_waitcnt lgkmcnt(0)
	v_add_lshl_u32 v4, v3, v5, 2
	ds_bpermute_b32 v9, v4, v7
	ds_bpermute_b32 v3, v4, v1
	ds_bpermute_b32 v4, v4, v2
	v_add_u32_e32 v10, 16, v6
	v_cmp_lt_u32_e32 vcc, v10, v8
	s_and_saveexec_b64 s[0:1], vcc
	s_cbranch_execz .LBB505_45
; %bb.40:
	s_waitcnt lgkmcnt(2)
	v_and_b32_e32 v10, v7, v9
	v_and_b32_e32 v10, 1, v10
	v_cmp_eq_u32_e32 vcc, 1, v10
	s_and_saveexec_b64 s[2:3], vcc
	s_xor_b64 s[2:3], exec, s[2:3]
	s_cbranch_execz .LBB505_42
; %bb.41:
	s_waitcnt lgkmcnt(0)
	v_cmp_lt_i64_e32 vcc, v[3:4], v[1:2]
                                        ; implicit-def: $vgpr7
                                        ; implicit-def: $vgpr9
	v_cndmask_b32_e32 v2, v2, v4, vcc
	v_cndmask_b32_e32 v1, v1, v3, vcc
                                        ; implicit-def: $vgpr3_vgpr4
.LBB505_42:
	s_or_saveexec_b64 s[2:3], s[2:3]
	v_mov_b32_e32 v10, 1
	s_xor_b64 exec, exec, s[2:3]
	s_cbranch_execz .LBB505_44
; %bb.43:
	v_and_b32_e32 v7, 1, v7
	v_cmp_eq_u32_e32 vcc, 1, v7
	s_waitcnt lgkmcnt(1)
	v_cndmask_b32_e32 v1, v3, v1, vcc
	v_and_b32_e32 v3, 0xff, v9
	s_waitcnt lgkmcnt(0)
	v_cndmask_b32_e32 v2, v4, v2, vcc
	v_cndmask_b32_e64 v10, v3, 1, vcc
.LBB505_44:
	s_or_b64 exec, exec, s[2:3]
	v_mov_b32_e32 v7, v10
.LBB505_45:
	s_or_b64 exec, exec, s[0:1]
	s_waitcnt lgkmcnt(2)
	v_lshlrev_b32_e32 v9, 2, v5
	s_waitcnt lgkmcnt(0)
	v_or_b32_e32 v4, 0x80, v9
	ds_bpermute_b32 v10, v4, v7
	ds_bpermute_b32 v3, v4, v1
	;; [unrolled: 1-line block ×3, first 2 shown]
	v_add_u32_e32 v6, 32, v6
	v_cmp_lt_u32_e32 vcc, v6, v8
	v_mov_b32_e32 v6, v7
	s_and_saveexec_b64 s[0:1], vcc
	s_cbranch_execz .LBB505_51
; %bb.46:
	s_waitcnt lgkmcnt(2)
	v_and_b32_e32 v6, v7, v10
	v_and_b32_e32 v6, 1, v6
	v_cmp_eq_u32_e32 vcc, 1, v6
	s_and_saveexec_b64 s[2:3], vcc
	s_xor_b64 s[2:3], exec, s[2:3]
	s_cbranch_execz .LBB505_48
; %bb.47:
	s_waitcnt lgkmcnt(0)
	v_cmp_lt_i64_e32 vcc, v[3:4], v[1:2]
                                        ; implicit-def: $vgpr7
                                        ; implicit-def: $vgpr10
	v_cndmask_b32_e32 v2, v2, v4, vcc
	v_cndmask_b32_e32 v1, v1, v3, vcc
                                        ; implicit-def: $vgpr3_vgpr4
.LBB505_48:
	s_or_saveexec_b64 s[2:3], s[2:3]
	v_mov_b32_e32 v6, 1
	s_xor_b64 exec, exec, s[2:3]
	s_cbranch_execz .LBB505_50
; %bb.49:
	v_and_b32_e32 v6, 1, v7
	v_cmp_eq_u32_e32 vcc, 1, v6
	v_cndmask_b32_e64 v6, v10, 1, vcc
	s_waitcnt lgkmcnt(0)
	v_cndmask_b32_e32 v2, v4, v2, vcc
	v_cndmask_b32_e32 v1, v3, v1, vcc
.LBB505_50:
	s_or_b64 exec, exec, s[2:3]
	v_and_b32_e32 v7, 0xff, v6
.LBB505_51:
	s_or_b64 exec, exec, s[0:1]
	v_cmp_eq_u32_e32 vcc, 0, v5
	s_and_saveexec_b64 s[0:1], vcc
	s_cbranch_execz .LBB505_53
; %bb.52:
	s_waitcnt lgkmcnt(1)
	v_lshrrev_b32_e32 v3, 2, v0
	v_and_b32_e32 v3, 16, v3
	ds_write_b8 v3, v6 offset:32
	ds_write_b64 v3, v[1:2] offset:40
.LBB505_53:
	s_or_b64 exec, exec, s[0:1]
	v_cmp_gt_u32_e32 vcc, 2, v0
	s_waitcnt lgkmcnt(0)
	s_barrier
	s_and_saveexec_b64 s[0:1], vcc
	s_cbranch_execz .LBB505_61
; %bb.54:
	v_lshlrev_b32_e32 v1, 4, v5
	ds_read_u8 v6, v1 offset:32
	ds_read_b64 v[1:2], v1 offset:40
	v_or_b32_e32 v4, 4, v9
	s_add_i32 s4, s4, 63
	v_and_b32_e32 v5, 1, v5
	s_waitcnt lgkmcnt(1)
	v_and_b32_e32 v7, 0xff, v6
	s_waitcnt lgkmcnt(0)
	ds_bpermute_b32 v3, v4, v1
	ds_bpermute_b32 v8, v4, v7
	;; [unrolled: 1-line block ×3, first 2 shown]
	s_lshr_b32 s2, s4, 6
	v_add_u32_e32 v5, 1, v5
	v_cmp_gt_u32_e32 vcc, s2, v5
	s_and_saveexec_b64 s[2:3], vcc
	s_cbranch_execz .LBB505_60
; %bb.55:
	s_waitcnt lgkmcnt(1)
	v_and_b32_e32 v5, v7, v8
	v_and_b32_e32 v5, 1, v5
	v_cmp_eq_u32_e32 vcc, 1, v5
	s_and_saveexec_b64 s[4:5], vcc
	s_xor_b64 s[4:5], exec, s[4:5]
	s_cbranch_execz .LBB505_57
; %bb.56:
	s_waitcnt lgkmcnt(0)
	v_cmp_lt_i64_e32 vcc, v[3:4], v[1:2]
                                        ; implicit-def: $vgpr6
                                        ; implicit-def: $vgpr8
	v_cndmask_b32_e32 v2, v2, v4, vcc
	v_cndmask_b32_e32 v1, v1, v3, vcc
                                        ; implicit-def: $vgpr3_vgpr4
.LBB505_57:
	s_or_saveexec_b64 s[4:5], s[4:5]
	v_mov_b32_e32 v7, 1
	s_xor_b64 exec, exec, s[4:5]
	s_cbranch_execz .LBB505_59
; %bb.58:
	v_and_b32_e32 v5, 1, v6
	v_cmp_eq_u32_e32 vcc, 1, v5
	s_waitcnt lgkmcnt(0)
	v_cndmask_b32_e32 v2, v4, v2, vcc
	v_cndmask_b32_e32 v1, v3, v1, vcc
	v_cndmask_b32_e64 v7, v8, 1, vcc
.LBB505_59:
	s_or_b64 exec, exec, s[4:5]
.LBB505_60:
	s_or_b64 exec, exec, s[2:3]
.LBB505_61:
	s_or_b64 exec, exec, s[0:1]
.LBB505_62:
	v_cmp_eq_u32_e32 vcc, 0, v0
	s_and_saveexec_b64 s[0:1], vcc
	s_cbranch_execnz .LBB505_64
; %bb.63:
	s_endpgm
.LBB505_64:
	s_mul_i32 s0, s22, s21
	s_mul_hi_u32 s1, s22, s20
	s_add_i32 s0, s1, s0
	s_mul_i32 s1, s23, s20
	s_add_i32 s1, s0, s1
	s_mul_i32 s0, s22, s20
	s_lshl_b64 s[0:1], s[0:1], 4
	s_add_u32 s2, s18, s0
	s_addc_u32 s3, s19, s1
	s_cmp_eq_u64 s[16:17], 0
	s_waitcnt lgkmcnt(0)
	v_mov_b32_e32 v0, s9
	s_cselect_b64 vcc, -1, 0
	v_cndmask_b32_e32 v2, v2, v0, vcc
	v_mov_b32_e32 v0, s8
	s_lshl_b64 s[0:1], s[6:7], 4
	v_cndmask_b32_e32 v1, v1, v0, vcc
	v_mov_b32_e32 v0, s10
	s_add_u32 s0, s2, s0
	v_cndmask_b32_e32 v0, v7, v0, vcc
	s_addc_u32 s1, s3, s1
	v_mov_b32_e32 v3, 0
	global_store_byte v3, v0, s[0:1]
	global_store_dwordx2 v3, v[1:2], s[0:1] offset:8
	s_endpgm
	.section	.rodata,"a",@progbits
	.p2align	6, 0x0
	.amdhsa_kernel _ZN7rocprim17ROCPRIM_400000_NS6detail17trampoline_kernelINS0_14default_configENS1_22reduce_config_selectorIN6thrust23THRUST_200600_302600_NS5tupleIblNS6_9null_typeES8_S8_S8_S8_S8_S8_S8_EEEEZNS1_11reduce_implILb1ES3_NS6_12zip_iteratorINS7_INS6_11hip_rocprim26transform_input_iterator_tIbNSD_35transform_pair_of_input_iterators_tIbNS6_6detail15normal_iteratorINS6_10device_ptrIKtEEEESL_NS6_8equal_toItEEEENSG_9not_fun_tINSD_8identityEEEEENSD_19counting_iterator_tIlEES8_S8_S8_S8_S8_S8_S8_S8_EEEEPS9_S9_NSD_9__find_if7functorIS9_EEEE10hipError_tPvRmT1_T2_T3_mT4_P12ihipStream_tbEUlT_E0_NS1_11comp_targetILNS1_3genE2ELNS1_11target_archE906ELNS1_3gpuE6ELNS1_3repE0EEENS1_30default_config_static_selectorELNS0_4arch9wavefront6targetE1EEEvS14_
		.amdhsa_group_segment_fixed_size 64
		.amdhsa_private_segment_fixed_size 0
		.amdhsa_kernarg_size 104
		.amdhsa_user_sgpr_count 6
		.amdhsa_user_sgpr_private_segment_buffer 1
		.amdhsa_user_sgpr_dispatch_ptr 0
		.amdhsa_user_sgpr_queue_ptr 0
		.amdhsa_user_sgpr_kernarg_segment_ptr 1
		.amdhsa_user_sgpr_dispatch_id 0
		.amdhsa_user_sgpr_flat_scratch_init 0
		.amdhsa_user_sgpr_private_segment_size 0
		.amdhsa_uses_dynamic_stack 0
		.amdhsa_system_sgpr_private_segment_wavefront_offset 0
		.amdhsa_system_sgpr_workgroup_id_x 1
		.amdhsa_system_sgpr_workgroup_id_y 0
		.amdhsa_system_sgpr_workgroup_id_z 0
		.amdhsa_system_sgpr_workgroup_info 0
		.amdhsa_system_vgpr_workitem_id 0
		.amdhsa_next_free_vgpr 14
		.amdhsa_next_free_sgpr 30
		.amdhsa_reserve_vcc 1
		.amdhsa_reserve_flat_scratch 0
		.amdhsa_float_round_mode_32 0
		.amdhsa_float_round_mode_16_64 0
		.amdhsa_float_denorm_mode_32 3
		.amdhsa_float_denorm_mode_16_64 3
		.amdhsa_dx10_clamp 1
		.amdhsa_ieee_mode 1
		.amdhsa_fp16_overflow 0
		.amdhsa_exception_fp_ieee_invalid_op 0
		.amdhsa_exception_fp_denorm_src 0
		.amdhsa_exception_fp_ieee_div_zero 0
		.amdhsa_exception_fp_ieee_overflow 0
		.amdhsa_exception_fp_ieee_underflow 0
		.amdhsa_exception_fp_ieee_inexact 0
		.amdhsa_exception_int_div_zero 0
	.end_amdhsa_kernel
	.section	.text._ZN7rocprim17ROCPRIM_400000_NS6detail17trampoline_kernelINS0_14default_configENS1_22reduce_config_selectorIN6thrust23THRUST_200600_302600_NS5tupleIblNS6_9null_typeES8_S8_S8_S8_S8_S8_S8_EEEEZNS1_11reduce_implILb1ES3_NS6_12zip_iteratorINS7_INS6_11hip_rocprim26transform_input_iterator_tIbNSD_35transform_pair_of_input_iterators_tIbNS6_6detail15normal_iteratorINS6_10device_ptrIKtEEEESL_NS6_8equal_toItEEEENSG_9not_fun_tINSD_8identityEEEEENSD_19counting_iterator_tIlEES8_S8_S8_S8_S8_S8_S8_S8_EEEEPS9_S9_NSD_9__find_if7functorIS9_EEEE10hipError_tPvRmT1_T2_T3_mT4_P12ihipStream_tbEUlT_E0_NS1_11comp_targetILNS1_3genE2ELNS1_11target_archE906ELNS1_3gpuE6ELNS1_3repE0EEENS1_30default_config_static_selectorELNS0_4arch9wavefront6targetE1EEEvS14_,"axG",@progbits,_ZN7rocprim17ROCPRIM_400000_NS6detail17trampoline_kernelINS0_14default_configENS1_22reduce_config_selectorIN6thrust23THRUST_200600_302600_NS5tupleIblNS6_9null_typeES8_S8_S8_S8_S8_S8_S8_EEEEZNS1_11reduce_implILb1ES3_NS6_12zip_iteratorINS7_INS6_11hip_rocprim26transform_input_iterator_tIbNSD_35transform_pair_of_input_iterators_tIbNS6_6detail15normal_iteratorINS6_10device_ptrIKtEEEESL_NS6_8equal_toItEEEENSG_9not_fun_tINSD_8identityEEEEENSD_19counting_iterator_tIlEES8_S8_S8_S8_S8_S8_S8_S8_EEEEPS9_S9_NSD_9__find_if7functorIS9_EEEE10hipError_tPvRmT1_T2_T3_mT4_P12ihipStream_tbEUlT_E0_NS1_11comp_targetILNS1_3genE2ELNS1_11target_archE906ELNS1_3gpuE6ELNS1_3repE0EEENS1_30default_config_static_selectorELNS0_4arch9wavefront6targetE1EEEvS14_,comdat
.Lfunc_end505:
	.size	_ZN7rocprim17ROCPRIM_400000_NS6detail17trampoline_kernelINS0_14default_configENS1_22reduce_config_selectorIN6thrust23THRUST_200600_302600_NS5tupleIblNS6_9null_typeES8_S8_S8_S8_S8_S8_S8_EEEEZNS1_11reduce_implILb1ES3_NS6_12zip_iteratorINS7_INS6_11hip_rocprim26transform_input_iterator_tIbNSD_35transform_pair_of_input_iterators_tIbNS6_6detail15normal_iteratorINS6_10device_ptrIKtEEEESL_NS6_8equal_toItEEEENSG_9not_fun_tINSD_8identityEEEEENSD_19counting_iterator_tIlEES8_S8_S8_S8_S8_S8_S8_S8_EEEEPS9_S9_NSD_9__find_if7functorIS9_EEEE10hipError_tPvRmT1_T2_T3_mT4_P12ihipStream_tbEUlT_E0_NS1_11comp_targetILNS1_3genE2ELNS1_11target_archE906ELNS1_3gpuE6ELNS1_3repE0EEENS1_30default_config_static_selectorELNS0_4arch9wavefront6targetE1EEEvS14_, .Lfunc_end505-_ZN7rocprim17ROCPRIM_400000_NS6detail17trampoline_kernelINS0_14default_configENS1_22reduce_config_selectorIN6thrust23THRUST_200600_302600_NS5tupleIblNS6_9null_typeES8_S8_S8_S8_S8_S8_S8_EEEEZNS1_11reduce_implILb1ES3_NS6_12zip_iteratorINS7_INS6_11hip_rocprim26transform_input_iterator_tIbNSD_35transform_pair_of_input_iterators_tIbNS6_6detail15normal_iteratorINS6_10device_ptrIKtEEEESL_NS6_8equal_toItEEEENSG_9not_fun_tINSD_8identityEEEEENSD_19counting_iterator_tIlEES8_S8_S8_S8_S8_S8_S8_S8_EEEEPS9_S9_NSD_9__find_if7functorIS9_EEEE10hipError_tPvRmT1_T2_T3_mT4_P12ihipStream_tbEUlT_E0_NS1_11comp_targetILNS1_3genE2ELNS1_11target_archE906ELNS1_3gpuE6ELNS1_3repE0EEENS1_30default_config_static_selectorELNS0_4arch9wavefront6targetE1EEEvS14_
                                        ; -- End function
	.set _ZN7rocprim17ROCPRIM_400000_NS6detail17trampoline_kernelINS0_14default_configENS1_22reduce_config_selectorIN6thrust23THRUST_200600_302600_NS5tupleIblNS6_9null_typeES8_S8_S8_S8_S8_S8_S8_EEEEZNS1_11reduce_implILb1ES3_NS6_12zip_iteratorINS7_INS6_11hip_rocprim26transform_input_iterator_tIbNSD_35transform_pair_of_input_iterators_tIbNS6_6detail15normal_iteratorINS6_10device_ptrIKtEEEESL_NS6_8equal_toItEEEENSG_9not_fun_tINSD_8identityEEEEENSD_19counting_iterator_tIlEES8_S8_S8_S8_S8_S8_S8_S8_EEEEPS9_S9_NSD_9__find_if7functorIS9_EEEE10hipError_tPvRmT1_T2_T3_mT4_P12ihipStream_tbEUlT_E0_NS1_11comp_targetILNS1_3genE2ELNS1_11target_archE906ELNS1_3gpuE6ELNS1_3repE0EEENS1_30default_config_static_selectorELNS0_4arch9wavefront6targetE1EEEvS14_.num_vgpr, 14
	.set _ZN7rocprim17ROCPRIM_400000_NS6detail17trampoline_kernelINS0_14default_configENS1_22reduce_config_selectorIN6thrust23THRUST_200600_302600_NS5tupleIblNS6_9null_typeES8_S8_S8_S8_S8_S8_S8_EEEEZNS1_11reduce_implILb1ES3_NS6_12zip_iteratorINS7_INS6_11hip_rocprim26transform_input_iterator_tIbNSD_35transform_pair_of_input_iterators_tIbNS6_6detail15normal_iteratorINS6_10device_ptrIKtEEEESL_NS6_8equal_toItEEEENSG_9not_fun_tINSD_8identityEEEEENSD_19counting_iterator_tIlEES8_S8_S8_S8_S8_S8_S8_S8_EEEEPS9_S9_NSD_9__find_if7functorIS9_EEEE10hipError_tPvRmT1_T2_T3_mT4_P12ihipStream_tbEUlT_E0_NS1_11comp_targetILNS1_3genE2ELNS1_11target_archE906ELNS1_3gpuE6ELNS1_3repE0EEENS1_30default_config_static_selectorELNS0_4arch9wavefront6targetE1EEEvS14_.num_agpr, 0
	.set _ZN7rocprim17ROCPRIM_400000_NS6detail17trampoline_kernelINS0_14default_configENS1_22reduce_config_selectorIN6thrust23THRUST_200600_302600_NS5tupleIblNS6_9null_typeES8_S8_S8_S8_S8_S8_S8_EEEEZNS1_11reduce_implILb1ES3_NS6_12zip_iteratorINS7_INS6_11hip_rocprim26transform_input_iterator_tIbNSD_35transform_pair_of_input_iterators_tIbNS6_6detail15normal_iteratorINS6_10device_ptrIKtEEEESL_NS6_8equal_toItEEEENSG_9not_fun_tINSD_8identityEEEEENSD_19counting_iterator_tIlEES8_S8_S8_S8_S8_S8_S8_S8_EEEEPS9_S9_NSD_9__find_if7functorIS9_EEEE10hipError_tPvRmT1_T2_T3_mT4_P12ihipStream_tbEUlT_E0_NS1_11comp_targetILNS1_3genE2ELNS1_11target_archE906ELNS1_3gpuE6ELNS1_3repE0EEENS1_30default_config_static_selectorELNS0_4arch9wavefront6targetE1EEEvS14_.numbered_sgpr, 30
	.set _ZN7rocprim17ROCPRIM_400000_NS6detail17trampoline_kernelINS0_14default_configENS1_22reduce_config_selectorIN6thrust23THRUST_200600_302600_NS5tupleIblNS6_9null_typeES8_S8_S8_S8_S8_S8_S8_EEEEZNS1_11reduce_implILb1ES3_NS6_12zip_iteratorINS7_INS6_11hip_rocprim26transform_input_iterator_tIbNSD_35transform_pair_of_input_iterators_tIbNS6_6detail15normal_iteratorINS6_10device_ptrIKtEEEESL_NS6_8equal_toItEEEENSG_9not_fun_tINSD_8identityEEEEENSD_19counting_iterator_tIlEES8_S8_S8_S8_S8_S8_S8_S8_EEEEPS9_S9_NSD_9__find_if7functorIS9_EEEE10hipError_tPvRmT1_T2_T3_mT4_P12ihipStream_tbEUlT_E0_NS1_11comp_targetILNS1_3genE2ELNS1_11target_archE906ELNS1_3gpuE6ELNS1_3repE0EEENS1_30default_config_static_selectorELNS0_4arch9wavefront6targetE1EEEvS14_.num_named_barrier, 0
	.set _ZN7rocprim17ROCPRIM_400000_NS6detail17trampoline_kernelINS0_14default_configENS1_22reduce_config_selectorIN6thrust23THRUST_200600_302600_NS5tupleIblNS6_9null_typeES8_S8_S8_S8_S8_S8_S8_EEEEZNS1_11reduce_implILb1ES3_NS6_12zip_iteratorINS7_INS6_11hip_rocprim26transform_input_iterator_tIbNSD_35transform_pair_of_input_iterators_tIbNS6_6detail15normal_iteratorINS6_10device_ptrIKtEEEESL_NS6_8equal_toItEEEENSG_9not_fun_tINSD_8identityEEEEENSD_19counting_iterator_tIlEES8_S8_S8_S8_S8_S8_S8_S8_EEEEPS9_S9_NSD_9__find_if7functorIS9_EEEE10hipError_tPvRmT1_T2_T3_mT4_P12ihipStream_tbEUlT_E0_NS1_11comp_targetILNS1_3genE2ELNS1_11target_archE906ELNS1_3gpuE6ELNS1_3repE0EEENS1_30default_config_static_selectorELNS0_4arch9wavefront6targetE1EEEvS14_.private_seg_size, 0
	.set _ZN7rocprim17ROCPRIM_400000_NS6detail17trampoline_kernelINS0_14default_configENS1_22reduce_config_selectorIN6thrust23THRUST_200600_302600_NS5tupleIblNS6_9null_typeES8_S8_S8_S8_S8_S8_S8_EEEEZNS1_11reduce_implILb1ES3_NS6_12zip_iteratorINS7_INS6_11hip_rocprim26transform_input_iterator_tIbNSD_35transform_pair_of_input_iterators_tIbNS6_6detail15normal_iteratorINS6_10device_ptrIKtEEEESL_NS6_8equal_toItEEEENSG_9not_fun_tINSD_8identityEEEEENSD_19counting_iterator_tIlEES8_S8_S8_S8_S8_S8_S8_S8_EEEEPS9_S9_NSD_9__find_if7functorIS9_EEEE10hipError_tPvRmT1_T2_T3_mT4_P12ihipStream_tbEUlT_E0_NS1_11comp_targetILNS1_3genE2ELNS1_11target_archE906ELNS1_3gpuE6ELNS1_3repE0EEENS1_30default_config_static_selectorELNS0_4arch9wavefront6targetE1EEEvS14_.uses_vcc, 1
	.set _ZN7rocprim17ROCPRIM_400000_NS6detail17trampoline_kernelINS0_14default_configENS1_22reduce_config_selectorIN6thrust23THRUST_200600_302600_NS5tupleIblNS6_9null_typeES8_S8_S8_S8_S8_S8_S8_EEEEZNS1_11reduce_implILb1ES3_NS6_12zip_iteratorINS7_INS6_11hip_rocprim26transform_input_iterator_tIbNSD_35transform_pair_of_input_iterators_tIbNS6_6detail15normal_iteratorINS6_10device_ptrIKtEEEESL_NS6_8equal_toItEEEENSG_9not_fun_tINSD_8identityEEEEENSD_19counting_iterator_tIlEES8_S8_S8_S8_S8_S8_S8_S8_EEEEPS9_S9_NSD_9__find_if7functorIS9_EEEE10hipError_tPvRmT1_T2_T3_mT4_P12ihipStream_tbEUlT_E0_NS1_11comp_targetILNS1_3genE2ELNS1_11target_archE906ELNS1_3gpuE6ELNS1_3repE0EEENS1_30default_config_static_selectorELNS0_4arch9wavefront6targetE1EEEvS14_.uses_flat_scratch, 0
	.set _ZN7rocprim17ROCPRIM_400000_NS6detail17trampoline_kernelINS0_14default_configENS1_22reduce_config_selectorIN6thrust23THRUST_200600_302600_NS5tupleIblNS6_9null_typeES8_S8_S8_S8_S8_S8_S8_EEEEZNS1_11reduce_implILb1ES3_NS6_12zip_iteratorINS7_INS6_11hip_rocprim26transform_input_iterator_tIbNSD_35transform_pair_of_input_iterators_tIbNS6_6detail15normal_iteratorINS6_10device_ptrIKtEEEESL_NS6_8equal_toItEEEENSG_9not_fun_tINSD_8identityEEEEENSD_19counting_iterator_tIlEES8_S8_S8_S8_S8_S8_S8_S8_EEEEPS9_S9_NSD_9__find_if7functorIS9_EEEE10hipError_tPvRmT1_T2_T3_mT4_P12ihipStream_tbEUlT_E0_NS1_11comp_targetILNS1_3genE2ELNS1_11target_archE906ELNS1_3gpuE6ELNS1_3repE0EEENS1_30default_config_static_selectorELNS0_4arch9wavefront6targetE1EEEvS14_.has_dyn_sized_stack, 0
	.set _ZN7rocprim17ROCPRIM_400000_NS6detail17trampoline_kernelINS0_14default_configENS1_22reduce_config_selectorIN6thrust23THRUST_200600_302600_NS5tupleIblNS6_9null_typeES8_S8_S8_S8_S8_S8_S8_EEEEZNS1_11reduce_implILb1ES3_NS6_12zip_iteratorINS7_INS6_11hip_rocprim26transform_input_iterator_tIbNSD_35transform_pair_of_input_iterators_tIbNS6_6detail15normal_iteratorINS6_10device_ptrIKtEEEESL_NS6_8equal_toItEEEENSG_9not_fun_tINSD_8identityEEEEENSD_19counting_iterator_tIlEES8_S8_S8_S8_S8_S8_S8_S8_EEEEPS9_S9_NSD_9__find_if7functorIS9_EEEE10hipError_tPvRmT1_T2_T3_mT4_P12ihipStream_tbEUlT_E0_NS1_11comp_targetILNS1_3genE2ELNS1_11target_archE906ELNS1_3gpuE6ELNS1_3repE0EEENS1_30default_config_static_selectorELNS0_4arch9wavefront6targetE1EEEvS14_.has_recursion, 0
	.set _ZN7rocprim17ROCPRIM_400000_NS6detail17trampoline_kernelINS0_14default_configENS1_22reduce_config_selectorIN6thrust23THRUST_200600_302600_NS5tupleIblNS6_9null_typeES8_S8_S8_S8_S8_S8_S8_EEEEZNS1_11reduce_implILb1ES3_NS6_12zip_iteratorINS7_INS6_11hip_rocprim26transform_input_iterator_tIbNSD_35transform_pair_of_input_iterators_tIbNS6_6detail15normal_iteratorINS6_10device_ptrIKtEEEESL_NS6_8equal_toItEEEENSG_9not_fun_tINSD_8identityEEEEENSD_19counting_iterator_tIlEES8_S8_S8_S8_S8_S8_S8_S8_EEEEPS9_S9_NSD_9__find_if7functorIS9_EEEE10hipError_tPvRmT1_T2_T3_mT4_P12ihipStream_tbEUlT_E0_NS1_11comp_targetILNS1_3genE2ELNS1_11target_archE906ELNS1_3gpuE6ELNS1_3repE0EEENS1_30default_config_static_selectorELNS0_4arch9wavefront6targetE1EEEvS14_.has_indirect_call, 0
	.section	.AMDGPU.csdata,"",@progbits
; Kernel info:
; codeLenInByte = 2792
; TotalNumSgprs: 34
; NumVgprs: 14
; ScratchSize: 0
; MemoryBound: 0
; FloatMode: 240
; IeeeMode: 1
; LDSByteSize: 64 bytes/workgroup (compile time only)
; SGPRBlocks: 4
; VGPRBlocks: 3
; NumSGPRsForWavesPerEU: 34
; NumVGPRsForWavesPerEU: 14
; Occupancy: 10
; WaveLimiterHint : 0
; COMPUTE_PGM_RSRC2:SCRATCH_EN: 0
; COMPUTE_PGM_RSRC2:USER_SGPR: 6
; COMPUTE_PGM_RSRC2:TRAP_HANDLER: 0
; COMPUTE_PGM_RSRC2:TGID_X_EN: 1
; COMPUTE_PGM_RSRC2:TGID_Y_EN: 0
; COMPUTE_PGM_RSRC2:TGID_Z_EN: 0
; COMPUTE_PGM_RSRC2:TIDIG_COMP_CNT: 0
	.section	.text._ZN7rocprim17ROCPRIM_400000_NS6detail17trampoline_kernelINS0_14default_configENS1_22reduce_config_selectorIN6thrust23THRUST_200600_302600_NS5tupleIblNS6_9null_typeES8_S8_S8_S8_S8_S8_S8_EEEEZNS1_11reduce_implILb1ES3_NS6_12zip_iteratorINS7_INS6_11hip_rocprim26transform_input_iterator_tIbNSD_35transform_pair_of_input_iterators_tIbNS6_6detail15normal_iteratorINS6_10device_ptrIKtEEEESL_NS6_8equal_toItEEEENSG_9not_fun_tINSD_8identityEEEEENSD_19counting_iterator_tIlEES8_S8_S8_S8_S8_S8_S8_S8_EEEEPS9_S9_NSD_9__find_if7functorIS9_EEEE10hipError_tPvRmT1_T2_T3_mT4_P12ihipStream_tbEUlT_E0_NS1_11comp_targetILNS1_3genE10ELNS1_11target_archE1201ELNS1_3gpuE5ELNS1_3repE0EEENS1_30default_config_static_selectorELNS0_4arch9wavefront6targetE1EEEvS14_,"axG",@progbits,_ZN7rocprim17ROCPRIM_400000_NS6detail17trampoline_kernelINS0_14default_configENS1_22reduce_config_selectorIN6thrust23THRUST_200600_302600_NS5tupleIblNS6_9null_typeES8_S8_S8_S8_S8_S8_S8_EEEEZNS1_11reduce_implILb1ES3_NS6_12zip_iteratorINS7_INS6_11hip_rocprim26transform_input_iterator_tIbNSD_35transform_pair_of_input_iterators_tIbNS6_6detail15normal_iteratorINS6_10device_ptrIKtEEEESL_NS6_8equal_toItEEEENSG_9not_fun_tINSD_8identityEEEEENSD_19counting_iterator_tIlEES8_S8_S8_S8_S8_S8_S8_S8_EEEEPS9_S9_NSD_9__find_if7functorIS9_EEEE10hipError_tPvRmT1_T2_T3_mT4_P12ihipStream_tbEUlT_E0_NS1_11comp_targetILNS1_3genE10ELNS1_11target_archE1201ELNS1_3gpuE5ELNS1_3repE0EEENS1_30default_config_static_selectorELNS0_4arch9wavefront6targetE1EEEvS14_,comdat
	.protected	_ZN7rocprim17ROCPRIM_400000_NS6detail17trampoline_kernelINS0_14default_configENS1_22reduce_config_selectorIN6thrust23THRUST_200600_302600_NS5tupleIblNS6_9null_typeES8_S8_S8_S8_S8_S8_S8_EEEEZNS1_11reduce_implILb1ES3_NS6_12zip_iteratorINS7_INS6_11hip_rocprim26transform_input_iterator_tIbNSD_35transform_pair_of_input_iterators_tIbNS6_6detail15normal_iteratorINS6_10device_ptrIKtEEEESL_NS6_8equal_toItEEEENSG_9not_fun_tINSD_8identityEEEEENSD_19counting_iterator_tIlEES8_S8_S8_S8_S8_S8_S8_S8_EEEEPS9_S9_NSD_9__find_if7functorIS9_EEEE10hipError_tPvRmT1_T2_T3_mT4_P12ihipStream_tbEUlT_E0_NS1_11comp_targetILNS1_3genE10ELNS1_11target_archE1201ELNS1_3gpuE5ELNS1_3repE0EEENS1_30default_config_static_selectorELNS0_4arch9wavefront6targetE1EEEvS14_ ; -- Begin function _ZN7rocprim17ROCPRIM_400000_NS6detail17trampoline_kernelINS0_14default_configENS1_22reduce_config_selectorIN6thrust23THRUST_200600_302600_NS5tupleIblNS6_9null_typeES8_S8_S8_S8_S8_S8_S8_EEEEZNS1_11reduce_implILb1ES3_NS6_12zip_iteratorINS7_INS6_11hip_rocprim26transform_input_iterator_tIbNSD_35transform_pair_of_input_iterators_tIbNS6_6detail15normal_iteratorINS6_10device_ptrIKtEEEESL_NS6_8equal_toItEEEENSG_9not_fun_tINSD_8identityEEEEENSD_19counting_iterator_tIlEES8_S8_S8_S8_S8_S8_S8_S8_EEEEPS9_S9_NSD_9__find_if7functorIS9_EEEE10hipError_tPvRmT1_T2_T3_mT4_P12ihipStream_tbEUlT_E0_NS1_11comp_targetILNS1_3genE10ELNS1_11target_archE1201ELNS1_3gpuE5ELNS1_3repE0EEENS1_30default_config_static_selectorELNS0_4arch9wavefront6targetE1EEEvS14_
	.globl	_ZN7rocprim17ROCPRIM_400000_NS6detail17trampoline_kernelINS0_14default_configENS1_22reduce_config_selectorIN6thrust23THRUST_200600_302600_NS5tupleIblNS6_9null_typeES8_S8_S8_S8_S8_S8_S8_EEEEZNS1_11reduce_implILb1ES3_NS6_12zip_iteratorINS7_INS6_11hip_rocprim26transform_input_iterator_tIbNSD_35transform_pair_of_input_iterators_tIbNS6_6detail15normal_iteratorINS6_10device_ptrIKtEEEESL_NS6_8equal_toItEEEENSG_9not_fun_tINSD_8identityEEEEENSD_19counting_iterator_tIlEES8_S8_S8_S8_S8_S8_S8_S8_EEEEPS9_S9_NSD_9__find_if7functorIS9_EEEE10hipError_tPvRmT1_T2_T3_mT4_P12ihipStream_tbEUlT_E0_NS1_11comp_targetILNS1_3genE10ELNS1_11target_archE1201ELNS1_3gpuE5ELNS1_3repE0EEENS1_30default_config_static_selectorELNS0_4arch9wavefront6targetE1EEEvS14_
	.p2align	8
	.type	_ZN7rocprim17ROCPRIM_400000_NS6detail17trampoline_kernelINS0_14default_configENS1_22reduce_config_selectorIN6thrust23THRUST_200600_302600_NS5tupleIblNS6_9null_typeES8_S8_S8_S8_S8_S8_S8_EEEEZNS1_11reduce_implILb1ES3_NS6_12zip_iteratorINS7_INS6_11hip_rocprim26transform_input_iterator_tIbNSD_35transform_pair_of_input_iterators_tIbNS6_6detail15normal_iteratorINS6_10device_ptrIKtEEEESL_NS6_8equal_toItEEEENSG_9not_fun_tINSD_8identityEEEEENSD_19counting_iterator_tIlEES8_S8_S8_S8_S8_S8_S8_S8_EEEEPS9_S9_NSD_9__find_if7functorIS9_EEEE10hipError_tPvRmT1_T2_T3_mT4_P12ihipStream_tbEUlT_E0_NS1_11comp_targetILNS1_3genE10ELNS1_11target_archE1201ELNS1_3gpuE5ELNS1_3repE0EEENS1_30default_config_static_selectorELNS0_4arch9wavefront6targetE1EEEvS14_,@function
_ZN7rocprim17ROCPRIM_400000_NS6detail17trampoline_kernelINS0_14default_configENS1_22reduce_config_selectorIN6thrust23THRUST_200600_302600_NS5tupleIblNS6_9null_typeES8_S8_S8_S8_S8_S8_S8_EEEEZNS1_11reduce_implILb1ES3_NS6_12zip_iteratorINS7_INS6_11hip_rocprim26transform_input_iterator_tIbNSD_35transform_pair_of_input_iterators_tIbNS6_6detail15normal_iteratorINS6_10device_ptrIKtEEEESL_NS6_8equal_toItEEEENSG_9not_fun_tINSD_8identityEEEEENSD_19counting_iterator_tIlEES8_S8_S8_S8_S8_S8_S8_S8_EEEEPS9_S9_NSD_9__find_if7functorIS9_EEEE10hipError_tPvRmT1_T2_T3_mT4_P12ihipStream_tbEUlT_E0_NS1_11comp_targetILNS1_3genE10ELNS1_11target_archE1201ELNS1_3gpuE5ELNS1_3repE0EEENS1_30default_config_static_selectorELNS0_4arch9wavefront6targetE1EEEvS14_: ; @_ZN7rocprim17ROCPRIM_400000_NS6detail17trampoline_kernelINS0_14default_configENS1_22reduce_config_selectorIN6thrust23THRUST_200600_302600_NS5tupleIblNS6_9null_typeES8_S8_S8_S8_S8_S8_S8_EEEEZNS1_11reduce_implILb1ES3_NS6_12zip_iteratorINS7_INS6_11hip_rocprim26transform_input_iterator_tIbNSD_35transform_pair_of_input_iterators_tIbNS6_6detail15normal_iteratorINS6_10device_ptrIKtEEEESL_NS6_8equal_toItEEEENSG_9not_fun_tINSD_8identityEEEEENSD_19counting_iterator_tIlEES8_S8_S8_S8_S8_S8_S8_S8_EEEEPS9_S9_NSD_9__find_if7functorIS9_EEEE10hipError_tPvRmT1_T2_T3_mT4_P12ihipStream_tbEUlT_E0_NS1_11comp_targetILNS1_3genE10ELNS1_11target_archE1201ELNS1_3gpuE5ELNS1_3repE0EEENS1_30default_config_static_selectorELNS0_4arch9wavefront6targetE1EEEvS14_
; %bb.0:
	.section	.rodata,"a",@progbits
	.p2align	6, 0x0
	.amdhsa_kernel _ZN7rocprim17ROCPRIM_400000_NS6detail17trampoline_kernelINS0_14default_configENS1_22reduce_config_selectorIN6thrust23THRUST_200600_302600_NS5tupleIblNS6_9null_typeES8_S8_S8_S8_S8_S8_S8_EEEEZNS1_11reduce_implILb1ES3_NS6_12zip_iteratorINS7_INS6_11hip_rocprim26transform_input_iterator_tIbNSD_35transform_pair_of_input_iterators_tIbNS6_6detail15normal_iteratorINS6_10device_ptrIKtEEEESL_NS6_8equal_toItEEEENSG_9not_fun_tINSD_8identityEEEEENSD_19counting_iterator_tIlEES8_S8_S8_S8_S8_S8_S8_S8_EEEEPS9_S9_NSD_9__find_if7functorIS9_EEEE10hipError_tPvRmT1_T2_T3_mT4_P12ihipStream_tbEUlT_E0_NS1_11comp_targetILNS1_3genE10ELNS1_11target_archE1201ELNS1_3gpuE5ELNS1_3repE0EEENS1_30default_config_static_selectorELNS0_4arch9wavefront6targetE1EEEvS14_
		.amdhsa_group_segment_fixed_size 0
		.amdhsa_private_segment_fixed_size 0
		.amdhsa_kernarg_size 104
		.amdhsa_user_sgpr_count 6
		.amdhsa_user_sgpr_private_segment_buffer 1
		.amdhsa_user_sgpr_dispatch_ptr 0
		.amdhsa_user_sgpr_queue_ptr 0
		.amdhsa_user_sgpr_kernarg_segment_ptr 1
		.amdhsa_user_sgpr_dispatch_id 0
		.amdhsa_user_sgpr_flat_scratch_init 0
		.amdhsa_user_sgpr_private_segment_size 0
		.amdhsa_uses_dynamic_stack 0
		.amdhsa_system_sgpr_private_segment_wavefront_offset 0
		.amdhsa_system_sgpr_workgroup_id_x 1
		.amdhsa_system_sgpr_workgroup_id_y 0
		.amdhsa_system_sgpr_workgroup_id_z 0
		.amdhsa_system_sgpr_workgroup_info 0
		.amdhsa_system_vgpr_workitem_id 0
		.amdhsa_next_free_vgpr 1
		.amdhsa_next_free_sgpr 0
		.amdhsa_reserve_vcc 0
		.amdhsa_reserve_flat_scratch 0
		.amdhsa_float_round_mode_32 0
		.amdhsa_float_round_mode_16_64 0
		.amdhsa_float_denorm_mode_32 3
		.amdhsa_float_denorm_mode_16_64 3
		.amdhsa_dx10_clamp 1
		.amdhsa_ieee_mode 1
		.amdhsa_fp16_overflow 0
		.amdhsa_exception_fp_ieee_invalid_op 0
		.amdhsa_exception_fp_denorm_src 0
		.amdhsa_exception_fp_ieee_div_zero 0
		.amdhsa_exception_fp_ieee_overflow 0
		.amdhsa_exception_fp_ieee_underflow 0
		.amdhsa_exception_fp_ieee_inexact 0
		.amdhsa_exception_int_div_zero 0
	.end_amdhsa_kernel
	.section	.text._ZN7rocprim17ROCPRIM_400000_NS6detail17trampoline_kernelINS0_14default_configENS1_22reduce_config_selectorIN6thrust23THRUST_200600_302600_NS5tupleIblNS6_9null_typeES8_S8_S8_S8_S8_S8_S8_EEEEZNS1_11reduce_implILb1ES3_NS6_12zip_iteratorINS7_INS6_11hip_rocprim26transform_input_iterator_tIbNSD_35transform_pair_of_input_iterators_tIbNS6_6detail15normal_iteratorINS6_10device_ptrIKtEEEESL_NS6_8equal_toItEEEENSG_9not_fun_tINSD_8identityEEEEENSD_19counting_iterator_tIlEES8_S8_S8_S8_S8_S8_S8_S8_EEEEPS9_S9_NSD_9__find_if7functorIS9_EEEE10hipError_tPvRmT1_T2_T3_mT4_P12ihipStream_tbEUlT_E0_NS1_11comp_targetILNS1_3genE10ELNS1_11target_archE1201ELNS1_3gpuE5ELNS1_3repE0EEENS1_30default_config_static_selectorELNS0_4arch9wavefront6targetE1EEEvS14_,"axG",@progbits,_ZN7rocprim17ROCPRIM_400000_NS6detail17trampoline_kernelINS0_14default_configENS1_22reduce_config_selectorIN6thrust23THRUST_200600_302600_NS5tupleIblNS6_9null_typeES8_S8_S8_S8_S8_S8_S8_EEEEZNS1_11reduce_implILb1ES3_NS6_12zip_iteratorINS7_INS6_11hip_rocprim26transform_input_iterator_tIbNSD_35transform_pair_of_input_iterators_tIbNS6_6detail15normal_iteratorINS6_10device_ptrIKtEEEESL_NS6_8equal_toItEEEENSG_9not_fun_tINSD_8identityEEEEENSD_19counting_iterator_tIlEES8_S8_S8_S8_S8_S8_S8_S8_EEEEPS9_S9_NSD_9__find_if7functorIS9_EEEE10hipError_tPvRmT1_T2_T3_mT4_P12ihipStream_tbEUlT_E0_NS1_11comp_targetILNS1_3genE10ELNS1_11target_archE1201ELNS1_3gpuE5ELNS1_3repE0EEENS1_30default_config_static_selectorELNS0_4arch9wavefront6targetE1EEEvS14_,comdat
.Lfunc_end506:
	.size	_ZN7rocprim17ROCPRIM_400000_NS6detail17trampoline_kernelINS0_14default_configENS1_22reduce_config_selectorIN6thrust23THRUST_200600_302600_NS5tupleIblNS6_9null_typeES8_S8_S8_S8_S8_S8_S8_EEEEZNS1_11reduce_implILb1ES3_NS6_12zip_iteratorINS7_INS6_11hip_rocprim26transform_input_iterator_tIbNSD_35transform_pair_of_input_iterators_tIbNS6_6detail15normal_iteratorINS6_10device_ptrIKtEEEESL_NS6_8equal_toItEEEENSG_9not_fun_tINSD_8identityEEEEENSD_19counting_iterator_tIlEES8_S8_S8_S8_S8_S8_S8_S8_EEEEPS9_S9_NSD_9__find_if7functorIS9_EEEE10hipError_tPvRmT1_T2_T3_mT4_P12ihipStream_tbEUlT_E0_NS1_11comp_targetILNS1_3genE10ELNS1_11target_archE1201ELNS1_3gpuE5ELNS1_3repE0EEENS1_30default_config_static_selectorELNS0_4arch9wavefront6targetE1EEEvS14_, .Lfunc_end506-_ZN7rocprim17ROCPRIM_400000_NS6detail17trampoline_kernelINS0_14default_configENS1_22reduce_config_selectorIN6thrust23THRUST_200600_302600_NS5tupleIblNS6_9null_typeES8_S8_S8_S8_S8_S8_S8_EEEEZNS1_11reduce_implILb1ES3_NS6_12zip_iteratorINS7_INS6_11hip_rocprim26transform_input_iterator_tIbNSD_35transform_pair_of_input_iterators_tIbNS6_6detail15normal_iteratorINS6_10device_ptrIKtEEEESL_NS6_8equal_toItEEEENSG_9not_fun_tINSD_8identityEEEEENSD_19counting_iterator_tIlEES8_S8_S8_S8_S8_S8_S8_S8_EEEEPS9_S9_NSD_9__find_if7functorIS9_EEEE10hipError_tPvRmT1_T2_T3_mT4_P12ihipStream_tbEUlT_E0_NS1_11comp_targetILNS1_3genE10ELNS1_11target_archE1201ELNS1_3gpuE5ELNS1_3repE0EEENS1_30default_config_static_selectorELNS0_4arch9wavefront6targetE1EEEvS14_
                                        ; -- End function
	.set _ZN7rocprim17ROCPRIM_400000_NS6detail17trampoline_kernelINS0_14default_configENS1_22reduce_config_selectorIN6thrust23THRUST_200600_302600_NS5tupleIblNS6_9null_typeES8_S8_S8_S8_S8_S8_S8_EEEEZNS1_11reduce_implILb1ES3_NS6_12zip_iteratorINS7_INS6_11hip_rocprim26transform_input_iterator_tIbNSD_35transform_pair_of_input_iterators_tIbNS6_6detail15normal_iteratorINS6_10device_ptrIKtEEEESL_NS6_8equal_toItEEEENSG_9not_fun_tINSD_8identityEEEEENSD_19counting_iterator_tIlEES8_S8_S8_S8_S8_S8_S8_S8_EEEEPS9_S9_NSD_9__find_if7functorIS9_EEEE10hipError_tPvRmT1_T2_T3_mT4_P12ihipStream_tbEUlT_E0_NS1_11comp_targetILNS1_3genE10ELNS1_11target_archE1201ELNS1_3gpuE5ELNS1_3repE0EEENS1_30default_config_static_selectorELNS0_4arch9wavefront6targetE1EEEvS14_.num_vgpr, 0
	.set _ZN7rocprim17ROCPRIM_400000_NS6detail17trampoline_kernelINS0_14default_configENS1_22reduce_config_selectorIN6thrust23THRUST_200600_302600_NS5tupleIblNS6_9null_typeES8_S8_S8_S8_S8_S8_S8_EEEEZNS1_11reduce_implILb1ES3_NS6_12zip_iteratorINS7_INS6_11hip_rocprim26transform_input_iterator_tIbNSD_35transform_pair_of_input_iterators_tIbNS6_6detail15normal_iteratorINS6_10device_ptrIKtEEEESL_NS6_8equal_toItEEEENSG_9not_fun_tINSD_8identityEEEEENSD_19counting_iterator_tIlEES8_S8_S8_S8_S8_S8_S8_S8_EEEEPS9_S9_NSD_9__find_if7functorIS9_EEEE10hipError_tPvRmT1_T2_T3_mT4_P12ihipStream_tbEUlT_E0_NS1_11comp_targetILNS1_3genE10ELNS1_11target_archE1201ELNS1_3gpuE5ELNS1_3repE0EEENS1_30default_config_static_selectorELNS0_4arch9wavefront6targetE1EEEvS14_.num_agpr, 0
	.set _ZN7rocprim17ROCPRIM_400000_NS6detail17trampoline_kernelINS0_14default_configENS1_22reduce_config_selectorIN6thrust23THRUST_200600_302600_NS5tupleIblNS6_9null_typeES8_S8_S8_S8_S8_S8_S8_EEEEZNS1_11reduce_implILb1ES3_NS6_12zip_iteratorINS7_INS6_11hip_rocprim26transform_input_iterator_tIbNSD_35transform_pair_of_input_iterators_tIbNS6_6detail15normal_iteratorINS6_10device_ptrIKtEEEESL_NS6_8equal_toItEEEENSG_9not_fun_tINSD_8identityEEEEENSD_19counting_iterator_tIlEES8_S8_S8_S8_S8_S8_S8_S8_EEEEPS9_S9_NSD_9__find_if7functorIS9_EEEE10hipError_tPvRmT1_T2_T3_mT4_P12ihipStream_tbEUlT_E0_NS1_11comp_targetILNS1_3genE10ELNS1_11target_archE1201ELNS1_3gpuE5ELNS1_3repE0EEENS1_30default_config_static_selectorELNS0_4arch9wavefront6targetE1EEEvS14_.numbered_sgpr, 0
	.set _ZN7rocprim17ROCPRIM_400000_NS6detail17trampoline_kernelINS0_14default_configENS1_22reduce_config_selectorIN6thrust23THRUST_200600_302600_NS5tupleIblNS6_9null_typeES8_S8_S8_S8_S8_S8_S8_EEEEZNS1_11reduce_implILb1ES3_NS6_12zip_iteratorINS7_INS6_11hip_rocprim26transform_input_iterator_tIbNSD_35transform_pair_of_input_iterators_tIbNS6_6detail15normal_iteratorINS6_10device_ptrIKtEEEESL_NS6_8equal_toItEEEENSG_9not_fun_tINSD_8identityEEEEENSD_19counting_iterator_tIlEES8_S8_S8_S8_S8_S8_S8_S8_EEEEPS9_S9_NSD_9__find_if7functorIS9_EEEE10hipError_tPvRmT1_T2_T3_mT4_P12ihipStream_tbEUlT_E0_NS1_11comp_targetILNS1_3genE10ELNS1_11target_archE1201ELNS1_3gpuE5ELNS1_3repE0EEENS1_30default_config_static_selectorELNS0_4arch9wavefront6targetE1EEEvS14_.num_named_barrier, 0
	.set _ZN7rocprim17ROCPRIM_400000_NS6detail17trampoline_kernelINS0_14default_configENS1_22reduce_config_selectorIN6thrust23THRUST_200600_302600_NS5tupleIblNS6_9null_typeES8_S8_S8_S8_S8_S8_S8_EEEEZNS1_11reduce_implILb1ES3_NS6_12zip_iteratorINS7_INS6_11hip_rocprim26transform_input_iterator_tIbNSD_35transform_pair_of_input_iterators_tIbNS6_6detail15normal_iteratorINS6_10device_ptrIKtEEEESL_NS6_8equal_toItEEEENSG_9not_fun_tINSD_8identityEEEEENSD_19counting_iterator_tIlEES8_S8_S8_S8_S8_S8_S8_S8_EEEEPS9_S9_NSD_9__find_if7functorIS9_EEEE10hipError_tPvRmT1_T2_T3_mT4_P12ihipStream_tbEUlT_E0_NS1_11comp_targetILNS1_3genE10ELNS1_11target_archE1201ELNS1_3gpuE5ELNS1_3repE0EEENS1_30default_config_static_selectorELNS0_4arch9wavefront6targetE1EEEvS14_.private_seg_size, 0
	.set _ZN7rocprim17ROCPRIM_400000_NS6detail17trampoline_kernelINS0_14default_configENS1_22reduce_config_selectorIN6thrust23THRUST_200600_302600_NS5tupleIblNS6_9null_typeES8_S8_S8_S8_S8_S8_S8_EEEEZNS1_11reduce_implILb1ES3_NS6_12zip_iteratorINS7_INS6_11hip_rocprim26transform_input_iterator_tIbNSD_35transform_pair_of_input_iterators_tIbNS6_6detail15normal_iteratorINS6_10device_ptrIKtEEEESL_NS6_8equal_toItEEEENSG_9not_fun_tINSD_8identityEEEEENSD_19counting_iterator_tIlEES8_S8_S8_S8_S8_S8_S8_S8_EEEEPS9_S9_NSD_9__find_if7functorIS9_EEEE10hipError_tPvRmT1_T2_T3_mT4_P12ihipStream_tbEUlT_E0_NS1_11comp_targetILNS1_3genE10ELNS1_11target_archE1201ELNS1_3gpuE5ELNS1_3repE0EEENS1_30default_config_static_selectorELNS0_4arch9wavefront6targetE1EEEvS14_.uses_vcc, 0
	.set _ZN7rocprim17ROCPRIM_400000_NS6detail17trampoline_kernelINS0_14default_configENS1_22reduce_config_selectorIN6thrust23THRUST_200600_302600_NS5tupleIblNS6_9null_typeES8_S8_S8_S8_S8_S8_S8_EEEEZNS1_11reduce_implILb1ES3_NS6_12zip_iteratorINS7_INS6_11hip_rocprim26transform_input_iterator_tIbNSD_35transform_pair_of_input_iterators_tIbNS6_6detail15normal_iteratorINS6_10device_ptrIKtEEEESL_NS6_8equal_toItEEEENSG_9not_fun_tINSD_8identityEEEEENSD_19counting_iterator_tIlEES8_S8_S8_S8_S8_S8_S8_S8_EEEEPS9_S9_NSD_9__find_if7functorIS9_EEEE10hipError_tPvRmT1_T2_T3_mT4_P12ihipStream_tbEUlT_E0_NS1_11comp_targetILNS1_3genE10ELNS1_11target_archE1201ELNS1_3gpuE5ELNS1_3repE0EEENS1_30default_config_static_selectorELNS0_4arch9wavefront6targetE1EEEvS14_.uses_flat_scratch, 0
	.set _ZN7rocprim17ROCPRIM_400000_NS6detail17trampoline_kernelINS0_14default_configENS1_22reduce_config_selectorIN6thrust23THRUST_200600_302600_NS5tupleIblNS6_9null_typeES8_S8_S8_S8_S8_S8_S8_EEEEZNS1_11reduce_implILb1ES3_NS6_12zip_iteratorINS7_INS6_11hip_rocprim26transform_input_iterator_tIbNSD_35transform_pair_of_input_iterators_tIbNS6_6detail15normal_iteratorINS6_10device_ptrIKtEEEESL_NS6_8equal_toItEEEENSG_9not_fun_tINSD_8identityEEEEENSD_19counting_iterator_tIlEES8_S8_S8_S8_S8_S8_S8_S8_EEEEPS9_S9_NSD_9__find_if7functorIS9_EEEE10hipError_tPvRmT1_T2_T3_mT4_P12ihipStream_tbEUlT_E0_NS1_11comp_targetILNS1_3genE10ELNS1_11target_archE1201ELNS1_3gpuE5ELNS1_3repE0EEENS1_30default_config_static_selectorELNS0_4arch9wavefront6targetE1EEEvS14_.has_dyn_sized_stack, 0
	.set _ZN7rocprim17ROCPRIM_400000_NS6detail17trampoline_kernelINS0_14default_configENS1_22reduce_config_selectorIN6thrust23THRUST_200600_302600_NS5tupleIblNS6_9null_typeES8_S8_S8_S8_S8_S8_S8_EEEEZNS1_11reduce_implILb1ES3_NS6_12zip_iteratorINS7_INS6_11hip_rocprim26transform_input_iterator_tIbNSD_35transform_pair_of_input_iterators_tIbNS6_6detail15normal_iteratorINS6_10device_ptrIKtEEEESL_NS6_8equal_toItEEEENSG_9not_fun_tINSD_8identityEEEEENSD_19counting_iterator_tIlEES8_S8_S8_S8_S8_S8_S8_S8_EEEEPS9_S9_NSD_9__find_if7functorIS9_EEEE10hipError_tPvRmT1_T2_T3_mT4_P12ihipStream_tbEUlT_E0_NS1_11comp_targetILNS1_3genE10ELNS1_11target_archE1201ELNS1_3gpuE5ELNS1_3repE0EEENS1_30default_config_static_selectorELNS0_4arch9wavefront6targetE1EEEvS14_.has_recursion, 0
	.set _ZN7rocprim17ROCPRIM_400000_NS6detail17trampoline_kernelINS0_14default_configENS1_22reduce_config_selectorIN6thrust23THRUST_200600_302600_NS5tupleIblNS6_9null_typeES8_S8_S8_S8_S8_S8_S8_EEEEZNS1_11reduce_implILb1ES3_NS6_12zip_iteratorINS7_INS6_11hip_rocprim26transform_input_iterator_tIbNSD_35transform_pair_of_input_iterators_tIbNS6_6detail15normal_iteratorINS6_10device_ptrIKtEEEESL_NS6_8equal_toItEEEENSG_9not_fun_tINSD_8identityEEEEENSD_19counting_iterator_tIlEES8_S8_S8_S8_S8_S8_S8_S8_EEEEPS9_S9_NSD_9__find_if7functorIS9_EEEE10hipError_tPvRmT1_T2_T3_mT4_P12ihipStream_tbEUlT_E0_NS1_11comp_targetILNS1_3genE10ELNS1_11target_archE1201ELNS1_3gpuE5ELNS1_3repE0EEENS1_30default_config_static_selectorELNS0_4arch9wavefront6targetE1EEEvS14_.has_indirect_call, 0
	.section	.AMDGPU.csdata,"",@progbits
; Kernel info:
; codeLenInByte = 0
; TotalNumSgprs: 4
; NumVgprs: 0
; ScratchSize: 0
; MemoryBound: 0
; FloatMode: 240
; IeeeMode: 1
; LDSByteSize: 0 bytes/workgroup (compile time only)
; SGPRBlocks: 0
; VGPRBlocks: 0
; NumSGPRsForWavesPerEU: 4
; NumVGPRsForWavesPerEU: 1
; Occupancy: 10
; WaveLimiterHint : 0
; COMPUTE_PGM_RSRC2:SCRATCH_EN: 0
; COMPUTE_PGM_RSRC2:USER_SGPR: 6
; COMPUTE_PGM_RSRC2:TRAP_HANDLER: 0
; COMPUTE_PGM_RSRC2:TGID_X_EN: 1
; COMPUTE_PGM_RSRC2:TGID_Y_EN: 0
; COMPUTE_PGM_RSRC2:TGID_Z_EN: 0
; COMPUTE_PGM_RSRC2:TIDIG_COMP_CNT: 0
	.section	.text._ZN7rocprim17ROCPRIM_400000_NS6detail17trampoline_kernelINS0_14default_configENS1_22reduce_config_selectorIN6thrust23THRUST_200600_302600_NS5tupleIblNS6_9null_typeES8_S8_S8_S8_S8_S8_S8_EEEEZNS1_11reduce_implILb1ES3_NS6_12zip_iteratorINS7_INS6_11hip_rocprim26transform_input_iterator_tIbNSD_35transform_pair_of_input_iterators_tIbNS6_6detail15normal_iteratorINS6_10device_ptrIKtEEEESL_NS6_8equal_toItEEEENSG_9not_fun_tINSD_8identityEEEEENSD_19counting_iterator_tIlEES8_S8_S8_S8_S8_S8_S8_S8_EEEEPS9_S9_NSD_9__find_if7functorIS9_EEEE10hipError_tPvRmT1_T2_T3_mT4_P12ihipStream_tbEUlT_E0_NS1_11comp_targetILNS1_3genE10ELNS1_11target_archE1200ELNS1_3gpuE4ELNS1_3repE0EEENS1_30default_config_static_selectorELNS0_4arch9wavefront6targetE1EEEvS14_,"axG",@progbits,_ZN7rocprim17ROCPRIM_400000_NS6detail17trampoline_kernelINS0_14default_configENS1_22reduce_config_selectorIN6thrust23THRUST_200600_302600_NS5tupleIblNS6_9null_typeES8_S8_S8_S8_S8_S8_S8_EEEEZNS1_11reduce_implILb1ES3_NS6_12zip_iteratorINS7_INS6_11hip_rocprim26transform_input_iterator_tIbNSD_35transform_pair_of_input_iterators_tIbNS6_6detail15normal_iteratorINS6_10device_ptrIKtEEEESL_NS6_8equal_toItEEEENSG_9not_fun_tINSD_8identityEEEEENSD_19counting_iterator_tIlEES8_S8_S8_S8_S8_S8_S8_S8_EEEEPS9_S9_NSD_9__find_if7functorIS9_EEEE10hipError_tPvRmT1_T2_T3_mT4_P12ihipStream_tbEUlT_E0_NS1_11comp_targetILNS1_3genE10ELNS1_11target_archE1200ELNS1_3gpuE4ELNS1_3repE0EEENS1_30default_config_static_selectorELNS0_4arch9wavefront6targetE1EEEvS14_,comdat
	.protected	_ZN7rocprim17ROCPRIM_400000_NS6detail17trampoline_kernelINS0_14default_configENS1_22reduce_config_selectorIN6thrust23THRUST_200600_302600_NS5tupleIblNS6_9null_typeES8_S8_S8_S8_S8_S8_S8_EEEEZNS1_11reduce_implILb1ES3_NS6_12zip_iteratorINS7_INS6_11hip_rocprim26transform_input_iterator_tIbNSD_35transform_pair_of_input_iterators_tIbNS6_6detail15normal_iteratorINS6_10device_ptrIKtEEEESL_NS6_8equal_toItEEEENSG_9not_fun_tINSD_8identityEEEEENSD_19counting_iterator_tIlEES8_S8_S8_S8_S8_S8_S8_S8_EEEEPS9_S9_NSD_9__find_if7functorIS9_EEEE10hipError_tPvRmT1_T2_T3_mT4_P12ihipStream_tbEUlT_E0_NS1_11comp_targetILNS1_3genE10ELNS1_11target_archE1200ELNS1_3gpuE4ELNS1_3repE0EEENS1_30default_config_static_selectorELNS0_4arch9wavefront6targetE1EEEvS14_ ; -- Begin function _ZN7rocprim17ROCPRIM_400000_NS6detail17trampoline_kernelINS0_14default_configENS1_22reduce_config_selectorIN6thrust23THRUST_200600_302600_NS5tupleIblNS6_9null_typeES8_S8_S8_S8_S8_S8_S8_EEEEZNS1_11reduce_implILb1ES3_NS6_12zip_iteratorINS7_INS6_11hip_rocprim26transform_input_iterator_tIbNSD_35transform_pair_of_input_iterators_tIbNS6_6detail15normal_iteratorINS6_10device_ptrIKtEEEESL_NS6_8equal_toItEEEENSG_9not_fun_tINSD_8identityEEEEENSD_19counting_iterator_tIlEES8_S8_S8_S8_S8_S8_S8_S8_EEEEPS9_S9_NSD_9__find_if7functorIS9_EEEE10hipError_tPvRmT1_T2_T3_mT4_P12ihipStream_tbEUlT_E0_NS1_11comp_targetILNS1_3genE10ELNS1_11target_archE1200ELNS1_3gpuE4ELNS1_3repE0EEENS1_30default_config_static_selectorELNS0_4arch9wavefront6targetE1EEEvS14_
	.globl	_ZN7rocprim17ROCPRIM_400000_NS6detail17trampoline_kernelINS0_14default_configENS1_22reduce_config_selectorIN6thrust23THRUST_200600_302600_NS5tupleIblNS6_9null_typeES8_S8_S8_S8_S8_S8_S8_EEEEZNS1_11reduce_implILb1ES3_NS6_12zip_iteratorINS7_INS6_11hip_rocprim26transform_input_iterator_tIbNSD_35transform_pair_of_input_iterators_tIbNS6_6detail15normal_iteratorINS6_10device_ptrIKtEEEESL_NS6_8equal_toItEEEENSG_9not_fun_tINSD_8identityEEEEENSD_19counting_iterator_tIlEES8_S8_S8_S8_S8_S8_S8_S8_EEEEPS9_S9_NSD_9__find_if7functorIS9_EEEE10hipError_tPvRmT1_T2_T3_mT4_P12ihipStream_tbEUlT_E0_NS1_11comp_targetILNS1_3genE10ELNS1_11target_archE1200ELNS1_3gpuE4ELNS1_3repE0EEENS1_30default_config_static_selectorELNS0_4arch9wavefront6targetE1EEEvS14_
	.p2align	8
	.type	_ZN7rocprim17ROCPRIM_400000_NS6detail17trampoline_kernelINS0_14default_configENS1_22reduce_config_selectorIN6thrust23THRUST_200600_302600_NS5tupleIblNS6_9null_typeES8_S8_S8_S8_S8_S8_S8_EEEEZNS1_11reduce_implILb1ES3_NS6_12zip_iteratorINS7_INS6_11hip_rocprim26transform_input_iterator_tIbNSD_35transform_pair_of_input_iterators_tIbNS6_6detail15normal_iteratorINS6_10device_ptrIKtEEEESL_NS6_8equal_toItEEEENSG_9not_fun_tINSD_8identityEEEEENSD_19counting_iterator_tIlEES8_S8_S8_S8_S8_S8_S8_S8_EEEEPS9_S9_NSD_9__find_if7functorIS9_EEEE10hipError_tPvRmT1_T2_T3_mT4_P12ihipStream_tbEUlT_E0_NS1_11comp_targetILNS1_3genE10ELNS1_11target_archE1200ELNS1_3gpuE4ELNS1_3repE0EEENS1_30default_config_static_selectorELNS0_4arch9wavefront6targetE1EEEvS14_,@function
_ZN7rocprim17ROCPRIM_400000_NS6detail17trampoline_kernelINS0_14default_configENS1_22reduce_config_selectorIN6thrust23THRUST_200600_302600_NS5tupleIblNS6_9null_typeES8_S8_S8_S8_S8_S8_S8_EEEEZNS1_11reduce_implILb1ES3_NS6_12zip_iteratorINS7_INS6_11hip_rocprim26transform_input_iterator_tIbNSD_35transform_pair_of_input_iterators_tIbNS6_6detail15normal_iteratorINS6_10device_ptrIKtEEEESL_NS6_8equal_toItEEEENSG_9not_fun_tINSD_8identityEEEEENSD_19counting_iterator_tIlEES8_S8_S8_S8_S8_S8_S8_S8_EEEEPS9_S9_NSD_9__find_if7functorIS9_EEEE10hipError_tPvRmT1_T2_T3_mT4_P12ihipStream_tbEUlT_E0_NS1_11comp_targetILNS1_3genE10ELNS1_11target_archE1200ELNS1_3gpuE4ELNS1_3repE0EEENS1_30default_config_static_selectorELNS0_4arch9wavefront6targetE1EEEvS14_: ; @_ZN7rocprim17ROCPRIM_400000_NS6detail17trampoline_kernelINS0_14default_configENS1_22reduce_config_selectorIN6thrust23THRUST_200600_302600_NS5tupleIblNS6_9null_typeES8_S8_S8_S8_S8_S8_S8_EEEEZNS1_11reduce_implILb1ES3_NS6_12zip_iteratorINS7_INS6_11hip_rocprim26transform_input_iterator_tIbNSD_35transform_pair_of_input_iterators_tIbNS6_6detail15normal_iteratorINS6_10device_ptrIKtEEEESL_NS6_8equal_toItEEEENSG_9not_fun_tINSD_8identityEEEEENSD_19counting_iterator_tIlEES8_S8_S8_S8_S8_S8_S8_S8_EEEEPS9_S9_NSD_9__find_if7functorIS9_EEEE10hipError_tPvRmT1_T2_T3_mT4_P12ihipStream_tbEUlT_E0_NS1_11comp_targetILNS1_3genE10ELNS1_11target_archE1200ELNS1_3gpuE4ELNS1_3repE0EEENS1_30default_config_static_selectorELNS0_4arch9wavefront6targetE1EEEvS14_
; %bb.0:
	.section	.rodata,"a",@progbits
	.p2align	6, 0x0
	.amdhsa_kernel _ZN7rocprim17ROCPRIM_400000_NS6detail17trampoline_kernelINS0_14default_configENS1_22reduce_config_selectorIN6thrust23THRUST_200600_302600_NS5tupleIblNS6_9null_typeES8_S8_S8_S8_S8_S8_S8_EEEEZNS1_11reduce_implILb1ES3_NS6_12zip_iteratorINS7_INS6_11hip_rocprim26transform_input_iterator_tIbNSD_35transform_pair_of_input_iterators_tIbNS6_6detail15normal_iteratorINS6_10device_ptrIKtEEEESL_NS6_8equal_toItEEEENSG_9not_fun_tINSD_8identityEEEEENSD_19counting_iterator_tIlEES8_S8_S8_S8_S8_S8_S8_S8_EEEEPS9_S9_NSD_9__find_if7functorIS9_EEEE10hipError_tPvRmT1_T2_T3_mT4_P12ihipStream_tbEUlT_E0_NS1_11comp_targetILNS1_3genE10ELNS1_11target_archE1200ELNS1_3gpuE4ELNS1_3repE0EEENS1_30default_config_static_selectorELNS0_4arch9wavefront6targetE1EEEvS14_
		.amdhsa_group_segment_fixed_size 0
		.amdhsa_private_segment_fixed_size 0
		.amdhsa_kernarg_size 104
		.amdhsa_user_sgpr_count 6
		.amdhsa_user_sgpr_private_segment_buffer 1
		.amdhsa_user_sgpr_dispatch_ptr 0
		.amdhsa_user_sgpr_queue_ptr 0
		.amdhsa_user_sgpr_kernarg_segment_ptr 1
		.amdhsa_user_sgpr_dispatch_id 0
		.amdhsa_user_sgpr_flat_scratch_init 0
		.amdhsa_user_sgpr_private_segment_size 0
		.amdhsa_uses_dynamic_stack 0
		.amdhsa_system_sgpr_private_segment_wavefront_offset 0
		.amdhsa_system_sgpr_workgroup_id_x 1
		.amdhsa_system_sgpr_workgroup_id_y 0
		.amdhsa_system_sgpr_workgroup_id_z 0
		.amdhsa_system_sgpr_workgroup_info 0
		.amdhsa_system_vgpr_workitem_id 0
		.amdhsa_next_free_vgpr 1
		.amdhsa_next_free_sgpr 0
		.amdhsa_reserve_vcc 0
		.amdhsa_reserve_flat_scratch 0
		.amdhsa_float_round_mode_32 0
		.amdhsa_float_round_mode_16_64 0
		.amdhsa_float_denorm_mode_32 3
		.amdhsa_float_denorm_mode_16_64 3
		.amdhsa_dx10_clamp 1
		.amdhsa_ieee_mode 1
		.amdhsa_fp16_overflow 0
		.amdhsa_exception_fp_ieee_invalid_op 0
		.amdhsa_exception_fp_denorm_src 0
		.amdhsa_exception_fp_ieee_div_zero 0
		.amdhsa_exception_fp_ieee_overflow 0
		.amdhsa_exception_fp_ieee_underflow 0
		.amdhsa_exception_fp_ieee_inexact 0
		.amdhsa_exception_int_div_zero 0
	.end_amdhsa_kernel
	.section	.text._ZN7rocprim17ROCPRIM_400000_NS6detail17trampoline_kernelINS0_14default_configENS1_22reduce_config_selectorIN6thrust23THRUST_200600_302600_NS5tupleIblNS6_9null_typeES8_S8_S8_S8_S8_S8_S8_EEEEZNS1_11reduce_implILb1ES3_NS6_12zip_iteratorINS7_INS6_11hip_rocprim26transform_input_iterator_tIbNSD_35transform_pair_of_input_iterators_tIbNS6_6detail15normal_iteratorINS6_10device_ptrIKtEEEESL_NS6_8equal_toItEEEENSG_9not_fun_tINSD_8identityEEEEENSD_19counting_iterator_tIlEES8_S8_S8_S8_S8_S8_S8_S8_EEEEPS9_S9_NSD_9__find_if7functorIS9_EEEE10hipError_tPvRmT1_T2_T3_mT4_P12ihipStream_tbEUlT_E0_NS1_11comp_targetILNS1_3genE10ELNS1_11target_archE1200ELNS1_3gpuE4ELNS1_3repE0EEENS1_30default_config_static_selectorELNS0_4arch9wavefront6targetE1EEEvS14_,"axG",@progbits,_ZN7rocprim17ROCPRIM_400000_NS6detail17trampoline_kernelINS0_14default_configENS1_22reduce_config_selectorIN6thrust23THRUST_200600_302600_NS5tupleIblNS6_9null_typeES8_S8_S8_S8_S8_S8_S8_EEEEZNS1_11reduce_implILb1ES3_NS6_12zip_iteratorINS7_INS6_11hip_rocprim26transform_input_iterator_tIbNSD_35transform_pair_of_input_iterators_tIbNS6_6detail15normal_iteratorINS6_10device_ptrIKtEEEESL_NS6_8equal_toItEEEENSG_9not_fun_tINSD_8identityEEEEENSD_19counting_iterator_tIlEES8_S8_S8_S8_S8_S8_S8_S8_EEEEPS9_S9_NSD_9__find_if7functorIS9_EEEE10hipError_tPvRmT1_T2_T3_mT4_P12ihipStream_tbEUlT_E0_NS1_11comp_targetILNS1_3genE10ELNS1_11target_archE1200ELNS1_3gpuE4ELNS1_3repE0EEENS1_30default_config_static_selectorELNS0_4arch9wavefront6targetE1EEEvS14_,comdat
.Lfunc_end507:
	.size	_ZN7rocprim17ROCPRIM_400000_NS6detail17trampoline_kernelINS0_14default_configENS1_22reduce_config_selectorIN6thrust23THRUST_200600_302600_NS5tupleIblNS6_9null_typeES8_S8_S8_S8_S8_S8_S8_EEEEZNS1_11reduce_implILb1ES3_NS6_12zip_iteratorINS7_INS6_11hip_rocprim26transform_input_iterator_tIbNSD_35transform_pair_of_input_iterators_tIbNS6_6detail15normal_iteratorINS6_10device_ptrIKtEEEESL_NS6_8equal_toItEEEENSG_9not_fun_tINSD_8identityEEEEENSD_19counting_iterator_tIlEES8_S8_S8_S8_S8_S8_S8_S8_EEEEPS9_S9_NSD_9__find_if7functorIS9_EEEE10hipError_tPvRmT1_T2_T3_mT4_P12ihipStream_tbEUlT_E0_NS1_11comp_targetILNS1_3genE10ELNS1_11target_archE1200ELNS1_3gpuE4ELNS1_3repE0EEENS1_30default_config_static_selectorELNS0_4arch9wavefront6targetE1EEEvS14_, .Lfunc_end507-_ZN7rocprim17ROCPRIM_400000_NS6detail17trampoline_kernelINS0_14default_configENS1_22reduce_config_selectorIN6thrust23THRUST_200600_302600_NS5tupleIblNS6_9null_typeES8_S8_S8_S8_S8_S8_S8_EEEEZNS1_11reduce_implILb1ES3_NS6_12zip_iteratorINS7_INS6_11hip_rocprim26transform_input_iterator_tIbNSD_35transform_pair_of_input_iterators_tIbNS6_6detail15normal_iteratorINS6_10device_ptrIKtEEEESL_NS6_8equal_toItEEEENSG_9not_fun_tINSD_8identityEEEEENSD_19counting_iterator_tIlEES8_S8_S8_S8_S8_S8_S8_S8_EEEEPS9_S9_NSD_9__find_if7functorIS9_EEEE10hipError_tPvRmT1_T2_T3_mT4_P12ihipStream_tbEUlT_E0_NS1_11comp_targetILNS1_3genE10ELNS1_11target_archE1200ELNS1_3gpuE4ELNS1_3repE0EEENS1_30default_config_static_selectorELNS0_4arch9wavefront6targetE1EEEvS14_
                                        ; -- End function
	.set _ZN7rocprim17ROCPRIM_400000_NS6detail17trampoline_kernelINS0_14default_configENS1_22reduce_config_selectorIN6thrust23THRUST_200600_302600_NS5tupleIblNS6_9null_typeES8_S8_S8_S8_S8_S8_S8_EEEEZNS1_11reduce_implILb1ES3_NS6_12zip_iteratorINS7_INS6_11hip_rocprim26transform_input_iterator_tIbNSD_35transform_pair_of_input_iterators_tIbNS6_6detail15normal_iteratorINS6_10device_ptrIKtEEEESL_NS6_8equal_toItEEEENSG_9not_fun_tINSD_8identityEEEEENSD_19counting_iterator_tIlEES8_S8_S8_S8_S8_S8_S8_S8_EEEEPS9_S9_NSD_9__find_if7functorIS9_EEEE10hipError_tPvRmT1_T2_T3_mT4_P12ihipStream_tbEUlT_E0_NS1_11comp_targetILNS1_3genE10ELNS1_11target_archE1200ELNS1_3gpuE4ELNS1_3repE0EEENS1_30default_config_static_selectorELNS0_4arch9wavefront6targetE1EEEvS14_.num_vgpr, 0
	.set _ZN7rocprim17ROCPRIM_400000_NS6detail17trampoline_kernelINS0_14default_configENS1_22reduce_config_selectorIN6thrust23THRUST_200600_302600_NS5tupleIblNS6_9null_typeES8_S8_S8_S8_S8_S8_S8_EEEEZNS1_11reduce_implILb1ES3_NS6_12zip_iteratorINS7_INS6_11hip_rocprim26transform_input_iterator_tIbNSD_35transform_pair_of_input_iterators_tIbNS6_6detail15normal_iteratorINS6_10device_ptrIKtEEEESL_NS6_8equal_toItEEEENSG_9not_fun_tINSD_8identityEEEEENSD_19counting_iterator_tIlEES8_S8_S8_S8_S8_S8_S8_S8_EEEEPS9_S9_NSD_9__find_if7functorIS9_EEEE10hipError_tPvRmT1_T2_T3_mT4_P12ihipStream_tbEUlT_E0_NS1_11comp_targetILNS1_3genE10ELNS1_11target_archE1200ELNS1_3gpuE4ELNS1_3repE0EEENS1_30default_config_static_selectorELNS0_4arch9wavefront6targetE1EEEvS14_.num_agpr, 0
	.set _ZN7rocprim17ROCPRIM_400000_NS6detail17trampoline_kernelINS0_14default_configENS1_22reduce_config_selectorIN6thrust23THRUST_200600_302600_NS5tupleIblNS6_9null_typeES8_S8_S8_S8_S8_S8_S8_EEEEZNS1_11reduce_implILb1ES3_NS6_12zip_iteratorINS7_INS6_11hip_rocprim26transform_input_iterator_tIbNSD_35transform_pair_of_input_iterators_tIbNS6_6detail15normal_iteratorINS6_10device_ptrIKtEEEESL_NS6_8equal_toItEEEENSG_9not_fun_tINSD_8identityEEEEENSD_19counting_iterator_tIlEES8_S8_S8_S8_S8_S8_S8_S8_EEEEPS9_S9_NSD_9__find_if7functorIS9_EEEE10hipError_tPvRmT1_T2_T3_mT4_P12ihipStream_tbEUlT_E0_NS1_11comp_targetILNS1_3genE10ELNS1_11target_archE1200ELNS1_3gpuE4ELNS1_3repE0EEENS1_30default_config_static_selectorELNS0_4arch9wavefront6targetE1EEEvS14_.numbered_sgpr, 0
	.set _ZN7rocprim17ROCPRIM_400000_NS6detail17trampoline_kernelINS0_14default_configENS1_22reduce_config_selectorIN6thrust23THRUST_200600_302600_NS5tupleIblNS6_9null_typeES8_S8_S8_S8_S8_S8_S8_EEEEZNS1_11reduce_implILb1ES3_NS6_12zip_iteratorINS7_INS6_11hip_rocprim26transform_input_iterator_tIbNSD_35transform_pair_of_input_iterators_tIbNS6_6detail15normal_iteratorINS6_10device_ptrIKtEEEESL_NS6_8equal_toItEEEENSG_9not_fun_tINSD_8identityEEEEENSD_19counting_iterator_tIlEES8_S8_S8_S8_S8_S8_S8_S8_EEEEPS9_S9_NSD_9__find_if7functorIS9_EEEE10hipError_tPvRmT1_T2_T3_mT4_P12ihipStream_tbEUlT_E0_NS1_11comp_targetILNS1_3genE10ELNS1_11target_archE1200ELNS1_3gpuE4ELNS1_3repE0EEENS1_30default_config_static_selectorELNS0_4arch9wavefront6targetE1EEEvS14_.num_named_barrier, 0
	.set _ZN7rocprim17ROCPRIM_400000_NS6detail17trampoline_kernelINS0_14default_configENS1_22reduce_config_selectorIN6thrust23THRUST_200600_302600_NS5tupleIblNS6_9null_typeES8_S8_S8_S8_S8_S8_S8_EEEEZNS1_11reduce_implILb1ES3_NS6_12zip_iteratorINS7_INS6_11hip_rocprim26transform_input_iterator_tIbNSD_35transform_pair_of_input_iterators_tIbNS6_6detail15normal_iteratorINS6_10device_ptrIKtEEEESL_NS6_8equal_toItEEEENSG_9not_fun_tINSD_8identityEEEEENSD_19counting_iterator_tIlEES8_S8_S8_S8_S8_S8_S8_S8_EEEEPS9_S9_NSD_9__find_if7functorIS9_EEEE10hipError_tPvRmT1_T2_T3_mT4_P12ihipStream_tbEUlT_E0_NS1_11comp_targetILNS1_3genE10ELNS1_11target_archE1200ELNS1_3gpuE4ELNS1_3repE0EEENS1_30default_config_static_selectorELNS0_4arch9wavefront6targetE1EEEvS14_.private_seg_size, 0
	.set _ZN7rocprim17ROCPRIM_400000_NS6detail17trampoline_kernelINS0_14default_configENS1_22reduce_config_selectorIN6thrust23THRUST_200600_302600_NS5tupleIblNS6_9null_typeES8_S8_S8_S8_S8_S8_S8_EEEEZNS1_11reduce_implILb1ES3_NS6_12zip_iteratorINS7_INS6_11hip_rocprim26transform_input_iterator_tIbNSD_35transform_pair_of_input_iterators_tIbNS6_6detail15normal_iteratorINS6_10device_ptrIKtEEEESL_NS6_8equal_toItEEEENSG_9not_fun_tINSD_8identityEEEEENSD_19counting_iterator_tIlEES8_S8_S8_S8_S8_S8_S8_S8_EEEEPS9_S9_NSD_9__find_if7functorIS9_EEEE10hipError_tPvRmT1_T2_T3_mT4_P12ihipStream_tbEUlT_E0_NS1_11comp_targetILNS1_3genE10ELNS1_11target_archE1200ELNS1_3gpuE4ELNS1_3repE0EEENS1_30default_config_static_selectorELNS0_4arch9wavefront6targetE1EEEvS14_.uses_vcc, 0
	.set _ZN7rocprim17ROCPRIM_400000_NS6detail17trampoline_kernelINS0_14default_configENS1_22reduce_config_selectorIN6thrust23THRUST_200600_302600_NS5tupleIblNS6_9null_typeES8_S8_S8_S8_S8_S8_S8_EEEEZNS1_11reduce_implILb1ES3_NS6_12zip_iteratorINS7_INS6_11hip_rocprim26transform_input_iterator_tIbNSD_35transform_pair_of_input_iterators_tIbNS6_6detail15normal_iteratorINS6_10device_ptrIKtEEEESL_NS6_8equal_toItEEEENSG_9not_fun_tINSD_8identityEEEEENSD_19counting_iterator_tIlEES8_S8_S8_S8_S8_S8_S8_S8_EEEEPS9_S9_NSD_9__find_if7functorIS9_EEEE10hipError_tPvRmT1_T2_T3_mT4_P12ihipStream_tbEUlT_E0_NS1_11comp_targetILNS1_3genE10ELNS1_11target_archE1200ELNS1_3gpuE4ELNS1_3repE0EEENS1_30default_config_static_selectorELNS0_4arch9wavefront6targetE1EEEvS14_.uses_flat_scratch, 0
	.set _ZN7rocprim17ROCPRIM_400000_NS6detail17trampoline_kernelINS0_14default_configENS1_22reduce_config_selectorIN6thrust23THRUST_200600_302600_NS5tupleIblNS6_9null_typeES8_S8_S8_S8_S8_S8_S8_EEEEZNS1_11reduce_implILb1ES3_NS6_12zip_iteratorINS7_INS6_11hip_rocprim26transform_input_iterator_tIbNSD_35transform_pair_of_input_iterators_tIbNS6_6detail15normal_iteratorINS6_10device_ptrIKtEEEESL_NS6_8equal_toItEEEENSG_9not_fun_tINSD_8identityEEEEENSD_19counting_iterator_tIlEES8_S8_S8_S8_S8_S8_S8_S8_EEEEPS9_S9_NSD_9__find_if7functorIS9_EEEE10hipError_tPvRmT1_T2_T3_mT4_P12ihipStream_tbEUlT_E0_NS1_11comp_targetILNS1_3genE10ELNS1_11target_archE1200ELNS1_3gpuE4ELNS1_3repE0EEENS1_30default_config_static_selectorELNS0_4arch9wavefront6targetE1EEEvS14_.has_dyn_sized_stack, 0
	.set _ZN7rocprim17ROCPRIM_400000_NS6detail17trampoline_kernelINS0_14default_configENS1_22reduce_config_selectorIN6thrust23THRUST_200600_302600_NS5tupleIblNS6_9null_typeES8_S8_S8_S8_S8_S8_S8_EEEEZNS1_11reduce_implILb1ES3_NS6_12zip_iteratorINS7_INS6_11hip_rocprim26transform_input_iterator_tIbNSD_35transform_pair_of_input_iterators_tIbNS6_6detail15normal_iteratorINS6_10device_ptrIKtEEEESL_NS6_8equal_toItEEEENSG_9not_fun_tINSD_8identityEEEEENSD_19counting_iterator_tIlEES8_S8_S8_S8_S8_S8_S8_S8_EEEEPS9_S9_NSD_9__find_if7functorIS9_EEEE10hipError_tPvRmT1_T2_T3_mT4_P12ihipStream_tbEUlT_E0_NS1_11comp_targetILNS1_3genE10ELNS1_11target_archE1200ELNS1_3gpuE4ELNS1_3repE0EEENS1_30default_config_static_selectorELNS0_4arch9wavefront6targetE1EEEvS14_.has_recursion, 0
	.set _ZN7rocprim17ROCPRIM_400000_NS6detail17trampoline_kernelINS0_14default_configENS1_22reduce_config_selectorIN6thrust23THRUST_200600_302600_NS5tupleIblNS6_9null_typeES8_S8_S8_S8_S8_S8_S8_EEEEZNS1_11reduce_implILb1ES3_NS6_12zip_iteratorINS7_INS6_11hip_rocprim26transform_input_iterator_tIbNSD_35transform_pair_of_input_iterators_tIbNS6_6detail15normal_iteratorINS6_10device_ptrIKtEEEESL_NS6_8equal_toItEEEENSG_9not_fun_tINSD_8identityEEEEENSD_19counting_iterator_tIlEES8_S8_S8_S8_S8_S8_S8_S8_EEEEPS9_S9_NSD_9__find_if7functorIS9_EEEE10hipError_tPvRmT1_T2_T3_mT4_P12ihipStream_tbEUlT_E0_NS1_11comp_targetILNS1_3genE10ELNS1_11target_archE1200ELNS1_3gpuE4ELNS1_3repE0EEENS1_30default_config_static_selectorELNS0_4arch9wavefront6targetE1EEEvS14_.has_indirect_call, 0
	.section	.AMDGPU.csdata,"",@progbits
; Kernel info:
; codeLenInByte = 0
; TotalNumSgprs: 4
; NumVgprs: 0
; ScratchSize: 0
; MemoryBound: 0
; FloatMode: 240
; IeeeMode: 1
; LDSByteSize: 0 bytes/workgroup (compile time only)
; SGPRBlocks: 0
; VGPRBlocks: 0
; NumSGPRsForWavesPerEU: 4
; NumVGPRsForWavesPerEU: 1
; Occupancy: 10
; WaveLimiterHint : 0
; COMPUTE_PGM_RSRC2:SCRATCH_EN: 0
; COMPUTE_PGM_RSRC2:USER_SGPR: 6
; COMPUTE_PGM_RSRC2:TRAP_HANDLER: 0
; COMPUTE_PGM_RSRC2:TGID_X_EN: 1
; COMPUTE_PGM_RSRC2:TGID_Y_EN: 0
; COMPUTE_PGM_RSRC2:TGID_Z_EN: 0
; COMPUTE_PGM_RSRC2:TIDIG_COMP_CNT: 0
	.section	.text._ZN7rocprim17ROCPRIM_400000_NS6detail17trampoline_kernelINS0_14default_configENS1_22reduce_config_selectorIN6thrust23THRUST_200600_302600_NS5tupleIblNS6_9null_typeES8_S8_S8_S8_S8_S8_S8_EEEEZNS1_11reduce_implILb1ES3_NS6_12zip_iteratorINS7_INS6_11hip_rocprim26transform_input_iterator_tIbNSD_35transform_pair_of_input_iterators_tIbNS6_6detail15normal_iteratorINS6_10device_ptrIKtEEEESL_NS6_8equal_toItEEEENSG_9not_fun_tINSD_8identityEEEEENSD_19counting_iterator_tIlEES8_S8_S8_S8_S8_S8_S8_S8_EEEEPS9_S9_NSD_9__find_if7functorIS9_EEEE10hipError_tPvRmT1_T2_T3_mT4_P12ihipStream_tbEUlT_E0_NS1_11comp_targetILNS1_3genE9ELNS1_11target_archE1100ELNS1_3gpuE3ELNS1_3repE0EEENS1_30default_config_static_selectorELNS0_4arch9wavefront6targetE1EEEvS14_,"axG",@progbits,_ZN7rocprim17ROCPRIM_400000_NS6detail17trampoline_kernelINS0_14default_configENS1_22reduce_config_selectorIN6thrust23THRUST_200600_302600_NS5tupleIblNS6_9null_typeES8_S8_S8_S8_S8_S8_S8_EEEEZNS1_11reduce_implILb1ES3_NS6_12zip_iteratorINS7_INS6_11hip_rocprim26transform_input_iterator_tIbNSD_35transform_pair_of_input_iterators_tIbNS6_6detail15normal_iteratorINS6_10device_ptrIKtEEEESL_NS6_8equal_toItEEEENSG_9not_fun_tINSD_8identityEEEEENSD_19counting_iterator_tIlEES8_S8_S8_S8_S8_S8_S8_S8_EEEEPS9_S9_NSD_9__find_if7functorIS9_EEEE10hipError_tPvRmT1_T2_T3_mT4_P12ihipStream_tbEUlT_E0_NS1_11comp_targetILNS1_3genE9ELNS1_11target_archE1100ELNS1_3gpuE3ELNS1_3repE0EEENS1_30default_config_static_selectorELNS0_4arch9wavefront6targetE1EEEvS14_,comdat
	.protected	_ZN7rocprim17ROCPRIM_400000_NS6detail17trampoline_kernelINS0_14default_configENS1_22reduce_config_selectorIN6thrust23THRUST_200600_302600_NS5tupleIblNS6_9null_typeES8_S8_S8_S8_S8_S8_S8_EEEEZNS1_11reduce_implILb1ES3_NS6_12zip_iteratorINS7_INS6_11hip_rocprim26transform_input_iterator_tIbNSD_35transform_pair_of_input_iterators_tIbNS6_6detail15normal_iteratorINS6_10device_ptrIKtEEEESL_NS6_8equal_toItEEEENSG_9not_fun_tINSD_8identityEEEEENSD_19counting_iterator_tIlEES8_S8_S8_S8_S8_S8_S8_S8_EEEEPS9_S9_NSD_9__find_if7functorIS9_EEEE10hipError_tPvRmT1_T2_T3_mT4_P12ihipStream_tbEUlT_E0_NS1_11comp_targetILNS1_3genE9ELNS1_11target_archE1100ELNS1_3gpuE3ELNS1_3repE0EEENS1_30default_config_static_selectorELNS0_4arch9wavefront6targetE1EEEvS14_ ; -- Begin function _ZN7rocprim17ROCPRIM_400000_NS6detail17trampoline_kernelINS0_14default_configENS1_22reduce_config_selectorIN6thrust23THRUST_200600_302600_NS5tupleIblNS6_9null_typeES8_S8_S8_S8_S8_S8_S8_EEEEZNS1_11reduce_implILb1ES3_NS6_12zip_iteratorINS7_INS6_11hip_rocprim26transform_input_iterator_tIbNSD_35transform_pair_of_input_iterators_tIbNS6_6detail15normal_iteratorINS6_10device_ptrIKtEEEESL_NS6_8equal_toItEEEENSG_9not_fun_tINSD_8identityEEEEENSD_19counting_iterator_tIlEES8_S8_S8_S8_S8_S8_S8_S8_EEEEPS9_S9_NSD_9__find_if7functorIS9_EEEE10hipError_tPvRmT1_T2_T3_mT4_P12ihipStream_tbEUlT_E0_NS1_11comp_targetILNS1_3genE9ELNS1_11target_archE1100ELNS1_3gpuE3ELNS1_3repE0EEENS1_30default_config_static_selectorELNS0_4arch9wavefront6targetE1EEEvS14_
	.globl	_ZN7rocprim17ROCPRIM_400000_NS6detail17trampoline_kernelINS0_14default_configENS1_22reduce_config_selectorIN6thrust23THRUST_200600_302600_NS5tupleIblNS6_9null_typeES8_S8_S8_S8_S8_S8_S8_EEEEZNS1_11reduce_implILb1ES3_NS6_12zip_iteratorINS7_INS6_11hip_rocprim26transform_input_iterator_tIbNSD_35transform_pair_of_input_iterators_tIbNS6_6detail15normal_iteratorINS6_10device_ptrIKtEEEESL_NS6_8equal_toItEEEENSG_9not_fun_tINSD_8identityEEEEENSD_19counting_iterator_tIlEES8_S8_S8_S8_S8_S8_S8_S8_EEEEPS9_S9_NSD_9__find_if7functorIS9_EEEE10hipError_tPvRmT1_T2_T3_mT4_P12ihipStream_tbEUlT_E0_NS1_11comp_targetILNS1_3genE9ELNS1_11target_archE1100ELNS1_3gpuE3ELNS1_3repE0EEENS1_30default_config_static_selectorELNS0_4arch9wavefront6targetE1EEEvS14_
	.p2align	8
	.type	_ZN7rocprim17ROCPRIM_400000_NS6detail17trampoline_kernelINS0_14default_configENS1_22reduce_config_selectorIN6thrust23THRUST_200600_302600_NS5tupleIblNS6_9null_typeES8_S8_S8_S8_S8_S8_S8_EEEEZNS1_11reduce_implILb1ES3_NS6_12zip_iteratorINS7_INS6_11hip_rocprim26transform_input_iterator_tIbNSD_35transform_pair_of_input_iterators_tIbNS6_6detail15normal_iteratorINS6_10device_ptrIKtEEEESL_NS6_8equal_toItEEEENSG_9not_fun_tINSD_8identityEEEEENSD_19counting_iterator_tIlEES8_S8_S8_S8_S8_S8_S8_S8_EEEEPS9_S9_NSD_9__find_if7functorIS9_EEEE10hipError_tPvRmT1_T2_T3_mT4_P12ihipStream_tbEUlT_E0_NS1_11comp_targetILNS1_3genE9ELNS1_11target_archE1100ELNS1_3gpuE3ELNS1_3repE0EEENS1_30default_config_static_selectorELNS0_4arch9wavefront6targetE1EEEvS14_,@function
_ZN7rocprim17ROCPRIM_400000_NS6detail17trampoline_kernelINS0_14default_configENS1_22reduce_config_selectorIN6thrust23THRUST_200600_302600_NS5tupleIblNS6_9null_typeES8_S8_S8_S8_S8_S8_S8_EEEEZNS1_11reduce_implILb1ES3_NS6_12zip_iteratorINS7_INS6_11hip_rocprim26transform_input_iterator_tIbNSD_35transform_pair_of_input_iterators_tIbNS6_6detail15normal_iteratorINS6_10device_ptrIKtEEEESL_NS6_8equal_toItEEEENSG_9not_fun_tINSD_8identityEEEEENSD_19counting_iterator_tIlEES8_S8_S8_S8_S8_S8_S8_S8_EEEEPS9_S9_NSD_9__find_if7functorIS9_EEEE10hipError_tPvRmT1_T2_T3_mT4_P12ihipStream_tbEUlT_E0_NS1_11comp_targetILNS1_3genE9ELNS1_11target_archE1100ELNS1_3gpuE3ELNS1_3repE0EEENS1_30default_config_static_selectorELNS0_4arch9wavefront6targetE1EEEvS14_: ; @_ZN7rocprim17ROCPRIM_400000_NS6detail17trampoline_kernelINS0_14default_configENS1_22reduce_config_selectorIN6thrust23THRUST_200600_302600_NS5tupleIblNS6_9null_typeES8_S8_S8_S8_S8_S8_S8_EEEEZNS1_11reduce_implILb1ES3_NS6_12zip_iteratorINS7_INS6_11hip_rocprim26transform_input_iterator_tIbNSD_35transform_pair_of_input_iterators_tIbNS6_6detail15normal_iteratorINS6_10device_ptrIKtEEEESL_NS6_8equal_toItEEEENSG_9not_fun_tINSD_8identityEEEEENSD_19counting_iterator_tIlEES8_S8_S8_S8_S8_S8_S8_S8_EEEEPS9_S9_NSD_9__find_if7functorIS9_EEEE10hipError_tPvRmT1_T2_T3_mT4_P12ihipStream_tbEUlT_E0_NS1_11comp_targetILNS1_3genE9ELNS1_11target_archE1100ELNS1_3gpuE3ELNS1_3repE0EEENS1_30default_config_static_selectorELNS0_4arch9wavefront6targetE1EEEvS14_
; %bb.0:
	.section	.rodata,"a",@progbits
	.p2align	6, 0x0
	.amdhsa_kernel _ZN7rocprim17ROCPRIM_400000_NS6detail17trampoline_kernelINS0_14default_configENS1_22reduce_config_selectorIN6thrust23THRUST_200600_302600_NS5tupleIblNS6_9null_typeES8_S8_S8_S8_S8_S8_S8_EEEEZNS1_11reduce_implILb1ES3_NS6_12zip_iteratorINS7_INS6_11hip_rocprim26transform_input_iterator_tIbNSD_35transform_pair_of_input_iterators_tIbNS6_6detail15normal_iteratorINS6_10device_ptrIKtEEEESL_NS6_8equal_toItEEEENSG_9not_fun_tINSD_8identityEEEEENSD_19counting_iterator_tIlEES8_S8_S8_S8_S8_S8_S8_S8_EEEEPS9_S9_NSD_9__find_if7functorIS9_EEEE10hipError_tPvRmT1_T2_T3_mT4_P12ihipStream_tbEUlT_E0_NS1_11comp_targetILNS1_3genE9ELNS1_11target_archE1100ELNS1_3gpuE3ELNS1_3repE0EEENS1_30default_config_static_selectorELNS0_4arch9wavefront6targetE1EEEvS14_
		.amdhsa_group_segment_fixed_size 0
		.amdhsa_private_segment_fixed_size 0
		.amdhsa_kernarg_size 104
		.amdhsa_user_sgpr_count 6
		.amdhsa_user_sgpr_private_segment_buffer 1
		.amdhsa_user_sgpr_dispatch_ptr 0
		.amdhsa_user_sgpr_queue_ptr 0
		.amdhsa_user_sgpr_kernarg_segment_ptr 1
		.amdhsa_user_sgpr_dispatch_id 0
		.amdhsa_user_sgpr_flat_scratch_init 0
		.amdhsa_user_sgpr_private_segment_size 0
		.amdhsa_uses_dynamic_stack 0
		.amdhsa_system_sgpr_private_segment_wavefront_offset 0
		.amdhsa_system_sgpr_workgroup_id_x 1
		.amdhsa_system_sgpr_workgroup_id_y 0
		.amdhsa_system_sgpr_workgroup_id_z 0
		.amdhsa_system_sgpr_workgroup_info 0
		.amdhsa_system_vgpr_workitem_id 0
		.amdhsa_next_free_vgpr 1
		.amdhsa_next_free_sgpr 0
		.amdhsa_reserve_vcc 0
		.amdhsa_reserve_flat_scratch 0
		.amdhsa_float_round_mode_32 0
		.amdhsa_float_round_mode_16_64 0
		.amdhsa_float_denorm_mode_32 3
		.amdhsa_float_denorm_mode_16_64 3
		.amdhsa_dx10_clamp 1
		.amdhsa_ieee_mode 1
		.amdhsa_fp16_overflow 0
		.amdhsa_exception_fp_ieee_invalid_op 0
		.amdhsa_exception_fp_denorm_src 0
		.amdhsa_exception_fp_ieee_div_zero 0
		.amdhsa_exception_fp_ieee_overflow 0
		.amdhsa_exception_fp_ieee_underflow 0
		.amdhsa_exception_fp_ieee_inexact 0
		.amdhsa_exception_int_div_zero 0
	.end_amdhsa_kernel
	.section	.text._ZN7rocprim17ROCPRIM_400000_NS6detail17trampoline_kernelINS0_14default_configENS1_22reduce_config_selectorIN6thrust23THRUST_200600_302600_NS5tupleIblNS6_9null_typeES8_S8_S8_S8_S8_S8_S8_EEEEZNS1_11reduce_implILb1ES3_NS6_12zip_iteratorINS7_INS6_11hip_rocprim26transform_input_iterator_tIbNSD_35transform_pair_of_input_iterators_tIbNS6_6detail15normal_iteratorINS6_10device_ptrIKtEEEESL_NS6_8equal_toItEEEENSG_9not_fun_tINSD_8identityEEEEENSD_19counting_iterator_tIlEES8_S8_S8_S8_S8_S8_S8_S8_EEEEPS9_S9_NSD_9__find_if7functorIS9_EEEE10hipError_tPvRmT1_T2_T3_mT4_P12ihipStream_tbEUlT_E0_NS1_11comp_targetILNS1_3genE9ELNS1_11target_archE1100ELNS1_3gpuE3ELNS1_3repE0EEENS1_30default_config_static_selectorELNS0_4arch9wavefront6targetE1EEEvS14_,"axG",@progbits,_ZN7rocprim17ROCPRIM_400000_NS6detail17trampoline_kernelINS0_14default_configENS1_22reduce_config_selectorIN6thrust23THRUST_200600_302600_NS5tupleIblNS6_9null_typeES8_S8_S8_S8_S8_S8_S8_EEEEZNS1_11reduce_implILb1ES3_NS6_12zip_iteratorINS7_INS6_11hip_rocprim26transform_input_iterator_tIbNSD_35transform_pair_of_input_iterators_tIbNS6_6detail15normal_iteratorINS6_10device_ptrIKtEEEESL_NS6_8equal_toItEEEENSG_9not_fun_tINSD_8identityEEEEENSD_19counting_iterator_tIlEES8_S8_S8_S8_S8_S8_S8_S8_EEEEPS9_S9_NSD_9__find_if7functorIS9_EEEE10hipError_tPvRmT1_T2_T3_mT4_P12ihipStream_tbEUlT_E0_NS1_11comp_targetILNS1_3genE9ELNS1_11target_archE1100ELNS1_3gpuE3ELNS1_3repE0EEENS1_30default_config_static_selectorELNS0_4arch9wavefront6targetE1EEEvS14_,comdat
.Lfunc_end508:
	.size	_ZN7rocprim17ROCPRIM_400000_NS6detail17trampoline_kernelINS0_14default_configENS1_22reduce_config_selectorIN6thrust23THRUST_200600_302600_NS5tupleIblNS6_9null_typeES8_S8_S8_S8_S8_S8_S8_EEEEZNS1_11reduce_implILb1ES3_NS6_12zip_iteratorINS7_INS6_11hip_rocprim26transform_input_iterator_tIbNSD_35transform_pair_of_input_iterators_tIbNS6_6detail15normal_iteratorINS6_10device_ptrIKtEEEESL_NS6_8equal_toItEEEENSG_9not_fun_tINSD_8identityEEEEENSD_19counting_iterator_tIlEES8_S8_S8_S8_S8_S8_S8_S8_EEEEPS9_S9_NSD_9__find_if7functorIS9_EEEE10hipError_tPvRmT1_T2_T3_mT4_P12ihipStream_tbEUlT_E0_NS1_11comp_targetILNS1_3genE9ELNS1_11target_archE1100ELNS1_3gpuE3ELNS1_3repE0EEENS1_30default_config_static_selectorELNS0_4arch9wavefront6targetE1EEEvS14_, .Lfunc_end508-_ZN7rocprim17ROCPRIM_400000_NS6detail17trampoline_kernelINS0_14default_configENS1_22reduce_config_selectorIN6thrust23THRUST_200600_302600_NS5tupleIblNS6_9null_typeES8_S8_S8_S8_S8_S8_S8_EEEEZNS1_11reduce_implILb1ES3_NS6_12zip_iteratorINS7_INS6_11hip_rocprim26transform_input_iterator_tIbNSD_35transform_pair_of_input_iterators_tIbNS6_6detail15normal_iteratorINS6_10device_ptrIKtEEEESL_NS6_8equal_toItEEEENSG_9not_fun_tINSD_8identityEEEEENSD_19counting_iterator_tIlEES8_S8_S8_S8_S8_S8_S8_S8_EEEEPS9_S9_NSD_9__find_if7functorIS9_EEEE10hipError_tPvRmT1_T2_T3_mT4_P12ihipStream_tbEUlT_E0_NS1_11comp_targetILNS1_3genE9ELNS1_11target_archE1100ELNS1_3gpuE3ELNS1_3repE0EEENS1_30default_config_static_selectorELNS0_4arch9wavefront6targetE1EEEvS14_
                                        ; -- End function
	.set _ZN7rocprim17ROCPRIM_400000_NS6detail17trampoline_kernelINS0_14default_configENS1_22reduce_config_selectorIN6thrust23THRUST_200600_302600_NS5tupleIblNS6_9null_typeES8_S8_S8_S8_S8_S8_S8_EEEEZNS1_11reduce_implILb1ES3_NS6_12zip_iteratorINS7_INS6_11hip_rocprim26transform_input_iterator_tIbNSD_35transform_pair_of_input_iterators_tIbNS6_6detail15normal_iteratorINS6_10device_ptrIKtEEEESL_NS6_8equal_toItEEEENSG_9not_fun_tINSD_8identityEEEEENSD_19counting_iterator_tIlEES8_S8_S8_S8_S8_S8_S8_S8_EEEEPS9_S9_NSD_9__find_if7functorIS9_EEEE10hipError_tPvRmT1_T2_T3_mT4_P12ihipStream_tbEUlT_E0_NS1_11comp_targetILNS1_3genE9ELNS1_11target_archE1100ELNS1_3gpuE3ELNS1_3repE0EEENS1_30default_config_static_selectorELNS0_4arch9wavefront6targetE1EEEvS14_.num_vgpr, 0
	.set _ZN7rocprim17ROCPRIM_400000_NS6detail17trampoline_kernelINS0_14default_configENS1_22reduce_config_selectorIN6thrust23THRUST_200600_302600_NS5tupleIblNS6_9null_typeES8_S8_S8_S8_S8_S8_S8_EEEEZNS1_11reduce_implILb1ES3_NS6_12zip_iteratorINS7_INS6_11hip_rocprim26transform_input_iterator_tIbNSD_35transform_pair_of_input_iterators_tIbNS6_6detail15normal_iteratorINS6_10device_ptrIKtEEEESL_NS6_8equal_toItEEEENSG_9not_fun_tINSD_8identityEEEEENSD_19counting_iterator_tIlEES8_S8_S8_S8_S8_S8_S8_S8_EEEEPS9_S9_NSD_9__find_if7functorIS9_EEEE10hipError_tPvRmT1_T2_T3_mT4_P12ihipStream_tbEUlT_E0_NS1_11comp_targetILNS1_3genE9ELNS1_11target_archE1100ELNS1_3gpuE3ELNS1_3repE0EEENS1_30default_config_static_selectorELNS0_4arch9wavefront6targetE1EEEvS14_.num_agpr, 0
	.set _ZN7rocprim17ROCPRIM_400000_NS6detail17trampoline_kernelINS0_14default_configENS1_22reduce_config_selectorIN6thrust23THRUST_200600_302600_NS5tupleIblNS6_9null_typeES8_S8_S8_S8_S8_S8_S8_EEEEZNS1_11reduce_implILb1ES3_NS6_12zip_iteratorINS7_INS6_11hip_rocprim26transform_input_iterator_tIbNSD_35transform_pair_of_input_iterators_tIbNS6_6detail15normal_iteratorINS6_10device_ptrIKtEEEESL_NS6_8equal_toItEEEENSG_9not_fun_tINSD_8identityEEEEENSD_19counting_iterator_tIlEES8_S8_S8_S8_S8_S8_S8_S8_EEEEPS9_S9_NSD_9__find_if7functorIS9_EEEE10hipError_tPvRmT1_T2_T3_mT4_P12ihipStream_tbEUlT_E0_NS1_11comp_targetILNS1_3genE9ELNS1_11target_archE1100ELNS1_3gpuE3ELNS1_3repE0EEENS1_30default_config_static_selectorELNS0_4arch9wavefront6targetE1EEEvS14_.numbered_sgpr, 0
	.set _ZN7rocprim17ROCPRIM_400000_NS6detail17trampoline_kernelINS0_14default_configENS1_22reduce_config_selectorIN6thrust23THRUST_200600_302600_NS5tupleIblNS6_9null_typeES8_S8_S8_S8_S8_S8_S8_EEEEZNS1_11reduce_implILb1ES3_NS6_12zip_iteratorINS7_INS6_11hip_rocprim26transform_input_iterator_tIbNSD_35transform_pair_of_input_iterators_tIbNS6_6detail15normal_iteratorINS6_10device_ptrIKtEEEESL_NS6_8equal_toItEEEENSG_9not_fun_tINSD_8identityEEEEENSD_19counting_iterator_tIlEES8_S8_S8_S8_S8_S8_S8_S8_EEEEPS9_S9_NSD_9__find_if7functorIS9_EEEE10hipError_tPvRmT1_T2_T3_mT4_P12ihipStream_tbEUlT_E0_NS1_11comp_targetILNS1_3genE9ELNS1_11target_archE1100ELNS1_3gpuE3ELNS1_3repE0EEENS1_30default_config_static_selectorELNS0_4arch9wavefront6targetE1EEEvS14_.num_named_barrier, 0
	.set _ZN7rocprim17ROCPRIM_400000_NS6detail17trampoline_kernelINS0_14default_configENS1_22reduce_config_selectorIN6thrust23THRUST_200600_302600_NS5tupleIblNS6_9null_typeES8_S8_S8_S8_S8_S8_S8_EEEEZNS1_11reduce_implILb1ES3_NS6_12zip_iteratorINS7_INS6_11hip_rocprim26transform_input_iterator_tIbNSD_35transform_pair_of_input_iterators_tIbNS6_6detail15normal_iteratorINS6_10device_ptrIKtEEEESL_NS6_8equal_toItEEEENSG_9not_fun_tINSD_8identityEEEEENSD_19counting_iterator_tIlEES8_S8_S8_S8_S8_S8_S8_S8_EEEEPS9_S9_NSD_9__find_if7functorIS9_EEEE10hipError_tPvRmT1_T2_T3_mT4_P12ihipStream_tbEUlT_E0_NS1_11comp_targetILNS1_3genE9ELNS1_11target_archE1100ELNS1_3gpuE3ELNS1_3repE0EEENS1_30default_config_static_selectorELNS0_4arch9wavefront6targetE1EEEvS14_.private_seg_size, 0
	.set _ZN7rocprim17ROCPRIM_400000_NS6detail17trampoline_kernelINS0_14default_configENS1_22reduce_config_selectorIN6thrust23THRUST_200600_302600_NS5tupleIblNS6_9null_typeES8_S8_S8_S8_S8_S8_S8_EEEEZNS1_11reduce_implILb1ES3_NS6_12zip_iteratorINS7_INS6_11hip_rocprim26transform_input_iterator_tIbNSD_35transform_pair_of_input_iterators_tIbNS6_6detail15normal_iteratorINS6_10device_ptrIKtEEEESL_NS6_8equal_toItEEEENSG_9not_fun_tINSD_8identityEEEEENSD_19counting_iterator_tIlEES8_S8_S8_S8_S8_S8_S8_S8_EEEEPS9_S9_NSD_9__find_if7functorIS9_EEEE10hipError_tPvRmT1_T2_T3_mT4_P12ihipStream_tbEUlT_E0_NS1_11comp_targetILNS1_3genE9ELNS1_11target_archE1100ELNS1_3gpuE3ELNS1_3repE0EEENS1_30default_config_static_selectorELNS0_4arch9wavefront6targetE1EEEvS14_.uses_vcc, 0
	.set _ZN7rocprim17ROCPRIM_400000_NS6detail17trampoline_kernelINS0_14default_configENS1_22reduce_config_selectorIN6thrust23THRUST_200600_302600_NS5tupleIblNS6_9null_typeES8_S8_S8_S8_S8_S8_S8_EEEEZNS1_11reduce_implILb1ES3_NS6_12zip_iteratorINS7_INS6_11hip_rocprim26transform_input_iterator_tIbNSD_35transform_pair_of_input_iterators_tIbNS6_6detail15normal_iteratorINS6_10device_ptrIKtEEEESL_NS6_8equal_toItEEEENSG_9not_fun_tINSD_8identityEEEEENSD_19counting_iterator_tIlEES8_S8_S8_S8_S8_S8_S8_S8_EEEEPS9_S9_NSD_9__find_if7functorIS9_EEEE10hipError_tPvRmT1_T2_T3_mT4_P12ihipStream_tbEUlT_E0_NS1_11comp_targetILNS1_3genE9ELNS1_11target_archE1100ELNS1_3gpuE3ELNS1_3repE0EEENS1_30default_config_static_selectorELNS0_4arch9wavefront6targetE1EEEvS14_.uses_flat_scratch, 0
	.set _ZN7rocprim17ROCPRIM_400000_NS6detail17trampoline_kernelINS0_14default_configENS1_22reduce_config_selectorIN6thrust23THRUST_200600_302600_NS5tupleIblNS6_9null_typeES8_S8_S8_S8_S8_S8_S8_EEEEZNS1_11reduce_implILb1ES3_NS6_12zip_iteratorINS7_INS6_11hip_rocprim26transform_input_iterator_tIbNSD_35transform_pair_of_input_iterators_tIbNS6_6detail15normal_iteratorINS6_10device_ptrIKtEEEESL_NS6_8equal_toItEEEENSG_9not_fun_tINSD_8identityEEEEENSD_19counting_iterator_tIlEES8_S8_S8_S8_S8_S8_S8_S8_EEEEPS9_S9_NSD_9__find_if7functorIS9_EEEE10hipError_tPvRmT1_T2_T3_mT4_P12ihipStream_tbEUlT_E0_NS1_11comp_targetILNS1_3genE9ELNS1_11target_archE1100ELNS1_3gpuE3ELNS1_3repE0EEENS1_30default_config_static_selectorELNS0_4arch9wavefront6targetE1EEEvS14_.has_dyn_sized_stack, 0
	.set _ZN7rocprim17ROCPRIM_400000_NS6detail17trampoline_kernelINS0_14default_configENS1_22reduce_config_selectorIN6thrust23THRUST_200600_302600_NS5tupleIblNS6_9null_typeES8_S8_S8_S8_S8_S8_S8_EEEEZNS1_11reduce_implILb1ES3_NS6_12zip_iteratorINS7_INS6_11hip_rocprim26transform_input_iterator_tIbNSD_35transform_pair_of_input_iterators_tIbNS6_6detail15normal_iteratorINS6_10device_ptrIKtEEEESL_NS6_8equal_toItEEEENSG_9not_fun_tINSD_8identityEEEEENSD_19counting_iterator_tIlEES8_S8_S8_S8_S8_S8_S8_S8_EEEEPS9_S9_NSD_9__find_if7functorIS9_EEEE10hipError_tPvRmT1_T2_T3_mT4_P12ihipStream_tbEUlT_E0_NS1_11comp_targetILNS1_3genE9ELNS1_11target_archE1100ELNS1_3gpuE3ELNS1_3repE0EEENS1_30default_config_static_selectorELNS0_4arch9wavefront6targetE1EEEvS14_.has_recursion, 0
	.set _ZN7rocprim17ROCPRIM_400000_NS6detail17trampoline_kernelINS0_14default_configENS1_22reduce_config_selectorIN6thrust23THRUST_200600_302600_NS5tupleIblNS6_9null_typeES8_S8_S8_S8_S8_S8_S8_EEEEZNS1_11reduce_implILb1ES3_NS6_12zip_iteratorINS7_INS6_11hip_rocprim26transform_input_iterator_tIbNSD_35transform_pair_of_input_iterators_tIbNS6_6detail15normal_iteratorINS6_10device_ptrIKtEEEESL_NS6_8equal_toItEEEENSG_9not_fun_tINSD_8identityEEEEENSD_19counting_iterator_tIlEES8_S8_S8_S8_S8_S8_S8_S8_EEEEPS9_S9_NSD_9__find_if7functorIS9_EEEE10hipError_tPvRmT1_T2_T3_mT4_P12ihipStream_tbEUlT_E0_NS1_11comp_targetILNS1_3genE9ELNS1_11target_archE1100ELNS1_3gpuE3ELNS1_3repE0EEENS1_30default_config_static_selectorELNS0_4arch9wavefront6targetE1EEEvS14_.has_indirect_call, 0
	.section	.AMDGPU.csdata,"",@progbits
; Kernel info:
; codeLenInByte = 0
; TotalNumSgprs: 4
; NumVgprs: 0
; ScratchSize: 0
; MemoryBound: 0
; FloatMode: 240
; IeeeMode: 1
; LDSByteSize: 0 bytes/workgroup (compile time only)
; SGPRBlocks: 0
; VGPRBlocks: 0
; NumSGPRsForWavesPerEU: 4
; NumVGPRsForWavesPerEU: 1
; Occupancy: 10
; WaveLimiterHint : 0
; COMPUTE_PGM_RSRC2:SCRATCH_EN: 0
; COMPUTE_PGM_RSRC2:USER_SGPR: 6
; COMPUTE_PGM_RSRC2:TRAP_HANDLER: 0
; COMPUTE_PGM_RSRC2:TGID_X_EN: 1
; COMPUTE_PGM_RSRC2:TGID_Y_EN: 0
; COMPUTE_PGM_RSRC2:TGID_Z_EN: 0
; COMPUTE_PGM_RSRC2:TIDIG_COMP_CNT: 0
	.section	.text._ZN7rocprim17ROCPRIM_400000_NS6detail17trampoline_kernelINS0_14default_configENS1_22reduce_config_selectorIN6thrust23THRUST_200600_302600_NS5tupleIblNS6_9null_typeES8_S8_S8_S8_S8_S8_S8_EEEEZNS1_11reduce_implILb1ES3_NS6_12zip_iteratorINS7_INS6_11hip_rocprim26transform_input_iterator_tIbNSD_35transform_pair_of_input_iterators_tIbNS6_6detail15normal_iteratorINS6_10device_ptrIKtEEEESL_NS6_8equal_toItEEEENSG_9not_fun_tINSD_8identityEEEEENSD_19counting_iterator_tIlEES8_S8_S8_S8_S8_S8_S8_S8_EEEEPS9_S9_NSD_9__find_if7functorIS9_EEEE10hipError_tPvRmT1_T2_T3_mT4_P12ihipStream_tbEUlT_E0_NS1_11comp_targetILNS1_3genE8ELNS1_11target_archE1030ELNS1_3gpuE2ELNS1_3repE0EEENS1_30default_config_static_selectorELNS0_4arch9wavefront6targetE1EEEvS14_,"axG",@progbits,_ZN7rocprim17ROCPRIM_400000_NS6detail17trampoline_kernelINS0_14default_configENS1_22reduce_config_selectorIN6thrust23THRUST_200600_302600_NS5tupleIblNS6_9null_typeES8_S8_S8_S8_S8_S8_S8_EEEEZNS1_11reduce_implILb1ES3_NS6_12zip_iteratorINS7_INS6_11hip_rocprim26transform_input_iterator_tIbNSD_35transform_pair_of_input_iterators_tIbNS6_6detail15normal_iteratorINS6_10device_ptrIKtEEEESL_NS6_8equal_toItEEEENSG_9not_fun_tINSD_8identityEEEEENSD_19counting_iterator_tIlEES8_S8_S8_S8_S8_S8_S8_S8_EEEEPS9_S9_NSD_9__find_if7functorIS9_EEEE10hipError_tPvRmT1_T2_T3_mT4_P12ihipStream_tbEUlT_E0_NS1_11comp_targetILNS1_3genE8ELNS1_11target_archE1030ELNS1_3gpuE2ELNS1_3repE0EEENS1_30default_config_static_selectorELNS0_4arch9wavefront6targetE1EEEvS14_,comdat
	.protected	_ZN7rocprim17ROCPRIM_400000_NS6detail17trampoline_kernelINS0_14default_configENS1_22reduce_config_selectorIN6thrust23THRUST_200600_302600_NS5tupleIblNS6_9null_typeES8_S8_S8_S8_S8_S8_S8_EEEEZNS1_11reduce_implILb1ES3_NS6_12zip_iteratorINS7_INS6_11hip_rocprim26transform_input_iterator_tIbNSD_35transform_pair_of_input_iterators_tIbNS6_6detail15normal_iteratorINS6_10device_ptrIKtEEEESL_NS6_8equal_toItEEEENSG_9not_fun_tINSD_8identityEEEEENSD_19counting_iterator_tIlEES8_S8_S8_S8_S8_S8_S8_S8_EEEEPS9_S9_NSD_9__find_if7functorIS9_EEEE10hipError_tPvRmT1_T2_T3_mT4_P12ihipStream_tbEUlT_E0_NS1_11comp_targetILNS1_3genE8ELNS1_11target_archE1030ELNS1_3gpuE2ELNS1_3repE0EEENS1_30default_config_static_selectorELNS0_4arch9wavefront6targetE1EEEvS14_ ; -- Begin function _ZN7rocprim17ROCPRIM_400000_NS6detail17trampoline_kernelINS0_14default_configENS1_22reduce_config_selectorIN6thrust23THRUST_200600_302600_NS5tupleIblNS6_9null_typeES8_S8_S8_S8_S8_S8_S8_EEEEZNS1_11reduce_implILb1ES3_NS6_12zip_iteratorINS7_INS6_11hip_rocprim26transform_input_iterator_tIbNSD_35transform_pair_of_input_iterators_tIbNS6_6detail15normal_iteratorINS6_10device_ptrIKtEEEESL_NS6_8equal_toItEEEENSG_9not_fun_tINSD_8identityEEEEENSD_19counting_iterator_tIlEES8_S8_S8_S8_S8_S8_S8_S8_EEEEPS9_S9_NSD_9__find_if7functorIS9_EEEE10hipError_tPvRmT1_T2_T3_mT4_P12ihipStream_tbEUlT_E0_NS1_11comp_targetILNS1_3genE8ELNS1_11target_archE1030ELNS1_3gpuE2ELNS1_3repE0EEENS1_30default_config_static_selectorELNS0_4arch9wavefront6targetE1EEEvS14_
	.globl	_ZN7rocprim17ROCPRIM_400000_NS6detail17trampoline_kernelINS0_14default_configENS1_22reduce_config_selectorIN6thrust23THRUST_200600_302600_NS5tupleIblNS6_9null_typeES8_S8_S8_S8_S8_S8_S8_EEEEZNS1_11reduce_implILb1ES3_NS6_12zip_iteratorINS7_INS6_11hip_rocprim26transform_input_iterator_tIbNSD_35transform_pair_of_input_iterators_tIbNS6_6detail15normal_iteratorINS6_10device_ptrIKtEEEESL_NS6_8equal_toItEEEENSG_9not_fun_tINSD_8identityEEEEENSD_19counting_iterator_tIlEES8_S8_S8_S8_S8_S8_S8_S8_EEEEPS9_S9_NSD_9__find_if7functorIS9_EEEE10hipError_tPvRmT1_T2_T3_mT4_P12ihipStream_tbEUlT_E0_NS1_11comp_targetILNS1_3genE8ELNS1_11target_archE1030ELNS1_3gpuE2ELNS1_3repE0EEENS1_30default_config_static_selectorELNS0_4arch9wavefront6targetE1EEEvS14_
	.p2align	8
	.type	_ZN7rocprim17ROCPRIM_400000_NS6detail17trampoline_kernelINS0_14default_configENS1_22reduce_config_selectorIN6thrust23THRUST_200600_302600_NS5tupleIblNS6_9null_typeES8_S8_S8_S8_S8_S8_S8_EEEEZNS1_11reduce_implILb1ES3_NS6_12zip_iteratorINS7_INS6_11hip_rocprim26transform_input_iterator_tIbNSD_35transform_pair_of_input_iterators_tIbNS6_6detail15normal_iteratorINS6_10device_ptrIKtEEEESL_NS6_8equal_toItEEEENSG_9not_fun_tINSD_8identityEEEEENSD_19counting_iterator_tIlEES8_S8_S8_S8_S8_S8_S8_S8_EEEEPS9_S9_NSD_9__find_if7functorIS9_EEEE10hipError_tPvRmT1_T2_T3_mT4_P12ihipStream_tbEUlT_E0_NS1_11comp_targetILNS1_3genE8ELNS1_11target_archE1030ELNS1_3gpuE2ELNS1_3repE0EEENS1_30default_config_static_selectorELNS0_4arch9wavefront6targetE1EEEvS14_,@function
_ZN7rocprim17ROCPRIM_400000_NS6detail17trampoline_kernelINS0_14default_configENS1_22reduce_config_selectorIN6thrust23THRUST_200600_302600_NS5tupleIblNS6_9null_typeES8_S8_S8_S8_S8_S8_S8_EEEEZNS1_11reduce_implILb1ES3_NS6_12zip_iteratorINS7_INS6_11hip_rocprim26transform_input_iterator_tIbNSD_35transform_pair_of_input_iterators_tIbNS6_6detail15normal_iteratorINS6_10device_ptrIKtEEEESL_NS6_8equal_toItEEEENSG_9not_fun_tINSD_8identityEEEEENSD_19counting_iterator_tIlEES8_S8_S8_S8_S8_S8_S8_S8_EEEEPS9_S9_NSD_9__find_if7functorIS9_EEEE10hipError_tPvRmT1_T2_T3_mT4_P12ihipStream_tbEUlT_E0_NS1_11comp_targetILNS1_3genE8ELNS1_11target_archE1030ELNS1_3gpuE2ELNS1_3repE0EEENS1_30default_config_static_selectorELNS0_4arch9wavefront6targetE1EEEvS14_: ; @_ZN7rocprim17ROCPRIM_400000_NS6detail17trampoline_kernelINS0_14default_configENS1_22reduce_config_selectorIN6thrust23THRUST_200600_302600_NS5tupleIblNS6_9null_typeES8_S8_S8_S8_S8_S8_S8_EEEEZNS1_11reduce_implILb1ES3_NS6_12zip_iteratorINS7_INS6_11hip_rocprim26transform_input_iterator_tIbNSD_35transform_pair_of_input_iterators_tIbNS6_6detail15normal_iteratorINS6_10device_ptrIKtEEEESL_NS6_8equal_toItEEEENSG_9not_fun_tINSD_8identityEEEEENSD_19counting_iterator_tIlEES8_S8_S8_S8_S8_S8_S8_S8_EEEEPS9_S9_NSD_9__find_if7functorIS9_EEEE10hipError_tPvRmT1_T2_T3_mT4_P12ihipStream_tbEUlT_E0_NS1_11comp_targetILNS1_3genE8ELNS1_11target_archE1030ELNS1_3gpuE2ELNS1_3repE0EEENS1_30default_config_static_selectorELNS0_4arch9wavefront6targetE1EEEvS14_
; %bb.0:
	.section	.rodata,"a",@progbits
	.p2align	6, 0x0
	.amdhsa_kernel _ZN7rocprim17ROCPRIM_400000_NS6detail17trampoline_kernelINS0_14default_configENS1_22reduce_config_selectorIN6thrust23THRUST_200600_302600_NS5tupleIblNS6_9null_typeES8_S8_S8_S8_S8_S8_S8_EEEEZNS1_11reduce_implILb1ES3_NS6_12zip_iteratorINS7_INS6_11hip_rocprim26transform_input_iterator_tIbNSD_35transform_pair_of_input_iterators_tIbNS6_6detail15normal_iteratorINS6_10device_ptrIKtEEEESL_NS6_8equal_toItEEEENSG_9not_fun_tINSD_8identityEEEEENSD_19counting_iterator_tIlEES8_S8_S8_S8_S8_S8_S8_S8_EEEEPS9_S9_NSD_9__find_if7functorIS9_EEEE10hipError_tPvRmT1_T2_T3_mT4_P12ihipStream_tbEUlT_E0_NS1_11comp_targetILNS1_3genE8ELNS1_11target_archE1030ELNS1_3gpuE2ELNS1_3repE0EEENS1_30default_config_static_selectorELNS0_4arch9wavefront6targetE1EEEvS14_
		.amdhsa_group_segment_fixed_size 0
		.amdhsa_private_segment_fixed_size 0
		.amdhsa_kernarg_size 104
		.amdhsa_user_sgpr_count 6
		.amdhsa_user_sgpr_private_segment_buffer 1
		.amdhsa_user_sgpr_dispatch_ptr 0
		.amdhsa_user_sgpr_queue_ptr 0
		.amdhsa_user_sgpr_kernarg_segment_ptr 1
		.amdhsa_user_sgpr_dispatch_id 0
		.amdhsa_user_sgpr_flat_scratch_init 0
		.amdhsa_user_sgpr_private_segment_size 0
		.amdhsa_uses_dynamic_stack 0
		.amdhsa_system_sgpr_private_segment_wavefront_offset 0
		.amdhsa_system_sgpr_workgroup_id_x 1
		.amdhsa_system_sgpr_workgroup_id_y 0
		.amdhsa_system_sgpr_workgroup_id_z 0
		.amdhsa_system_sgpr_workgroup_info 0
		.amdhsa_system_vgpr_workitem_id 0
		.amdhsa_next_free_vgpr 1
		.amdhsa_next_free_sgpr 0
		.amdhsa_reserve_vcc 0
		.amdhsa_reserve_flat_scratch 0
		.amdhsa_float_round_mode_32 0
		.amdhsa_float_round_mode_16_64 0
		.amdhsa_float_denorm_mode_32 3
		.amdhsa_float_denorm_mode_16_64 3
		.amdhsa_dx10_clamp 1
		.amdhsa_ieee_mode 1
		.amdhsa_fp16_overflow 0
		.amdhsa_exception_fp_ieee_invalid_op 0
		.amdhsa_exception_fp_denorm_src 0
		.amdhsa_exception_fp_ieee_div_zero 0
		.amdhsa_exception_fp_ieee_overflow 0
		.amdhsa_exception_fp_ieee_underflow 0
		.amdhsa_exception_fp_ieee_inexact 0
		.amdhsa_exception_int_div_zero 0
	.end_amdhsa_kernel
	.section	.text._ZN7rocprim17ROCPRIM_400000_NS6detail17trampoline_kernelINS0_14default_configENS1_22reduce_config_selectorIN6thrust23THRUST_200600_302600_NS5tupleIblNS6_9null_typeES8_S8_S8_S8_S8_S8_S8_EEEEZNS1_11reduce_implILb1ES3_NS6_12zip_iteratorINS7_INS6_11hip_rocprim26transform_input_iterator_tIbNSD_35transform_pair_of_input_iterators_tIbNS6_6detail15normal_iteratorINS6_10device_ptrIKtEEEESL_NS6_8equal_toItEEEENSG_9not_fun_tINSD_8identityEEEEENSD_19counting_iterator_tIlEES8_S8_S8_S8_S8_S8_S8_S8_EEEEPS9_S9_NSD_9__find_if7functorIS9_EEEE10hipError_tPvRmT1_T2_T3_mT4_P12ihipStream_tbEUlT_E0_NS1_11comp_targetILNS1_3genE8ELNS1_11target_archE1030ELNS1_3gpuE2ELNS1_3repE0EEENS1_30default_config_static_selectorELNS0_4arch9wavefront6targetE1EEEvS14_,"axG",@progbits,_ZN7rocprim17ROCPRIM_400000_NS6detail17trampoline_kernelINS0_14default_configENS1_22reduce_config_selectorIN6thrust23THRUST_200600_302600_NS5tupleIblNS6_9null_typeES8_S8_S8_S8_S8_S8_S8_EEEEZNS1_11reduce_implILb1ES3_NS6_12zip_iteratorINS7_INS6_11hip_rocprim26transform_input_iterator_tIbNSD_35transform_pair_of_input_iterators_tIbNS6_6detail15normal_iteratorINS6_10device_ptrIKtEEEESL_NS6_8equal_toItEEEENSG_9not_fun_tINSD_8identityEEEEENSD_19counting_iterator_tIlEES8_S8_S8_S8_S8_S8_S8_S8_EEEEPS9_S9_NSD_9__find_if7functorIS9_EEEE10hipError_tPvRmT1_T2_T3_mT4_P12ihipStream_tbEUlT_E0_NS1_11comp_targetILNS1_3genE8ELNS1_11target_archE1030ELNS1_3gpuE2ELNS1_3repE0EEENS1_30default_config_static_selectorELNS0_4arch9wavefront6targetE1EEEvS14_,comdat
.Lfunc_end509:
	.size	_ZN7rocprim17ROCPRIM_400000_NS6detail17trampoline_kernelINS0_14default_configENS1_22reduce_config_selectorIN6thrust23THRUST_200600_302600_NS5tupleIblNS6_9null_typeES8_S8_S8_S8_S8_S8_S8_EEEEZNS1_11reduce_implILb1ES3_NS6_12zip_iteratorINS7_INS6_11hip_rocprim26transform_input_iterator_tIbNSD_35transform_pair_of_input_iterators_tIbNS6_6detail15normal_iteratorINS6_10device_ptrIKtEEEESL_NS6_8equal_toItEEEENSG_9not_fun_tINSD_8identityEEEEENSD_19counting_iterator_tIlEES8_S8_S8_S8_S8_S8_S8_S8_EEEEPS9_S9_NSD_9__find_if7functorIS9_EEEE10hipError_tPvRmT1_T2_T3_mT4_P12ihipStream_tbEUlT_E0_NS1_11comp_targetILNS1_3genE8ELNS1_11target_archE1030ELNS1_3gpuE2ELNS1_3repE0EEENS1_30default_config_static_selectorELNS0_4arch9wavefront6targetE1EEEvS14_, .Lfunc_end509-_ZN7rocprim17ROCPRIM_400000_NS6detail17trampoline_kernelINS0_14default_configENS1_22reduce_config_selectorIN6thrust23THRUST_200600_302600_NS5tupleIblNS6_9null_typeES8_S8_S8_S8_S8_S8_S8_EEEEZNS1_11reduce_implILb1ES3_NS6_12zip_iteratorINS7_INS6_11hip_rocprim26transform_input_iterator_tIbNSD_35transform_pair_of_input_iterators_tIbNS6_6detail15normal_iteratorINS6_10device_ptrIKtEEEESL_NS6_8equal_toItEEEENSG_9not_fun_tINSD_8identityEEEEENSD_19counting_iterator_tIlEES8_S8_S8_S8_S8_S8_S8_S8_EEEEPS9_S9_NSD_9__find_if7functorIS9_EEEE10hipError_tPvRmT1_T2_T3_mT4_P12ihipStream_tbEUlT_E0_NS1_11comp_targetILNS1_3genE8ELNS1_11target_archE1030ELNS1_3gpuE2ELNS1_3repE0EEENS1_30default_config_static_selectorELNS0_4arch9wavefront6targetE1EEEvS14_
                                        ; -- End function
	.set _ZN7rocprim17ROCPRIM_400000_NS6detail17trampoline_kernelINS0_14default_configENS1_22reduce_config_selectorIN6thrust23THRUST_200600_302600_NS5tupleIblNS6_9null_typeES8_S8_S8_S8_S8_S8_S8_EEEEZNS1_11reduce_implILb1ES3_NS6_12zip_iteratorINS7_INS6_11hip_rocprim26transform_input_iterator_tIbNSD_35transform_pair_of_input_iterators_tIbNS6_6detail15normal_iteratorINS6_10device_ptrIKtEEEESL_NS6_8equal_toItEEEENSG_9not_fun_tINSD_8identityEEEEENSD_19counting_iterator_tIlEES8_S8_S8_S8_S8_S8_S8_S8_EEEEPS9_S9_NSD_9__find_if7functorIS9_EEEE10hipError_tPvRmT1_T2_T3_mT4_P12ihipStream_tbEUlT_E0_NS1_11comp_targetILNS1_3genE8ELNS1_11target_archE1030ELNS1_3gpuE2ELNS1_3repE0EEENS1_30default_config_static_selectorELNS0_4arch9wavefront6targetE1EEEvS14_.num_vgpr, 0
	.set _ZN7rocprim17ROCPRIM_400000_NS6detail17trampoline_kernelINS0_14default_configENS1_22reduce_config_selectorIN6thrust23THRUST_200600_302600_NS5tupleIblNS6_9null_typeES8_S8_S8_S8_S8_S8_S8_EEEEZNS1_11reduce_implILb1ES3_NS6_12zip_iteratorINS7_INS6_11hip_rocprim26transform_input_iterator_tIbNSD_35transform_pair_of_input_iterators_tIbNS6_6detail15normal_iteratorINS6_10device_ptrIKtEEEESL_NS6_8equal_toItEEEENSG_9not_fun_tINSD_8identityEEEEENSD_19counting_iterator_tIlEES8_S8_S8_S8_S8_S8_S8_S8_EEEEPS9_S9_NSD_9__find_if7functorIS9_EEEE10hipError_tPvRmT1_T2_T3_mT4_P12ihipStream_tbEUlT_E0_NS1_11comp_targetILNS1_3genE8ELNS1_11target_archE1030ELNS1_3gpuE2ELNS1_3repE0EEENS1_30default_config_static_selectorELNS0_4arch9wavefront6targetE1EEEvS14_.num_agpr, 0
	.set _ZN7rocprim17ROCPRIM_400000_NS6detail17trampoline_kernelINS0_14default_configENS1_22reduce_config_selectorIN6thrust23THRUST_200600_302600_NS5tupleIblNS6_9null_typeES8_S8_S8_S8_S8_S8_S8_EEEEZNS1_11reduce_implILb1ES3_NS6_12zip_iteratorINS7_INS6_11hip_rocprim26transform_input_iterator_tIbNSD_35transform_pair_of_input_iterators_tIbNS6_6detail15normal_iteratorINS6_10device_ptrIKtEEEESL_NS6_8equal_toItEEEENSG_9not_fun_tINSD_8identityEEEEENSD_19counting_iterator_tIlEES8_S8_S8_S8_S8_S8_S8_S8_EEEEPS9_S9_NSD_9__find_if7functorIS9_EEEE10hipError_tPvRmT1_T2_T3_mT4_P12ihipStream_tbEUlT_E0_NS1_11comp_targetILNS1_3genE8ELNS1_11target_archE1030ELNS1_3gpuE2ELNS1_3repE0EEENS1_30default_config_static_selectorELNS0_4arch9wavefront6targetE1EEEvS14_.numbered_sgpr, 0
	.set _ZN7rocprim17ROCPRIM_400000_NS6detail17trampoline_kernelINS0_14default_configENS1_22reduce_config_selectorIN6thrust23THRUST_200600_302600_NS5tupleIblNS6_9null_typeES8_S8_S8_S8_S8_S8_S8_EEEEZNS1_11reduce_implILb1ES3_NS6_12zip_iteratorINS7_INS6_11hip_rocprim26transform_input_iterator_tIbNSD_35transform_pair_of_input_iterators_tIbNS6_6detail15normal_iteratorINS6_10device_ptrIKtEEEESL_NS6_8equal_toItEEEENSG_9not_fun_tINSD_8identityEEEEENSD_19counting_iterator_tIlEES8_S8_S8_S8_S8_S8_S8_S8_EEEEPS9_S9_NSD_9__find_if7functorIS9_EEEE10hipError_tPvRmT1_T2_T3_mT4_P12ihipStream_tbEUlT_E0_NS1_11comp_targetILNS1_3genE8ELNS1_11target_archE1030ELNS1_3gpuE2ELNS1_3repE0EEENS1_30default_config_static_selectorELNS0_4arch9wavefront6targetE1EEEvS14_.num_named_barrier, 0
	.set _ZN7rocprim17ROCPRIM_400000_NS6detail17trampoline_kernelINS0_14default_configENS1_22reduce_config_selectorIN6thrust23THRUST_200600_302600_NS5tupleIblNS6_9null_typeES8_S8_S8_S8_S8_S8_S8_EEEEZNS1_11reduce_implILb1ES3_NS6_12zip_iteratorINS7_INS6_11hip_rocprim26transform_input_iterator_tIbNSD_35transform_pair_of_input_iterators_tIbNS6_6detail15normal_iteratorINS6_10device_ptrIKtEEEESL_NS6_8equal_toItEEEENSG_9not_fun_tINSD_8identityEEEEENSD_19counting_iterator_tIlEES8_S8_S8_S8_S8_S8_S8_S8_EEEEPS9_S9_NSD_9__find_if7functorIS9_EEEE10hipError_tPvRmT1_T2_T3_mT4_P12ihipStream_tbEUlT_E0_NS1_11comp_targetILNS1_3genE8ELNS1_11target_archE1030ELNS1_3gpuE2ELNS1_3repE0EEENS1_30default_config_static_selectorELNS0_4arch9wavefront6targetE1EEEvS14_.private_seg_size, 0
	.set _ZN7rocprim17ROCPRIM_400000_NS6detail17trampoline_kernelINS0_14default_configENS1_22reduce_config_selectorIN6thrust23THRUST_200600_302600_NS5tupleIblNS6_9null_typeES8_S8_S8_S8_S8_S8_S8_EEEEZNS1_11reduce_implILb1ES3_NS6_12zip_iteratorINS7_INS6_11hip_rocprim26transform_input_iterator_tIbNSD_35transform_pair_of_input_iterators_tIbNS6_6detail15normal_iteratorINS6_10device_ptrIKtEEEESL_NS6_8equal_toItEEEENSG_9not_fun_tINSD_8identityEEEEENSD_19counting_iterator_tIlEES8_S8_S8_S8_S8_S8_S8_S8_EEEEPS9_S9_NSD_9__find_if7functorIS9_EEEE10hipError_tPvRmT1_T2_T3_mT4_P12ihipStream_tbEUlT_E0_NS1_11comp_targetILNS1_3genE8ELNS1_11target_archE1030ELNS1_3gpuE2ELNS1_3repE0EEENS1_30default_config_static_selectorELNS0_4arch9wavefront6targetE1EEEvS14_.uses_vcc, 0
	.set _ZN7rocprim17ROCPRIM_400000_NS6detail17trampoline_kernelINS0_14default_configENS1_22reduce_config_selectorIN6thrust23THRUST_200600_302600_NS5tupleIblNS6_9null_typeES8_S8_S8_S8_S8_S8_S8_EEEEZNS1_11reduce_implILb1ES3_NS6_12zip_iteratorINS7_INS6_11hip_rocprim26transform_input_iterator_tIbNSD_35transform_pair_of_input_iterators_tIbNS6_6detail15normal_iteratorINS6_10device_ptrIKtEEEESL_NS6_8equal_toItEEEENSG_9not_fun_tINSD_8identityEEEEENSD_19counting_iterator_tIlEES8_S8_S8_S8_S8_S8_S8_S8_EEEEPS9_S9_NSD_9__find_if7functorIS9_EEEE10hipError_tPvRmT1_T2_T3_mT4_P12ihipStream_tbEUlT_E0_NS1_11comp_targetILNS1_3genE8ELNS1_11target_archE1030ELNS1_3gpuE2ELNS1_3repE0EEENS1_30default_config_static_selectorELNS0_4arch9wavefront6targetE1EEEvS14_.uses_flat_scratch, 0
	.set _ZN7rocprim17ROCPRIM_400000_NS6detail17trampoline_kernelINS0_14default_configENS1_22reduce_config_selectorIN6thrust23THRUST_200600_302600_NS5tupleIblNS6_9null_typeES8_S8_S8_S8_S8_S8_S8_EEEEZNS1_11reduce_implILb1ES3_NS6_12zip_iteratorINS7_INS6_11hip_rocprim26transform_input_iterator_tIbNSD_35transform_pair_of_input_iterators_tIbNS6_6detail15normal_iteratorINS6_10device_ptrIKtEEEESL_NS6_8equal_toItEEEENSG_9not_fun_tINSD_8identityEEEEENSD_19counting_iterator_tIlEES8_S8_S8_S8_S8_S8_S8_S8_EEEEPS9_S9_NSD_9__find_if7functorIS9_EEEE10hipError_tPvRmT1_T2_T3_mT4_P12ihipStream_tbEUlT_E0_NS1_11comp_targetILNS1_3genE8ELNS1_11target_archE1030ELNS1_3gpuE2ELNS1_3repE0EEENS1_30default_config_static_selectorELNS0_4arch9wavefront6targetE1EEEvS14_.has_dyn_sized_stack, 0
	.set _ZN7rocprim17ROCPRIM_400000_NS6detail17trampoline_kernelINS0_14default_configENS1_22reduce_config_selectorIN6thrust23THRUST_200600_302600_NS5tupleIblNS6_9null_typeES8_S8_S8_S8_S8_S8_S8_EEEEZNS1_11reduce_implILb1ES3_NS6_12zip_iteratorINS7_INS6_11hip_rocprim26transform_input_iterator_tIbNSD_35transform_pair_of_input_iterators_tIbNS6_6detail15normal_iteratorINS6_10device_ptrIKtEEEESL_NS6_8equal_toItEEEENSG_9not_fun_tINSD_8identityEEEEENSD_19counting_iterator_tIlEES8_S8_S8_S8_S8_S8_S8_S8_EEEEPS9_S9_NSD_9__find_if7functorIS9_EEEE10hipError_tPvRmT1_T2_T3_mT4_P12ihipStream_tbEUlT_E0_NS1_11comp_targetILNS1_3genE8ELNS1_11target_archE1030ELNS1_3gpuE2ELNS1_3repE0EEENS1_30default_config_static_selectorELNS0_4arch9wavefront6targetE1EEEvS14_.has_recursion, 0
	.set _ZN7rocprim17ROCPRIM_400000_NS6detail17trampoline_kernelINS0_14default_configENS1_22reduce_config_selectorIN6thrust23THRUST_200600_302600_NS5tupleIblNS6_9null_typeES8_S8_S8_S8_S8_S8_S8_EEEEZNS1_11reduce_implILb1ES3_NS6_12zip_iteratorINS7_INS6_11hip_rocprim26transform_input_iterator_tIbNSD_35transform_pair_of_input_iterators_tIbNS6_6detail15normal_iteratorINS6_10device_ptrIKtEEEESL_NS6_8equal_toItEEEENSG_9not_fun_tINSD_8identityEEEEENSD_19counting_iterator_tIlEES8_S8_S8_S8_S8_S8_S8_S8_EEEEPS9_S9_NSD_9__find_if7functorIS9_EEEE10hipError_tPvRmT1_T2_T3_mT4_P12ihipStream_tbEUlT_E0_NS1_11comp_targetILNS1_3genE8ELNS1_11target_archE1030ELNS1_3gpuE2ELNS1_3repE0EEENS1_30default_config_static_selectorELNS0_4arch9wavefront6targetE1EEEvS14_.has_indirect_call, 0
	.section	.AMDGPU.csdata,"",@progbits
; Kernel info:
; codeLenInByte = 0
; TotalNumSgprs: 4
; NumVgprs: 0
; ScratchSize: 0
; MemoryBound: 0
; FloatMode: 240
; IeeeMode: 1
; LDSByteSize: 0 bytes/workgroup (compile time only)
; SGPRBlocks: 0
; VGPRBlocks: 0
; NumSGPRsForWavesPerEU: 4
; NumVGPRsForWavesPerEU: 1
; Occupancy: 10
; WaveLimiterHint : 0
; COMPUTE_PGM_RSRC2:SCRATCH_EN: 0
; COMPUTE_PGM_RSRC2:USER_SGPR: 6
; COMPUTE_PGM_RSRC2:TRAP_HANDLER: 0
; COMPUTE_PGM_RSRC2:TGID_X_EN: 1
; COMPUTE_PGM_RSRC2:TGID_Y_EN: 0
; COMPUTE_PGM_RSRC2:TGID_Z_EN: 0
; COMPUTE_PGM_RSRC2:TIDIG_COMP_CNT: 0
	.section	.text._ZN7rocprim17ROCPRIM_400000_NS6detail17trampoline_kernelINS0_14default_configENS1_22reduce_config_selectorIN6thrust23THRUST_200600_302600_NS5tupleIblNS6_9null_typeES8_S8_S8_S8_S8_S8_S8_EEEEZNS1_11reduce_implILb1ES3_NS6_12zip_iteratorINS7_INS6_11hip_rocprim26transform_input_iterator_tIbNSD_35transform_pair_of_input_iterators_tIbNS6_6detail15normal_iteratorINS6_10device_ptrIKtEEEESL_NS6_8equal_toItEEEENSG_9not_fun_tINSD_8identityEEEEENSD_19counting_iterator_tIlEES8_S8_S8_S8_S8_S8_S8_S8_EEEEPS9_S9_NSD_9__find_if7functorIS9_EEEE10hipError_tPvRmT1_T2_T3_mT4_P12ihipStream_tbEUlT_E1_NS1_11comp_targetILNS1_3genE0ELNS1_11target_archE4294967295ELNS1_3gpuE0ELNS1_3repE0EEENS1_30default_config_static_selectorELNS0_4arch9wavefront6targetE1EEEvS14_,"axG",@progbits,_ZN7rocprim17ROCPRIM_400000_NS6detail17trampoline_kernelINS0_14default_configENS1_22reduce_config_selectorIN6thrust23THRUST_200600_302600_NS5tupleIblNS6_9null_typeES8_S8_S8_S8_S8_S8_S8_EEEEZNS1_11reduce_implILb1ES3_NS6_12zip_iteratorINS7_INS6_11hip_rocprim26transform_input_iterator_tIbNSD_35transform_pair_of_input_iterators_tIbNS6_6detail15normal_iteratorINS6_10device_ptrIKtEEEESL_NS6_8equal_toItEEEENSG_9not_fun_tINSD_8identityEEEEENSD_19counting_iterator_tIlEES8_S8_S8_S8_S8_S8_S8_S8_EEEEPS9_S9_NSD_9__find_if7functorIS9_EEEE10hipError_tPvRmT1_T2_T3_mT4_P12ihipStream_tbEUlT_E1_NS1_11comp_targetILNS1_3genE0ELNS1_11target_archE4294967295ELNS1_3gpuE0ELNS1_3repE0EEENS1_30default_config_static_selectorELNS0_4arch9wavefront6targetE1EEEvS14_,comdat
	.protected	_ZN7rocprim17ROCPRIM_400000_NS6detail17trampoline_kernelINS0_14default_configENS1_22reduce_config_selectorIN6thrust23THRUST_200600_302600_NS5tupleIblNS6_9null_typeES8_S8_S8_S8_S8_S8_S8_EEEEZNS1_11reduce_implILb1ES3_NS6_12zip_iteratorINS7_INS6_11hip_rocprim26transform_input_iterator_tIbNSD_35transform_pair_of_input_iterators_tIbNS6_6detail15normal_iteratorINS6_10device_ptrIKtEEEESL_NS6_8equal_toItEEEENSG_9not_fun_tINSD_8identityEEEEENSD_19counting_iterator_tIlEES8_S8_S8_S8_S8_S8_S8_S8_EEEEPS9_S9_NSD_9__find_if7functorIS9_EEEE10hipError_tPvRmT1_T2_T3_mT4_P12ihipStream_tbEUlT_E1_NS1_11comp_targetILNS1_3genE0ELNS1_11target_archE4294967295ELNS1_3gpuE0ELNS1_3repE0EEENS1_30default_config_static_selectorELNS0_4arch9wavefront6targetE1EEEvS14_ ; -- Begin function _ZN7rocprim17ROCPRIM_400000_NS6detail17trampoline_kernelINS0_14default_configENS1_22reduce_config_selectorIN6thrust23THRUST_200600_302600_NS5tupleIblNS6_9null_typeES8_S8_S8_S8_S8_S8_S8_EEEEZNS1_11reduce_implILb1ES3_NS6_12zip_iteratorINS7_INS6_11hip_rocprim26transform_input_iterator_tIbNSD_35transform_pair_of_input_iterators_tIbNS6_6detail15normal_iteratorINS6_10device_ptrIKtEEEESL_NS6_8equal_toItEEEENSG_9not_fun_tINSD_8identityEEEEENSD_19counting_iterator_tIlEES8_S8_S8_S8_S8_S8_S8_S8_EEEEPS9_S9_NSD_9__find_if7functorIS9_EEEE10hipError_tPvRmT1_T2_T3_mT4_P12ihipStream_tbEUlT_E1_NS1_11comp_targetILNS1_3genE0ELNS1_11target_archE4294967295ELNS1_3gpuE0ELNS1_3repE0EEENS1_30default_config_static_selectorELNS0_4arch9wavefront6targetE1EEEvS14_
	.globl	_ZN7rocprim17ROCPRIM_400000_NS6detail17trampoline_kernelINS0_14default_configENS1_22reduce_config_selectorIN6thrust23THRUST_200600_302600_NS5tupleIblNS6_9null_typeES8_S8_S8_S8_S8_S8_S8_EEEEZNS1_11reduce_implILb1ES3_NS6_12zip_iteratorINS7_INS6_11hip_rocprim26transform_input_iterator_tIbNSD_35transform_pair_of_input_iterators_tIbNS6_6detail15normal_iteratorINS6_10device_ptrIKtEEEESL_NS6_8equal_toItEEEENSG_9not_fun_tINSD_8identityEEEEENSD_19counting_iterator_tIlEES8_S8_S8_S8_S8_S8_S8_S8_EEEEPS9_S9_NSD_9__find_if7functorIS9_EEEE10hipError_tPvRmT1_T2_T3_mT4_P12ihipStream_tbEUlT_E1_NS1_11comp_targetILNS1_3genE0ELNS1_11target_archE4294967295ELNS1_3gpuE0ELNS1_3repE0EEENS1_30default_config_static_selectorELNS0_4arch9wavefront6targetE1EEEvS14_
	.p2align	8
	.type	_ZN7rocprim17ROCPRIM_400000_NS6detail17trampoline_kernelINS0_14default_configENS1_22reduce_config_selectorIN6thrust23THRUST_200600_302600_NS5tupleIblNS6_9null_typeES8_S8_S8_S8_S8_S8_S8_EEEEZNS1_11reduce_implILb1ES3_NS6_12zip_iteratorINS7_INS6_11hip_rocprim26transform_input_iterator_tIbNSD_35transform_pair_of_input_iterators_tIbNS6_6detail15normal_iteratorINS6_10device_ptrIKtEEEESL_NS6_8equal_toItEEEENSG_9not_fun_tINSD_8identityEEEEENSD_19counting_iterator_tIlEES8_S8_S8_S8_S8_S8_S8_S8_EEEEPS9_S9_NSD_9__find_if7functorIS9_EEEE10hipError_tPvRmT1_T2_T3_mT4_P12ihipStream_tbEUlT_E1_NS1_11comp_targetILNS1_3genE0ELNS1_11target_archE4294967295ELNS1_3gpuE0ELNS1_3repE0EEENS1_30default_config_static_selectorELNS0_4arch9wavefront6targetE1EEEvS14_,@function
_ZN7rocprim17ROCPRIM_400000_NS6detail17trampoline_kernelINS0_14default_configENS1_22reduce_config_selectorIN6thrust23THRUST_200600_302600_NS5tupleIblNS6_9null_typeES8_S8_S8_S8_S8_S8_S8_EEEEZNS1_11reduce_implILb1ES3_NS6_12zip_iteratorINS7_INS6_11hip_rocprim26transform_input_iterator_tIbNSD_35transform_pair_of_input_iterators_tIbNS6_6detail15normal_iteratorINS6_10device_ptrIKtEEEESL_NS6_8equal_toItEEEENSG_9not_fun_tINSD_8identityEEEEENSD_19counting_iterator_tIlEES8_S8_S8_S8_S8_S8_S8_S8_EEEEPS9_S9_NSD_9__find_if7functorIS9_EEEE10hipError_tPvRmT1_T2_T3_mT4_P12ihipStream_tbEUlT_E1_NS1_11comp_targetILNS1_3genE0ELNS1_11target_archE4294967295ELNS1_3gpuE0ELNS1_3repE0EEENS1_30default_config_static_selectorELNS0_4arch9wavefront6targetE1EEEvS14_: ; @_ZN7rocprim17ROCPRIM_400000_NS6detail17trampoline_kernelINS0_14default_configENS1_22reduce_config_selectorIN6thrust23THRUST_200600_302600_NS5tupleIblNS6_9null_typeES8_S8_S8_S8_S8_S8_S8_EEEEZNS1_11reduce_implILb1ES3_NS6_12zip_iteratorINS7_INS6_11hip_rocprim26transform_input_iterator_tIbNSD_35transform_pair_of_input_iterators_tIbNS6_6detail15normal_iteratorINS6_10device_ptrIKtEEEESL_NS6_8equal_toItEEEENSG_9not_fun_tINSD_8identityEEEEENSD_19counting_iterator_tIlEES8_S8_S8_S8_S8_S8_S8_S8_EEEEPS9_S9_NSD_9__find_if7functorIS9_EEEE10hipError_tPvRmT1_T2_T3_mT4_P12ihipStream_tbEUlT_E1_NS1_11comp_targetILNS1_3genE0ELNS1_11target_archE4294967295ELNS1_3gpuE0ELNS1_3repE0EEENS1_30default_config_static_selectorELNS0_4arch9wavefront6targetE1EEEvS14_
; %bb.0:
	.section	.rodata,"a",@progbits
	.p2align	6, 0x0
	.amdhsa_kernel _ZN7rocprim17ROCPRIM_400000_NS6detail17trampoline_kernelINS0_14default_configENS1_22reduce_config_selectorIN6thrust23THRUST_200600_302600_NS5tupleIblNS6_9null_typeES8_S8_S8_S8_S8_S8_S8_EEEEZNS1_11reduce_implILb1ES3_NS6_12zip_iteratorINS7_INS6_11hip_rocprim26transform_input_iterator_tIbNSD_35transform_pair_of_input_iterators_tIbNS6_6detail15normal_iteratorINS6_10device_ptrIKtEEEESL_NS6_8equal_toItEEEENSG_9not_fun_tINSD_8identityEEEEENSD_19counting_iterator_tIlEES8_S8_S8_S8_S8_S8_S8_S8_EEEEPS9_S9_NSD_9__find_if7functorIS9_EEEE10hipError_tPvRmT1_T2_T3_mT4_P12ihipStream_tbEUlT_E1_NS1_11comp_targetILNS1_3genE0ELNS1_11target_archE4294967295ELNS1_3gpuE0ELNS1_3repE0EEENS1_30default_config_static_selectorELNS0_4arch9wavefront6targetE1EEEvS14_
		.amdhsa_group_segment_fixed_size 0
		.amdhsa_private_segment_fixed_size 0
		.amdhsa_kernarg_size 88
		.amdhsa_user_sgpr_count 6
		.amdhsa_user_sgpr_private_segment_buffer 1
		.amdhsa_user_sgpr_dispatch_ptr 0
		.amdhsa_user_sgpr_queue_ptr 0
		.amdhsa_user_sgpr_kernarg_segment_ptr 1
		.amdhsa_user_sgpr_dispatch_id 0
		.amdhsa_user_sgpr_flat_scratch_init 0
		.amdhsa_user_sgpr_private_segment_size 0
		.amdhsa_uses_dynamic_stack 0
		.amdhsa_system_sgpr_private_segment_wavefront_offset 0
		.amdhsa_system_sgpr_workgroup_id_x 1
		.amdhsa_system_sgpr_workgroup_id_y 0
		.amdhsa_system_sgpr_workgroup_id_z 0
		.amdhsa_system_sgpr_workgroup_info 0
		.amdhsa_system_vgpr_workitem_id 0
		.amdhsa_next_free_vgpr 1
		.amdhsa_next_free_sgpr 0
		.amdhsa_reserve_vcc 0
		.amdhsa_reserve_flat_scratch 0
		.amdhsa_float_round_mode_32 0
		.amdhsa_float_round_mode_16_64 0
		.amdhsa_float_denorm_mode_32 3
		.amdhsa_float_denorm_mode_16_64 3
		.amdhsa_dx10_clamp 1
		.amdhsa_ieee_mode 1
		.amdhsa_fp16_overflow 0
		.amdhsa_exception_fp_ieee_invalid_op 0
		.amdhsa_exception_fp_denorm_src 0
		.amdhsa_exception_fp_ieee_div_zero 0
		.amdhsa_exception_fp_ieee_overflow 0
		.amdhsa_exception_fp_ieee_underflow 0
		.amdhsa_exception_fp_ieee_inexact 0
		.amdhsa_exception_int_div_zero 0
	.end_amdhsa_kernel
	.section	.text._ZN7rocprim17ROCPRIM_400000_NS6detail17trampoline_kernelINS0_14default_configENS1_22reduce_config_selectorIN6thrust23THRUST_200600_302600_NS5tupleIblNS6_9null_typeES8_S8_S8_S8_S8_S8_S8_EEEEZNS1_11reduce_implILb1ES3_NS6_12zip_iteratorINS7_INS6_11hip_rocprim26transform_input_iterator_tIbNSD_35transform_pair_of_input_iterators_tIbNS6_6detail15normal_iteratorINS6_10device_ptrIKtEEEESL_NS6_8equal_toItEEEENSG_9not_fun_tINSD_8identityEEEEENSD_19counting_iterator_tIlEES8_S8_S8_S8_S8_S8_S8_S8_EEEEPS9_S9_NSD_9__find_if7functorIS9_EEEE10hipError_tPvRmT1_T2_T3_mT4_P12ihipStream_tbEUlT_E1_NS1_11comp_targetILNS1_3genE0ELNS1_11target_archE4294967295ELNS1_3gpuE0ELNS1_3repE0EEENS1_30default_config_static_selectorELNS0_4arch9wavefront6targetE1EEEvS14_,"axG",@progbits,_ZN7rocprim17ROCPRIM_400000_NS6detail17trampoline_kernelINS0_14default_configENS1_22reduce_config_selectorIN6thrust23THRUST_200600_302600_NS5tupleIblNS6_9null_typeES8_S8_S8_S8_S8_S8_S8_EEEEZNS1_11reduce_implILb1ES3_NS6_12zip_iteratorINS7_INS6_11hip_rocprim26transform_input_iterator_tIbNSD_35transform_pair_of_input_iterators_tIbNS6_6detail15normal_iteratorINS6_10device_ptrIKtEEEESL_NS6_8equal_toItEEEENSG_9not_fun_tINSD_8identityEEEEENSD_19counting_iterator_tIlEES8_S8_S8_S8_S8_S8_S8_S8_EEEEPS9_S9_NSD_9__find_if7functorIS9_EEEE10hipError_tPvRmT1_T2_T3_mT4_P12ihipStream_tbEUlT_E1_NS1_11comp_targetILNS1_3genE0ELNS1_11target_archE4294967295ELNS1_3gpuE0ELNS1_3repE0EEENS1_30default_config_static_selectorELNS0_4arch9wavefront6targetE1EEEvS14_,comdat
.Lfunc_end510:
	.size	_ZN7rocprim17ROCPRIM_400000_NS6detail17trampoline_kernelINS0_14default_configENS1_22reduce_config_selectorIN6thrust23THRUST_200600_302600_NS5tupleIblNS6_9null_typeES8_S8_S8_S8_S8_S8_S8_EEEEZNS1_11reduce_implILb1ES3_NS6_12zip_iteratorINS7_INS6_11hip_rocprim26transform_input_iterator_tIbNSD_35transform_pair_of_input_iterators_tIbNS6_6detail15normal_iteratorINS6_10device_ptrIKtEEEESL_NS6_8equal_toItEEEENSG_9not_fun_tINSD_8identityEEEEENSD_19counting_iterator_tIlEES8_S8_S8_S8_S8_S8_S8_S8_EEEEPS9_S9_NSD_9__find_if7functorIS9_EEEE10hipError_tPvRmT1_T2_T3_mT4_P12ihipStream_tbEUlT_E1_NS1_11comp_targetILNS1_3genE0ELNS1_11target_archE4294967295ELNS1_3gpuE0ELNS1_3repE0EEENS1_30default_config_static_selectorELNS0_4arch9wavefront6targetE1EEEvS14_, .Lfunc_end510-_ZN7rocprim17ROCPRIM_400000_NS6detail17trampoline_kernelINS0_14default_configENS1_22reduce_config_selectorIN6thrust23THRUST_200600_302600_NS5tupleIblNS6_9null_typeES8_S8_S8_S8_S8_S8_S8_EEEEZNS1_11reduce_implILb1ES3_NS6_12zip_iteratorINS7_INS6_11hip_rocprim26transform_input_iterator_tIbNSD_35transform_pair_of_input_iterators_tIbNS6_6detail15normal_iteratorINS6_10device_ptrIKtEEEESL_NS6_8equal_toItEEEENSG_9not_fun_tINSD_8identityEEEEENSD_19counting_iterator_tIlEES8_S8_S8_S8_S8_S8_S8_S8_EEEEPS9_S9_NSD_9__find_if7functorIS9_EEEE10hipError_tPvRmT1_T2_T3_mT4_P12ihipStream_tbEUlT_E1_NS1_11comp_targetILNS1_3genE0ELNS1_11target_archE4294967295ELNS1_3gpuE0ELNS1_3repE0EEENS1_30default_config_static_selectorELNS0_4arch9wavefront6targetE1EEEvS14_
                                        ; -- End function
	.set _ZN7rocprim17ROCPRIM_400000_NS6detail17trampoline_kernelINS0_14default_configENS1_22reduce_config_selectorIN6thrust23THRUST_200600_302600_NS5tupleIblNS6_9null_typeES8_S8_S8_S8_S8_S8_S8_EEEEZNS1_11reduce_implILb1ES3_NS6_12zip_iteratorINS7_INS6_11hip_rocprim26transform_input_iterator_tIbNSD_35transform_pair_of_input_iterators_tIbNS6_6detail15normal_iteratorINS6_10device_ptrIKtEEEESL_NS6_8equal_toItEEEENSG_9not_fun_tINSD_8identityEEEEENSD_19counting_iterator_tIlEES8_S8_S8_S8_S8_S8_S8_S8_EEEEPS9_S9_NSD_9__find_if7functorIS9_EEEE10hipError_tPvRmT1_T2_T3_mT4_P12ihipStream_tbEUlT_E1_NS1_11comp_targetILNS1_3genE0ELNS1_11target_archE4294967295ELNS1_3gpuE0ELNS1_3repE0EEENS1_30default_config_static_selectorELNS0_4arch9wavefront6targetE1EEEvS14_.num_vgpr, 0
	.set _ZN7rocprim17ROCPRIM_400000_NS6detail17trampoline_kernelINS0_14default_configENS1_22reduce_config_selectorIN6thrust23THRUST_200600_302600_NS5tupleIblNS6_9null_typeES8_S8_S8_S8_S8_S8_S8_EEEEZNS1_11reduce_implILb1ES3_NS6_12zip_iteratorINS7_INS6_11hip_rocprim26transform_input_iterator_tIbNSD_35transform_pair_of_input_iterators_tIbNS6_6detail15normal_iteratorINS6_10device_ptrIKtEEEESL_NS6_8equal_toItEEEENSG_9not_fun_tINSD_8identityEEEEENSD_19counting_iterator_tIlEES8_S8_S8_S8_S8_S8_S8_S8_EEEEPS9_S9_NSD_9__find_if7functorIS9_EEEE10hipError_tPvRmT1_T2_T3_mT4_P12ihipStream_tbEUlT_E1_NS1_11comp_targetILNS1_3genE0ELNS1_11target_archE4294967295ELNS1_3gpuE0ELNS1_3repE0EEENS1_30default_config_static_selectorELNS0_4arch9wavefront6targetE1EEEvS14_.num_agpr, 0
	.set _ZN7rocprim17ROCPRIM_400000_NS6detail17trampoline_kernelINS0_14default_configENS1_22reduce_config_selectorIN6thrust23THRUST_200600_302600_NS5tupleIblNS6_9null_typeES8_S8_S8_S8_S8_S8_S8_EEEEZNS1_11reduce_implILb1ES3_NS6_12zip_iteratorINS7_INS6_11hip_rocprim26transform_input_iterator_tIbNSD_35transform_pair_of_input_iterators_tIbNS6_6detail15normal_iteratorINS6_10device_ptrIKtEEEESL_NS6_8equal_toItEEEENSG_9not_fun_tINSD_8identityEEEEENSD_19counting_iterator_tIlEES8_S8_S8_S8_S8_S8_S8_S8_EEEEPS9_S9_NSD_9__find_if7functorIS9_EEEE10hipError_tPvRmT1_T2_T3_mT4_P12ihipStream_tbEUlT_E1_NS1_11comp_targetILNS1_3genE0ELNS1_11target_archE4294967295ELNS1_3gpuE0ELNS1_3repE0EEENS1_30default_config_static_selectorELNS0_4arch9wavefront6targetE1EEEvS14_.numbered_sgpr, 0
	.set _ZN7rocprim17ROCPRIM_400000_NS6detail17trampoline_kernelINS0_14default_configENS1_22reduce_config_selectorIN6thrust23THRUST_200600_302600_NS5tupleIblNS6_9null_typeES8_S8_S8_S8_S8_S8_S8_EEEEZNS1_11reduce_implILb1ES3_NS6_12zip_iteratorINS7_INS6_11hip_rocprim26transform_input_iterator_tIbNSD_35transform_pair_of_input_iterators_tIbNS6_6detail15normal_iteratorINS6_10device_ptrIKtEEEESL_NS6_8equal_toItEEEENSG_9not_fun_tINSD_8identityEEEEENSD_19counting_iterator_tIlEES8_S8_S8_S8_S8_S8_S8_S8_EEEEPS9_S9_NSD_9__find_if7functorIS9_EEEE10hipError_tPvRmT1_T2_T3_mT4_P12ihipStream_tbEUlT_E1_NS1_11comp_targetILNS1_3genE0ELNS1_11target_archE4294967295ELNS1_3gpuE0ELNS1_3repE0EEENS1_30default_config_static_selectorELNS0_4arch9wavefront6targetE1EEEvS14_.num_named_barrier, 0
	.set _ZN7rocprim17ROCPRIM_400000_NS6detail17trampoline_kernelINS0_14default_configENS1_22reduce_config_selectorIN6thrust23THRUST_200600_302600_NS5tupleIblNS6_9null_typeES8_S8_S8_S8_S8_S8_S8_EEEEZNS1_11reduce_implILb1ES3_NS6_12zip_iteratorINS7_INS6_11hip_rocprim26transform_input_iterator_tIbNSD_35transform_pair_of_input_iterators_tIbNS6_6detail15normal_iteratorINS6_10device_ptrIKtEEEESL_NS6_8equal_toItEEEENSG_9not_fun_tINSD_8identityEEEEENSD_19counting_iterator_tIlEES8_S8_S8_S8_S8_S8_S8_S8_EEEEPS9_S9_NSD_9__find_if7functorIS9_EEEE10hipError_tPvRmT1_T2_T3_mT4_P12ihipStream_tbEUlT_E1_NS1_11comp_targetILNS1_3genE0ELNS1_11target_archE4294967295ELNS1_3gpuE0ELNS1_3repE0EEENS1_30default_config_static_selectorELNS0_4arch9wavefront6targetE1EEEvS14_.private_seg_size, 0
	.set _ZN7rocprim17ROCPRIM_400000_NS6detail17trampoline_kernelINS0_14default_configENS1_22reduce_config_selectorIN6thrust23THRUST_200600_302600_NS5tupleIblNS6_9null_typeES8_S8_S8_S8_S8_S8_S8_EEEEZNS1_11reduce_implILb1ES3_NS6_12zip_iteratorINS7_INS6_11hip_rocprim26transform_input_iterator_tIbNSD_35transform_pair_of_input_iterators_tIbNS6_6detail15normal_iteratorINS6_10device_ptrIKtEEEESL_NS6_8equal_toItEEEENSG_9not_fun_tINSD_8identityEEEEENSD_19counting_iterator_tIlEES8_S8_S8_S8_S8_S8_S8_S8_EEEEPS9_S9_NSD_9__find_if7functorIS9_EEEE10hipError_tPvRmT1_T2_T3_mT4_P12ihipStream_tbEUlT_E1_NS1_11comp_targetILNS1_3genE0ELNS1_11target_archE4294967295ELNS1_3gpuE0ELNS1_3repE0EEENS1_30default_config_static_selectorELNS0_4arch9wavefront6targetE1EEEvS14_.uses_vcc, 0
	.set _ZN7rocprim17ROCPRIM_400000_NS6detail17trampoline_kernelINS0_14default_configENS1_22reduce_config_selectorIN6thrust23THRUST_200600_302600_NS5tupleIblNS6_9null_typeES8_S8_S8_S8_S8_S8_S8_EEEEZNS1_11reduce_implILb1ES3_NS6_12zip_iteratorINS7_INS6_11hip_rocprim26transform_input_iterator_tIbNSD_35transform_pair_of_input_iterators_tIbNS6_6detail15normal_iteratorINS6_10device_ptrIKtEEEESL_NS6_8equal_toItEEEENSG_9not_fun_tINSD_8identityEEEEENSD_19counting_iterator_tIlEES8_S8_S8_S8_S8_S8_S8_S8_EEEEPS9_S9_NSD_9__find_if7functorIS9_EEEE10hipError_tPvRmT1_T2_T3_mT4_P12ihipStream_tbEUlT_E1_NS1_11comp_targetILNS1_3genE0ELNS1_11target_archE4294967295ELNS1_3gpuE0ELNS1_3repE0EEENS1_30default_config_static_selectorELNS0_4arch9wavefront6targetE1EEEvS14_.uses_flat_scratch, 0
	.set _ZN7rocprim17ROCPRIM_400000_NS6detail17trampoline_kernelINS0_14default_configENS1_22reduce_config_selectorIN6thrust23THRUST_200600_302600_NS5tupleIblNS6_9null_typeES8_S8_S8_S8_S8_S8_S8_EEEEZNS1_11reduce_implILb1ES3_NS6_12zip_iteratorINS7_INS6_11hip_rocprim26transform_input_iterator_tIbNSD_35transform_pair_of_input_iterators_tIbNS6_6detail15normal_iteratorINS6_10device_ptrIKtEEEESL_NS6_8equal_toItEEEENSG_9not_fun_tINSD_8identityEEEEENSD_19counting_iterator_tIlEES8_S8_S8_S8_S8_S8_S8_S8_EEEEPS9_S9_NSD_9__find_if7functorIS9_EEEE10hipError_tPvRmT1_T2_T3_mT4_P12ihipStream_tbEUlT_E1_NS1_11comp_targetILNS1_3genE0ELNS1_11target_archE4294967295ELNS1_3gpuE0ELNS1_3repE0EEENS1_30default_config_static_selectorELNS0_4arch9wavefront6targetE1EEEvS14_.has_dyn_sized_stack, 0
	.set _ZN7rocprim17ROCPRIM_400000_NS6detail17trampoline_kernelINS0_14default_configENS1_22reduce_config_selectorIN6thrust23THRUST_200600_302600_NS5tupleIblNS6_9null_typeES8_S8_S8_S8_S8_S8_S8_EEEEZNS1_11reduce_implILb1ES3_NS6_12zip_iteratorINS7_INS6_11hip_rocprim26transform_input_iterator_tIbNSD_35transform_pair_of_input_iterators_tIbNS6_6detail15normal_iteratorINS6_10device_ptrIKtEEEESL_NS6_8equal_toItEEEENSG_9not_fun_tINSD_8identityEEEEENSD_19counting_iterator_tIlEES8_S8_S8_S8_S8_S8_S8_S8_EEEEPS9_S9_NSD_9__find_if7functorIS9_EEEE10hipError_tPvRmT1_T2_T3_mT4_P12ihipStream_tbEUlT_E1_NS1_11comp_targetILNS1_3genE0ELNS1_11target_archE4294967295ELNS1_3gpuE0ELNS1_3repE0EEENS1_30default_config_static_selectorELNS0_4arch9wavefront6targetE1EEEvS14_.has_recursion, 0
	.set _ZN7rocprim17ROCPRIM_400000_NS6detail17trampoline_kernelINS0_14default_configENS1_22reduce_config_selectorIN6thrust23THRUST_200600_302600_NS5tupleIblNS6_9null_typeES8_S8_S8_S8_S8_S8_S8_EEEEZNS1_11reduce_implILb1ES3_NS6_12zip_iteratorINS7_INS6_11hip_rocprim26transform_input_iterator_tIbNSD_35transform_pair_of_input_iterators_tIbNS6_6detail15normal_iteratorINS6_10device_ptrIKtEEEESL_NS6_8equal_toItEEEENSG_9not_fun_tINSD_8identityEEEEENSD_19counting_iterator_tIlEES8_S8_S8_S8_S8_S8_S8_S8_EEEEPS9_S9_NSD_9__find_if7functorIS9_EEEE10hipError_tPvRmT1_T2_T3_mT4_P12ihipStream_tbEUlT_E1_NS1_11comp_targetILNS1_3genE0ELNS1_11target_archE4294967295ELNS1_3gpuE0ELNS1_3repE0EEENS1_30default_config_static_selectorELNS0_4arch9wavefront6targetE1EEEvS14_.has_indirect_call, 0
	.section	.AMDGPU.csdata,"",@progbits
; Kernel info:
; codeLenInByte = 0
; TotalNumSgprs: 4
; NumVgprs: 0
; ScratchSize: 0
; MemoryBound: 0
; FloatMode: 240
; IeeeMode: 1
; LDSByteSize: 0 bytes/workgroup (compile time only)
; SGPRBlocks: 0
; VGPRBlocks: 0
; NumSGPRsForWavesPerEU: 4
; NumVGPRsForWavesPerEU: 1
; Occupancy: 10
; WaveLimiterHint : 0
; COMPUTE_PGM_RSRC2:SCRATCH_EN: 0
; COMPUTE_PGM_RSRC2:USER_SGPR: 6
; COMPUTE_PGM_RSRC2:TRAP_HANDLER: 0
; COMPUTE_PGM_RSRC2:TGID_X_EN: 1
; COMPUTE_PGM_RSRC2:TGID_Y_EN: 0
; COMPUTE_PGM_RSRC2:TGID_Z_EN: 0
; COMPUTE_PGM_RSRC2:TIDIG_COMP_CNT: 0
	.section	.text._ZN7rocprim17ROCPRIM_400000_NS6detail17trampoline_kernelINS0_14default_configENS1_22reduce_config_selectorIN6thrust23THRUST_200600_302600_NS5tupleIblNS6_9null_typeES8_S8_S8_S8_S8_S8_S8_EEEEZNS1_11reduce_implILb1ES3_NS6_12zip_iteratorINS7_INS6_11hip_rocprim26transform_input_iterator_tIbNSD_35transform_pair_of_input_iterators_tIbNS6_6detail15normal_iteratorINS6_10device_ptrIKtEEEESL_NS6_8equal_toItEEEENSG_9not_fun_tINSD_8identityEEEEENSD_19counting_iterator_tIlEES8_S8_S8_S8_S8_S8_S8_S8_EEEEPS9_S9_NSD_9__find_if7functorIS9_EEEE10hipError_tPvRmT1_T2_T3_mT4_P12ihipStream_tbEUlT_E1_NS1_11comp_targetILNS1_3genE5ELNS1_11target_archE942ELNS1_3gpuE9ELNS1_3repE0EEENS1_30default_config_static_selectorELNS0_4arch9wavefront6targetE1EEEvS14_,"axG",@progbits,_ZN7rocprim17ROCPRIM_400000_NS6detail17trampoline_kernelINS0_14default_configENS1_22reduce_config_selectorIN6thrust23THRUST_200600_302600_NS5tupleIblNS6_9null_typeES8_S8_S8_S8_S8_S8_S8_EEEEZNS1_11reduce_implILb1ES3_NS6_12zip_iteratorINS7_INS6_11hip_rocprim26transform_input_iterator_tIbNSD_35transform_pair_of_input_iterators_tIbNS6_6detail15normal_iteratorINS6_10device_ptrIKtEEEESL_NS6_8equal_toItEEEENSG_9not_fun_tINSD_8identityEEEEENSD_19counting_iterator_tIlEES8_S8_S8_S8_S8_S8_S8_S8_EEEEPS9_S9_NSD_9__find_if7functorIS9_EEEE10hipError_tPvRmT1_T2_T3_mT4_P12ihipStream_tbEUlT_E1_NS1_11comp_targetILNS1_3genE5ELNS1_11target_archE942ELNS1_3gpuE9ELNS1_3repE0EEENS1_30default_config_static_selectorELNS0_4arch9wavefront6targetE1EEEvS14_,comdat
	.protected	_ZN7rocprim17ROCPRIM_400000_NS6detail17trampoline_kernelINS0_14default_configENS1_22reduce_config_selectorIN6thrust23THRUST_200600_302600_NS5tupleIblNS6_9null_typeES8_S8_S8_S8_S8_S8_S8_EEEEZNS1_11reduce_implILb1ES3_NS6_12zip_iteratorINS7_INS6_11hip_rocprim26transform_input_iterator_tIbNSD_35transform_pair_of_input_iterators_tIbNS6_6detail15normal_iteratorINS6_10device_ptrIKtEEEESL_NS6_8equal_toItEEEENSG_9not_fun_tINSD_8identityEEEEENSD_19counting_iterator_tIlEES8_S8_S8_S8_S8_S8_S8_S8_EEEEPS9_S9_NSD_9__find_if7functorIS9_EEEE10hipError_tPvRmT1_T2_T3_mT4_P12ihipStream_tbEUlT_E1_NS1_11comp_targetILNS1_3genE5ELNS1_11target_archE942ELNS1_3gpuE9ELNS1_3repE0EEENS1_30default_config_static_selectorELNS0_4arch9wavefront6targetE1EEEvS14_ ; -- Begin function _ZN7rocprim17ROCPRIM_400000_NS6detail17trampoline_kernelINS0_14default_configENS1_22reduce_config_selectorIN6thrust23THRUST_200600_302600_NS5tupleIblNS6_9null_typeES8_S8_S8_S8_S8_S8_S8_EEEEZNS1_11reduce_implILb1ES3_NS6_12zip_iteratorINS7_INS6_11hip_rocprim26transform_input_iterator_tIbNSD_35transform_pair_of_input_iterators_tIbNS6_6detail15normal_iteratorINS6_10device_ptrIKtEEEESL_NS6_8equal_toItEEEENSG_9not_fun_tINSD_8identityEEEEENSD_19counting_iterator_tIlEES8_S8_S8_S8_S8_S8_S8_S8_EEEEPS9_S9_NSD_9__find_if7functorIS9_EEEE10hipError_tPvRmT1_T2_T3_mT4_P12ihipStream_tbEUlT_E1_NS1_11comp_targetILNS1_3genE5ELNS1_11target_archE942ELNS1_3gpuE9ELNS1_3repE0EEENS1_30default_config_static_selectorELNS0_4arch9wavefront6targetE1EEEvS14_
	.globl	_ZN7rocprim17ROCPRIM_400000_NS6detail17trampoline_kernelINS0_14default_configENS1_22reduce_config_selectorIN6thrust23THRUST_200600_302600_NS5tupleIblNS6_9null_typeES8_S8_S8_S8_S8_S8_S8_EEEEZNS1_11reduce_implILb1ES3_NS6_12zip_iteratorINS7_INS6_11hip_rocprim26transform_input_iterator_tIbNSD_35transform_pair_of_input_iterators_tIbNS6_6detail15normal_iteratorINS6_10device_ptrIKtEEEESL_NS6_8equal_toItEEEENSG_9not_fun_tINSD_8identityEEEEENSD_19counting_iterator_tIlEES8_S8_S8_S8_S8_S8_S8_S8_EEEEPS9_S9_NSD_9__find_if7functorIS9_EEEE10hipError_tPvRmT1_T2_T3_mT4_P12ihipStream_tbEUlT_E1_NS1_11comp_targetILNS1_3genE5ELNS1_11target_archE942ELNS1_3gpuE9ELNS1_3repE0EEENS1_30default_config_static_selectorELNS0_4arch9wavefront6targetE1EEEvS14_
	.p2align	8
	.type	_ZN7rocprim17ROCPRIM_400000_NS6detail17trampoline_kernelINS0_14default_configENS1_22reduce_config_selectorIN6thrust23THRUST_200600_302600_NS5tupleIblNS6_9null_typeES8_S8_S8_S8_S8_S8_S8_EEEEZNS1_11reduce_implILb1ES3_NS6_12zip_iteratorINS7_INS6_11hip_rocprim26transform_input_iterator_tIbNSD_35transform_pair_of_input_iterators_tIbNS6_6detail15normal_iteratorINS6_10device_ptrIKtEEEESL_NS6_8equal_toItEEEENSG_9not_fun_tINSD_8identityEEEEENSD_19counting_iterator_tIlEES8_S8_S8_S8_S8_S8_S8_S8_EEEEPS9_S9_NSD_9__find_if7functorIS9_EEEE10hipError_tPvRmT1_T2_T3_mT4_P12ihipStream_tbEUlT_E1_NS1_11comp_targetILNS1_3genE5ELNS1_11target_archE942ELNS1_3gpuE9ELNS1_3repE0EEENS1_30default_config_static_selectorELNS0_4arch9wavefront6targetE1EEEvS14_,@function
_ZN7rocprim17ROCPRIM_400000_NS6detail17trampoline_kernelINS0_14default_configENS1_22reduce_config_selectorIN6thrust23THRUST_200600_302600_NS5tupleIblNS6_9null_typeES8_S8_S8_S8_S8_S8_S8_EEEEZNS1_11reduce_implILb1ES3_NS6_12zip_iteratorINS7_INS6_11hip_rocprim26transform_input_iterator_tIbNSD_35transform_pair_of_input_iterators_tIbNS6_6detail15normal_iteratorINS6_10device_ptrIKtEEEESL_NS6_8equal_toItEEEENSG_9not_fun_tINSD_8identityEEEEENSD_19counting_iterator_tIlEES8_S8_S8_S8_S8_S8_S8_S8_EEEEPS9_S9_NSD_9__find_if7functorIS9_EEEE10hipError_tPvRmT1_T2_T3_mT4_P12ihipStream_tbEUlT_E1_NS1_11comp_targetILNS1_3genE5ELNS1_11target_archE942ELNS1_3gpuE9ELNS1_3repE0EEENS1_30default_config_static_selectorELNS0_4arch9wavefront6targetE1EEEvS14_: ; @_ZN7rocprim17ROCPRIM_400000_NS6detail17trampoline_kernelINS0_14default_configENS1_22reduce_config_selectorIN6thrust23THRUST_200600_302600_NS5tupleIblNS6_9null_typeES8_S8_S8_S8_S8_S8_S8_EEEEZNS1_11reduce_implILb1ES3_NS6_12zip_iteratorINS7_INS6_11hip_rocprim26transform_input_iterator_tIbNSD_35transform_pair_of_input_iterators_tIbNS6_6detail15normal_iteratorINS6_10device_ptrIKtEEEESL_NS6_8equal_toItEEEENSG_9not_fun_tINSD_8identityEEEEENSD_19counting_iterator_tIlEES8_S8_S8_S8_S8_S8_S8_S8_EEEEPS9_S9_NSD_9__find_if7functorIS9_EEEE10hipError_tPvRmT1_T2_T3_mT4_P12ihipStream_tbEUlT_E1_NS1_11comp_targetILNS1_3genE5ELNS1_11target_archE942ELNS1_3gpuE9ELNS1_3repE0EEENS1_30default_config_static_selectorELNS0_4arch9wavefront6targetE1EEEvS14_
; %bb.0:
	.section	.rodata,"a",@progbits
	.p2align	6, 0x0
	.amdhsa_kernel _ZN7rocprim17ROCPRIM_400000_NS6detail17trampoline_kernelINS0_14default_configENS1_22reduce_config_selectorIN6thrust23THRUST_200600_302600_NS5tupleIblNS6_9null_typeES8_S8_S8_S8_S8_S8_S8_EEEEZNS1_11reduce_implILb1ES3_NS6_12zip_iteratorINS7_INS6_11hip_rocprim26transform_input_iterator_tIbNSD_35transform_pair_of_input_iterators_tIbNS6_6detail15normal_iteratorINS6_10device_ptrIKtEEEESL_NS6_8equal_toItEEEENSG_9not_fun_tINSD_8identityEEEEENSD_19counting_iterator_tIlEES8_S8_S8_S8_S8_S8_S8_S8_EEEEPS9_S9_NSD_9__find_if7functorIS9_EEEE10hipError_tPvRmT1_T2_T3_mT4_P12ihipStream_tbEUlT_E1_NS1_11comp_targetILNS1_3genE5ELNS1_11target_archE942ELNS1_3gpuE9ELNS1_3repE0EEENS1_30default_config_static_selectorELNS0_4arch9wavefront6targetE1EEEvS14_
		.amdhsa_group_segment_fixed_size 0
		.amdhsa_private_segment_fixed_size 0
		.amdhsa_kernarg_size 88
		.amdhsa_user_sgpr_count 6
		.amdhsa_user_sgpr_private_segment_buffer 1
		.amdhsa_user_sgpr_dispatch_ptr 0
		.amdhsa_user_sgpr_queue_ptr 0
		.amdhsa_user_sgpr_kernarg_segment_ptr 1
		.amdhsa_user_sgpr_dispatch_id 0
		.amdhsa_user_sgpr_flat_scratch_init 0
		.amdhsa_user_sgpr_private_segment_size 0
		.amdhsa_uses_dynamic_stack 0
		.amdhsa_system_sgpr_private_segment_wavefront_offset 0
		.amdhsa_system_sgpr_workgroup_id_x 1
		.amdhsa_system_sgpr_workgroup_id_y 0
		.amdhsa_system_sgpr_workgroup_id_z 0
		.amdhsa_system_sgpr_workgroup_info 0
		.amdhsa_system_vgpr_workitem_id 0
		.amdhsa_next_free_vgpr 1
		.amdhsa_next_free_sgpr 0
		.amdhsa_reserve_vcc 0
		.amdhsa_reserve_flat_scratch 0
		.amdhsa_float_round_mode_32 0
		.amdhsa_float_round_mode_16_64 0
		.amdhsa_float_denorm_mode_32 3
		.amdhsa_float_denorm_mode_16_64 3
		.amdhsa_dx10_clamp 1
		.amdhsa_ieee_mode 1
		.amdhsa_fp16_overflow 0
		.amdhsa_exception_fp_ieee_invalid_op 0
		.amdhsa_exception_fp_denorm_src 0
		.amdhsa_exception_fp_ieee_div_zero 0
		.amdhsa_exception_fp_ieee_overflow 0
		.amdhsa_exception_fp_ieee_underflow 0
		.amdhsa_exception_fp_ieee_inexact 0
		.amdhsa_exception_int_div_zero 0
	.end_amdhsa_kernel
	.section	.text._ZN7rocprim17ROCPRIM_400000_NS6detail17trampoline_kernelINS0_14default_configENS1_22reduce_config_selectorIN6thrust23THRUST_200600_302600_NS5tupleIblNS6_9null_typeES8_S8_S8_S8_S8_S8_S8_EEEEZNS1_11reduce_implILb1ES3_NS6_12zip_iteratorINS7_INS6_11hip_rocprim26transform_input_iterator_tIbNSD_35transform_pair_of_input_iterators_tIbNS6_6detail15normal_iteratorINS6_10device_ptrIKtEEEESL_NS6_8equal_toItEEEENSG_9not_fun_tINSD_8identityEEEEENSD_19counting_iterator_tIlEES8_S8_S8_S8_S8_S8_S8_S8_EEEEPS9_S9_NSD_9__find_if7functorIS9_EEEE10hipError_tPvRmT1_T2_T3_mT4_P12ihipStream_tbEUlT_E1_NS1_11comp_targetILNS1_3genE5ELNS1_11target_archE942ELNS1_3gpuE9ELNS1_3repE0EEENS1_30default_config_static_selectorELNS0_4arch9wavefront6targetE1EEEvS14_,"axG",@progbits,_ZN7rocprim17ROCPRIM_400000_NS6detail17trampoline_kernelINS0_14default_configENS1_22reduce_config_selectorIN6thrust23THRUST_200600_302600_NS5tupleIblNS6_9null_typeES8_S8_S8_S8_S8_S8_S8_EEEEZNS1_11reduce_implILb1ES3_NS6_12zip_iteratorINS7_INS6_11hip_rocprim26transform_input_iterator_tIbNSD_35transform_pair_of_input_iterators_tIbNS6_6detail15normal_iteratorINS6_10device_ptrIKtEEEESL_NS6_8equal_toItEEEENSG_9not_fun_tINSD_8identityEEEEENSD_19counting_iterator_tIlEES8_S8_S8_S8_S8_S8_S8_S8_EEEEPS9_S9_NSD_9__find_if7functorIS9_EEEE10hipError_tPvRmT1_T2_T3_mT4_P12ihipStream_tbEUlT_E1_NS1_11comp_targetILNS1_3genE5ELNS1_11target_archE942ELNS1_3gpuE9ELNS1_3repE0EEENS1_30default_config_static_selectorELNS0_4arch9wavefront6targetE1EEEvS14_,comdat
.Lfunc_end511:
	.size	_ZN7rocprim17ROCPRIM_400000_NS6detail17trampoline_kernelINS0_14default_configENS1_22reduce_config_selectorIN6thrust23THRUST_200600_302600_NS5tupleIblNS6_9null_typeES8_S8_S8_S8_S8_S8_S8_EEEEZNS1_11reduce_implILb1ES3_NS6_12zip_iteratorINS7_INS6_11hip_rocprim26transform_input_iterator_tIbNSD_35transform_pair_of_input_iterators_tIbNS6_6detail15normal_iteratorINS6_10device_ptrIKtEEEESL_NS6_8equal_toItEEEENSG_9not_fun_tINSD_8identityEEEEENSD_19counting_iterator_tIlEES8_S8_S8_S8_S8_S8_S8_S8_EEEEPS9_S9_NSD_9__find_if7functorIS9_EEEE10hipError_tPvRmT1_T2_T3_mT4_P12ihipStream_tbEUlT_E1_NS1_11comp_targetILNS1_3genE5ELNS1_11target_archE942ELNS1_3gpuE9ELNS1_3repE0EEENS1_30default_config_static_selectorELNS0_4arch9wavefront6targetE1EEEvS14_, .Lfunc_end511-_ZN7rocprim17ROCPRIM_400000_NS6detail17trampoline_kernelINS0_14default_configENS1_22reduce_config_selectorIN6thrust23THRUST_200600_302600_NS5tupleIblNS6_9null_typeES8_S8_S8_S8_S8_S8_S8_EEEEZNS1_11reduce_implILb1ES3_NS6_12zip_iteratorINS7_INS6_11hip_rocprim26transform_input_iterator_tIbNSD_35transform_pair_of_input_iterators_tIbNS6_6detail15normal_iteratorINS6_10device_ptrIKtEEEESL_NS6_8equal_toItEEEENSG_9not_fun_tINSD_8identityEEEEENSD_19counting_iterator_tIlEES8_S8_S8_S8_S8_S8_S8_S8_EEEEPS9_S9_NSD_9__find_if7functorIS9_EEEE10hipError_tPvRmT1_T2_T3_mT4_P12ihipStream_tbEUlT_E1_NS1_11comp_targetILNS1_3genE5ELNS1_11target_archE942ELNS1_3gpuE9ELNS1_3repE0EEENS1_30default_config_static_selectorELNS0_4arch9wavefront6targetE1EEEvS14_
                                        ; -- End function
	.set _ZN7rocprim17ROCPRIM_400000_NS6detail17trampoline_kernelINS0_14default_configENS1_22reduce_config_selectorIN6thrust23THRUST_200600_302600_NS5tupleIblNS6_9null_typeES8_S8_S8_S8_S8_S8_S8_EEEEZNS1_11reduce_implILb1ES3_NS6_12zip_iteratorINS7_INS6_11hip_rocprim26transform_input_iterator_tIbNSD_35transform_pair_of_input_iterators_tIbNS6_6detail15normal_iteratorINS6_10device_ptrIKtEEEESL_NS6_8equal_toItEEEENSG_9not_fun_tINSD_8identityEEEEENSD_19counting_iterator_tIlEES8_S8_S8_S8_S8_S8_S8_S8_EEEEPS9_S9_NSD_9__find_if7functorIS9_EEEE10hipError_tPvRmT1_T2_T3_mT4_P12ihipStream_tbEUlT_E1_NS1_11comp_targetILNS1_3genE5ELNS1_11target_archE942ELNS1_3gpuE9ELNS1_3repE0EEENS1_30default_config_static_selectorELNS0_4arch9wavefront6targetE1EEEvS14_.num_vgpr, 0
	.set _ZN7rocprim17ROCPRIM_400000_NS6detail17trampoline_kernelINS0_14default_configENS1_22reduce_config_selectorIN6thrust23THRUST_200600_302600_NS5tupleIblNS6_9null_typeES8_S8_S8_S8_S8_S8_S8_EEEEZNS1_11reduce_implILb1ES3_NS6_12zip_iteratorINS7_INS6_11hip_rocprim26transform_input_iterator_tIbNSD_35transform_pair_of_input_iterators_tIbNS6_6detail15normal_iteratorINS6_10device_ptrIKtEEEESL_NS6_8equal_toItEEEENSG_9not_fun_tINSD_8identityEEEEENSD_19counting_iterator_tIlEES8_S8_S8_S8_S8_S8_S8_S8_EEEEPS9_S9_NSD_9__find_if7functorIS9_EEEE10hipError_tPvRmT1_T2_T3_mT4_P12ihipStream_tbEUlT_E1_NS1_11comp_targetILNS1_3genE5ELNS1_11target_archE942ELNS1_3gpuE9ELNS1_3repE0EEENS1_30default_config_static_selectorELNS0_4arch9wavefront6targetE1EEEvS14_.num_agpr, 0
	.set _ZN7rocprim17ROCPRIM_400000_NS6detail17trampoline_kernelINS0_14default_configENS1_22reduce_config_selectorIN6thrust23THRUST_200600_302600_NS5tupleIblNS6_9null_typeES8_S8_S8_S8_S8_S8_S8_EEEEZNS1_11reduce_implILb1ES3_NS6_12zip_iteratorINS7_INS6_11hip_rocprim26transform_input_iterator_tIbNSD_35transform_pair_of_input_iterators_tIbNS6_6detail15normal_iteratorINS6_10device_ptrIKtEEEESL_NS6_8equal_toItEEEENSG_9not_fun_tINSD_8identityEEEEENSD_19counting_iterator_tIlEES8_S8_S8_S8_S8_S8_S8_S8_EEEEPS9_S9_NSD_9__find_if7functorIS9_EEEE10hipError_tPvRmT1_T2_T3_mT4_P12ihipStream_tbEUlT_E1_NS1_11comp_targetILNS1_3genE5ELNS1_11target_archE942ELNS1_3gpuE9ELNS1_3repE0EEENS1_30default_config_static_selectorELNS0_4arch9wavefront6targetE1EEEvS14_.numbered_sgpr, 0
	.set _ZN7rocprim17ROCPRIM_400000_NS6detail17trampoline_kernelINS0_14default_configENS1_22reduce_config_selectorIN6thrust23THRUST_200600_302600_NS5tupleIblNS6_9null_typeES8_S8_S8_S8_S8_S8_S8_EEEEZNS1_11reduce_implILb1ES3_NS6_12zip_iteratorINS7_INS6_11hip_rocprim26transform_input_iterator_tIbNSD_35transform_pair_of_input_iterators_tIbNS6_6detail15normal_iteratorINS6_10device_ptrIKtEEEESL_NS6_8equal_toItEEEENSG_9not_fun_tINSD_8identityEEEEENSD_19counting_iterator_tIlEES8_S8_S8_S8_S8_S8_S8_S8_EEEEPS9_S9_NSD_9__find_if7functorIS9_EEEE10hipError_tPvRmT1_T2_T3_mT4_P12ihipStream_tbEUlT_E1_NS1_11comp_targetILNS1_3genE5ELNS1_11target_archE942ELNS1_3gpuE9ELNS1_3repE0EEENS1_30default_config_static_selectorELNS0_4arch9wavefront6targetE1EEEvS14_.num_named_barrier, 0
	.set _ZN7rocprim17ROCPRIM_400000_NS6detail17trampoline_kernelINS0_14default_configENS1_22reduce_config_selectorIN6thrust23THRUST_200600_302600_NS5tupleIblNS6_9null_typeES8_S8_S8_S8_S8_S8_S8_EEEEZNS1_11reduce_implILb1ES3_NS6_12zip_iteratorINS7_INS6_11hip_rocprim26transform_input_iterator_tIbNSD_35transform_pair_of_input_iterators_tIbNS6_6detail15normal_iteratorINS6_10device_ptrIKtEEEESL_NS6_8equal_toItEEEENSG_9not_fun_tINSD_8identityEEEEENSD_19counting_iterator_tIlEES8_S8_S8_S8_S8_S8_S8_S8_EEEEPS9_S9_NSD_9__find_if7functorIS9_EEEE10hipError_tPvRmT1_T2_T3_mT4_P12ihipStream_tbEUlT_E1_NS1_11comp_targetILNS1_3genE5ELNS1_11target_archE942ELNS1_3gpuE9ELNS1_3repE0EEENS1_30default_config_static_selectorELNS0_4arch9wavefront6targetE1EEEvS14_.private_seg_size, 0
	.set _ZN7rocprim17ROCPRIM_400000_NS6detail17trampoline_kernelINS0_14default_configENS1_22reduce_config_selectorIN6thrust23THRUST_200600_302600_NS5tupleIblNS6_9null_typeES8_S8_S8_S8_S8_S8_S8_EEEEZNS1_11reduce_implILb1ES3_NS6_12zip_iteratorINS7_INS6_11hip_rocprim26transform_input_iterator_tIbNSD_35transform_pair_of_input_iterators_tIbNS6_6detail15normal_iteratorINS6_10device_ptrIKtEEEESL_NS6_8equal_toItEEEENSG_9not_fun_tINSD_8identityEEEEENSD_19counting_iterator_tIlEES8_S8_S8_S8_S8_S8_S8_S8_EEEEPS9_S9_NSD_9__find_if7functorIS9_EEEE10hipError_tPvRmT1_T2_T3_mT4_P12ihipStream_tbEUlT_E1_NS1_11comp_targetILNS1_3genE5ELNS1_11target_archE942ELNS1_3gpuE9ELNS1_3repE0EEENS1_30default_config_static_selectorELNS0_4arch9wavefront6targetE1EEEvS14_.uses_vcc, 0
	.set _ZN7rocprim17ROCPRIM_400000_NS6detail17trampoline_kernelINS0_14default_configENS1_22reduce_config_selectorIN6thrust23THRUST_200600_302600_NS5tupleIblNS6_9null_typeES8_S8_S8_S8_S8_S8_S8_EEEEZNS1_11reduce_implILb1ES3_NS6_12zip_iteratorINS7_INS6_11hip_rocprim26transform_input_iterator_tIbNSD_35transform_pair_of_input_iterators_tIbNS6_6detail15normal_iteratorINS6_10device_ptrIKtEEEESL_NS6_8equal_toItEEEENSG_9not_fun_tINSD_8identityEEEEENSD_19counting_iterator_tIlEES8_S8_S8_S8_S8_S8_S8_S8_EEEEPS9_S9_NSD_9__find_if7functorIS9_EEEE10hipError_tPvRmT1_T2_T3_mT4_P12ihipStream_tbEUlT_E1_NS1_11comp_targetILNS1_3genE5ELNS1_11target_archE942ELNS1_3gpuE9ELNS1_3repE0EEENS1_30default_config_static_selectorELNS0_4arch9wavefront6targetE1EEEvS14_.uses_flat_scratch, 0
	.set _ZN7rocprim17ROCPRIM_400000_NS6detail17trampoline_kernelINS0_14default_configENS1_22reduce_config_selectorIN6thrust23THRUST_200600_302600_NS5tupleIblNS6_9null_typeES8_S8_S8_S8_S8_S8_S8_EEEEZNS1_11reduce_implILb1ES3_NS6_12zip_iteratorINS7_INS6_11hip_rocprim26transform_input_iterator_tIbNSD_35transform_pair_of_input_iterators_tIbNS6_6detail15normal_iteratorINS6_10device_ptrIKtEEEESL_NS6_8equal_toItEEEENSG_9not_fun_tINSD_8identityEEEEENSD_19counting_iterator_tIlEES8_S8_S8_S8_S8_S8_S8_S8_EEEEPS9_S9_NSD_9__find_if7functorIS9_EEEE10hipError_tPvRmT1_T2_T3_mT4_P12ihipStream_tbEUlT_E1_NS1_11comp_targetILNS1_3genE5ELNS1_11target_archE942ELNS1_3gpuE9ELNS1_3repE0EEENS1_30default_config_static_selectorELNS0_4arch9wavefront6targetE1EEEvS14_.has_dyn_sized_stack, 0
	.set _ZN7rocprim17ROCPRIM_400000_NS6detail17trampoline_kernelINS0_14default_configENS1_22reduce_config_selectorIN6thrust23THRUST_200600_302600_NS5tupleIblNS6_9null_typeES8_S8_S8_S8_S8_S8_S8_EEEEZNS1_11reduce_implILb1ES3_NS6_12zip_iteratorINS7_INS6_11hip_rocprim26transform_input_iterator_tIbNSD_35transform_pair_of_input_iterators_tIbNS6_6detail15normal_iteratorINS6_10device_ptrIKtEEEESL_NS6_8equal_toItEEEENSG_9not_fun_tINSD_8identityEEEEENSD_19counting_iterator_tIlEES8_S8_S8_S8_S8_S8_S8_S8_EEEEPS9_S9_NSD_9__find_if7functorIS9_EEEE10hipError_tPvRmT1_T2_T3_mT4_P12ihipStream_tbEUlT_E1_NS1_11comp_targetILNS1_3genE5ELNS1_11target_archE942ELNS1_3gpuE9ELNS1_3repE0EEENS1_30default_config_static_selectorELNS0_4arch9wavefront6targetE1EEEvS14_.has_recursion, 0
	.set _ZN7rocprim17ROCPRIM_400000_NS6detail17trampoline_kernelINS0_14default_configENS1_22reduce_config_selectorIN6thrust23THRUST_200600_302600_NS5tupleIblNS6_9null_typeES8_S8_S8_S8_S8_S8_S8_EEEEZNS1_11reduce_implILb1ES3_NS6_12zip_iteratorINS7_INS6_11hip_rocprim26transform_input_iterator_tIbNSD_35transform_pair_of_input_iterators_tIbNS6_6detail15normal_iteratorINS6_10device_ptrIKtEEEESL_NS6_8equal_toItEEEENSG_9not_fun_tINSD_8identityEEEEENSD_19counting_iterator_tIlEES8_S8_S8_S8_S8_S8_S8_S8_EEEEPS9_S9_NSD_9__find_if7functorIS9_EEEE10hipError_tPvRmT1_T2_T3_mT4_P12ihipStream_tbEUlT_E1_NS1_11comp_targetILNS1_3genE5ELNS1_11target_archE942ELNS1_3gpuE9ELNS1_3repE0EEENS1_30default_config_static_selectorELNS0_4arch9wavefront6targetE1EEEvS14_.has_indirect_call, 0
	.section	.AMDGPU.csdata,"",@progbits
; Kernel info:
; codeLenInByte = 0
; TotalNumSgprs: 4
; NumVgprs: 0
; ScratchSize: 0
; MemoryBound: 0
; FloatMode: 240
; IeeeMode: 1
; LDSByteSize: 0 bytes/workgroup (compile time only)
; SGPRBlocks: 0
; VGPRBlocks: 0
; NumSGPRsForWavesPerEU: 4
; NumVGPRsForWavesPerEU: 1
; Occupancy: 10
; WaveLimiterHint : 0
; COMPUTE_PGM_RSRC2:SCRATCH_EN: 0
; COMPUTE_PGM_RSRC2:USER_SGPR: 6
; COMPUTE_PGM_RSRC2:TRAP_HANDLER: 0
; COMPUTE_PGM_RSRC2:TGID_X_EN: 1
; COMPUTE_PGM_RSRC2:TGID_Y_EN: 0
; COMPUTE_PGM_RSRC2:TGID_Z_EN: 0
; COMPUTE_PGM_RSRC2:TIDIG_COMP_CNT: 0
	.section	.text._ZN7rocprim17ROCPRIM_400000_NS6detail17trampoline_kernelINS0_14default_configENS1_22reduce_config_selectorIN6thrust23THRUST_200600_302600_NS5tupleIblNS6_9null_typeES8_S8_S8_S8_S8_S8_S8_EEEEZNS1_11reduce_implILb1ES3_NS6_12zip_iteratorINS7_INS6_11hip_rocprim26transform_input_iterator_tIbNSD_35transform_pair_of_input_iterators_tIbNS6_6detail15normal_iteratorINS6_10device_ptrIKtEEEESL_NS6_8equal_toItEEEENSG_9not_fun_tINSD_8identityEEEEENSD_19counting_iterator_tIlEES8_S8_S8_S8_S8_S8_S8_S8_EEEEPS9_S9_NSD_9__find_if7functorIS9_EEEE10hipError_tPvRmT1_T2_T3_mT4_P12ihipStream_tbEUlT_E1_NS1_11comp_targetILNS1_3genE4ELNS1_11target_archE910ELNS1_3gpuE8ELNS1_3repE0EEENS1_30default_config_static_selectorELNS0_4arch9wavefront6targetE1EEEvS14_,"axG",@progbits,_ZN7rocprim17ROCPRIM_400000_NS6detail17trampoline_kernelINS0_14default_configENS1_22reduce_config_selectorIN6thrust23THRUST_200600_302600_NS5tupleIblNS6_9null_typeES8_S8_S8_S8_S8_S8_S8_EEEEZNS1_11reduce_implILb1ES3_NS6_12zip_iteratorINS7_INS6_11hip_rocprim26transform_input_iterator_tIbNSD_35transform_pair_of_input_iterators_tIbNS6_6detail15normal_iteratorINS6_10device_ptrIKtEEEESL_NS6_8equal_toItEEEENSG_9not_fun_tINSD_8identityEEEEENSD_19counting_iterator_tIlEES8_S8_S8_S8_S8_S8_S8_S8_EEEEPS9_S9_NSD_9__find_if7functorIS9_EEEE10hipError_tPvRmT1_T2_T3_mT4_P12ihipStream_tbEUlT_E1_NS1_11comp_targetILNS1_3genE4ELNS1_11target_archE910ELNS1_3gpuE8ELNS1_3repE0EEENS1_30default_config_static_selectorELNS0_4arch9wavefront6targetE1EEEvS14_,comdat
	.protected	_ZN7rocprim17ROCPRIM_400000_NS6detail17trampoline_kernelINS0_14default_configENS1_22reduce_config_selectorIN6thrust23THRUST_200600_302600_NS5tupleIblNS6_9null_typeES8_S8_S8_S8_S8_S8_S8_EEEEZNS1_11reduce_implILb1ES3_NS6_12zip_iteratorINS7_INS6_11hip_rocprim26transform_input_iterator_tIbNSD_35transform_pair_of_input_iterators_tIbNS6_6detail15normal_iteratorINS6_10device_ptrIKtEEEESL_NS6_8equal_toItEEEENSG_9not_fun_tINSD_8identityEEEEENSD_19counting_iterator_tIlEES8_S8_S8_S8_S8_S8_S8_S8_EEEEPS9_S9_NSD_9__find_if7functorIS9_EEEE10hipError_tPvRmT1_T2_T3_mT4_P12ihipStream_tbEUlT_E1_NS1_11comp_targetILNS1_3genE4ELNS1_11target_archE910ELNS1_3gpuE8ELNS1_3repE0EEENS1_30default_config_static_selectorELNS0_4arch9wavefront6targetE1EEEvS14_ ; -- Begin function _ZN7rocprim17ROCPRIM_400000_NS6detail17trampoline_kernelINS0_14default_configENS1_22reduce_config_selectorIN6thrust23THRUST_200600_302600_NS5tupleIblNS6_9null_typeES8_S8_S8_S8_S8_S8_S8_EEEEZNS1_11reduce_implILb1ES3_NS6_12zip_iteratorINS7_INS6_11hip_rocprim26transform_input_iterator_tIbNSD_35transform_pair_of_input_iterators_tIbNS6_6detail15normal_iteratorINS6_10device_ptrIKtEEEESL_NS6_8equal_toItEEEENSG_9not_fun_tINSD_8identityEEEEENSD_19counting_iterator_tIlEES8_S8_S8_S8_S8_S8_S8_S8_EEEEPS9_S9_NSD_9__find_if7functorIS9_EEEE10hipError_tPvRmT1_T2_T3_mT4_P12ihipStream_tbEUlT_E1_NS1_11comp_targetILNS1_3genE4ELNS1_11target_archE910ELNS1_3gpuE8ELNS1_3repE0EEENS1_30default_config_static_selectorELNS0_4arch9wavefront6targetE1EEEvS14_
	.globl	_ZN7rocprim17ROCPRIM_400000_NS6detail17trampoline_kernelINS0_14default_configENS1_22reduce_config_selectorIN6thrust23THRUST_200600_302600_NS5tupleIblNS6_9null_typeES8_S8_S8_S8_S8_S8_S8_EEEEZNS1_11reduce_implILb1ES3_NS6_12zip_iteratorINS7_INS6_11hip_rocprim26transform_input_iterator_tIbNSD_35transform_pair_of_input_iterators_tIbNS6_6detail15normal_iteratorINS6_10device_ptrIKtEEEESL_NS6_8equal_toItEEEENSG_9not_fun_tINSD_8identityEEEEENSD_19counting_iterator_tIlEES8_S8_S8_S8_S8_S8_S8_S8_EEEEPS9_S9_NSD_9__find_if7functorIS9_EEEE10hipError_tPvRmT1_T2_T3_mT4_P12ihipStream_tbEUlT_E1_NS1_11comp_targetILNS1_3genE4ELNS1_11target_archE910ELNS1_3gpuE8ELNS1_3repE0EEENS1_30default_config_static_selectorELNS0_4arch9wavefront6targetE1EEEvS14_
	.p2align	8
	.type	_ZN7rocprim17ROCPRIM_400000_NS6detail17trampoline_kernelINS0_14default_configENS1_22reduce_config_selectorIN6thrust23THRUST_200600_302600_NS5tupleIblNS6_9null_typeES8_S8_S8_S8_S8_S8_S8_EEEEZNS1_11reduce_implILb1ES3_NS6_12zip_iteratorINS7_INS6_11hip_rocprim26transform_input_iterator_tIbNSD_35transform_pair_of_input_iterators_tIbNS6_6detail15normal_iteratorINS6_10device_ptrIKtEEEESL_NS6_8equal_toItEEEENSG_9not_fun_tINSD_8identityEEEEENSD_19counting_iterator_tIlEES8_S8_S8_S8_S8_S8_S8_S8_EEEEPS9_S9_NSD_9__find_if7functorIS9_EEEE10hipError_tPvRmT1_T2_T3_mT4_P12ihipStream_tbEUlT_E1_NS1_11comp_targetILNS1_3genE4ELNS1_11target_archE910ELNS1_3gpuE8ELNS1_3repE0EEENS1_30default_config_static_selectorELNS0_4arch9wavefront6targetE1EEEvS14_,@function
_ZN7rocprim17ROCPRIM_400000_NS6detail17trampoline_kernelINS0_14default_configENS1_22reduce_config_selectorIN6thrust23THRUST_200600_302600_NS5tupleIblNS6_9null_typeES8_S8_S8_S8_S8_S8_S8_EEEEZNS1_11reduce_implILb1ES3_NS6_12zip_iteratorINS7_INS6_11hip_rocprim26transform_input_iterator_tIbNSD_35transform_pair_of_input_iterators_tIbNS6_6detail15normal_iteratorINS6_10device_ptrIKtEEEESL_NS6_8equal_toItEEEENSG_9not_fun_tINSD_8identityEEEEENSD_19counting_iterator_tIlEES8_S8_S8_S8_S8_S8_S8_S8_EEEEPS9_S9_NSD_9__find_if7functorIS9_EEEE10hipError_tPvRmT1_T2_T3_mT4_P12ihipStream_tbEUlT_E1_NS1_11comp_targetILNS1_3genE4ELNS1_11target_archE910ELNS1_3gpuE8ELNS1_3repE0EEENS1_30default_config_static_selectorELNS0_4arch9wavefront6targetE1EEEvS14_: ; @_ZN7rocprim17ROCPRIM_400000_NS6detail17trampoline_kernelINS0_14default_configENS1_22reduce_config_selectorIN6thrust23THRUST_200600_302600_NS5tupleIblNS6_9null_typeES8_S8_S8_S8_S8_S8_S8_EEEEZNS1_11reduce_implILb1ES3_NS6_12zip_iteratorINS7_INS6_11hip_rocprim26transform_input_iterator_tIbNSD_35transform_pair_of_input_iterators_tIbNS6_6detail15normal_iteratorINS6_10device_ptrIKtEEEESL_NS6_8equal_toItEEEENSG_9not_fun_tINSD_8identityEEEEENSD_19counting_iterator_tIlEES8_S8_S8_S8_S8_S8_S8_S8_EEEEPS9_S9_NSD_9__find_if7functorIS9_EEEE10hipError_tPvRmT1_T2_T3_mT4_P12ihipStream_tbEUlT_E1_NS1_11comp_targetILNS1_3genE4ELNS1_11target_archE910ELNS1_3gpuE8ELNS1_3repE0EEENS1_30default_config_static_selectorELNS0_4arch9wavefront6targetE1EEEvS14_
; %bb.0:
	.section	.rodata,"a",@progbits
	.p2align	6, 0x0
	.amdhsa_kernel _ZN7rocprim17ROCPRIM_400000_NS6detail17trampoline_kernelINS0_14default_configENS1_22reduce_config_selectorIN6thrust23THRUST_200600_302600_NS5tupleIblNS6_9null_typeES8_S8_S8_S8_S8_S8_S8_EEEEZNS1_11reduce_implILb1ES3_NS6_12zip_iteratorINS7_INS6_11hip_rocprim26transform_input_iterator_tIbNSD_35transform_pair_of_input_iterators_tIbNS6_6detail15normal_iteratorINS6_10device_ptrIKtEEEESL_NS6_8equal_toItEEEENSG_9not_fun_tINSD_8identityEEEEENSD_19counting_iterator_tIlEES8_S8_S8_S8_S8_S8_S8_S8_EEEEPS9_S9_NSD_9__find_if7functorIS9_EEEE10hipError_tPvRmT1_T2_T3_mT4_P12ihipStream_tbEUlT_E1_NS1_11comp_targetILNS1_3genE4ELNS1_11target_archE910ELNS1_3gpuE8ELNS1_3repE0EEENS1_30default_config_static_selectorELNS0_4arch9wavefront6targetE1EEEvS14_
		.amdhsa_group_segment_fixed_size 0
		.amdhsa_private_segment_fixed_size 0
		.amdhsa_kernarg_size 88
		.amdhsa_user_sgpr_count 6
		.amdhsa_user_sgpr_private_segment_buffer 1
		.amdhsa_user_sgpr_dispatch_ptr 0
		.amdhsa_user_sgpr_queue_ptr 0
		.amdhsa_user_sgpr_kernarg_segment_ptr 1
		.amdhsa_user_sgpr_dispatch_id 0
		.amdhsa_user_sgpr_flat_scratch_init 0
		.amdhsa_user_sgpr_private_segment_size 0
		.amdhsa_uses_dynamic_stack 0
		.amdhsa_system_sgpr_private_segment_wavefront_offset 0
		.amdhsa_system_sgpr_workgroup_id_x 1
		.amdhsa_system_sgpr_workgroup_id_y 0
		.amdhsa_system_sgpr_workgroup_id_z 0
		.amdhsa_system_sgpr_workgroup_info 0
		.amdhsa_system_vgpr_workitem_id 0
		.amdhsa_next_free_vgpr 1
		.amdhsa_next_free_sgpr 0
		.amdhsa_reserve_vcc 0
		.amdhsa_reserve_flat_scratch 0
		.amdhsa_float_round_mode_32 0
		.amdhsa_float_round_mode_16_64 0
		.amdhsa_float_denorm_mode_32 3
		.amdhsa_float_denorm_mode_16_64 3
		.amdhsa_dx10_clamp 1
		.amdhsa_ieee_mode 1
		.amdhsa_fp16_overflow 0
		.amdhsa_exception_fp_ieee_invalid_op 0
		.amdhsa_exception_fp_denorm_src 0
		.amdhsa_exception_fp_ieee_div_zero 0
		.amdhsa_exception_fp_ieee_overflow 0
		.amdhsa_exception_fp_ieee_underflow 0
		.amdhsa_exception_fp_ieee_inexact 0
		.amdhsa_exception_int_div_zero 0
	.end_amdhsa_kernel
	.section	.text._ZN7rocprim17ROCPRIM_400000_NS6detail17trampoline_kernelINS0_14default_configENS1_22reduce_config_selectorIN6thrust23THRUST_200600_302600_NS5tupleIblNS6_9null_typeES8_S8_S8_S8_S8_S8_S8_EEEEZNS1_11reduce_implILb1ES3_NS6_12zip_iteratorINS7_INS6_11hip_rocprim26transform_input_iterator_tIbNSD_35transform_pair_of_input_iterators_tIbNS6_6detail15normal_iteratorINS6_10device_ptrIKtEEEESL_NS6_8equal_toItEEEENSG_9not_fun_tINSD_8identityEEEEENSD_19counting_iterator_tIlEES8_S8_S8_S8_S8_S8_S8_S8_EEEEPS9_S9_NSD_9__find_if7functorIS9_EEEE10hipError_tPvRmT1_T2_T3_mT4_P12ihipStream_tbEUlT_E1_NS1_11comp_targetILNS1_3genE4ELNS1_11target_archE910ELNS1_3gpuE8ELNS1_3repE0EEENS1_30default_config_static_selectorELNS0_4arch9wavefront6targetE1EEEvS14_,"axG",@progbits,_ZN7rocprim17ROCPRIM_400000_NS6detail17trampoline_kernelINS0_14default_configENS1_22reduce_config_selectorIN6thrust23THRUST_200600_302600_NS5tupleIblNS6_9null_typeES8_S8_S8_S8_S8_S8_S8_EEEEZNS1_11reduce_implILb1ES3_NS6_12zip_iteratorINS7_INS6_11hip_rocprim26transform_input_iterator_tIbNSD_35transform_pair_of_input_iterators_tIbNS6_6detail15normal_iteratorINS6_10device_ptrIKtEEEESL_NS6_8equal_toItEEEENSG_9not_fun_tINSD_8identityEEEEENSD_19counting_iterator_tIlEES8_S8_S8_S8_S8_S8_S8_S8_EEEEPS9_S9_NSD_9__find_if7functorIS9_EEEE10hipError_tPvRmT1_T2_T3_mT4_P12ihipStream_tbEUlT_E1_NS1_11comp_targetILNS1_3genE4ELNS1_11target_archE910ELNS1_3gpuE8ELNS1_3repE0EEENS1_30default_config_static_selectorELNS0_4arch9wavefront6targetE1EEEvS14_,comdat
.Lfunc_end512:
	.size	_ZN7rocprim17ROCPRIM_400000_NS6detail17trampoline_kernelINS0_14default_configENS1_22reduce_config_selectorIN6thrust23THRUST_200600_302600_NS5tupleIblNS6_9null_typeES8_S8_S8_S8_S8_S8_S8_EEEEZNS1_11reduce_implILb1ES3_NS6_12zip_iteratorINS7_INS6_11hip_rocprim26transform_input_iterator_tIbNSD_35transform_pair_of_input_iterators_tIbNS6_6detail15normal_iteratorINS6_10device_ptrIKtEEEESL_NS6_8equal_toItEEEENSG_9not_fun_tINSD_8identityEEEEENSD_19counting_iterator_tIlEES8_S8_S8_S8_S8_S8_S8_S8_EEEEPS9_S9_NSD_9__find_if7functorIS9_EEEE10hipError_tPvRmT1_T2_T3_mT4_P12ihipStream_tbEUlT_E1_NS1_11comp_targetILNS1_3genE4ELNS1_11target_archE910ELNS1_3gpuE8ELNS1_3repE0EEENS1_30default_config_static_selectorELNS0_4arch9wavefront6targetE1EEEvS14_, .Lfunc_end512-_ZN7rocprim17ROCPRIM_400000_NS6detail17trampoline_kernelINS0_14default_configENS1_22reduce_config_selectorIN6thrust23THRUST_200600_302600_NS5tupleIblNS6_9null_typeES8_S8_S8_S8_S8_S8_S8_EEEEZNS1_11reduce_implILb1ES3_NS6_12zip_iteratorINS7_INS6_11hip_rocprim26transform_input_iterator_tIbNSD_35transform_pair_of_input_iterators_tIbNS6_6detail15normal_iteratorINS6_10device_ptrIKtEEEESL_NS6_8equal_toItEEEENSG_9not_fun_tINSD_8identityEEEEENSD_19counting_iterator_tIlEES8_S8_S8_S8_S8_S8_S8_S8_EEEEPS9_S9_NSD_9__find_if7functorIS9_EEEE10hipError_tPvRmT1_T2_T3_mT4_P12ihipStream_tbEUlT_E1_NS1_11comp_targetILNS1_3genE4ELNS1_11target_archE910ELNS1_3gpuE8ELNS1_3repE0EEENS1_30default_config_static_selectorELNS0_4arch9wavefront6targetE1EEEvS14_
                                        ; -- End function
	.set _ZN7rocprim17ROCPRIM_400000_NS6detail17trampoline_kernelINS0_14default_configENS1_22reduce_config_selectorIN6thrust23THRUST_200600_302600_NS5tupleIblNS6_9null_typeES8_S8_S8_S8_S8_S8_S8_EEEEZNS1_11reduce_implILb1ES3_NS6_12zip_iteratorINS7_INS6_11hip_rocprim26transform_input_iterator_tIbNSD_35transform_pair_of_input_iterators_tIbNS6_6detail15normal_iteratorINS6_10device_ptrIKtEEEESL_NS6_8equal_toItEEEENSG_9not_fun_tINSD_8identityEEEEENSD_19counting_iterator_tIlEES8_S8_S8_S8_S8_S8_S8_S8_EEEEPS9_S9_NSD_9__find_if7functorIS9_EEEE10hipError_tPvRmT1_T2_T3_mT4_P12ihipStream_tbEUlT_E1_NS1_11comp_targetILNS1_3genE4ELNS1_11target_archE910ELNS1_3gpuE8ELNS1_3repE0EEENS1_30default_config_static_selectorELNS0_4arch9wavefront6targetE1EEEvS14_.num_vgpr, 0
	.set _ZN7rocprim17ROCPRIM_400000_NS6detail17trampoline_kernelINS0_14default_configENS1_22reduce_config_selectorIN6thrust23THRUST_200600_302600_NS5tupleIblNS6_9null_typeES8_S8_S8_S8_S8_S8_S8_EEEEZNS1_11reduce_implILb1ES3_NS6_12zip_iteratorINS7_INS6_11hip_rocprim26transform_input_iterator_tIbNSD_35transform_pair_of_input_iterators_tIbNS6_6detail15normal_iteratorINS6_10device_ptrIKtEEEESL_NS6_8equal_toItEEEENSG_9not_fun_tINSD_8identityEEEEENSD_19counting_iterator_tIlEES8_S8_S8_S8_S8_S8_S8_S8_EEEEPS9_S9_NSD_9__find_if7functorIS9_EEEE10hipError_tPvRmT1_T2_T3_mT4_P12ihipStream_tbEUlT_E1_NS1_11comp_targetILNS1_3genE4ELNS1_11target_archE910ELNS1_3gpuE8ELNS1_3repE0EEENS1_30default_config_static_selectorELNS0_4arch9wavefront6targetE1EEEvS14_.num_agpr, 0
	.set _ZN7rocprim17ROCPRIM_400000_NS6detail17trampoline_kernelINS0_14default_configENS1_22reduce_config_selectorIN6thrust23THRUST_200600_302600_NS5tupleIblNS6_9null_typeES8_S8_S8_S8_S8_S8_S8_EEEEZNS1_11reduce_implILb1ES3_NS6_12zip_iteratorINS7_INS6_11hip_rocprim26transform_input_iterator_tIbNSD_35transform_pair_of_input_iterators_tIbNS6_6detail15normal_iteratorINS6_10device_ptrIKtEEEESL_NS6_8equal_toItEEEENSG_9not_fun_tINSD_8identityEEEEENSD_19counting_iterator_tIlEES8_S8_S8_S8_S8_S8_S8_S8_EEEEPS9_S9_NSD_9__find_if7functorIS9_EEEE10hipError_tPvRmT1_T2_T3_mT4_P12ihipStream_tbEUlT_E1_NS1_11comp_targetILNS1_3genE4ELNS1_11target_archE910ELNS1_3gpuE8ELNS1_3repE0EEENS1_30default_config_static_selectorELNS0_4arch9wavefront6targetE1EEEvS14_.numbered_sgpr, 0
	.set _ZN7rocprim17ROCPRIM_400000_NS6detail17trampoline_kernelINS0_14default_configENS1_22reduce_config_selectorIN6thrust23THRUST_200600_302600_NS5tupleIblNS6_9null_typeES8_S8_S8_S8_S8_S8_S8_EEEEZNS1_11reduce_implILb1ES3_NS6_12zip_iteratorINS7_INS6_11hip_rocprim26transform_input_iterator_tIbNSD_35transform_pair_of_input_iterators_tIbNS6_6detail15normal_iteratorINS6_10device_ptrIKtEEEESL_NS6_8equal_toItEEEENSG_9not_fun_tINSD_8identityEEEEENSD_19counting_iterator_tIlEES8_S8_S8_S8_S8_S8_S8_S8_EEEEPS9_S9_NSD_9__find_if7functorIS9_EEEE10hipError_tPvRmT1_T2_T3_mT4_P12ihipStream_tbEUlT_E1_NS1_11comp_targetILNS1_3genE4ELNS1_11target_archE910ELNS1_3gpuE8ELNS1_3repE0EEENS1_30default_config_static_selectorELNS0_4arch9wavefront6targetE1EEEvS14_.num_named_barrier, 0
	.set _ZN7rocprim17ROCPRIM_400000_NS6detail17trampoline_kernelINS0_14default_configENS1_22reduce_config_selectorIN6thrust23THRUST_200600_302600_NS5tupleIblNS6_9null_typeES8_S8_S8_S8_S8_S8_S8_EEEEZNS1_11reduce_implILb1ES3_NS6_12zip_iteratorINS7_INS6_11hip_rocprim26transform_input_iterator_tIbNSD_35transform_pair_of_input_iterators_tIbNS6_6detail15normal_iteratorINS6_10device_ptrIKtEEEESL_NS6_8equal_toItEEEENSG_9not_fun_tINSD_8identityEEEEENSD_19counting_iterator_tIlEES8_S8_S8_S8_S8_S8_S8_S8_EEEEPS9_S9_NSD_9__find_if7functorIS9_EEEE10hipError_tPvRmT1_T2_T3_mT4_P12ihipStream_tbEUlT_E1_NS1_11comp_targetILNS1_3genE4ELNS1_11target_archE910ELNS1_3gpuE8ELNS1_3repE0EEENS1_30default_config_static_selectorELNS0_4arch9wavefront6targetE1EEEvS14_.private_seg_size, 0
	.set _ZN7rocprim17ROCPRIM_400000_NS6detail17trampoline_kernelINS0_14default_configENS1_22reduce_config_selectorIN6thrust23THRUST_200600_302600_NS5tupleIblNS6_9null_typeES8_S8_S8_S8_S8_S8_S8_EEEEZNS1_11reduce_implILb1ES3_NS6_12zip_iteratorINS7_INS6_11hip_rocprim26transform_input_iterator_tIbNSD_35transform_pair_of_input_iterators_tIbNS6_6detail15normal_iteratorINS6_10device_ptrIKtEEEESL_NS6_8equal_toItEEEENSG_9not_fun_tINSD_8identityEEEEENSD_19counting_iterator_tIlEES8_S8_S8_S8_S8_S8_S8_S8_EEEEPS9_S9_NSD_9__find_if7functorIS9_EEEE10hipError_tPvRmT1_T2_T3_mT4_P12ihipStream_tbEUlT_E1_NS1_11comp_targetILNS1_3genE4ELNS1_11target_archE910ELNS1_3gpuE8ELNS1_3repE0EEENS1_30default_config_static_selectorELNS0_4arch9wavefront6targetE1EEEvS14_.uses_vcc, 0
	.set _ZN7rocprim17ROCPRIM_400000_NS6detail17trampoline_kernelINS0_14default_configENS1_22reduce_config_selectorIN6thrust23THRUST_200600_302600_NS5tupleIblNS6_9null_typeES8_S8_S8_S8_S8_S8_S8_EEEEZNS1_11reduce_implILb1ES3_NS6_12zip_iteratorINS7_INS6_11hip_rocprim26transform_input_iterator_tIbNSD_35transform_pair_of_input_iterators_tIbNS6_6detail15normal_iteratorINS6_10device_ptrIKtEEEESL_NS6_8equal_toItEEEENSG_9not_fun_tINSD_8identityEEEEENSD_19counting_iterator_tIlEES8_S8_S8_S8_S8_S8_S8_S8_EEEEPS9_S9_NSD_9__find_if7functorIS9_EEEE10hipError_tPvRmT1_T2_T3_mT4_P12ihipStream_tbEUlT_E1_NS1_11comp_targetILNS1_3genE4ELNS1_11target_archE910ELNS1_3gpuE8ELNS1_3repE0EEENS1_30default_config_static_selectorELNS0_4arch9wavefront6targetE1EEEvS14_.uses_flat_scratch, 0
	.set _ZN7rocprim17ROCPRIM_400000_NS6detail17trampoline_kernelINS0_14default_configENS1_22reduce_config_selectorIN6thrust23THRUST_200600_302600_NS5tupleIblNS6_9null_typeES8_S8_S8_S8_S8_S8_S8_EEEEZNS1_11reduce_implILb1ES3_NS6_12zip_iteratorINS7_INS6_11hip_rocprim26transform_input_iterator_tIbNSD_35transform_pair_of_input_iterators_tIbNS6_6detail15normal_iteratorINS6_10device_ptrIKtEEEESL_NS6_8equal_toItEEEENSG_9not_fun_tINSD_8identityEEEEENSD_19counting_iterator_tIlEES8_S8_S8_S8_S8_S8_S8_S8_EEEEPS9_S9_NSD_9__find_if7functorIS9_EEEE10hipError_tPvRmT1_T2_T3_mT4_P12ihipStream_tbEUlT_E1_NS1_11comp_targetILNS1_3genE4ELNS1_11target_archE910ELNS1_3gpuE8ELNS1_3repE0EEENS1_30default_config_static_selectorELNS0_4arch9wavefront6targetE1EEEvS14_.has_dyn_sized_stack, 0
	.set _ZN7rocprim17ROCPRIM_400000_NS6detail17trampoline_kernelINS0_14default_configENS1_22reduce_config_selectorIN6thrust23THRUST_200600_302600_NS5tupleIblNS6_9null_typeES8_S8_S8_S8_S8_S8_S8_EEEEZNS1_11reduce_implILb1ES3_NS6_12zip_iteratorINS7_INS6_11hip_rocprim26transform_input_iterator_tIbNSD_35transform_pair_of_input_iterators_tIbNS6_6detail15normal_iteratorINS6_10device_ptrIKtEEEESL_NS6_8equal_toItEEEENSG_9not_fun_tINSD_8identityEEEEENSD_19counting_iterator_tIlEES8_S8_S8_S8_S8_S8_S8_S8_EEEEPS9_S9_NSD_9__find_if7functorIS9_EEEE10hipError_tPvRmT1_T2_T3_mT4_P12ihipStream_tbEUlT_E1_NS1_11comp_targetILNS1_3genE4ELNS1_11target_archE910ELNS1_3gpuE8ELNS1_3repE0EEENS1_30default_config_static_selectorELNS0_4arch9wavefront6targetE1EEEvS14_.has_recursion, 0
	.set _ZN7rocprim17ROCPRIM_400000_NS6detail17trampoline_kernelINS0_14default_configENS1_22reduce_config_selectorIN6thrust23THRUST_200600_302600_NS5tupleIblNS6_9null_typeES8_S8_S8_S8_S8_S8_S8_EEEEZNS1_11reduce_implILb1ES3_NS6_12zip_iteratorINS7_INS6_11hip_rocprim26transform_input_iterator_tIbNSD_35transform_pair_of_input_iterators_tIbNS6_6detail15normal_iteratorINS6_10device_ptrIKtEEEESL_NS6_8equal_toItEEEENSG_9not_fun_tINSD_8identityEEEEENSD_19counting_iterator_tIlEES8_S8_S8_S8_S8_S8_S8_S8_EEEEPS9_S9_NSD_9__find_if7functorIS9_EEEE10hipError_tPvRmT1_T2_T3_mT4_P12ihipStream_tbEUlT_E1_NS1_11comp_targetILNS1_3genE4ELNS1_11target_archE910ELNS1_3gpuE8ELNS1_3repE0EEENS1_30default_config_static_selectorELNS0_4arch9wavefront6targetE1EEEvS14_.has_indirect_call, 0
	.section	.AMDGPU.csdata,"",@progbits
; Kernel info:
; codeLenInByte = 0
; TotalNumSgprs: 4
; NumVgprs: 0
; ScratchSize: 0
; MemoryBound: 0
; FloatMode: 240
; IeeeMode: 1
; LDSByteSize: 0 bytes/workgroup (compile time only)
; SGPRBlocks: 0
; VGPRBlocks: 0
; NumSGPRsForWavesPerEU: 4
; NumVGPRsForWavesPerEU: 1
; Occupancy: 10
; WaveLimiterHint : 0
; COMPUTE_PGM_RSRC2:SCRATCH_EN: 0
; COMPUTE_PGM_RSRC2:USER_SGPR: 6
; COMPUTE_PGM_RSRC2:TRAP_HANDLER: 0
; COMPUTE_PGM_RSRC2:TGID_X_EN: 1
; COMPUTE_PGM_RSRC2:TGID_Y_EN: 0
; COMPUTE_PGM_RSRC2:TGID_Z_EN: 0
; COMPUTE_PGM_RSRC2:TIDIG_COMP_CNT: 0
	.section	.text._ZN7rocprim17ROCPRIM_400000_NS6detail17trampoline_kernelINS0_14default_configENS1_22reduce_config_selectorIN6thrust23THRUST_200600_302600_NS5tupleIblNS6_9null_typeES8_S8_S8_S8_S8_S8_S8_EEEEZNS1_11reduce_implILb1ES3_NS6_12zip_iteratorINS7_INS6_11hip_rocprim26transform_input_iterator_tIbNSD_35transform_pair_of_input_iterators_tIbNS6_6detail15normal_iteratorINS6_10device_ptrIKtEEEESL_NS6_8equal_toItEEEENSG_9not_fun_tINSD_8identityEEEEENSD_19counting_iterator_tIlEES8_S8_S8_S8_S8_S8_S8_S8_EEEEPS9_S9_NSD_9__find_if7functorIS9_EEEE10hipError_tPvRmT1_T2_T3_mT4_P12ihipStream_tbEUlT_E1_NS1_11comp_targetILNS1_3genE3ELNS1_11target_archE908ELNS1_3gpuE7ELNS1_3repE0EEENS1_30default_config_static_selectorELNS0_4arch9wavefront6targetE1EEEvS14_,"axG",@progbits,_ZN7rocprim17ROCPRIM_400000_NS6detail17trampoline_kernelINS0_14default_configENS1_22reduce_config_selectorIN6thrust23THRUST_200600_302600_NS5tupleIblNS6_9null_typeES8_S8_S8_S8_S8_S8_S8_EEEEZNS1_11reduce_implILb1ES3_NS6_12zip_iteratorINS7_INS6_11hip_rocprim26transform_input_iterator_tIbNSD_35transform_pair_of_input_iterators_tIbNS6_6detail15normal_iteratorINS6_10device_ptrIKtEEEESL_NS6_8equal_toItEEEENSG_9not_fun_tINSD_8identityEEEEENSD_19counting_iterator_tIlEES8_S8_S8_S8_S8_S8_S8_S8_EEEEPS9_S9_NSD_9__find_if7functorIS9_EEEE10hipError_tPvRmT1_T2_T3_mT4_P12ihipStream_tbEUlT_E1_NS1_11comp_targetILNS1_3genE3ELNS1_11target_archE908ELNS1_3gpuE7ELNS1_3repE0EEENS1_30default_config_static_selectorELNS0_4arch9wavefront6targetE1EEEvS14_,comdat
	.protected	_ZN7rocprim17ROCPRIM_400000_NS6detail17trampoline_kernelINS0_14default_configENS1_22reduce_config_selectorIN6thrust23THRUST_200600_302600_NS5tupleIblNS6_9null_typeES8_S8_S8_S8_S8_S8_S8_EEEEZNS1_11reduce_implILb1ES3_NS6_12zip_iteratorINS7_INS6_11hip_rocprim26transform_input_iterator_tIbNSD_35transform_pair_of_input_iterators_tIbNS6_6detail15normal_iteratorINS6_10device_ptrIKtEEEESL_NS6_8equal_toItEEEENSG_9not_fun_tINSD_8identityEEEEENSD_19counting_iterator_tIlEES8_S8_S8_S8_S8_S8_S8_S8_EEEEPS9_S9_NSD_9__find_if7functorIS9_EEEE10hipError_tPvRmT1_T2_T3_mT4_P12ihipStream_tbEUlT_E1_NS1_11comp_targetILNS1_3genE3ELNS1_11target_archE908ELNS1_3gpuE7ELNS1_3repE0EEENS1_30default_config_static_selectorELNS0_4arch9wavefront6targetE1EEEvS14_ ; -- Begin function _ZN7rocprim17ROCPRIM_400000_NS6detail17trampoline_kernelINS0_14default_configENS1_22reduce_config_selectorIN6thrust23THRUST_200600_302600_NS5tupleIblNS6_9null_typeES8_S8_S8_S8_S8_S8_S8_EEEEZNS1_11reduce_implILb1ES3_NS6_12zip_iteratorINS7_INS6_11hip_rocprim26transform_input_iterator_tIbNSD_35transform_pair_of_input_iterators_tIbNS6_6detail15normal_iteratorINS6_10device_ptrIKtEEEESL_NS6_8equal_toItEEEENSG_9not_fun_tINSD_8identityEEEEENSD_19counting_iterator_tIlEES8_S8_S8_S8_S8_S8_S8_S8_EEEEPS9_S9_NSD_9__find_if7functorIS9_EEEE10hipError_tPvRmT1_T2_T3_mT4_P12ihipStream_tbEUlT_E1_NS1_11comp_targetILNS1_3genE3ELNS1_11target_archE908ELNS1_3gpuE7ELNS1_3repE0EEENS1_30default_config_static_selectorELNS0_4arch9wavefront6targetE1EEEvS14_
	.globl	_ZN7rocprim17ROCPRIM_400000_NS6detail17trampoline_kernelINS0_14default_configENS1_22reduce_config_selectorIN6thrust23THRUST_200600_302600_NS5tupleIblNS6_9null_typeES8_S8_S8_S8_S8_S8_S8_EEEEZNS1_11reduce_implILb1ES3_NS6_12zip_iteratorINS7_INS6_11hip_rocprim26transform_input_iterator_tIbNSD_35transform_pair_of_input_iterators_tIbNS6_6detail15normal_iteratorINS6_10device_ptrIKtEEEESL_NS6_8equal_toItEEEENSG_9not_fun_tINSD_8identityEEEEENSD_19counting_iterator_tIlEES8_S8_S8_S8_S8_S8_S8_S8_EEEEPS9_S9_NSD_9__find_if7functorIS9_EEEE10hipError_tPvRmT1_T2_T3_mT4_P12ihipStream_tbEUlT_E1_NS1_11comp_targetILNS1_3genE3ELNS1_11target_archE908ELNS1_3gpuE7ELNS1_3repE0EEENS1_30default_config_static_selectorELNS0_4arch9wavefront6targetE1EEEvS14_
	.p2align	8
	.type	_ZN7rocprim17ROCPRIM_400000_NS6detail17trampoline_kernelINS0_14default_configENS1_22reduce_config_selectorIN6thrust23THRUST_200600_302600_NS5tupleIblNS6_9null_typeES8_S8_S8_S8_S8_S8_S8_EEEEZNS1_11reduce_implILb1ES3_NS6_12zip_iteratorINS7_INS6_11hip_rocprim26transform_input_iterator_tIbNSD_35transform_pair_of_input_iterators_tIbNS6_6detail15normal_iteratorINS6_10device_ptrIKtEEEESL_NS6_8equal_toItEEEENSG_9not_fun_tINSD_8identityEEEEENSD_19counting_iterator_tIlEES8_S8_S8_S8_S8_S8_S8_S8_EEEEPS9_S9_NSD_9__find_if7functorIS9_EEEE10hipError_tPvRmT1_T2_T3_mT4_P12ihipStream_tbEUlT_E1_NS1_11comp_targetILNS1_3genE3ELNS1_11target_archE908ELNS1_3gpuE7ELNS1_3repE0EEENS1_30default_config_static_selectorELNS0_4arch9wavefront6targetE1EEEvS14_,@function
_ZN7rocprim17ROCPRIM_400000_NS6detail17trampoline_kernelINS0_14default_configENS1_22reduce_config_selectorIN6thrust23THRUST_200600_302600_NS5tupleIblNS6_9null_typeES8_S8_S8_S8_S8_S8_S8_EEEEZNS1_11reduce_implILb1ES3_NS6_12zip_iteratorINS7_INS6_11hip_rocprim26transform_input_iterator_tIbNSD_35transform_pair_of_input_iterators_tIbNS6_6detail15normal_iteratorINS6_10device_ptrIKtEEEESL_NS6_8equal_toItEEEENSG_9not_fun_tINSD_8identityEEEEENSD_19counting_iterator_tIlEES8_S8_S8_S8_S8_S8_S8_S8_EEEEPS9_S9_NSD_9__find_if7functorIS9_EEEE10hipError_tPvRmT1_T2_T3_mT4_P12ihipStream_tbEUlT_E1_NS1_11comp_targetILNS1_3genE3ELNS1_11target_archE908ELNS1_3gpuE7ELNS1_3repE0EEENS1_30default_config_static_selectorELNS0_4arch9wavefront6targetE1EEEvS14_: ; @_ZN7rocprim17ROCPRIM_400000_NS6detail17trampoline_kernelINS0_14default_configENS1_22reduce_config_selectorIN6thrust23THRUST_200600_302600_NS5tupleIblNS6_9null_typeES8_S8_S8_S8_S8_S8_S8_EEEEZNS1_11reduce_implILb1ES3_NS6_12zip_iteratorINS7_INS6_11hip_rocprim26transform_input_iterator_tIbNSD_35transform_pair_of_input_iterators_tIbNS6_6detail15normal_iteratorINS6_10device_ptrIKtEEEESL_NS6_8equal_toItEEEENSG_9not_fun_tINSD_8identityEEEEENSD_19counting_iterator_tIlEES8_S8_S8_S8_S8_S8_S8_S8_EEEEPS9_S9_NSD_9__find_if7functorIS9_EEEE10hipError_tPvRmT1_T2_T3_mT4_P12ihipStream_tbEUlT_E1_NS1_11comp_targetILNS1_3genE3ELNS1_11target_archE908ELNS1_3gpuE7ELNS1_3repE0EEENS1_30default_config_static_selectorELNS0_4arch9wavefront6targetE1EEEvS14_
; %bb.0:
	.section	.rodata,"a",@progbits
	.p2align	6, 0x0
	.amdhsa_kernel _ZN7rocprim17ROCPRIM_400000_NS6detail17trampoline_kernelINS0_14default_configENS1_22reduce_config_selectorIN6thrust23THRUST_200600_302600_NS5tupleIblNS6_9null_typeES8_S8_S8_S8_S8_S8_S8_EEEEZNS1_11reduce_implILb1ES3_NS6_12zip_iteratorINS7_INS6_11hip_rocprim26transform_input_iterator_tIbNSD_35transform_pair_of_input_iterators_tIbNS6_6detail15normal_iteratorINS6_10device_ptrIKtEEEESL_NS6_8equal_toItEEEENSG_9not_fun_tINSD_8identityEEEEENSD_19counting_iterator_tIlEES8_S8_S8_S8_S8_S8_S8_S8_EEEEPS9_S9_NSD_9__find_if7functorIS9_EEEE10hipError_tPvRmT1_T2_T3_mT4_P12ihipStream_tbEUlT_E1_NS1_11comp_targetILNS1_3genE3ELNS1_11target_archE908ELNS1_3gpuE7ELNS1_3repE0EEENS1_30default_config_static_selectorELNS0_4arch9wavefront6targetE1EEEvS14_
		.amdhsa_group_segment_fixed_size 0
		.amdhsa_private_segment_fixed_size 0
		.amdhsa_kernarg_size 88
		.amdhsa_user_sgpr_count 6
		.amdhsa_user_sgpr_private_segment_buffer 1
		.amdhsa_user_sgpr_dispatch_ptr 0
		.amdhsa_user_sgpr_queue_ptr 0
		.amdhsa_user_sgpr_kernarg_segment_ptr 1
		.amdhsa_user_sgpr_dispatch_id 0
		.amdhsa_user_sgpr_flat_scratch_init 0
		.amdhsa_user_sgpr_private_segment_size 0
		.amdhsa_uses_dynamic_stack 0
		.amdhsa_system_sgpr_private_segment_wavefront_offset 0
		.amdhsa_system_sgpr_workgroup_id_x 1
		.amdhsa_system_sgpr_workgroup_id_y 0
		.amdhsa_system_sgpr_workgroup_id_z 0
		.amdhsa_system_sgpr_workgroup_info 0
		.amdhsa_system_vgpr_workitem_id 0
		.amdhsa_next_free_vgpr 1
		.amdhsa_next_free_sgpr 0
		.amdhsa_reserve_vcc 0
		.amdhsa_reserve_flat_scratch 0
		.amdhsa_float_round_mode_32 0
		.amdhsa_float_round_mode_16_64 0
		.amdhsa_float_denorm_mode_32 3
		.amdhsa_float_denorm_mode_16_64 3
		.amdhsa_dx10_clamp 1
		.amdhsa_ieee_mode 1
		.amdhsa_fp16_overflow 0
		.amdhsa_exception_fp_ieee_invalid_op 0
		.amdhsa_exception_fp_denorm_src 0
		.amdhsa_exception_fp_ieee_div_zero 0
		.amdhsa_exception_fp_ieee_overflow 0
		.amdhsa_exception_fp_ieee_underflow 0
		.amdhsa_exception_fp_ieee_inexact 0
		.amdhsa_exception_int_div_zero 0
	.end_amdhsa_kernel
	.section	.text._ZN7rocprim17ROCPRIM_400000_NS6detail17trampoline_kernelINS0_14default_configENS1_22reduce_config_selectorIN6thrust23THRUST_200600_302600_NS5tupleIblNS6_9null_typeES8_S8_S8_S8_S8_S8_S8_EEEEZNS1_11reduce_implILb1ES3_NS6_12zip_iteratorINS7_INS6_11hip_rocprim26transform_input_iterator_tIbNSD_35transform_pair_of_input_iterators_tIbNS6_6detail15normal_iteratorINS6_10device_ptrIKtEEEESL_NS6_8equal_toItEEEENSG_9not_fun_tINSD_8identityEEEEENSD_19counting_iterator_tIlEES8_S8_S8_S8_S8_S8_S8_S8_EEEEPS9_S9_NSD_9__find_if7functorIS9_EEEE10hipError_tPvRmT1_T2_T3_mT4_P12ihipStream_tbEUlT_E1_NS1_11comp_targetILNS1_3genE3ELNS1_11target_archE908ELNS1_3gpuE7ELNS1_3repE0EEENS1_30default_config_static_selectorELNS0_4arch9wavefront6targetE1EEEvS14_,"axG",@progbits,_ZN7rocprim17ROCPRIM_400000_NS6detail17trampoline_kernelINS0_14default_configENS1_22reduce_config_selectorIN6thrust23THRUST_200600_302600_NS5tupleIblNS6_9null_typeES8_S8_S8_S8_S8_S8_S8_EEEEZNS1_11reduce_implILb1ES3_NS6_12zip_iteratorINS7_INS6_11hip_rocprim26transform_input_iterator_tIbNSD_35transform_pair_of_input_iterators_tIbNS6_6detail15normal_iteratorINS6_10device_ptrIKtEEEESL_NS6_8equal_toItEEEENSG_9not_fun_tINSD_8identityEEEEENSD_19counting_iterator_tIlEES8_S8_S8_S8_S8_S8_S8_S8_EEEEPS9_S9_NSD_9__find_if7functorIS9_EEEE10hipError_tPvRmT1_T2_T3_mT4_P12ihipStream_tbEUlT_E1_NS1_11comp_targetILNS1_3genE3ELNS1_11target_archE908ELNS1_3gpuE7ELNS1_3repE0EEENS1_30default_config_static_selectorELNS0_4arch9wavefront6targetE1EEEvS14_,comdat
.Lfunc_end513:
	.size	_ZN7rocprim17ROCPRIM_400000_NS6detail17trampoline_kernelINS0_14default_configENS1_22reduce_config_selectorIN6thrust23THRUST_200600_302600_NS5tupleIblNS6_9null_typeES8_S8_S8_S8_S8_S8_S8_EEEEZNS1_11reduce_implILb1ES3_NS6_12zip_iteratorINS7_INS6_11hip_rocprim26transform_input_iterator_tIbNSD_35transform_pair_of_input_iterators_tIbNS6_6detail15normal_iteratorINS6_10device_ptrIKtEEEESL_NS6_8equal_toItEEEENSG_9not_fun_tINSD_8identityEEEEENSD_19counting_iterator_tIlEES8_S8_S8_S8_S8_S8_S8_S8_EEEEPS9_S9_NSD_9__find_if7functorIS9_EEEE10hipError_tPvRmT1_T2_T3_mT4_P12ihipStream_tbEUlT_E1_NS1_11comp_targetILNS1_3genE3ELNS1_11target_archE908ELNS1_3gpuE7ELNS1_3repE0EEENS1_30default_config_static_selectorELNS0_4arch9wavefront6targetE1EEEvS14_, .Lfunc_end513-_ZN7rocprim17ROCPRIM_400000_NS6detail17trampoline_kernelINS0_14default_configENS1_22reduce_config_selectorIN6thrust23THRUST_200600_302600_NS5tupleIblNS6_9null_typeES8_S8_S8_S8_S8_S8_S8_EEEEZNS1_11reduce_implILb1ES3_NS6_12zip_iteratorINS7_INS6_11hip_rocprim26transform_input_iterator_tIbNSD_35transform_pair_of_input_iterators_tIbNS6_6detail15normal_iteratorINS6_10device_ptrIKtEEEESL_NS6_8equal_toItEEEENSG_9not_fun_tINSD_8identityEEEEENSD_19counting_iterator_tIlEES8_S8_S8_S8_S8_S8_S8_S8_EEEEPS9_S9_NSD_9__find_if7functorIS9_EEEE10hipError_tPvRmT1_T2_T3_mT4_P12ihipStream_tbEUlT_E1_NS1_11comp_targetILNS1_3genE3ELNS1_11target_archE908ELNS1_3gpuE7ELNS1_3repE0EEENS1_30default_config_static_selectorELNS0_4arch9wavefront6targetE1EEEvS14_
                                        ; -- End function
	.set _ZN7rocprim17ROCPRIM_400000_NS6detail17trampoline_kernelINS0_14default_configENS1_22reduce_config_selectorIN6thrust23THRUST_200600_302600_NS5tupleIblNS6_9null_typeES8_S8_S8_S8_S8_S8_S8_EEEEZNS1_11reduce_implILb1ES3_NS6_12zip_iteratorINS7_INS6_11hip_rocprim26transform_input_iterator_tIbNSD_35transform_pair_of_input_iterators_tIbNS6_6detail15normal_iteratorINS6_10device_ptrIKtEEEESL_NS6_8equal_toItEEEENSG_9not_fun_tINSD_8identityEEEEENSD_19counting_iterator_tIlEES8_S8_S8_S8_S8_S8_S8_S8_EEEEPS9_S9_NSD_9__find_if7functorIS9_EEEE10hipError_tPvRmT1_T2_T3_mT4_P12ihipStream_tbEUlT_E1_NS1_11comp_targetILNS1_3genE3ELNS1_11target_archE908ELNS1_3gpuE7ELNS1_3repE0EEENS1_30default_config_static_selectorELNS0_4arch9wavefront6targetE1EEEvS14_.num_vgpr, 0
	.set _ZN7rocprim17ROCPRIM_400000_NS6detail17trampoline_kernelINS0_14default_configENS1_22reduce_config_selectorIN6thrust23THRUST_200600_302600_NS5tupleIblNS6_9null_typeES8_S8_S8_S8_S8_S8_S8_EEEEZNS1_11reduce_implILb1ES3_NS6_12zip_iteratorINS7_INS6_11hip_rocprim26transform_input_iterator_tIbNSD_35transform_pair_of_input_iterators_tIbNS6_6detail15normal_iteratorINS6_10device_ptrIKtEEEESL_NS6_8equal_toItEEEENSG_9not_fun_tINSD_8identityEEEEENSD_19counting_iterator_tIlEES8_S8_S8_S8_S8_S8_S8_S8_EEEEPS9_S9_NSD_9__find_if7functorIS9_EEEE10hipError_tPvRmT1_T2_T3_mT4_P12ihipStream_tbEUlT_E1_NS1_11comp_targetILNS1_3genE3ELNS1_11target_archE908ELNS1_3gpuE7ELNS1_3repE0EEENS1_30default_config_static_selectorELNS0_4arch9wavefront6targetE1EEEvS14_.num_agpr, 0
	.set _ZN7rocprim17ROCPRIM_400000_NS6detail17trampoline_kernelINS0_14default_configENS1_22reduce_config_selectorIN6thrust23THRUST_200600_302600_NS5tupleIblNS6_9null_typeES8_S8_S8_S8_S8_S8_S8_EEEEZNS1_11reduce_implILb1ES3_NS6_12zip_iteratorINS7_INS6_11hip_rocprim26transform_input_iterator_tIbNSD_35transform_pair_of_input_iterators_tIbNS6_6detail15normal_iteratorINS6_10device_ptrIKtEEEESL_NS6_8equal_toItEEEENSG_9not_fun_tINSD_8identityEEEEENSD_19counting_iterator_tIlEES8_S8_S8_S8_S8_S8_S8_S8_EEEEPS9_S9_NSD_9__find_if7functorIS9_EEEE10hipError_tPvRmT1_T2_T3_mT4_P12ihipStream_tbEUlT_E1_NS1_11comp_targetILNS1_3genE3ELNS1_11target_archE908ELNS1_3gpuE7ELNS1_3repE0EEENS1_30default_config_static_selectorELNS0_4arch9wavefront6targetE1EEEvS14_.numbered_sgpr, 0
	.set _ZN7rocprim17ROCPRIM_400000_NS6detail17trampoline_kernelINS0_14default_configENS1_22reduce_config_selectorIN6thrust23THRUST_200600_302600_NS5tupleIblNS6_9null_typeES8_S8_S8_S8_S8_S8_S8_EEEEZNS1_11reduce_implILb1ES3_NS6_12zip_iteratorINS7_INS6_11hip_rocprim26transform_input_iterator_tIbNSD_35transform_pair_of_input_iterators_tIbNS6_6detail15normal_iteratorINS6_10device_ptrIKtEEEESL_NS6_8equal_toItEEEENSG_9not_fun_tINSD_8identityEEEEENSD_19counting_iterator_tIlEES8_S8_S8_S8_S8_S8_S8_S8_EEEEPS9_S9_NSD_9__find_if7functorIS9_EEEE10hipError_tPvRmT1_T2_T3_mT4_P12ihipStream_tbEUlT_E1_NS1_11comp_targetILNS1_3genE3ELNS1_11target_archE908ELNS1_3gpuE7ELNS1_3repE0EEENS1_30default_config_static_selectorELNS0_4arch9wavefront6targetE1EEEvS14_.num_named_barrier, 0
	.set _ZN7rocprim17ROCPRIM_400000_NS6detail17trampoline_kernelINS0_14default_configENS1_22reduce_config_selectorIN6thrust23THRUST_200600_302600_NS5tupleIblNS6_9null_typeES8_S8_S8_S8_S8_S8_S8_EEEEZNS1_11reduce_implILb1ES3_NS6_12zip_iteratorINS7_INS6_11hip_rocprim26transform_input_iterator_tIbNSD_35transform_pair_of_input_iterators_tIbNS6_6detail15normal_iteratorINS6_10device_ptrIKtEEEESL_NS6_8equal_toItEEEENSG_9not_fun_tINSD_8identityEEEEENSD_19counting_iterator_tIlEES8_S8_S8_S8_S8_S8_S8_S8_EEEEPS9_S9_NSD_9__find_if7functorIS9_EEEE10hipError_tPvRmT1_T2_T3_mT4_P12ihipStream_tbEUlT_E1_NS1_11comp_targetILNS1_3genE3ELNS1_11target_archE908ELNS1_3gpuE7ELNS1_3repE0EEENS1_30default_config_static_selectorELNS0_4arch9wavefront6targetE1EEEvS14_.private_seg_size, 0
	.set _ZN7rocprim17ROCPRIM_400000_NS6detail17trampoline_kernelINS0_14default_configENS1_22reduce_config_selectorIN6thrust23THRUST_200600_302600_NS5tupleIblNS6_9null_typeES8_S8_S8_S8_S8_S8_S8_EEEEZNS1_11reduce_implILb1ES3_NS6_12zip_iteratorINS7_INS6_11hip_rocprim26transform_input_iterator_tIbNSD_35transform_pair_of_input_iterators_tIbNS6_6detail15normal_iteratorINS6_10device_ptrIKtEEEESL_NS6_8equal_toItEEEENSG_9not_fun_tINSD_8identityEEEEENSD_19counting_iterator_tIlEES8_S8_S8_S8_S8_S8_S8_S8_EEEEPS9_S9_NSD_9__find_if7functorIS9_EEEE10hipError_tPvRmT1_T2_T3_mT4_P12ihipStream_tbEUlT_E1_NS1_11comp_targetILNS1_3genE3ELNS1_11target_archE908ELNS1_3gpuE7ELNS1_3repE0EEENS1_30default_config_static_selectorELNS0_4arch9wavefront6targetE1EEEvS14_.uses_vcc, 0
	.set _ZN7rocprim17ROCPRIM_400000_NS6detail17trampoline_kernelINS0_14default_configENS1_22reduce_config_selectorIN6thrust23THRUST_200600_302600_NS5tupleIblNS6_9null_typeES8_S8_S8_S8_S8_S8_S8_EEEEZNS1_11reduce_implILb1ES3_NS6_12zip_iteratorINS7_INS6_11hip_rocprim26transform_input_iterator_tIbNSD_35transform_pair_of_input_iterators_tIbNS6_6detail15normal_iteratorINS6_10device_ptrIKtEEEESL_NS6_8equal_toItEEEENSG_9not_fun_tINSD_8identityEEEEENSD_19counting_iterator_tIlEES8_S8_S8_S8_S8_S8_S8_S8_EEEEPS9_S9_NSD_9__find_if7functorIS9_EEEE10hipError_tPvRmT1_T2_T3_mT4_P12ihipStream_tbEUlT_E1_NS1_11comp_targetILNS1_3genE3ELNS1_11target_archE908ELNS1_3gpuE7ELNS1_3repE0EEENS1_30default_config_static_selectorELNS0_4arch9wavefront6targetE1EEEvS14_.uses_flat_scratch, 0
	.set _ZN7rocprim17ROCPRIM_400000_NS6detail17trampoline_kernelINS0_14default_configENS1_22reduce_config_selectorIN6thrust23THRUST_200600_302600_NS5tupleIblNS6_9null_typeES8_S8_S8_S8_S8_S8_S8_EEEEZNS1_11reduce_implILb1ES3_NS6_12zip_iteratorINS7_INS6_11hip_rocprim26transform_input_iterator_tIbNSD_35transform_pair_of_input_iterators_tIbNS6_6detail15normal_iteratorINS6_10device_ptrIKtEEEESL_NS6_8equal_toItEEEENSG_9not_fun_tINSD_8identityEEEEENSD_19counting_iterator_tIlEES8_S8_S8_S8_S8_S8_S8_S8_EEEEPS9_S9_NSD_9__find_if7functorIS9_EEEE10hipError_tPvRmT1_T2_T3_mT4_P12ihipStream_tbEUlT_E1_NS1_11comp_targetILNS1_3genE3ELNS1_11target_archE908ELNS1_3gpuE7ELNS1_3repE0EEENS1_30default_config_static_selectorELNS0_4arch9wavefront6targetE1EEEvS14_.has_dyn_sized_stack, 0
	.set _ZN7rocprim17ROCPRIM_400000_NS6detail17trampoline_kernelINS0_14default_configENS1_22reduce_config_selectorIN6thrust23THRUST_200600_302600_NS5tupleIblNS6_9null_typeES8_S8_S8_S8_S8_S8_S8_EEEEZNS1_11reduce_implILb1ES3_NS6_12zip_iteratorINS7_INS6_11hip_rocprim26transform_input_iterator_tIbNSD_35transform_pair_of_input_iterators_tIbNS6_6detail15normal_iteratorINS6_10device_ptrIKtEEEESL_NS6_8equal_toItEEEENSG_9not_fun_tINSD_8identityEEEEENSD_19counting_iterator_tIlEES8_S8_S8_S8_S8_S8_S8_S8_EEEEPS9_S9_NSD_9__find_if7functorIS9_EEEE10hipError_tPvRmT1_T2_T3_mT4_P12ihipStream_tbEUlT_E1_NS1_11comp_targetILNS1_3genE3ELNS1_11target_archE908ELNS1_3gpuE7ELNS1_3repE0EEENS1_30default_config_static_selectorELNS0_4arch9wavefront6targetE1EEEvS14_.has_recursion, 0
	.set _ZN7rocprim17ROCPRIM_400000_NS6detail17trampoline_kernelINS0_14default_configENS1_22reduce_config_selectorIN6thrust23THRUST_200600_302600_NS5tupleIblNS6_9null_typeES8_S8_S8_S8_S8_S8_S8_EEEEZNS1_11reduce_implILb1ES3_NS6_12zip_iteratorINS7_INS6_11hip_rocprim26transform_input_iterator_tIbNSD_35transform_pair_of_input_iterators_tIbNS6_6detail15normal_iteratorINS6_10device_ptrIKtEEEESL_NS6_8equal_toItEEEENSG_9not_fun_tINSD_8identityEEEEENSD_19counting_iterator_tIlEES8_S8_S8_S8_S8_S8_S8_S8_EEEEPS9_S9_NSD_9__find_if7functorIS9_EEEE10hipError_tPvRmT1_T2_T3_mT4_P12ihipStream_tbEUlT_E1_NS1_11comp_targetILNS1_3genE3ELNS1_11target_archE908ELNS1_3gpuE7ELNS1_3repE0EEENS1_30default_config_static_selectorELNS0_4arch9wavefront6targetE1EEEvS14_.has_indirect_call, 0
	.section	.AMDGPU.csdata,"",@progbits
; Kernel info:
; codeLenInByte = 0
; TotalNumSgprs: 4
; NumVgprs: 0
; ScratchSize: 0
; MemoryBound: 0
; FloatMode: 240
; IeeeMode: 1
; LDSByteSize: 0 bytes/workgroup (compile time only)
; SGPRBlocks: 0
; VGPRBlocks: 0
; NumSGPRsForWavesPerEU: 4
; NumVGPRsForWavesPerEU: 1
; Occupancy: 10
; WaveLimiterHint : 0
; COMPUTE_PGM_RSRC2:SCRATCH_EN: 0
; COMPUTE_PGM_RSRC2:USER_SGPR: 6
; COMPUTE_PGM_RSRC2:TRAP_HANDLER: 0
; COMPUTE_PGM_RSRC2:TGID_X_EN: 1
; COMPUTE_PGM_RSRC2:TGID_Y_EN: 0
; COMPUTE_PGM_RSRC2:TGID_Z_EN: 0
; COMPUTE_PGM_RSRC2:TIDIG_COMP_CNT: 0
	.section	.text._ZN7rocprim17ROCPRIM_400000_NS6detail17trampoline_kernelINS0_14default_configENS1_22reduce_config_selectorIN6thrust23THRUST_200600_302600_NS5tupleIblNS6_9null_typeES8_S8_S8_S8_S8_S8_S8_EEEEZNS1_11reduce_implILb1ES3_NS6_12zip_iteratorINS7_INS6_11hip_rocprim26transform_input_iterator_tIbNSD_35transform_pair_of_input_iterators_tIbNS6_6detail15normal_iteratorINS6_10device_ptrIKtEEEESL_NS6_8equal_toItEEEENSG_9not_fun_tINSD_8identityEEEEENSD_19counting_iterator_tIlEES8_S8_S8_S8_S8_S8_S8_S8_EEEEPS9_S9_NSD_9__find_if7functorIS9_EEEE10hipError_tPvRmT1_T2_T3_mT4_P12ihipStream_tbEUlT_E1_NS1_11comp_targetILNS1_3genE2ELNS1_11target_archE906ELNS1_3gpuE6ELNS1_3repE0EEENS1_30default_config_static_selectorELNS0_4arch9wavefront6targetE1EEEvS14_,"axG",@progbits,_ZN7rocprim17ROCPRIM_400000_NS6detail17trampoline_kernelINS0_14default_configENS1_22reduce_config_selectorIN6thrust23THRUST_200600_302600_NS5tupleIblNS6_9null_typeES8_S8_S8_S8_S8_S8_S8_EEEEZNS1_11reduce_implILb1ES3_NS6_12zip_iteratorINS7_INS6_11hip_rocprim26transform_input_iterator_tIbNSD_35transform_pair_of_input_iterators_tIbNS6_6detail15normal_iteratorINS6_10device_ptrIKtEEEESL_NS6_8equal_toItEEEENSG_9not_fun_tINSD_8identityEEEEENSD_19counting_iterator_tIlEES8_S8_S8_S8_S8_S8_S8_S8_EEEEPS9_S9_NSD_9__find_if7functorIS9_EEEE10hipError_tPvRmT1_T2_T3_mT4_P12ihipStream_tbEUlT_E1_NS1_11comp_targetILNS1_3genE2ELNS1_11target_archE906ELNS1_3gpuE6ELNS1_3repE0EEENS1_30default_config_static_selectorELNS0_4arch9wavefront6targetE1EEEvS14_,comdat
	.protected	_ZN7rocprim17ROCPRIM_400000_NS6detail17trampoline_kernelINS0_14default_configENS1_22reduce_config_selectorIN6thrust23THRUST_200600_302600_NS5tupleIblNS6_9null_typeES8_S8_S8_S8_S8_S8_S8_EEEEZNS1_11reduce_implILb1ES3_NS6_12zip_iteratorINS7_INS6_11hip_rocprim26transform_input_iterator_tIbNSD_35transform_pair_of_input_iterators_tIbNS6_6detail15normal_iteratorINS6_10device_ptrIKtEEEESL_NS6_8equal_toItEEEENSG_9not_fun_tINSD_8identityEEEEENSD_19counting_iterator_tIlEES8_S8_S8_S8_S8_S8_S8_S8_EEEEPS9_S9_NSD_9__find_if7functorIS9_EEEE10hipError_tPvRmT1_T2_T3_mT4_P12ihipStream_tbEUlT_E1_NS1_11comp_targetILNS1_3genE2ELNS1_11target_archE906ELNS1_3gpuE6ELNS1_3repE0EEENS1_30default_config_static_selectorELNS0_4arch9wavefront6targetE1EEEvS14_ ; -- Begin function _ZN7rocprim17ROCPRIM_400000_NS6detail17trampoline_kernelINS0_14default_configENS1_22reduce_config_selectorIN6thrust23THRUST_200600_302600_NS5tupleIblNS6_9null_typeES8_S8_S8_S8_S8_S8_S8_EEEEZNS1_11reduce_implILb1ES3_NS6_12zip_iteratorINS7_INS6_11hip_rocprim26transform_input_iterator_tIbNSD_35transform_pair_of_input_iterators_tIbNS6_6detail15normal_iteratorINS6_10device_ptrIKtEEEESL_NS6_8equal_toItEEEENSG_9not_fun_tINSD_8identityEEEEENSD_19counting_iterator_tIlEES8_S8_S8_S8_S8_S8_S8_S8_EEEEPS9_S9_NSD_9__find_if7functorIS9_EEEE10hipError_tPvRmT1_T2_T3_mT4_P12ihipStream_tbEUlT_E1_NS1_11comp_targetILNS1_3genE2ELNS1_11target_archE906ELNS1_3gpuE6ELNS1_3repE0EEENS1_30default_config_static_selectorELNS0_4arch9wavefront6targetE1EEEvS14_
	.globl	_ZN7rocprim17ROCPRIM_400000_NS6detail17trampoline_kernelINS0_14default_configENS1_22reduce_config_selectorIN6thrust23THRUST_200600_302600_NS5tupleIblNS6_9null_typeES8_S8_S8_S8_S8_S8_S8_EEEEZNS1_11reduce_implILb1ES3_NS6_12zip_iteratorINS7_INS6_11hip_rocprim26transform_input_iterator_tIbNSD_35transform_pair_of_input_iterators_tIbNS6_6detail15normal_iteratorINS6_10device_ptrIKtEEEESL_NS6_8equal_toItEEEENSG_9not_fun_tINSD_8identityEEEEENSD_19counting_iterator_tIlEES8_S8_S8_S8_S8_S8_S8_S8_EEEEPS9_S9_NSD_9__find_if7functorIS9_EEEE10hipError_tPvRmT1_T2_T3_mT4_P12ihipStream_tbEUlT_E1_NS1_11comp_targetILNS1_3genE2ELNS1_11target_archE906ELNS1_3gpuE6ELNS1_3repE0EEENS1_30default_config_static_selectorELNS0_4arch9wavefront6targetE1EEEvS14_
	.p2align	8
	.type	_ZN7rocprim17ROCPRIM_400000_NS6detail17trampoline_kernelINS0_14default_configENS1_22reduce_config_selectorIN6thrust23THRUST_200600_302600_NS5tupleIblNS6_9null_typeES8_S8_S8_S8_S8_S8_S8_EEEEZNS1_11reduce_implILb1ES3_NS6_12zip_iteratorINS7_INS6_11hip_rocprim26transform_input_iterator_tIbNSD_35transform_pair_of_input_iterators_tIbNS6_6detail15normal_iteratorINS6_10device_ptrIKtEEEESL_NS6_8equal_toItEEEENSG_9not_fun_tINSD_8identityEEEEENSD_19counting_iterator_tIlEES8_S8_S8_S8_S8_S8_S8_S8_EEEEPS9_S9_NSD_9__find_if7functorIS9_EEEE10hipError_tPvRmT1_T2_T3_mT4_P12ihipStream_tbEUlT_E1_NS1_11comp_targetILNS1_3genE2ELNS1_11target_archE906ELNS1_3gpuE6ELNS1_3repE0EEENS1_30default_config_static_selectorELNS0_4arch9wavefront6targetE1EEEvS14_,@function
_ZN7rocprim17ROCPRIM_400000_NS6detail17trampoline_kernelINS0_14default_configENS1_22reduce_config_selectorIN6thrust23THRUST_200600_302600_NS5tupleIblNS6_9null_typeES8_S8_S8_S8_S8_S8_S8_EEEEZNS1_11reduce_implILb1ES3_NS6_12zip_iteratorINS7_INS6_11hip_rocprim26transform_input_iterator_tIbNSD_35transform_pair_of_input_iterators_tIbNS6_6detail15normal_iteratorINS6_10device_ptrIKtEEEESL_NS6_8equal_toItEEEENSG_9not_fun_tINSD_8identityEEEEENSD_19counting_iterator_tIlEES8_S8_S8_S8_S8_S8_S8_S8_EEEEPS9_S9_NSD_9__find_if7functorIS9_EEEE10hipError_tPvRmT1_T2_T3_mT4_P12ihipStream_tbEUlT_E1_NS1_11comp_targetILNS1_3genE2ELNS1_11target_archE906ELNS1_3gpuE6ELNS1_3repE0EEENS1_30default_config_static_selectorELNS0_4arch9wavefront6targetE1EEEvS14_: ; @_ZN7rocprim17ROCPRIM_400000_NS6detail17trampoline_kernelINS0_14default_configENS1_22reduce_config_selectorIN6thrust23THRUST_200600_302600_NS5tupleIblNS6_9null_typeES8_S8_S8_S8_S8_S8_S8_EEEEZNS1_11reduce_implILb1ES3_NS6_12zip_iteratorINS7_INS6_11hip_rocprim26transform_input_iterator_tIbNSD_35transform_pair_of_input_iterators_tIbNS6_6detail15normal_iteratorINS6_10device_ptrIKtEEEESL_NS6_8equal_toItEEEENSG_9not_fun_tINSD_8identityEEEEENSD_19counting_iterator_tIlEES8_S8_S8_S8_S8_S8_S8_S8_EEEEPS9_S9_NSD_9__find_if7functorIS9_EEEE10hipError_tPvRmT1_T2_T3_mT4_P12ihipStream_tbEUlT_E1_NS1_11comp_targetILNS1_3genE2ELNS1_11target_archE906ELNS1_3gpuE6ELNS1_3repE0EEENS1_30default_config_static_selectorELNS0_4arch9wavefront6targetE1EEEvS14_
; %bb.0:
	s_load_dword s38, s[4:5], 0x4
	s_load_dwordx4 s[24:27], s[4:5], 0x8
	s_load_dwordx4 s[20:23], s[4:5], 0x28
	s_load_dword s33, s[4:5], 0x40
	s_load_dwordx2 s[18:19], s[4:5], 0x48
	s_waitcnt lgkmcnt(0)
	s_cmp_lt_i32 s38, 4
	s_cbranch_scc1 .LBB514_13
; %bb.1:
	s_cmp_gt_i32 s38, 7
	s_cbranch_scc0 .LBB514_14
; %bb.2:
	s_cmp_eq_u32 s38, 8
	s_mov_b64 s[28:29], 0
	s_cbranch_scc0 .LBB514_15
; %bb.3:
	s_mov_b32 s7, 0
	s_lshl_b32 s36, s6, 10
	s_mov_b32 s37, s7
	s_lshr_b64 s[0:1], s[22:23], 10
	s_lshl_b64 s[2:3], s[36:37], 1
	s_add_u32 s30, s24, s2
	s_addc_u32 s31, s25, s3
	s_add_u32 s34, s26, s2
	s_addc_u32 s35, s27, s3
	;; [unrolled: 2-line block ×3, first 2 shown]
	s_cmp_lg_u64 s[0:1], s[6:7]
	s_cbranch_scc0 .LBB514_28
; %bb.4:
	v_lshlrev_b32_e32 v1, 1, v0
	global_load_ushort v2, v1, s[30:31] offset:512
	global_load_ushort v3, v1, s[30:31] offset:1024
	;; [unrolled: 1-line block ×14, first 2 shown]
	global_load_ushort v16, v1, s[30:31]
	s_nop 0
	global_load_ushort v1, v1, s[34:35]
	v_mov_b32_e32 v18, 0x100
	v_mov_b32_e32 v19, 0x80
	;; [unrolled: 1-line block ×7, first 2 shown]
	s_waitcnt vmcnt(13)
	v_cmp_ne_u16_e32 vcc, v2, v4
	v_mbcnt_lo_u32_b32 v4, -1, 0
	s_waitcnt vmcnt(12)
	v_cmp_ne_u16_e64 s[0:1], v3, v5
	v_add_co_u32_e64 v5, s[2:3], s40, v0
	v_mbcnt_hi_u32_b32 v3, -1, v4
	v_addc_co_u32_e64 v17, s[2:3], 0, v17, s[2:3]
	s_waitcnt vmcnt(6)
	v_cmp_ne_u16_e64 s[2:3], v11, v6
	s_waitcnt vmcnt(4)
	v_cmp_ne_u16_e64 s[14:15], v13, v8
	;; [unrolled: 2-line block ×4, first 2 shown]
	v_cndmask_b32_e64 v4, v18, v19, s[10:11]
	s_waitcnt vmcnt(0)
	v_cmp_ne_u16_e64 s[16:17], v16, v1
	s_or_b64 s[10:11], s[16:17], s[10:11]
	s_or_b64 vcc, s[10:11], vcc
	v_cndmask_b32_e64 v6, v20, v21, s[12:13]
	v_cndmask_b32_e64 v1, v4, 0, s[16:17]
	s_or_b64 s[10:11], vcc, s[12:13]
	v_cndmask_b32_e32 v1, v6, v1, vcc
	s_or_b64 vcc, s[10:11], s[0:1]
	v_cmp_ne_u16_e64 s[8:9], v12, v7
	v_cndmask_b32_e64 v7, v22, v23, s[14:15]
	s_or_b64 s[0:1], vcc, s[14:15]
	v_mov_b32_e32 v2, 0x380
	v_cndmask_b32_e32 v1, v7, v1, vcc
	s_or_b64 vcc, s[0:1], s[2:3]
	v_cndmask_b32_e32 v1, v2, v1, vcc
	v_add_co_u32_e64 v1, s[0:1], v5, v1
	v_addc_co_u32_e64 v2, s[0:1], 0, v17, s[0:1]
	s_or_b64 s[0:1], vcc, s[8:9]
	v_mov_b32_dpp v4, v1 quad_perm:[1,0,3,2] row_mask:0xf bank_mask:0xf bound_ctrl:1
	v_mov_b32_dpp v5, v2 quad_perm:[1,0,3,2] row_mask:0xf bank_mask:0xf bound_ctrl:1
	v_cndmask_b32_e64 v6, 0, 1, s[0:1]
	v_cmp_lt_i64_e32 vcc, v[1:2], v[4:5]
	s_and_b64 vcc, s[0:1], vcc
	v_mov_b32_dpp v7, v6 quad_perm:[1,0,3,2] row_mask:0xf bank_mask:0xf bound_ctrl:1
	v_and_b32_e32 v7, 1, v7
	v_cndmask_b32_e32 v4, v4, v1, vcc
	v_cndmask_b32_e32 v5, v5, v2, vcc
	v_cmp_eq_u32_e32 vcc, 1, v7
	v_cndmask_b32_e32 v2, v2, v5, vcc
	v_cndmask_b32_e32 v1, v1, v4, vcc
	v_cndmask_b32_e64 v6, v6, 1, vcc
	v_mov_b32_dpp v5, v2 quad_perm:[2,3,0,1] row_mask:0xf bank_mask:0xf bound_ctrl:1
	v_mov_b32_dpp v4, v1 quad_perm:[2,3,0,1] row_mask:0xf bank_mask:0xf bound_ctrl:1
	v_and_b32_e32 v8, 1, v6
	v_cmp_lt_i64_e64 s[0:1], v[1:2], v[4:5]
	v_mov_b32_dpp v7, v6 quad_perm:[2,3,0,1] row_mask:0xf bank_mask:0xf bound_ctrl:1
	v_cmp_eq_u32_e32 vcc, 1, v8
	v_and_b32_e32 v7, 1, v7
	s_and_b64 vcc, vcc, s[0:1]
	v_cmp_eq_u32_e64 s[2:3], 1, v7
	v_cndmask_b32_e32 v4, v4, v1, vcc
	v_cndmask_b32_e32 v5, v5, v2, vcc
	v_cndmask_b32_e64 v1, v1, v4, s[2:3]
	v_cndmask_b32_e64 v2, v2, v5, s[2:3]
	;; [unrolled: 1-line block ×3, first 2 shown]
	v_mov_b32_dpp v4, v1 row_ror:4 row_mask:0xf bank_mask:0xf bound_ctrl:1
	v_mov_b32_dpp v5, v2 row_ror:4 row_mask:0xf bank_mask:0xf bound_ctrl:1
	v_and_b32_e32 v8, 1, v6
	v_cmp_lt_i64_e64 s[2:3], v[1:2], v[4:5]
	v_mov_b32_dpp v7, v6 row_ror:4 row_mask:0xf bank_mask:0xf bound_ctrl:1
	v_cmp_eq_u32_e32 vcc, 1, v8
	v_and_b32_e32 v7, 1, v7
	s_and_b64 vcc, vcc, s[2:3]
	v_cmp_eq_u32_e64 s[0:1], 1, v7
	v_cndmask_b32_e32 v4, v4, v1, vcc
	v_cndmask_b32_e32 v5, v5, v2, vcc
	v_cndmask_b32_e64 v1, v1, v4, s[0:1]
	v_cndmask_b32_e64 v2, v2, v5, s[0:1]
	;; [unrolled: 1-line block ×3, first 2 shown]
	v_mov_b32_dpp v4, v1 row_ror:8 row_mask:0xf bank_mask:0xf bound_ctrl:1
	v_mov_b32_dpp v5, v2 row_ror:8 row_mask:0xf bank_mask:0xf bound_ctrl:1
	v_and_b32_e32 v8, 1, v6
	v_cmp_lt_i64_e32 vcc, v[1:2], v[4:5]
	v_mov_b32_dpp v7, v6 row_ror:8 row_mask:0xf bank_mask:0xf bound_ctrl:1
	v_cmp_eq_u32_e64 s[8:9], 1, v8
	v_and_b32_e32 v7, 1, v7
	s_and_b64 vcc, s[8:9], vcc
	v_cmp_eq_u32_e64 s[10:11], 1, v7
	v_cndmask_b32_e32 v4, v4, v1, vcc
	v_cndmask_b32_e32 v5, v5, v2, vcc
	v_cndmask_b32_e64 v1, v1, v4, s[10:11]
	v_cndmask_b32_e64 v2, v2, v5, s[10:11]
	v_cndmask_b32_e64 v6, v6, 1, s[10:11]
	v_mov_b32_dpp v4, v1 row_bcast:15 row_mask:0xf bank_mask:0xf bound_ctrl:1
	v_mov_b32_dpp v5, v2 row_bcast:15 row_mask:0xf bank_mask:0xf bound_ctrl:1
	v_and_b32_e32 v8, 1, v6
	v_cmp_lt_i64_e64 s[0:1], v[1:2], v[4:5]
	v_mov_b32_dpp v7, v6 row_bcast:15 row_mask:0xf bank_mask:0xf bound_ctrl:1
	v_cmp_eq_u32_e32 vcc, 1, v8
	v_and_b32_e32 v7, 1, v7
	s_and_b64 vcc, vcc, s[0:1]
	v_cmp_eq_u32_e64 s[2:3], 1, v7
	v_cndmask_b32_e32 v4, v4, v1, vcc
	v_cndmask_b32_e32 v5, v5, v2, vcc
	v_cndmask_b32_e64 v2, v2, v5, s[2:3]
	v_cndmask_b32_e64 v1, v1, v4, s[2:3]
	;; [unrolled: 1-line block ×3, first 2 shown]
	v_mov_b32_dpp v5, v2 row_bcast:31 row_mask:0xf bank_mask:0xf bound_ctrl:1
	v_mov_b32_dpp v4, v1 row_bcast:31 row_mask:0xf bank_mask:0xf bound_ctrl:1
	v_and_b32_e32 v8, 1, v6
	v_cmp_lt_i64_e64 s[0:1], v[1:2], v[4:5]
	v_mov_b32_dpp v7, v6 row_bcast:31 row_mask:0xf bank_mask:0xf bound_ctrl:1
	v_cmp_eq_u32_e32 vcc, 1, v8
	v_and_b32_e32 v7, 1, v7
	s_and_b64 vcc, vcc, s[0:1]
	v_cmp_eq_u32_e64 s[2:3], 1, v7
	v_cndmask_b32_e32 v5, v5, v2, vcc
	v_cndmask_b32_e32 v4, v4, v1, vcc
	v_cndmask_b32_e64 v2, v2, v5, s[2:3]
	v_lshlrev_b32_e32 v5, 2, v3
	v_cndmask_b32_e64 v6, v6, 1, s[2:3]
	v_cndmask_b32_e64 v1, v1, v4, s[2:3]
	v_or_b32_e32 v4, 0xfc, v5
	ds_bpermute_b32 v17, v4, v6
	ds_bpermute_b32 v1, v4, v1
	;; [unrolled: 1-line block ×3, first 2 shown]
	v_cmp_eq_u32_e32 vcc, 0, v3
	s_and_saveexec_b64 s[0:1], vcc
	s_cbranch_execz .LBB514_6
; %bb.5:
	v_lshrrev_b32_e32 v4, 2, v0
	v_and_b32_e32 v4, 16, v4
	s_waitcnt lgkmcnt(2)
	ds_write_b8 v4, v17 offset:96
	s_waitcnt lgkmcnt(1)
	ds_write_b64 v4, v[1:2] offset:104
.LBB514_6:
	s_or_b64 exec, exec, s[0:1]
	v_cmp_gt_u32_e32 vcc, 64, v0
	s_waitcnt lgkmcnt(0)
	s_barrier
	s_and_saveexec_b64 s[0:1], vcc
	s_cbranch_execz .LBB514_12
; %bb.7:
	v_and_b32_e32 v1, 1, v3
	v_lshlrev_b32_e32 v1, 4, v1
	ds_read_u8 v7, v1 offset:96
	ds_read_b64 v[3:4], v1 offset:104
	v_or_b32_e32 v2, 4, v5
	s_waitcnt lgkmcnt(1)
	v_and_b32_e32 v1, 0xff, v7
	ds_bpermute_b32 v8, v2, v1
	s_waitcnt lgkmcnt(1)
	ds_bpermute_b32 v5, v2, v3
	ds_bpermute_b32 v6, v2, v4
	s_waitcnt lgkmcnt(2)
	v_and_b32_e32 v1, v7, v8
	v_and_b32_e32 v1, 1, v1
	v_cmp_eq_u32_e32 vcc, 1, v1
                                        ; implicit-def: $vgpr1_vgpr2
	s_and_saveexec_b64 s[2:3], vcc
	s_xor_b64 s[2:3], exec, s[2:3]
	s_cbranch_execz .LBB514_9
; %bb.8:
	s_waitcnt lgkmcnt(0)
	v_cmp_lt_i64_e32 vcc, v[5:6], v[3:4]
                                        ; implicit-def: $vgpr7
                                        ; implicit-def: $vgpr8
	v_cndmask_b32_e32 v2, v4, v6, vcc
	v_cndmask_b32_e32 v1, v3, v5, vcc
                                        ; implicit-def: $vgpr5_vgpr6
                                        ; implicit-def: $vgpr3_vgpr4
.LBB514_9:
	s_or_saveexec_b64 s[2:3], s[2:3]
	v_mov_b32_e32 v17, 1
	s_xor_b64 exec, exec, s[2:3]
	s_cbranch_execz .LBB514_11
; %bb.10:
	v_and_b32_e32 v1, 1, v7
	v_cmp_eq_u32_e32 vcc, 1, v1
	s_waitcnt lgkmcnt(0)
	v_cndmask_b32_e32 v2, v6, v4, vcc
	v_cndmask_b32_e32 v1, v5, v3, vcc
	v_cndmask_b32_e64 v17, v8, 1, vcc
.LBB514_11:
	s_or_b64 exec, exec, s[2:3]
.LBB514_12:
	s_or_b64 exec, exec, s[0:1]
	s_branch .LBB514_145
.LBB514_13:
	s_mov_b64 s[14:15], 0
                                        ; implicit-def: $vgpr3_vgpr4
                                        ; implicit-def: $vgpr5
                                        ; implicit-def: $vgpr1_vgpr2
	s_cbranch_execnz .LBB514_219
	s_branch .LBB514_306
.LBB514_14:
	s_mov_b64 s[28:29], -1
.LBB514_15:
	s_mov_b64 s[14:15], 0
                                        ; implicit-def: $vgpr3_vgpr4
                                        ; implicit-def: $vgpr5
                                        ; implicit-def: $vgpr1_vgpr2
	s_and_b64 vcc, exec, s[28:29]
	s_cbranch_vccz .LBB514_150
.LBB514_16:
	s_cmp_eq_u32 s38, 4
	s_cbranch_scc0 .LBB514_27
; %bb.17:
	s_mov_b32 s7, 0
	s_lshl_b32 s30, s6, 9
	s_mov_b32 s31, s7
	s_lshr_b64 s[0:1], s[22:23], 9
	s_lshl_b64 s[2:3], s[30:31], 1
	s_add_u32 s16, s24, s2
	s_addc_u32 s17, s25, s3
	s_add_u32 s28, s26, s2
	s_addc_u32 s29, s27, s3
	;; [unrolled: 2-line block ×3, first 2 shown]
	s_cmp_lg_u64 s[0:1], s[6:7]
	s_cbranch_scc0 .LBB514_51
; %bb.18:
	v_lshlrev_b32_e32 v1, 1, v0
	global_load_ushort v2, v1, s[28:29] offset:256
	s_waitcnt lgkmcnt(0)
	global_load_ushort v4, v1, s[16:17] offset:512
	global_load_ushort v6, v1, s[28:29] offset:512
	;; [unrolled: 1-line block ×5, first 2 shown]
	global_load_ushort v10, v1, s[28:29]
	global_load_ushort v11, v1, s[16:17]
	v_mov_b32_e32 v1, s34
	v_add_co_u32_e32 v15, vcc, s31, v0
	v_mov_b32_e32 v12, 0x100
	v_mov_b32_e32 v13, 0x80
	v_addc_co_u32_e32 v16, vcc, 0, v1, vcc
	v_mov_b32_e32 v14, 0x180
	v_mbcnt_lo_u32_b32 v3, -1, 0
	v_mbcnt_hi_u32_b32 v3, -1, v3
	v_lshlrev_b32_e32 v5, 2, v3
	v_or_b32_e32 v17, 0xfc, v5
	s_waitcnt vmcnt(5)
	v_cmp_ne_u16_e32 vcc, v4, v6
	s_waitcnt vmcnt(3)
	v_cmp_ne_u16_e64 s[0:1], v8, v7
	s_waitcnt vmcnt(2)
	v_cmp_ne_u16_e64 s[2:3], v9, v2
	v_cndmask_b32_e64 v1, v12, v13, s[2:3]
	s_waitcnt vmcnt(0)
	v_cmp_ne_u16_e64 s[8:9], v11, v10
	s_or_b64 s[2:3], s[8:9], s[2:3]
	v_cndmask_b32_e64 v1, v1, 0, s[8:9]
	s_or_b64 vcc, s[2:3], vcc
	v_cndmask_b32_e32 v1, v14, v1, vcc
	v_add_co_u32_e64 v1, s[2:3], v15, v1
	v_addc_co_u32_e64 v2, s[2:3], 0, v16, s[2:3]
	s_or_b64 s[0:1], vcc, s[0:1]
	v_mov_b32_dpp v6, v1 quad_perm:[1,0,3,2] row_mask:0xf bank_mask:0xf bound_ctrl:1
	v_mov_b32_dpp v7, v2 quad_perm:[1,0,3,2] row_mask:0xf bank_mask:0xf bound_ctrl:1
	v_cndmask_b32_e64 v4, 0, 1, s[0:1]
	v_cmp_lt_i64_e32 vcc, v[1:2], v[6:7]
	s_and_b64 vcc, s[0:1], vcc
	v_mov_b32_dpp v8, v4 quad_perm:[1,0,3,2] row_mask:0xf bank_mask:0xf bound_ctrl:1
	v_and_b32_e32 v8, 1, v8
	v_cndmask_b32_e32 v6, v6, v1, vcc
	v_cndmask_b32_e32 v7, v7, v2, vcc
	v_cmp_eq_u32_e32 vcc, 1, v8
	v_cndmask_b32_e32 v2, v2, v7, vcc
	v_cndmask_b32_e32 v1, v1, v6, vcc
	v_cndmask_b32_e64 v4, v4, 1, vcc
	v_mov_b32_dpp v7, v2 quad_perm:[2,3,0,1] row_mask:0xf bank_mask:0xf bound_ctrl:1
	v_mov_b32_dpp v6, v1 quad_perm:[2,3,0,1] row_mask:0xf bank_mask:0xf bound_ctrl:1
	v_and_b32_e32 v9, 1, v4
	v_cmp_lt_i64_e64 s[0:1], v[1:2], v[6:7]
	v_mov_b32_dpp v8, v4 quad_perm:[2,3,0,1] row_mask:0xf bank_mask:0xf bound_ctrl:1
	v_cmp_eq_u32_e32 vcc, 1, v9
	v_and_b32_e32 v8, 1, v8
	s_and_b64 vcc, vcc, s[0:1]
	v_cmp_eq_u32_e64 s[2:3], 1, v8
	v_cndmask_b32_e32 v6, v6, v1, vcc
	v_cndmask_b32_e32 v7, v7, v2, vcc
	v_cndmask_b32_e64 v1, v1, v6, s[2:3]
	v_cndmask_b32_e64 v2, v2, v7, s[2:3]
	;; [unrolled: 1-line block ×3, first 2 shown]
	v_mov_b32_dpp v6, v1 row_ror:4 row_mask:0xf bank_mask:0xf bound_ctrl:1
	v_mov_b32_dpp v7, v2 row_ror:4 row_mask:0xf bank_mask:0xf bound_ctrl:1
	v_and_b32_e32 v9, 1, v4
	v_cmp_lt_i64_e64 s[2:3], v[1:2], v[6:7]
	v_mov_b32_dpp v8, v4 row_ror:4 row_mask:0xf bank_mask:0xf bound_ctrl:1
	v_cmp_eq_u32_e32 vcc, 1, v9
	v_and_b32_e32 v8, 1, v8
	s_and_b64 vcc, vcc, s[2:3]
	v_cmp_eq_u32_e64 s[0:1], 1, v8
	v_cndmask_b32_e32 v6, v6, v1, vcc
	v_cndmask_b32_e32 v7, v7, v2, vcc
	v_cndmask_b32_e64 v1, v1, v6, s[0:1]
	v_cndmask_b32_e64 v2, v2, v7, s[0:1]
	;; [unrolled: 1-line block ×3, first 2 shown]
	v_mov_b32_dpp v6, v1 row_ror:8 row_mask:0xf bank_mask:0xf bound_ctrl:1
	v_mov_b32_dpp v7, v2 row_ror:8 row_mask:0xf bank_mask:0xf bound_ctrl:1
	v_and_b32_e32 v9, 1, v4
	v_cmp_lt_i64_e64 s[2:3], v[1:2], v[6:7]
	v_mov_b32_dpp v8, v4 row_ror:8 row_mask:0xf bank_mask:0xf bound_ctrl:1
	v_cmp_eq_u32_e64 s[8:9], 1, v9
	v_and_b32_e32 v8, 1, v8
	s_and_b64 s[2:3], s[8:9], s[2:3]
	v_cmp_eq_u32_e64 s[10:11], 1, v8
	v_cndmask_b32_e64 v6, v6, v1, s[2:3]
	v_cndmask_b32_e64 v7, v7, v2, s[2:3]
	;; [unrolled: 1-line block ×5, first 2 shown]
	v_mov_b32_dpp v6, v1 row_bcast:15 row_mask:0xf bank_mask:0xf bound_ctrl:1
	v_mov_b32_dpp v7, v2 row_bcast:15 row_mask:0xf bank_mask:0xf bound_ctrl:1
	v_and_b32_e32 v9, 1, v4
	v_cmp_lt_i64_e64 s[2:3], v[1:2], v[6:7]
	v_mov_b32_dpp v8, v4 row_bcast:15 row_mask:0xf bank_mask:0xf bound_ctrl:1
	v_cmp_eq_u32_e32 vcc, 1, v9
	v_and_b32_e32 v8, 1, v8
	s_and_b64 vcc, vcc, s[2:3]
	v_cmp_eq_u32_e64 s[0:1], 1, v8
	v_cndmask_b32_e32 v6, v6, v1, vcc
	v_cndmask_b32_e32 v7, v7, v2, vcc
	v_cndmask_b32_e64 v4, v4, 1, s[0:1]
	v_cndmask_b32_e64 v1, v1, v6, s[0:1]
	;; [unrolled: 1-line block ×3, first 2 shown]
	v_mov_b32_dpp v8, v4 row_bcast:31 row_mask:0xf bank_mask:0xf bound_ctrl:1
	v_mov_b32_dpp v6, v1 row_bcast:31 row_mask:0xf bank_mask:0xf bound_ctrl:1
	;; [unrolled: 1-line block ×3, first 2 shown]
	v_and_b32_e32 v9, 1, v4
	v_and_b32_e32 v8, 1, v8
	v_cmp_lt_i64_e32 vcc, v[1:2], v[6:7]
	v_cmp_eq_u32_e64 s[12:13], 1, v9
	v_cmp_eq_u32_e64 s[8:9], 1, v8
	v_cndmask_b32_e64 v4, v4, 1, s[8:9]
	s_and_b64 vcc, s[12:13], vcc
	ds_bpermute_b32 v9, v17, v4
	v_cndmask_b32_e32 v4, v6, v1, vcc
	v_cndmask_b32_e32 v6, v7, v2, vcc
	v_cndmask_b32_e64 v1, v1, v4, s[8:9]
	v_cndmask_b32_e64 v2, v2, v6, s[8:9]
	ds_bpermute_b32 v1, v17, v1
	ds_bpermute_b32 v2, v17, v2
	v_cmp_eq_u32_e32 vcc, 0, v3
	s_and_saveexec_b64 s[0:1], vcc
	s_cbranch_execz .LBB514_20
; %bb.19:
	v_lshrrev_b32_e32 v4, 2, v0
	v_and_b32_e32 v4, 16, v4
	s_waitcnt lgkmcnt(2)
	ds_write_b8 v4, v9 offset:64
	s_waitcnt lgkmcnt(1)
	ds_write_b64 v4, v[1:2] offset:72
.LBB514_20:
	s_or_b64 exec, exec, s[0:1]
	v_cmp_gt_u32_e32 vcc, 64, v0
	s_waitcnt lgkmcnt(0)
	s_barrier
	s_and_saveexec_b64 s[0:1], vcc
	s_cbranch_execz .LBB514_26
; %bb.21:
	v_and_b32_e32 v1, 1, v3
	v_lshlrev_b32_e32 v1, 4, v1
	ds_read_u8 v7, v1 offset:64
	ds_read_b64 v[3:4], v1 offset:72
	v_or_b32_e32 v2, 4, v5
	s_waitcnt lgkmcnt(1)
	v_and_b32_e32 v1, 0xff, v7
	ds_bpermute_b32 v8, v2, v1
	s_waitcnt lgkmcnt(1)
	ds_bpermute_b32 v5, v2, v3
	ds_bpermute_b32 v6, v2, v4
	s_waitcnt lgkmcnt(2)
	v_and_b32_e32 v1, v7, v8
	v_and_b32_e32 v1, 1, v1
	v_cmp_eq_u32_e32 vcc, 1, v1
                                        ; implicit-def: $vgpr1_vgpr2
	s_and_saveexec_b64 s[2:3], vcc
	s_xor_b64 s[2:3], exec, s[2:3]
	s_cbranch_execz .LBB514_23
; %bb.22:
	s_waitcnt lgkmcnt(0)
	v_cmp_lt_i64_e32 vcc, v[5:6], v[3:4]
                                        ; implicit-def: $vgpr7
                                        ; implicit-def: $vgpr8
	v_cndmask_b32_e32 v2, v4, v6, vcc
	v_cndmask_b32_e32 v1, v3, v5, vcc
                                        ; implicit-def: $vgpr5_vgpr6
                                        ; implicit-def: $vgpr3_vgpr4
.LBB514_23:
	s_or_saveexec_b64 s[2:3], s[2:3]
	v_mov_b32_e32 v9, 1
	s_xor_b64 exec, exec, s[2:3]
	s_cbranch_execz .LBB514_25
; %bb.24:
	v_and_b32_e32 v1, 1, v7
	v_cmp_eq_u32_e32 vcc, 1, v1
	s_waitcnt lgkmcnt(0)
	v_cndmask_b32_e32 v2, v6, v4, vcc
	v_cndmask_b32_e32 v1, v5, v3, vcc
	v_cndmask_b32_e64 v9, v8, 1, vcc
.LBB514_25:
	s_or_b64 exec, exec, s[2:3]
.LBB514_26:
	s_or_b64 exec, exec, s[0:1]
	s_branch .LBB514_214
.LBB514_27:
                                        ; implicit-def: $vgpr3_vgpr4
                                        ; implicit-def: $vgpr5
                                        ; implicit-def: $vgpr1_vgpr2
	s_branch .LBB514_306
.LBB514_28:
                                        ; implicit-def: $vgpr1_vgpr2
                                        ; implicit-def: $vgpr17
	s_cbranch_execz .LBB514_145
; %bb.29:
	s_sub_i32 s39, s22, s36
	v_mov_b32_e32 v15, 0
	v_mov_b32_e32 v1, 0
	v_cmp_gt_u32_e32 vcc, s39, v0
	v_mov_b32_e32 v24, 0
	v_mov_b32_e32 v16, 0
	;; [unrolled: 1-line block ×4, first 2 shown]
	s_and_saveexec_b64 s[0:1], vcc
	s_cbranch_execz .LBB514_31
; %bb.30:
	v_lshlrev_b32_e32 v1, 1, v0
	global_load_ushort v3, v1, s[30:31]
	global_load_ushort v4, v1, s[34:35]
	v_mov_b32_e32 v2, s41
	v_add_co_u32_e32 v1, vcc, s40, v0
	v_addc_co_u32_e32 v2, vcc, 0, v2, vcc
	s_waitcnt vmcnt(0)
	v_cmp_ne_u16_e32 vcc, v3, v4
	v_cndmask_b32_e64 v17, 0, 1, vcc
.LBB514_31:
	s_or_b64 exec, exec, s[0:1]
	v_or_b32_e32 v3, 0x80, v0
	v_cmp_gt_u32_e64 s[14:15], s39, v3
	s_and_saveexec_b64 s[0:1], s[14:15]
	s_cbranch_execz .LBB514_33
; %bb.32:
	v_lshlrev_b32_e32 v4, 1, v0
	s_waitcnt lgkmcnt(1)
	global_load_ushort v5, v4, s[30:31] offset:256
	s_waitcnt lgkmcnt(0)
	global_load_ushort v6, v4, s[34:35] offset:256
	v_mov_b32_e32 v4, s41
	v_add_co_u32_e32 v15, vcc, s40, v3
	v_addc_co_u32_e32 v16, vcc, 0, v4, vcc
	s_waitcnt vmcnt(0)
	v_cmp_ne_u16_e32 vcc, v5, v6
	v_cndmask_b32_e64 v24, 0, 1, vcc
.LBB514_33:
	s_or_b64 exec, exec, s[0:1]
	v_or_b32_e32 v3, 0x100, v0
	v_mov_b32_e32 v11, 0
	v_mov_b32_e32 v13, 0
	v_cmp_gt_u32_e64 s[12:13], s39, v3
	v_mov_b32_e32 v22, 0
	v_mov_b32_e32 v12, 0
	;; [unrolled: 1-line block ×4, first 2 shown]
	s_and_saveexec_b64 s[0:1], s[12:13]
	s_cbranch_execz .LBB514_35
; %bb.34:
	v_lshlrev_b32_e32 v4, 1, v0
	s_waitcnt lgkmcnt(1)
	global_load_ushort v5, v4, s[30:31] offset:512
	s_waitcnt lgkmcnt(0)
	global_load_ushort v6, v4, s[34:35] offset:512
	v_mov_b32_e32 v4, s41
	v_add_co_u32_e32 v13, vcc, s40, v3
	v_addc_co_u32_e32 v14, vcc, 0, v4, vcc
	s_waitcnt vmcnt(0)
	v_cmp_ne_u16_e32 vcc, v5, v6
	v_cndmask_b32_e64 v23, 0, 1, vcc
.LBB514_35:
	s_or_b64 exec, exec, s[0:1]
	v_or_b32_e32 v3, 0x180, v0
	v_cmp_gt_u32_e64 s[10:11], s39, v3
	s_and_saveexec_b64 s[0:1], s[10:11]
	s_cbranch_execz .LBB514_37
; %bb.36:
	v_lshlrev_b32_e32 v4, 1, v0
	s_waitcnt lgkmcnt(1)
	global_load_ushort v5, v4, s[30:31] offset:768
	s_waitcnt lgkmcnt(0)
	global_load_ushort v6, v4, s[34:35] offset:768
	v_mov_b32_e32 v4, s41
	v_add_co_u32_e32 v11, vcc, s40, v3
	v_addc_co_u32_e32 v12, vcc, 0, v4, vcc
	s_waitcnt vmcnt(0)
	v_cmp_ne_u16_e32 vcc, v5, v6
	v_cndmask_b32_e64 v22, 0, 1, vcc
.LBB514_37:
	s_or_b64 exec, exec, s[0:1]
	v_or_b32_e32 v3, 0x200, v0
	v_mov_b32_e32 v7, 0
	v_mov_b32_e32 v9, 0
	v_cmp_gt_u32_e64 s[8:9], s39, v3
	v_mov_b32_e32 v20, 0
	v_mov_b32_e32 v8, 0
	v_mov_b32_e32 v10, 0
	v_mov_b32_e32 v21, 0
	s_and_saveexec_b64 s[0:1], s[8:9]
	s_cbranch_execz .LBB514_39
; %bb.38:
	v_lshlrev_b32_e32 v4, 1, v0
	s_waitcnt lgkmcnt(1)
	global_load_ushort v5, v4, s[30:31] offset:1024
	s_waitcnt lgkmcnt(0)
	global_load_ushort v6, v4, s[34:35] offset:1024
	v_mov_b32_e32 v4, s41
	v_add_co_u32_e32 v9, vcc, s40, v3
	v_addc_co_u32_e32 v10, vcc, 0, v4, vcc
	s_waitcnt vmcnt(0)
	v_cmp_ne_u16_e32 vcc, v5, v6
	v_cndmask_b32_e64 v21, 0, 1, vcc
.LBB514_39:
	s_or_b64 exec, exec, s[0:1]
	v_or_b32_e32 v3, 0x280, v0
	v_cmp_gt_u32_e64 s[2:3], s39, v3
	s_and_saveexec_b64 s[0:1], s[2:3]
	s_cbranch_execz .LBB514_41
; %bb.40:
	v_lshlrev_b32_e32 v4, 1, v0
	s_waitcnt lgkmcnt(1)
	global_load_ushort v5, v4, s[30:31] offset:1280
	s_waitcnt lgkmcnt(0)
	global_load_ushort v6, v4, s[34:35] offset:1280
	v_mov_b32_e32 v4, s41
	v_add_co_u32_e32 v7, vcc, s40, v3
	v_addc_co_u32_e32 v8, vcc, 0, v4, vcc
	s_waitcnt vmcnt(0)
	v_cmp_ne_u16_e32 vcc, v5, v6
	v_cndmask_b32_e64 v20, 0, 1, vcc
.LBB514_41:
	s_or_b64 exec, exec, s[0:1]
	v_or_b32_e32 v25, 0x300, v0
	v_mov_b32_e32 v3, 0
	s_waitcnt lgkmcnt(0)
	v_mov_b32_e32 v5, 0
	v_cmp_gt_u32_e64 s[0:1], s39, v25
	v_mov_b32_e32 v4, 0
	v_mov_b32_e32 v18, 0
	v_mov_b32_e32 v6, 0
	v_mov_b32_e32 v19, 0
	s_and_saveexec_b64 s[16:17], s[0:1]
	s_cbranch_execz .LBB514_43
; %bb.42:
	v_lshlrev_b32_e32 v5, 1, v0
	global_load_ushort v19, v5, s[30:31] offset:1536
	global_load_ushort v26, v5, s[34:35] offset:1536
	v_mov_b32_e32 v6, s41
	v_add_co_u32_e32 v5, vcc, s40, v25
	v_addc_co_u32_e32 v6, vcc, 0, v6, vcc
	s_waitcnt vmcnt(0)
	v_cmp_ne_u16_e32 vcc, v19, v26
	v_cndmask_b32_e64 v19, 0, 1, vcc
.LBB514_43:
	s_or_b64 exec, exec, s[16:17]
	v_or_b32_e32 v25, 0x380, v0
	v_cmp_gt_u32_e32 vcc, s39, v25
	s_and_saveexec_b64 s[36:37], vcc
	s_cbranch_execnz .LBB514_62
; %bb.44:
	s_or_b64 exec, exec, s[36:37]
	s_and_saveexec_b64 s[30:31], s[14:15]
	s_cbranch_execnz .LBB514_63
.LBB514_45:
	s_or_b64 exec, exec, s[30:31]
	s_and_saveexec_b64 s[16:17], s[12:13]
	s_cbranch_execnz .LBB514_68
.LBB514_46:
	s_or_b64 exec, exec, s[16:17]
	s_and_saveexec_b64 s[14:15], s[10:11]
	s_cbranch_execnz .LBB514_73
.LBB514_47:
	s_or_b64 exec, exec, s[14:15]
	s_and_saveexec_b64 s[12:13], s[8:9]
	s_cbranch_execnz .LBB514_78
.LBB514_48:
	s_or_b64 exec, exec, s[12:13]
	s_and_saveexec_b64 s[10:11], s[2:3]
	s_cbranch_execnz .LBB514_83
.LBB514_49:
	s_or_b64 exec, exec, s[10:11]
	s_and_saveexec_b64 s[8:9], s[0:1]
	s_cbranch_execnz .LBB514_88
.LBB514_50:
	s_or_b64 exec, exec, s[8:9]
	s_and_saveexec_b64 s[2:3], vcc
	s_cbranch_execnz .LBB514_93
	s_branch .LBB514_98
.LBB514_51:
                                        ; implicit-def: $vgpr1_vgpr2
                                        ; implicit-def: $vgpr9
	s_cbranch_execz .LBB514_214
; %bb.52:
	s_sub_i32 s12, s22, s30
	s_waitcnt lgkmcnt(1)
	v_mov_b32_e32 v7, 0
	v_mov_b32_e32 v1, 0
	v_cmp_gt_u32_e32 vcc, s12, v0
	v_mov_b32_e32 v12, 0
	v_mov_b32_e32 v8, 0
	;; [unrolled: 1-line block ×4, first 2 shown]
	s_and_saveexec_b64 s[0:1], vcc
	s_cbranch_execz .LBB514_54
; %bb.53:
	v_lshlrev_b32_e32 v1, 1, v0
	global_load_ushort v3, v1, s[16:17]
	s_waitcnt lgkmcnt(0)
	global_load_ushort v4, v1, s[28:29]
	v_mov_b32_e32 v2, s34
	v_add_co_u32_e32 v1, vcc, s31, v0
	v_addc_co_u32_e32 v2, vcc, 0, v2, vcc
	s_waitcnt vmcnt(0)
	v_cmp_ne_u16_e32 vcc, v3, v4
	v_cndmask_b32_e64 v9, 0, 1, vcc
.LBB514_54:
	s_or_b64 exec, exec, s[0:1]
	v_or_b32_e32 v3, 0x80, v0
	v_cmp_gt_u32_e64 s[2:3], s12, v3
	s_and_saveexec_b64 s[0:1], s[2:3]
	s_cbranch_execz .LBB514_56
; %bb.55:
	s_waitcnt lgkmcnt(0)
	v_lshlrev_b32_e32 v4, 1, v0
	global_load_ushort v5, v4, s[16:17] offset:256
	global_load_ushort v6, v4, s[28:29] offset:256
	v_mov_b32_e32 v4, s34
	v_add_co_u32_e32 v7, vcc, s31, v3
	v_addc_co_u32_e32 v8, vcc, 0, v4, vcc
	s_waitcnt vmcnt(0)
	v_cmp_ne_u16_e32 vcc, v5, v6
	v_cndmask_b32_e64 v12, 0, 1, vcc
.LBB514_56:
	s_or_b64 exec, exec, s[0:1]
	v_or_b32_e32 v13, 0x100, v0
	s_waitcnt lgkmcnt(0)
	v_mov_b32_e32 v3, 0
	v_mov_b32_e32 v5, 0
	v_cmp_gt_u32_e64 s[0:1], s12, v13
	v_mov_b32_e32 v10, 0
	v_mov_b32_e32 v4, 0
	;; [unrolled: 1-line block ×4, first 2 shown]
	s_and_saveexec_b64 s[8:9], s[0:1]
	s_cbranch_execz .LBB514_58
; %bb.57:
	v_lshlrev_b32_e32 v5, 1, v0
	global_load_ushort v11, v5, s[16:17] offset:512
	global_load_ushort v14, v5, s[28:29] offset:512
	v_mov_b32_e32 v6, s34
	v_add_co_u32_e32 v5, vcc, s31, v13
	v_addc_co_u32_e32 v6, vcc, 0, v6, vcc
	s_waitcnt vmcnt(0)
	v_cmp_ne_u16_e32 vcc, v11, v14
	v_cndmask_b32_e64 v11, 0, 1, vcc
.LBB514_58:
	s_or_b64 exec, exec, s[8:9]
	v_or_b32_e32 v13, 0x180, v0
	v_cmp_gt_u32_e32 vcc, s12, v13
	s_and_saveexec_b64 s[10:11], vcc
	s_cbranch_execnz .LBB514_151
; %bb.59:
	s_or_b64 exec, exec, s[10:11]
	s_and_saveexec_b64 s[10:11], s[2:3]
	s_cbranch_execnz .LBB514_152
.LBB514_60:
	s_or_b64 exec, exec, s[10:11]
	s_and_saveexec_b64 s[8:9], s[0:1]
	s_cbranch_execnz .LBB514_157
.LBB514_61:
	s_or_b64 exec, exec, s[8:9]
	s_and_saveexec_b64 s[2:3], vcc
	s_cbranch_execnz .LBB514_162
	s_branch .LBB514_167
.LBB514_62:
	v_lshlrev_b32_e32 v3, 1, v0
	global_load_ushort v18, v3, s[30:31] offset:1792
	global_load_ushort v26, v3, s[34:35] offset:1792
	v_mov_b32_e32 v4, s41
	v_add_co_u32_e64 v3, s[16:17], s40, v25
	v_addc_co_u32_e64 v4, s[16:17], 0, v4, s[16:17]
	s_waitcnt vmcnt(0)
	v_cmp_ne_u16_e64 s[16:17], v18, v26
	v_cndmask_b32_e64 v18, 0, 1, s[16:17]
	s_or_b64 exec, exec, s[36:37]
	s_and_saveexec_b64 s[30:31], s[14:15]
	s_cbranch_execz .LBB514_45
.LBB514_63:
	v_and_b32_e32 v17, 1, v17
	v_cmp_eq_u32_e64 s[14:15], 1, v17
	v_and_b32_e32 v17, 1, v24
	v_cmp_eq_u32_e64 s[16:17], 1, v17
	s_and_b64 s[16:17], s[14:15], s[16:17]
	s_xor_b64 s[16:17], s[16:17], -1
                                        ; implicit-def: $vgpr17
	s_and_saveexec_b64 s[34:35], s[16:17]
	s_xor_b64 s[16:17], exec, s[34:35]
; %bb.64:
	v_and_b32_e32 v17, 0xffff, v24
	v_cndmask_b32_e64 v17, v17, 1, s[14:15]
	v_cndmask_b32_e64 v2, v16, v2, s[14:15]
	;; [unrolled: 1-line block ×3, first 2 shown]
                                        ; implicit-def: $vgpr15_vgpr16
; %bb.65:
	s_andn2_saveexec_b64 s[16:17], s[16:17]
; %bb.66:
	v_cmp_lt_i64_e64 s[14:15], v[15:16], v[1:2]
	v_mov_b32_e32 v17, 1
	v_cndmask_b32_e64 v2, v2, v16, s[14:15]
	v_cndmask_b32_e64 v1, v1, v15, s[14:15]
; %bb.67:
	s_or_b64 exec, exec, s[16:17]
	s_or_b64 exec, exec, s[30:31]
	s_and_saveexec_b64 s[16:17], s[12:13]
	s_cbranch_execz .LBB514_46
.LBB514_68:
	v_and_b32_e32 v15, 1, v17
	v_cmp_eq_u32_e64 s[12:13], 1, v15
	v_and_b32_e32 v15, 1, v23
	v_cmp_eq_u32_e64 s[14:15], 1, v15
	s_and_b64 s[14:15], s[12:13], s[14:15]
	s_xor_b64 s[14:15], s[14:15], -1
                                        ; implicit-def: $vgpr17
	s_and_saveexec_b64 s[30:31], s[14:15]
	s_xor_b64 s[14:15], exec, s[30:31]
; %bb.69:
	v_and_b32_e32 v15, 0xffff, v23
	v_cndmask_b32_e64 v17, v15, 1, s[12:13]
	v_cndmask_b32_e64 v2, v14, v2, s[12:13]
	;; [unrolled: 1-line block ×3, first 2 shown]
                                        ; implicit-def: $vgpr13_vgpr14
; %bb.70:
	s_andn2_saveexec_b64 s[14:15], s[14:15]
; %bb.71:
	v_cmp_lt_i64_e64 s[12:13], v[13:14], v[1:2]
	v_mov_b32_e32 v17, 1
	v_cndmask_b32_e64 v2, v2, v14, s[12:13]
	v_cndmask_b32_e64 v1, v1, v13, s[12:13]
; %bb.72:
	s_or_b64 exec, exec, s[14:15]
	s_or_b64 exec, exec, s[16:17]
	s_and_saveexec_b64 s[14:15], s[10:11]
	s_cbranch_execz .LBB514_47
.LBB514_73:
	v_and_b32_e32 v13, 1, v17
	v_cmp_eq_u32_e64 s[10:11], 1, v13
	v_and_b32_e32 v13, 1, v22
	v_cmp_eq_u32_e64 s[12:13], 1, v13
	s_and_b64 s[12:13], s[10:11], s[12:13]
	s_xor_b64 s[12:13], s[12:13], -1
                                        ; implicit-def: $vgpr17
	s_and_saveexec_b64 s[16:17], s[12:13]
	s_xor_b64 s[12:13], exec, s[16:17]
; %bb.74:
	v_and_b32_e32 v13, 0xffff, v22
	v_cndmask_b32_e64 v17, v13, 1, s[10:11]
	v_cndmask_b32_e64 v2, v12, v2, s[10:11]
	v_cndmask_b32_e64 v1, v11, v1, s[10:11]
                                        ; implicit-def: $vgpr11_vgpr12
; %bb.75:
	s_andn2_saveexec_b64 s[12:13], s[12:13]
; %bb.76:
	v_cmp_lt_i64_e64 s[10:11], v[11:12], v[1:2]
	v_mov_b32_e32 v17, 1
	v_cndmask_b32_e64 v2, v2, v12, s[10:11]
	v_cndmask_b32_e64 v1, v1, v11, s[10:11]
; %bb.77:
	s_or_b64 exec, exec, s[12:13]
	s_or_b64 exec, exec, s[14:15]
	s_and_saveexec_b64 s[12:13], s[8:9]
	s_cbranch_execz .LBB514_48
.LBB514_78:
	v_and_b32_e32 v11, 1, v17
	v_cmp_eq_u32_e64 s[8:9], 1, v11
	v_and_b32_e32 v11, 1, v21
	v_cmp_eq_u32_e64 s[10:11], 1, v11
	s_and_b64 s[10:11], s[8:9], s[10:11]
	s_xor_b64 s[10:11], s[10:11], -1
                                        ; implicit-def: $vgpr17
	s_and_saveexec_b64 s[14:15], s[10:11]
	s_xor_b64 s[10:11], exec, s[14:15]
; %bb.79:
	v_and_b32_e32 v11, 0xffff, v21
	v_cndmask_b32_e64 v17, v11, 1, s[8:9]
	v_cndmask_b32_e64 v2, v10, v2, s[8:9]
	;; [unrolled: 1-line block ×3, first 2 shown]
                                        ; implicit-def: $vgpr9_vgpr10
; %bb.80:
	s_andn2_saveexec_b64 s[10:11], s[10:11]
; %bb.81:
	v_cmp_lt_i64_e64 s[8:9], v[9:10], v[1:2]
	v_mov_b32_e32 v17, 1
	v_cndmask_b32_e64 v2, v2, v10, s[8:9]
	v_cndmask_b32_e64 v1, v1, v9, s[8:9]
; %bb.82:
	s_or_b64 exec, exec, s[10:11]
	s_or_b64 exec, exec, s[12:13]
	s_and_saveexec_b64 s[10:11], s[2:3]
	s_cbranch_execz .LBB514_49
.LBB514_83:
	v_and_b32_e32 v9, 1, v17
	v_cmp_eq_u32_e64 s[2:3], 1, v9
	v_and_b32_e32 v9, 1, v20
	v_cmp_eq_u32_e64 s[8:9], 1, v9
	s_and_b64 s[8:9], s[2:3], s[8:9]
	s_xor_b64 s[8:9], s[8:9], -1
                                        ; implicit-def: $vgpr17
	s_and_saveexec_b64 s[12:13], s[8:9]
	s_xor_b64 s[8:9], exec, s[12:13]
; %bb.84:
	v_and_b32_e32 v9, 0xffff, v20
	v_cndmask_b32_e64 v17, v9, 1, s[2:3]
	v_cndmask_b32_e64 v2, v8, v2, s[2:3]
	v_cndmask_b32_e64 v1, v7, v1, s[2:3]
                                        ; implicit-def: $vgpr7_vgpr8
; %bb.85:
	s_andn2_saveexec_b64 s[8:9], s[8:9]
; %bb.86:
	v_cmp_lt_i64_e64 s[2:3], v[7:8], v[1:2]
	v_mov_b32_e32 v17, 1
	v_cndmask_b32_e64 v2, v2, v8, s[2:3]
	v_cndmask_b32_e64 v1, v1, v7, s[2:3]
; %bb.87:
	s_or_b64 exec, exec, s[8:9]
	s_or_b64 exec, exec, s[10:11]
	s_and_saveexec_b64 s[8:9], s[0:1]
	s_cbranch_execz .LBB514_50
.LBB514_88:
	v_and_b32_e32 v7, 1, v17
	v_cmp_eq_u32_e64 s[0:1], 1, v7
	v_and_b32_e32 v7, 1, v19
	v_cmp_eq_u32_e64 s[2:3], 1, v7
	s_and_b64 s[2:3], s[0:1], s[2:3]
	s_xor_b64 s[2:3], s[2:3], -1
                                        ; implicit-def: $vgpr17
	s_and_saveexec_b64 s[10:11], s[2:3]
	s_xor_b64 s[2:3], exec, s[10:11]
; %bb.89:
	v_and_b32_e32 v7, 0xffff, v19
	v_cndmask_b32_e64 v17, v7, 1, s[0:1]
	v_cndmask_b32_e64 v2, v6, v2, s[0:1]
	;; [unrolled: 1-line block ×3, first 2 shown]
                                        ; implicit-def: $vgpr5_vgpr6
; %bb.90:
	s_andn2_saveexec_b64 s[2:3], s[2:3]
; %bb.91:
	v_cmp_lt_i64_e64 s[0:1], v[5:6], v[1:2]
	v_mov_b32_e32 v17, 1
	v_cndmask_b32_e64 v2, v2, v6, s[0:1]
	v_cndmask_b32_e64 v1, v1, v5, s[0:1]
; %bb.92:
	s_or_b64 exec, exec, s[2:3]
	s_or_b64 exec, exec, s[8:9]
	s_and_saveexec_b64 s[2:3], vcc
	s_cbranch_execz .LBB514_98
.LBB514_93:
	v_and_b32_e32 v5, 1, v17
	v_cmp_eq_u32_e32 vcc, 1, v5
	v_and_b32_e32 v5, 1, v18
	v_cmp_eq_u32_e64 s[0:1], 1, v5
	s_and_b64 s[0:1], vcc, s[0:1]
	s_xor_b64 s[0:1], s[0:1], -1
                                        ; implicit-def: $vgpr17
	s_and_saveexec_b64 s[8:9], s[0:1]
	s_xor_b64 s[0:1], exec, s[8:9]
; %bb.94:
	v_and_b32_e32 v5, 0xffff, v18
	v_cndmask_b32_e64 v17, v5, 1, vcc
	v_cndmask_b32_e32 v2, v4, v2, vcc
	v_cndmask_b32_e32 v1, v3, v1, vcc
                                        ; implicit-def: $vgpr3_vgpr4
; %bb.95:
	s_andn2_saveexec_b64 s[0:1], s[0:1]
; %bb.96:
	v_cmp_lt_i64_e32 vcc, v[3:4], v[1:2]
	v_mov_b32_e32 v17, 1
	v_cndmask_b32_e32 v2, v2, v4, vcc
	v_cndmask_b32_e32 v1, v1, v3, vcc
; %bb.97:
	s_or_b64 exec, exec, s[0:1]
.LBB514_98:
	s_or_b64 exec, exec, s[2:3]
	v_mbcnt_lo_u32_b32 v3, -1, 0
	v_mbcnt_hi_u32_b32 v5, -1, v3
	v_and_b32_e32 v6, 63, v5
	v_cmp_ne_u32_e32 vcc, 63, v6
	v_addc_co_u32_e32 v3, vcc, 0, v5, vcc
	v_lshlrev_b32_e32 v4, 2, v3
	ds_bpermute_b32 v8, v4, v17
	ds_bpermute_b32 v3, v4, v1
	;; [unrolled: 1-line block ×3, first 2 shown]
	s_min_u32 s8, s39, 0x80
	v_and_b32_e32 v7, 64, v0
	v_sub_u32_e64 v7, s8, v7 clamp
	v_add_u32_e32 v9, 1, v6
	v_cmp_lt_u32_e32 vcc, v9, v7
	s_and_saveexec_b64 s[0:1], vcc
	s_xor_b64 s[0:1], exec, s[0:1]
	s_cbranch_execz .LBB514_104
; %bb.99:
	s_waitcnt lgkmcnt(2)
	v_and_b32_e32 v9, v8, v17
	v_cmp_ne_u32_e32 vcc, 0, v9
	s_and_saveexec_b64 s[2:3], vcc
	s_xor_b64 s[2:3], exec, s[2:3]
	s_cbranch_execz .LBB514_101
; %bb.100:
	s_waitcnt lgkmcnt(0)
	v_cmp_lt_i64_e32 vcc, v[3:4], v[1:2]
                                        ; implicit-def: $vgpr17
                                        ; implicit-def: $vgpr8
	v_cndmask_b32_e32 v2, v2, v4, vcc
	v_cndmask_b32_e32 v1, v1, v3, vcc
                                        ; implicit-def: $vgpr3_vgpr4
.LBB514_101:
	s_or_saveexec_b64 s[2:3], s[2:3]
	v_mov_b32_e32 v9, 1
	s_xor_b64 exec, exec, s[2:3]
	s_cbranch_execz .LBB514_103
; %bb.102:
	v_and_b32_e32 v9, 1, v17
	v_cmp_eq_u32_e32 vcc, 1, v9
	s_waitcnt lgkmcnt(1)
	v_cndmask_b32_e32 v1, v3, v1, vcc
	v_and_b32_e32 v3, 0xff, v8
	s_waitcnt lgkmcnt(0)
	v_cndmask_b32_e32 v2, v4, v2, vcc
	v_cndmask_b32_e64 v9, v3, 1, vcc
.LBB514_103:
	s_or_b64 exec, exec, s[2:3]
	v_mov_b32_e32 v17, v9
.LBB514_104:
	s_or_b64 exec, exec, s[0:1]
	v_cmp_gt_u32_e32 vcc, 62, v6
	s_waitcnt lgkmcnt(1)
	v_cndmask_b32_e64 v3, 0, 2, vcc
	s_waitcnt lgkmcnt(0)
	v_add_lshl_u32 v4, v3, v5, 2
	ds_bpermute_b32 v8, v4, v17
	ds_bpermute_b32 v3, v4, v1
	ds_bpermute_b32 v4, v4, v2
	v_add_u32_e32 v9, 2, v6
	v_cmp_lt_u32_e32 vcc, v9, v7
	s_and_saveexec_b64 s[0:1], vcc
	s_cbranch_execz .LBB514_110
; %bb.105:
	s_waitcnt lgkmcnt(2)
	v_and_b32_e32 v9, v17, v8
	v_and_b32_e32 v9, 1, v9
	v_cmp_eq_u32_e32 vcc, 1, v9
	s_and_saveexec_b64 s[2:3], vcc
	s_xor_b64 s[2:3], exec, s[2:3]
	s_cbranch_execz .LBB514_107
; %bb.106:
	s_waitcnt lgkmcnt(0)
	v_cmp_lt_i64_e32 vcc, v[3:4], v[1:2]
                                        ; implicit-def: $vgpr17
                                        ; implicit-def: $vgpr8
	v_cndmask_b32_e32 v2, v2, v4, vcc
	v_cndmask_b32_e32 v1, v1, v3, vcc
                                        ; implicit-def: $vgpr3_vgpr4
.LBB514_107:
	s_or_saveexec_b64 s[2:3], s[2:3]
	v_mov_b32_e32 v9, 1
	s_xor_b64 exec, exec, s[2:3]
	s_cbranch_execz .LBB514_109
; %bb.108:
	v_and_b32_e32 v9, 1, v17
	v_cmp_eq_u32_e32 vcc, 1, v9
	s_waitcnt lgkmcnt(1)
	v_cndmask_b32_e32 v1, v3, v1, vcc
	v_and_b32_e32 v3, 0xff, v8
	s_waitcnt lgkmcnt(0)
	v_cndmask_b32_e32 v2, v4, v2, vcc
	v_cndmask_b32_e64 v9, v3, 1, vcc
.LBB514_109:
	s_or_b64 exec, exec, s[2:3]
	v_mov_b32_e32 v17, v9
.LBB514_110:
	s_or_b64 exec, exec, s[0:1]
	v_cmp_gt_u32_e32 vcc, 60, v6
	s_waitcnt lgkmcnt(1)
	v_cndmask_b32_e64 v3, 0, 4, vcc
	s_waitcnt lgkmcnt(0)
	v_add_lshl_u32 v4, v3, v5, 2
	ds_bpermute_b32 v8, v4, v17
	ds_bpermute_b32 v3, v4, v1
	ds_bpermute_b32 v4, v4, v2
	v_add_u32_e32 v9, 4, v6
	v_cmp_lt_u32_e32 vcc, v9, v7
	s_and_saveexec_b64 s[0:1], vcc
	s_cbranch_execz .LBB514_116
; %bb.111:
	s_waitcnt lgkmcnt(2)
	v_and_b32_e32 v9, v17, v8
	v_and_b32_e32 v9, 1, v9
	v_cmp_eq_u32_e32 vcc, 1, v9
	s_and_saveexec_b64 s[2:3], vcc
	s_xor_b64 s[2:3], exec, s[2:3]
	s_cbranch_execz .LBB514_113
; %bb.112:
	s_waitcnt lgkmcnt(0)
	v_cmp_lt_i64_e32 vcc, v[3:4], v[1:2]
                                        ; implicit-def: $vgpr17
                                        ; implicit-def: $vgpr8
	v_cndmask_b32_e32 v2, v2, v4, vcc
	v_cndmask_b32_e32 v1, v1, v3, vcc
                                        ; implicit-def: $vgpr3_vgpr4
.LBB514_113:
	s_or_saveexec_b64 s[2:3], s[2:3]
	v_mov_b32_e32 v9, 1
	s_xor_b64 exec, exec, s[2:3]
	s_cbranch_execz .LBB514_115
; %bb.114:
	v_and_b32_e32 v9, 1, v17
	v_cmp_eq_u32_e32 vcc, 1, v9
	s_waitcnt lgkmcnt(1)
	v_cndmask_b32_e32 v1, v3, v1, vcc
	v_and_b32_e32 v3, 0xff, v8
	s_waitcnt lgkmcnt(0)
	v_cndmask_b32_e32 v2, v4, v2, vcc
	v_cndmask_b32_e64 v9, v3, 1, vcc
.LBB514_115:
	s_or_b64 exec, exec, s[2:3]
	v_mov_b32_e32 v17, v9
.LBB514_116:
	s_or_b64 exec, exec, s[0:1]
	v_cmp_gt_u32_e32 vcc, 56, v6
	s_waitcnt lgkmcnt(1)
	v_cndmask_b32_e64 v3, 0, 8, vcc
	s_waitcnt lgkmcnt(0)
	v_add_lshl_u32 v4, v3, v5, 2
	ds_bpermute_b32 v8, v4, v17
	ds_bpermute_b32 v3, v4, v1
	ds_bpermute_b32 v4, v4, v2
	v_add_u32_e32 v9, 8, v6
	v_cmp_lt_u32_e32 vcc, v9, v7
	s_and_saveexec_b64 s[0:1], vcc
	s_cbranch_execz .LBB514_122
; %bb.117:
	s_waitcnt lgkmcnt(2)
	v_and_b32_e32 v9, v17, v8
	v_and_b32_e32 v9, 1, v9
	v_cmp_eq_u32_e32 vcc, 1, v9
	s_and_saveexec_b64 s[2:3], vcc
	s_xor_b64 s[2:3], exec, s[2:3]
	s_cbranch_execz .LBB514_119
; %bb.118:
	s_waitcnt lgkmcnt(0)
	v_cmp_lt_i64_e32 vcc, v[3:4], v[1:2]
                                        ; implicit-def: $vgpr17
                                        ; implicit-def: $vgpr8
	v_cndmask_b32_e32 v2, v2, v4, vcc
	v_cndmask_b32_e32 v1, v1, v3, vcc
                                        ; implicit-def: $vgpr3_vgpr4
.LBB514_119:
	s_or_saveexec_b64 s[2:3], s[2:3]
	v_mov_b32_e32 v9, 1
	s_xor_b64 exec, exec, s[2:3]
	s_cbranch_execz .LBB514_121
; %bb.120:
	v_and_b32_e32 v9, 1, v17
	v_cmp_eq_u32_e32 vcc, 1, v9
	s_waitcnt lgkmcnt(1)
	v_cndmask_b32_e32 v1, v3, v1, vcc
	v_and_b32_e32 v3, 0xff, v8
	s_waitcnt lgkmcnt(0)
	v_cndmask_b32_e32 v2, v4, v2, vcc
	v_cndmask_b32_e64 v9, v3, 1, vcc
.LBB514_121:
	s_or_b64 exec, exec, s[2:3]
	v_mov_b32_e32 v17, v9
.LBB514_122:
	s_or_b64 exec, exec, s[0:1]
	v_cmp_gt_u32_e32 vcc, 48, v6
	s_waitcnt lgkmcnt(1)
	v_cndmask_b32_e64 v3, 0, 16, vcc
	s_waitcnt lgkmcnt(0)
	v_add_lshl_u32 v4, v3, v5, 2
	ds_bpermute_b32 v8, v4, v17
	ds_bpermute_b32 v3, v4, v1
	ds_bpermute_b32 v4, v4, v2
	v_add_u32_e32 v9, 16, v6
	v_cmp_lt_u32_e32 vcc, v9, v7
	s_and_saveexec_b64 s[0:1], vcc
	s_cbranch_execz .LBB514_128
; %bb.123:
	s_waitcnt lgkmcnt(2)
	v_and_b32_e32 v9, v17, v8
	v_and_b32_e32 v9, 1, v9
	v_cmp_eq_u32_e32 vcc, 1, v9
	s_and_saveexec_b64 s[2:3], vcc
	s_xor_b64 s[2:3], exec, s[2:3]
	s_cbranch_execz .LBB514_125
; %bb.124:
	s_waitcnt lgkmcnt(0)
	v_cmp_lt_i64_e32 vcc, v[3:4], v[1:2]
                                        ; implicit-def: $vgpr17
                                        ; implicit-def: $vgpr8
	v_cndmask_b32_e32 v2, v2, v4, vcc
	v_cndmask_b32_e32 v1, v1, v3, vcc
                                        ; implicit-def: $vgpr3_vgpr4
.LBB514_125:
	s_or_saveexec_b64 s[2:3], s[2:3]
	v_mov_b32_e32 v9, 1
	s_xor_b64 exec, exec, s[2:3]
	s_cbranch_execz .LBB514_127
; %bb.126:
	v_and_b32_e32 v9, 1, v17
	v_cmp_eq_u32_e32 vcc, 1, v9
	s_waitcnt lgkmcnt(1)
	v_cndmask_b32_e32 v1, v3, v1, vcc
	v_and_b32_e32 v3, 0xff, v8
	s_waitcnt lgkmcnt(0)
	v_cndmask_b32_e32 v2, v4, v2, vcc
	v_cndmask_b32_e64 v9, v3, 1, vcc
.LBB514_127:
	s_or_b64 exec, exec, s[2:3]
	v_mov_b32_e32 v17, v9
.LBB514_128:
	s_or_b64 exec, exec, s[0:1]
	s_waitcnt lgkmcnt(2)
	v_lshlrev_b32_e32 v8, 2, v5
	s_waitcnt lgkmcnt(0)
	v_or_b32_e32 v4, 0x80, v8
	ds_bpermute_b32 v9, v4, v17
	ds_bpermute_b32 v3, v4, v1
	;; [unrolled: 1-line block ×3, first 2 shown]
	v_add_u32_e32 v6, 32, v6
	v_cmp_lt_u32_e32 vcc, v6, v7
	v_mov_b32_e32 v6, v17
	s_and_saveexec_b64 s[0:1], vcc
	s_cbranch_execz .LBB514_134
; %bb.129:
	s_waitcnt lgkmcnt(2)
	v_and_b32_e32 v6, v17, v9
	v_and_b32_e32 v6, 1, v6
	v_cmp_eq_u32_e32 vcc, 1, v6
	s_and_saveexec_b64 s[2:3], vcc
	s_xor_b64 s[2:3], exec, s[2:3]
	s_cbranch_execz .LBB514_131
; %bb.130:
	s_waitcnt lgkmcnt(0)
	v_cmp_lt_i64_e32 vcc, v[3:4], v[1:2]
                                        ; implicit-def: $vgpr17
                                        ; implicit-def: $vgpr9
	v_cndmask_b32_e32 v2, v2, v4, vcc
	v_cndmask_b32_e32 v1, v1, v3, vcc
                                        ; implicit-def: $vgpr3_vgpr4
.LBB514_131:
	s_or_saveexec_b64 s[2:3], s[2:3]
	v_mov_b32_e32 v6, 1
	s_xor_b64 exec, exec, s[2:3]
	s_cbranch_execz .LBB514_133
; %bb.132:
	v_and_b32_e32 v6, 1, v17
	v_cmp_eq_u32_e32 vcc, 1, v6
	v_cndmask_b32_e64 v6, v9, 1, vcc
	s_waitcnt lgkmcnt(0)
	v_cndmask_b32_e32 v2, v4, v2, vcc
	v_cndmask_b32_e32 v1, v3, v1, vcc
.LBB514_133:
	s_or_b64 exec, exec, s[2:3]
	v_and_b32_e32 v17, 0xff, v6
.LBB514_134:
	s_or_b64 exec, exec, s[0:1]
	v_cmp_eq_u32_e32 vcc, 0, v5
	s_and_saveexec_b64 s[0:1], vcc
	s_cbranch_execz .LBB514_136
; %bb.135:
	s_waitcnt lgkmcnt(1)
	v_lshrrev_b32_e32 v3, 2, v0
	v_and_b32_e32 v3, 16, v3
	ds_write_b8 v3, v6 offset:128
	ds_write_b64 v3, v[1:2] offset:136
.LBB514_136:
	s_or_b64 exec, exec, s[0:1]
	v_cmp_gt_u32_e32 vcc, 2, v0
	s_waitcnt lgkmcnt(0)
	s_barrier
	s_and_saveexec_b64 s[0:1], vcc
	s_cbranch_execz .LBB514_144
; %bb.137:
	v_lshlrev_b32_e32 v1, 4, v5
	ds_read_u8 v6, v1 offset:128
	ds_read_b64 v[1:2], v1 offset:136
	v_or_b32_e32 v4, 4, v8
	s_add_i32 s8, s8, 63
	v_and_b32_e32 v5, 1, v5
	s_waitcnt lgkmcnt(1)
	v_and_b32_e32 v17, 0xff, v6
	s_waitcnt lgkmcnt(0)
	ds_bpermute_b32 v3, v4, v1
	ds_bpermute_b32 v7, v4, v17
	;; [unrolled: 1-line block ×3, first 2 shown]
	s_lshr_b32 s2, s8, 6
	v_add_u32_e32 v5, 1, v5
	v_cmp_gt_u32_e32 vcc, s2, v5
	s_and_saveexec_b64 s[2:3], vcc
	s_cbranch_execz .LBB514_143
; %bb.138:
	s_waitcnt lgkmcnt(1)
	v_and_b32_e32 v5, v17, v7
	v_and_b32_e32 v5, 1, v5
	v_cmp_eq_u32_e32 vcc, 1, v5
	s_and_saveexec_b64 s[8:9], vcc
	s_xor_b64 s[8:9], exec, s[8:9]
	s_cbranch_execz .LBB514_140
; %bb.139:
	s_waitcnt lgkmcnt(0)
	v_cmp_lt_i64_e32 vcc, v[3:4], v[1:2]
                                        ; implicit-def: $vgpr6
                                        ; implicit-def: $vgpr7
	v_cndmask_b32_e32 v2, v2, v4, vcc
	v_cndmask_b32_e32 v1, v1, v3, vcc
                                        ; implicit-def: $vgpr3_vgpr4
.LBB514_140:
	s_or_saveexec_b64 s[8:9], s[8:9]
	v_mov_b32_e32 v17, 1
	s_xor_b64 exec, exec, s[8:9]
	s_cbranch_execz .LBB514_142
; %bb.141:
	v_and_b32_e32 v5, 1, v6
	v_cmp_eq_u32_e32 vcc, 1, v5
	s_waitcnt lgkmcnt(0)
	v_cndmask_b32_e32 v2, v4, v2, vcc
	v_cndmask_b32_e32 v1, v3, v1, vcc
	v_cndmask_b32_e64 v17, v7, 1, vcc
.LBB514_142:
	s_or_b64 exec, exec, s[8:9]
.LBB514_143:
	s_or_b64 exec, exec, s[2:3]
.LBB514_144:
	s_or_b64 exec, exec, s[0:1]
.LBB514_145:
	v_cmp_eq_u32_e32 vcc, 0, v0
	s_mov_b64 s[14:15], 0
                                        ; implicit-def: $vgpr3_vgpr4
                                        ; implicit-def: $vgpr5
	s_and_saveexec_b64 s[0:1], vcc
	s_xor_b64 s[8:9], exec, s[0:1]
	s_cbranch_execz .LBB514_149
; %bb.146:
	s_waitcnt lgkmcnt(0)
	v_mov_b32_e32 v3, s18
	s_cmp_eq_u64 s[22:23], 0
	v_mov_b32_e32 v4, s19
	v_mov_b32_e32 v5, s33
	s_cbranch_scc1 .LBB514_148
; %bb.147:
	v_and_b32_e32 v3, 1, v17
	v_cmp_gt_i64_e64 s[0:1], s[18:19], v[1:2]
	s_bitcmp1_b32 s33, 0
	v_cmp_eq_u32_e32 vcc, 1, v3
	s_cselect_b64 s[2:3], -1, 0
	v_mov_b32_e32 v3, s18
	s_and_b64 vcc, vcc, s[0:1]
	v_mov_b32_e32 v4, s19
	v_cndmask_b32_e32 v3, v3, v1, vcc
	v_cndmask_b32_e32 v4, v4, v2, vcc
	v_cndmask_b32_e64 v5, v17, 1, s[2:3]
	v_cndmask_b32_e64 v4, v2, v4, s[2:3]
	;; [unrolled: 1-line block ×3, first 2 shown]
.LBB514_148:
	s_mov_b64 s[14:15], exec
.LBB514_149:
	s_or_b64 exec, exec, s[8:9]
	v_mov_b32_e32 v1, s6
	v_mov_b32_e32 v2, s7
	s_and_b64 vcc, exec, s[28:29]
	s_cbranch_vccnz .LBB514_16
.LBB514_150:
	s_branch .LBB514_306
.LBB514_151:
	v_lshlrev_b32_e32 v3, 1, v0
	global_load_ushort v10, v3, s[16:17] offset:768
	global_load_ushort v14, v3, s[28:29] offset:768
	v_mov_b32_e32 v4, s34
	v_add_co_u32_e64 v3, s[8:9], s31, v13
	v_addc_co_u32_e64 v4, s[8:9], 0, v4, s[8:9]
	s_waitcnt vmcnt(0)
	v_cmp_ne_u16_e64 s[8:9], v10, v14
	v_cndmask_b32_e64 v10, 0, 1, s[8:9]
	s_or_b64 exec, exec, s[10:11]
	s_and_saveexec_b64 s[10:11], s[2:3]
	s_cbranch_execz .LBB514_60
.LBB514_152:
	v_and_b32_e32 v9, 1, v9
	v_cmp_eq_u32_e64 s[2:3], 1, v9
	v_and_b32_e32 v9, 1, v12
	v_cmp_eq_u32_e64 s[8:9], 1, v9
	s_and_b64 s[8:9], s[2:3], s[8:9]
	s_xor_b64 s[8:9], s[8:9], -1
                                        ; implicit-def: $vgpr9
	s_and_saveexec_b64 s[16:17], s[8:9]
	s_xor_b64 s[8:9], exec, s[16:17]
; %bb.153:
	v_and_b32_e32 v9, 0xffff, v12
	v_cndmask_b32_e64 v9, v9, 1, s[2:3]
	v_cndmask_b32_e64 v2, v8, v2, s[2:3]
	;; [unrolled: 1-line block ×3, first 2 shown]
                                        ; implicit-def: $vgpr7_vgpr8
; %bb.154:
	s_andn2_saveexec_b64 s[8:9], s[8:9]
; %bb.155:
	v_cmp_lt_i64_e64 s[2:3], v[7:8], v[1:2]
	v_mov_b32_e32 v9, 1
	v_cndmask_b32_e64 v2, v2, v8, s[2:3]
	v_cndmask_b32_e64 v1, v1, v7, s[2:3]
; %bb.156:
	s_or_b64 exec, exec, s[8:9]
	s_or_b64 exec, exec, s[10:11]
	s_and_saveexec_b64 s[8:9], s[0:1]
	s_cbranch_execz .LBB514_61
.LBB514_157:
	v_and_b32_e32 v7, 1, v9
	v_cmp_eq_u32_e64 s[0:1], 1, v7
	v_and_b32_e32 v7, 1, v11
	v_cmp_eq_u32_e64 s[2:3], 1, v7
	s_and_b64 s[2:3], s[0:1], s[2:3]
	s_xor_b64 s[2:3], s[2:3], -1
                                        ; implicit-def: $vgpr9
	s_and_saveexec_b64 s[10:11], s[2:3]
	s_xor_b64 s[2:3], exec, s[10:11]
; %bb.158:
	v_and_b32_e32 v7, 0xffff, v11
	v_cndmask_b32_e64 v9, v7, 1, s[0:1]
	v_cndmask_b32_e64 v2, v6, v2, s[0:1]
	;; [unrolled: 1-line block ×3, first 2 shown]
                                        ; implicit-def: $vgpr5_vgpr6
; %bb.159:
	s_andn2_saveexec_b64 s[2:3], s[2:3]
; %bb.160:
	v_cmp_lt_i64_e64 s[0:1], v[5:6], v[1:2]
	v_mov_b32_e32 v9, 1
	v_cndmask_b32_e64 v2, v2, v6, s[0:1]
	v_cndmask_b32_e64 v1, v1, v5, s[0:1]
; %bb.161:
	s_or_b64 exec, exec, s[2:3]
	s_or_b64 exec, exec, s[8:9]
	s_and_saveexec_b64 s[2:3], vcc
	s_cbranch_execz .LBB514_167
.LBB514_162:
	v_and_b32_e32 v5, 1, v9
	v_cmp_eq_u32_e32 vcc, 1, v5
	v_and_b32_e32 v5, 1, v10
	v_cmp_eq_u32_e64 s[0:1], 1, v5
	s_and_b64 s[0:1], vcc, s[0:1]
	s_xor_b64 s[0:1], s[0:1], -1
                                        ; implicit-def: $vgpr9
	s_and_saveexec_b64 s[8:9], s[0:1]
	s_xor_b64 s[0:1], exec, s[8:9]
; %bb.163:
	v_and_b32_e32 v5, 0xffff, v10
	v_cndmask_b32_e64 v9, v5, 1, vcc
	v_cndmask_b32_e32 v2, v4, v2, vcc
	v_cndmask_b32_e32 v1, v3, v1, vcc
                                        ; implicit-def: $vgpr3_vgpr4
; %bb.164:
	s_andn2_saveexec_b64 s[0:1], s[0:1]
; %bb.165:
	v_cmp_lt_i64_e32 vcc, v[3:4], v[1:2]
	v_mov_b32_e32 v9, 1
	v_cndmask_b32_e32 v2, v2, v4, vcc
	v_cndmask_b32_e32 v1, v1, v3, vcc
; %bb.166:
	s_or_b64 exec, exec, s[0:1]
.LBB514_167:
	s_or_b64 exec, exec, s[2:3]
	v_mbcnt_lo_u32_b32 v3, -1, 0
	v_mbcnt_hi_u32_b32 v5, -1, v3
	v_and_b32_e32 v6, 63, v5
	v_cmp_ne_u32_e32 vcc, 63, v6
	v_addc_co_u32_e32 v3, vcc, 0, v5, vcc
	v_lshlrev_b32_e32 v4, 2, v3
	ds_bpermute_b32 v8, v4, v9
	ds_bpermute_b32 v3, v4, v1
	;; [unrolled: 1-line block ×3, first 2 shown]
	s_min_u32 s8, s12, 0x80
	v_and_b32_e32 v7, 64, v0
	v_sub_u32_e64 v7, s8, v7 clamp
	v_add_u32_e32 v10, 1, v6
	v_cmp_lt_u32_e32 vcc, v10, v7
	s_and_saveexec_b64 s[0:1], vcc
	s_xor_b64 s[0:1], exec, s[0:1]
	s_cbranch_execz .LBB514_173
; %bb.168:
	s_waitcnt lgkmcnt(2)
	v_and_b32_e32 v10, v8, v9
	v_cmp_ne_u32_e32 vcc, 0, v10
	s_and_saveexec_b64 s[2:3], vcc
	s_xor_b64 s[2:3], exec, s[2:3]
	s_cbranch_execz .LBB514_170
; %bb.169:
	s_waitcnt lgkmcnt(0)
	v_cmp_lt_i64_e32 vcc, v[3:4], v[1:2]
                                        ; implicit-def: $vgpr9
                                        ; implicit-def: $vgpr8
	v_cndmask_b32_e32 v2, v2, v4, vcc
	v_cndmask_b32_e32 v1, v1, v3, vcc
                                        ; implicit-def: $vgpr3_vgpr4
.LBB514_170:
	s_or_saveexec_b64 s[2:3], s[2:3]
	v_mov_b32_e32 v10, 1
	s_xor_b64 exec, exec, s[2:3]
	s_cbranch_execz .LBB514_172
; %bb.171:
	v_and_b32_e32 v9, 1, v9
	v_cmp_eq_u32_e32 vcc, 1, v9
	s_waitcnt lgkmcnt(1)
	v_cndmask_b32_e32 v1, v3, v1, vcc
	v_and_b32_e32 v3, 0xff, v8
	s_waitcnt lgkmcnt(0)
	v_cndmask_b32_e32 v2, v4, v2, vcc
	v_cndmask_b32_e64 v10, v3, 1, vcc
.LBB514_172:
	s_or_b64 exec, exec, s[2:3]
	v_mov_b32_e32 v9, v10
.LBB514_173:
	s_or_b64 exec, exec, s[0:1]
	v_cmp_gt_u32_e32 vcc, 62, v6
	s_waitcnt lgkmcnt(1)
	v_cndmask_b32_e64 v3, 0, 2, vcc
	s_waitcnt lgkmcnt(0)
	v_add_lshl_u32 v4, v3, v5, 2
	ds_bpermute_b32 v8, v4, v9
	ds_bpermute_b32 v3, v4, v1
	ds_bpermute_b32 v4, v4, v2
	v_add_u32_e32 v10, 2, v6
	v_cmp_lt_u32_e32 vcc, v10, v7
	s_and_saveexec_b64 s[0:1], vcc
	s_cbranch_execz .LBB514_179
; %bb.174:
	s_waitcnt lgkmcnt(2)
	v_and_b32_e32 v10, v9, v8
	v_and_b32_e32 v10, 1, v10
	v_cmp_eq_u32_e32 vcc, 1, v10
	s_and_saveexec_b64 s[2:3], vcc
	s_xor_b64 s[2:3], exec, s[2:3]
	s_cbranch_execz .LBB514_176
; %bb.175:
	s_waitcnt lgkmcnt(0)
	v_cmp_lt_i64_e32 vcc, v[3:4], v[1:2]
                                        ; implicit-def: $vgpr9
                                        ; implicit-def: $vgpr8
	v_cndmask_b32_e32 v2, v2, v4, vcc
	v_cndmask_b32_e32 v1, v1, v3, vcc
                                        ; implicit-def: $vgpr3_vgpr4
.LBB514_176:
	s_or_saveexec_b64 s[2:3], s[2:3]
	v_mov_b32_e32 v10, 1
	s_xor_b64 exec, exec, s[2:3]
	s_cbranch_execz .LBB514_178
; %bb.177:
	v_and_b32_e32 v9, 1, v9
	v_cmp_eq_u32_e32 vcc, 1, v9
	s_waitcnt lgkmcnt(1)
	v_cndmask_b32_e32 v1, v3, v1, vcc
	v_and_b32_e32 v3, 0xff, v8
	s_waitcnt lgkmcnt(0)
	v_cndmask_b32_e32 v2, v4, v2, vcc
	v_cndmask_b32_e64 v10, v3, 1, vcc
.LBB514_178:
	s_or_b64 exec, exec, s[2:3]
	v_mov_b32_e32 v9, v10
.LBB514_179:
	s_or_b64 exec, exec, s[0:1]
	v_cmp_gt_u32_e32 vcc, 60, v6
	s_waitcnt lgkmcnt(1)
	v_cndmask_b32_e64 v3, 0, 4, vcc
	s_waitcnt lgkmcnt(0)
	v_add_lshl_u32 v4, v3, v5, 2
	ds_bpermute_b32 v8, v4, v9
	ds_bpermute_b32 v3, v4, v1
	ds_bpermute_b32 v4, v4, v2
	v_add_u32_e32 v10, 4, v6
	v_cmp_lt_u32_e32 vcc, v10, v7
	s_and_saveexec_b64 s[0:1], vcc
	s_cbranch_execz .LBB514_185
; %bb.180:
	s_waitcnt lgkmcnt(2)
	v_and_b32_e32 v10, v9, v8
	v_and_b32_e32 v10, 1, v10
	v_cmp_eq_u32_e32 vcc, 1, v10
	s_and_saveexec_b64 s[2:3], vcc
	s_xor_b64 s[2:3], exec, s[2:3]
	s_cbranch_execz .LBB514_182
; %bb.181:
	s_waitcnt lgkmcnt(0)
	v_cmp_lt_i64_e32 vcc, v[3:4], v[1:2]
                                        ; implicit-def: $vgpr9
                                        ; implicit-def: $vgpr8
	v_cndmask_b32_e32 v2, v2, v4, vcc
	v_cndmask_b32_e32 v1, v1, v3, vcc
                                        ; implicit-def: $vgpr3_vgpr4
.LBB514_182:
	s_or_saveexec_b64 s[2:3], s[2:3]
	v_mov_b32_e32 v10, 1
	s_xor_b64 exec, exec, s[2:3]
	s_cbranch_execz .LBB514_184
; %bb.183:
	v_and_b32_e32 v9, 1, v9
	v_cmp_eq_u32_e32 vcc, 1, v9
	s_waitcnt lgkmcnt(1)
	v_cndmask_b32_e32 v1, v3, v1, vcc
	v_and_b32_e32 v3, 0xff, v8
	s_waitcnt lgkmcnt(0)
	v_cndmask_b32_e32 v2, v4, v2, vcc
	v_cndmask_b32_e64 v10, v3, 1, vcc
.LBB514_184:
	s_or_b64 exec, exec, s[2:3]
	v_mov_b32_e32 v9, v10
.LBB514_185:
	;; [unrolled: 47-line block ×4, first 2 shown]
	s_or_b64 exec, exec, s[0:1]
	s_waitcnt lgkmcnt(2)
	v_lshlrev_b32_e32 v8, 2, v5
	s_waitcnt lgkmcnt(0)
	v_or_b32_e32 v4, 0x80, v8
	ds_bpermute_b32 v10, v4, v9
	ds_bpermute_b32 v3, v4, v1
	;; [unrolled: 1-line block ×3, first 2 shown]
	v_add_u32_e32 v6, 32, v6
	v_cmp_lt_u32_e32 vcc, v6, v7
	v_mov_b32_e32 v6, v9
	s_and_saveexec_b64 s[0:1], vcc
	s_cbranch_execz .LBB514_203
; %bb.198:
	s_waitcnt lgkmcnt(2)
	v_and_b32_e32 v6, v9, v10
	v_and_b32_e32 v6, 1, v6
	v_cmp_eq_u32_e32 vcc, 1, v6
	s_and_saveexec_b64 s[2:3], vcc
	s_xor_b64 s[2:3], exec, s[2:3]
	s_cbranch_execz .LBB514_200
; %bb.199:
	s_waitcnt lgkmcnt(0)
	v_cmp_lt_i64_e32 vcc, v[3:4], v[1:2]
                                        ; implicit-def: $vgpr9
                                        ; implicit-def: $vgpr10
	v_cndmask_b32_e32 v2, v2, v4, vcc
	v_cndmask_b32_e32 v1, v1, v3, vcc
                                        ; implicit-def: $vgpr3_vgpr4
.LBB514_200:
	s_or_saveexec_b64 s[2:3], s[2:3]
	v_mov_b32_e32 v6, 1
	s_xor_b64 exec, exec, s[2:3]
	s_cbranch_execz .LBB514_202
; %bb.201:
	v_and_b32_e32 v6, 1, v9
	v_cmp_eq_u32_e32 vcc, 1, v6
	v_cndmask_b32_e64 v6, v10, 1, vcc
	s_waitcnt lgkmcnt(0)
	v_cndmask_b32_e32 v2, v4, v2, vcc
	v_cndmask_b32_e32 v1, v3, v1, vcc
.LBB514_202:
	s_or_b64 exec, exec, s[2:3]
	v_and_b32_e32 v9, 0xff, v6
.LBB514_203:
	s_or_b64 exec, exec, s[0:1]
	v_cmp_eq_u32_e32 vcc, 0, v5
	s_and_saveexec_b64 s[0:1], vcc
	s_cbranch_execz .LBB514_205
; %bb.204:
	s_waitcnt lgkmcnt(1)
	v_lshrrev_b32_e32 v3, 2, v0
	v_and_b32_e32 v3, 16, v3
	ds_write_b8 v3, v6 offset:128
	ds_write_b64 v3, v[1:2] offset:136
.LBB514_205:
	s_or_b64 exec, exec, s[0:1]
	v_cmp_gt_u32_e32 vcc, 2, v0
	s_waitcnt lgkmcnt(0)
	s_barrier
	s_and_saveexec_b64 s[0:1], vcc
	s_cbranch_execz .LBB514_213
; %bb.206:
	v_lshlrev_b32_e32 v1, 4, v5
	ds_read_u8 v6, v1 offset:128
	ds_read_b64 v[1:2], v1 offset:136
	v_or_b32_e32 v4, 4, v8
	s_add_i32 s8, s8, 63
	v_and_b32_e32 v5, 1, v5
	s_waitcnt lgkmcnt(1)
	v_and_b32_e32 v9, 0xff, v6
	s_waitcnt lgkmcnt(0)
	ds_bpermute_b32 v3, v4, v1
	ds_bpermute_b32 v7, v4, v9
	;; [unrolled: 1-line block ×3, first 2 shown]
	s_lshr_b32 s2, s8, 6
	v_add_u32_e32 v5, 1, v5
	v_cmp_gt_u32_e32 vcc, s2, v5
	s_and_saveexec_b64 s[2:3], vcc
	s_cbranch_execz .LBB514_212
; %bb.207:
	s_waitcnt lgkmcnt(1)
	v_and_b32_e32 v5, v9, v7
	v_and_b32_e32 v5, 1, v5
	v_cmp_eq_u32_e32 vcc, 1, v5
	s_and_saveexec_b64 s[8:9], vcc
	s_xor_b64 s[8:9], exec, s[8:9]
	s_cbranch_execz .LBB514_209
; %bb.208:
	s_waitcnt lgkmcnt(0)
	v_cmp_lt_i64_e32 vcc, v[3:4], v[1:2]
                                        ; implicit-def: $vgpr6
                                        ; implicit-def: $vgpr7
	v_cndmask_b32_e32 v2, v2, v4, vcc
	v_cndmask_b32_e32 v1, v1, v3, vcc
                                        ; implicit-def: $vgpr3_vgpr4
.LBB514_209:
	s_or_saveexec_b64 s[8:9], s[8:9]
	v_mov_b32_e32 v9, 1
	s_xor_b64 exec, exec, s[8:9]
	s_cbranch_execz .LBB514_211
; %bb.210:
	v_and_b32_e32 v5, 1, v6
	v_cmp_eq_u32_e32 vcc, 1, v5
	s_waitcnt lgkmcnt(0)
	v_cndmask_b32_e32 v2, v4, v2, vcc
	v_cndmask_b32_e32 v1, v3, v1, vcc
	v_cndmask_b32_e64 v9, v7, 1, vcc
.LBB514_211:
	s_or_b64 exec, exec, s[8:9]
.LBB514_212:
	s_or_b64 exec, exec, s[2:3]
.LBB514_213:
	s_or_b64 exec, exec, s[0:1]
.LBB514_214:
	v_cmp_eq_u32_e32 vcc, 0, v0
                                        ; implicit-def: $vgpr3_vgpr4
                                        ; implicit-def: $vgpr5
	s_and_saveexec_b64 s[0:1], vcc
	s_xor_b64 s[8:9], exec, s[0:1]
	s_cbranch_execz .LBB514_218
; %bb.215:
	s_waitcnt lgkmcnt(0)
	v_mov_b32_e32 v3, s18
	s_cmp_eq_u64 s[22:23], 0
	v_mov_b32_e32 v4, s19
	v_mov_b32_e32 v5, s33
	s_cbranch_scc1 .LBB514_217
; %bb.216:
	v_and_b32_e32 v3, 1, v9
	v_cmp_gt_i64_e64 s[0:1], s[18:19], v[1:2]
	s_bitcmp1_b32 s33, 0
	v_cmp_eq_u32_e32 vcc, 1, v3
	s_cselect_b64 s[2:3], -1, 0
	v_mov_b32_e32 v3, s18
	s_and_b64 vcc, vcc, s[0:1]
	v_mov_b32_e32 v4, s19
	v_cndmask_b32_e32 v3, v3, v1, vcc
	v_cndmask_b32_e32 v4, v4, v2, vcc
	v_cndmask_b32_e64 v5, v9, 1, s[2:3]
	v_cndmask_b32_e64 v4, v2, v4, s[2:3]
	;; [unrolled: 1-line block ×3, first 2 shown]
.LBB514_217:
	s_or_b64 s[14:15], s[14:15], exec
.LBB514_218:
	s_or_b64 exec, exec, s[8:9]
	v_mov_b32_e32 v1, s6
	v_mov_b32_e32 v2, s7
	s_branch .LBB514_306
.LBB514_219:
	s_cmp_gt_i32 s38, 1
	s_cbranch_scc0 .LBB514_231
; %bb.220:
	s_cmp_eq_u32 s38, 2
	s_cbranch_scc0 .LBB514_232
; %bb.221:
	s_mov_b32 s7, 0
	s_lshl_b32 s30, s6, 8
	s_mov_b32 s31, s7
	s_lshr_b64 s[0:1], s[22:23], 8
	s_lshl_b64 s[2:3], s[30:31], 1
	s_add_u32 s16, s24, s2
	s_addc_u32 s17, s25, s3
	s_add_u32 s28, s26, s2
	s_addc_u32 s29, s27, s3
	;; [unrolled: 2-line block ×3, first 2 shown]
	s_cmp_lg_u64 s[0:1], s[6:7]
	s_cbranch_scc0 .LBB514_233
; %bb.222:
	v_lshlrev_b32_e32 v1, 1, v0
	global_load_ushort v2, v1, s[28:29]
	s_waitcnt lgkmcnt(0)
	global_load_ushort v4, v1, s[28:29] offset:256
	global_load_ushort v6, v1, s[16:17] offset:256
	global_load_ushort v7, v1, s[16:17]
	v_mov_b32_e32 v1, s34
	v_add_co_u32_e32 v8, vcc, s31, v0
	v_addc_co_u32_e32 v1, vcc, 0, v1, vcc
	v_add_co_u32_e32 v9, vcc, 0x80, v8
	v_addc_co_u32_e32 v10, vcc, 0, v1, vcc
	v_mbcnt_lo_u32_b32 v3, -1, 0
	v_mbcnt_hi_u32_b32 v3, -1, v3
	v_lshlrev_b32_e32 v5, 2, v3
	v_or_b32_e32 v11, 0xfc, v5
	s_waitcnt vmcnt(1)
	v_cmp_ne_u16_e32 vcc, v6, v4
	s_waitcnt vmcnt(0)
	v_cmp_ne_u16_e64 s[0:1], v7, v2
	v_cndmask_b32_e64 v2, v10, v1, s[0:1]
	v_cndmask_b32_e64 v1, v9, v8, s[0:1]
	s_or_b64 s[0:1], s[0:1], vcc
	v_mov_b32_dpp v7, v2 quad_perm:[1,0,3,2] row_mask:0xf bank_mask:0xf bound_ctrl:1
	v_mov_b32_dpp v6, v1 quad_perm:[1,0,3,2] row_mask:0xf bank_mask:0xf bound_ctrl:1
	v_cndmask_b32_e64 v4, 0, 1, s[0:1]
	v_cmp_lt_i64_e32 vcc, v[1:2], v[6:7]
	s_and_b64 vcc, s[0:1], vcc
	v_mov_b32_dpp v8, v4 quad_perm:[1,0,3,2] row_mask:0xf bank_mask:0xf bound_ctrl:1
	v_and_b32_e32 v8, 1, v8
	v_cndmask_b32_e32 v6, v6, v1, vcc
	v_cndmask_b32_e32 v7, v7, v2, vcc
	v_cmp_eq_u32_e32 vcc, 1, v8
	v_cndmask_b32_e32 v2, v2, v7, vcc
	v_cndmask_b32_e32 v1, v1, v6, vcc
	v_cndmask_b32_e64 v4, v4, 1, vcc
	v_mov_b32_dpp v7, v2 quad_perm:[2,3,0,1] row_mask:0xf bank_mask:0xf bound_ctrl:1
	v_mov_b32_dpp v6, v1 quad_perm:[2,3,0,1] row_mask:0xf bank_mask:0xf bound_ctrl:1
	v_and_b32_e32 v9, 1, v4
	v_cmp_lt_i64_e64 s[0:1], v[1:2], v[6:7]
	v_mov_b32_dpp v8, v4 quad_perm:[2,3,0,1] row_mask:0xf bank_mask:0xf bound_ctrl:1
	v_cmp_eq_u32_e32 vcc, 1, v9
	v_and_b32_e32 v8, 1, v8
	s_and_b64 vcc, vcc, s[0:1]
	v_cmp_eq_u32_e64 s[2:3], 1, v8
	v_cndmask_b32_e32 v6, v6, v1, vcc
	v_cndmask_b32_e32 v7, v7, v2, vcc
	v_cndmask_b32_e64 v1, v1, v6, s[2:3]
	v_cndmask_b32_e64 v2, v2, v7, s[2:3]
	;; [unrolled: 1-line block ×3, first 2 shown]
	v_mov_b32_dpp v6, v1 row_ror:4 row_mask:0xf bank_mask:0xf bound_ctrl:1
	v_mov_b32_dpp v7, v2 row_ror:4 row_mask:0xf bank_mask:0xf bound_ctrl:1
	v_and_b32_e32 v9, 1, v4
	v_cmp_lt_i64_e64 s[2:3], v[1:2], v[6:7]
	v_mov_b32_dpp v8, v4 row_ror:4 row_mask:0xf bank_mask:0xf bound_ctrl:1
	v_cmp_eq_u32_e32 vcc, 1, v9
	v_and_b32_e32 v8, 1, v8
	s_and_b64 vcc, vcc, s[2:3]
	v_cmp_eq_u32_e64 s[0:1], 1, v8
	v_cndmask_b32_e32 v6, v6, v1, vcc
	v_cndmask_b32_e32 v7, v7, v2, vcc
	v_cndmask_b32_e64 v1, v1, v6, s[0:1]
	v_cndmask_b32_e64 v2, v2, v7, s[0:1]
	;; [unrolled: 1-line block ×3, first 2 shown]
	v_mov_b32_dpp v6, v1 row_ror:8 row_mask:0xf bank_mask:0xf bound_ctrl:1
	v_mov_b32_dpp v7, v2 row_ror:8 row_mask:0xf bank_mask:0xf bound_ctrl:1
	v_and_b32_e32 v9, 1, v4
	v_cmp_lt_i64_e64 s[2:3], v[1:2], v[6:7]
	v_mov_b32_dpp v8, v4 row_ror:8 row_mask:0xf bank_mask:0xf bound_ctrl:1
	v_cmp_eq_u32_e64 s[8:9], 1, v9
	v_and_b32_e32 v8, 1, v8
	s_and_b64 s[2:3], s[8:9], s[2:3]
	v_cmp_eq_u32_e64 s[10:11], 1, v8
	v_cndmask_b32_e64 v6, v6, v1, s[2:3]
	v_cndmask_b32_e64 v7, v7, v2, s[2:3]
	;; [unrolled: 1-line block ×5, first 2 shown]
	v_mov_b32_dpp v8, v4 row_bcast:15 row_mask:0xf bank_mask:0xf bound_ctrl:1
	v_mov_b32_dpp v6, v1 row_bcast:15 row_mask:0xf bank_mask:0xf bound_ctrl:1
	;; [unrolled: 1-line block ×3, first 2 shown]
	v_and_b32_e32 v9, 1, v4
	v_and_b32_e32 v8, 1, v8
	v_cmp_lt_i64_e64 s[2:3], v[1:2], v[6:7]
	v_cmp_eq_u32_e32 vcc, 1, v9
	v_cmp_eq_u32_e64 s[0:1], 1, v8
	v_cndmask_b32_e64 v4, v4, 1, s[0:1]
	s_and_b64 vcc, vcc, s[2:3]
	v_cndmask_b32_e32 v6, v6, v1, vcc
	v_mov_b32_dpp v8, v4 row_bcast:31 row_mask:0xf bank_mask:0xf bound_ctrl:1
	v_cndmask_b32_e32 v7, v7, v2, vcc
	v_and_b32_e32 v9, 1, v4
	v_and_b32_e32 v8, 1, v8
	v_cndmask_b32_e64 v1, v1, v6, s[0:1]
	v_cndmask_b32_e64 v2, v2, v7, s[0:1]
	v_cmp_eq_u32_e64 s[12:13], 1, v9
	v_cmp_eq_u32_e64 s[8:9], 1, v8
	v_mov_b32_dpp v8, v1 row_bcast:31 row_mask:0xf bank_mask:0xf bound_ctrl:1
	v_mov_b32_dpp v9, v2 row_bcast:31 row_mask:0xf bank_mask:0xf bound_ctrl:1
	v_cmp_lt_i64_e32 vcc, v[1:2], v[8:9]
	v_cndmask_b32_e64 v4, v4, 1, s[8:9]
	s_and_b64 vcc, s[12:13], vcc
	ds_bpermute_b32 v7, v11, v4
	v_cndmask_b32_e32 v4, v8, v1, vcc
	v_cndmask_b32_e32 v6, v9, v2, vcc
	v_cndmask_b32_e64 v1, v1, v4, s[8:9]
	v_cndmask_b32_e64 v2, v2, v6, s[8:9]
	ds_bpermute_b32 v1, v11, v1
	ds_bpermute_b32 v2, v11, v2
	v_cmp_eq_u32_e32 vcc, 0, v3
	s_and_saveexec_b64 s[0:1], vcc
	s_cbranch_execz .LBB514_224
; %bb.223:
	v_lshrrev_b32_e32 v4, 2, v0
	v_and_b32_e32 v4, 16, v4
	s_waitcnt lgkmcnt(2)
	ds_write_b8 v4, v7 offset:32
	s_waitcnt lgkmcnt(1)
	ds_write_b64 v4, v[1:2] offset:40
.LBB514_224:
	s_or_b64 exec, exec, s[0:1]
	v_cmp_gt_u32_e32 vcc, 64, v0
	s_waitcnt lgkmcnt(0)
	s_barrier
	s_and_saveexec_b64 s[0:1], vcc
	s_cbranch_execz .LBB514_230
; %bb.225:
	v_and_b32_e32 v1, 1, v3
	v_lshlrev_b32_e32 v1, 4, v1
	ds_read_u8 v8, v1 offset:32
	ds_read_b64 v[3:4], v1 offset:40
	v_or_b32_e32 v2, 4, v5
	s_waitcnt lgkmcnt(1)
	v_and_b32_e32 v1, 0xff, v8
	ds_bpermute_b32 v9, v2, v1
	s_waitcnt lgkmcnt(1)
	ds_bpermute_b32 v5, v2, v3
	ds_bpermute_b32 v6, v2, v4
	s_waitcnt lgkmcnt(2)
	v_and_b32_e32 v1, v8, v9
	v_and_b32_e32 v1, 1, v1
	v_cmp_eq_u32_e32 vcc, 1, v1
                                        ; implicit-def: $vgpr1_vgpr2
	s_and_saveexec_b64 s[2:3], vcc
	s_xor_b64 s[2:3], exec, s[2:3]
	s_cbranch_execz .LBB514_227
; %bb.226:
	s_waitcnt lgkmcnt(0)
	v_cmp_lt_i64_e32 vcc, v[5:6], v[3:4]
                                        ; implicit-def: $vgpr8
                                        ; implicit-def: $vgpr9
	v_cndmask_b32_e32 v2, v4, v6, vcc
	v_cndmask_b32_e32 v1, v3, v5, vcc
                                        ; implicit-def: $vgpr5_vgpr6
                                        ; implicit-def: $vgpr3_vgpr4
.LBB514_227:
	s_or_saveexec_b64 s[2:3], s[2:3]
	v_mov_b32_e32 v7, 1
	s_xor_b64 exec, exec, s[2:3]
	s_cbranch_execz .LBB514_229
; %bb.228:
	v_and_b32_e32 v1, 1, v8
	v_cmp_eq_u32_e32 vcc, 1, v1
	s_waitcnt lgkmcnt(0)
	v_cndmask_b32_e32 v2, v6, v4, vcc
	v_cndmask_b32_e32 v1, v5, v3, vcc
	v_cndmask_b32_e64 v7, v9, 1, vcc
.LBB514_229:
	s_or_b64 exec, exec, s[2:3]
.LBB514_230:
	s_or_b64 exec, exec, s[0:1]
	s_branch .LBB514_285
.LBB514_231:
                                        ; implicit-def: $vgpr3_vgpr4
                                        ; implicit-def: $vgpr5
                                        ; implicit-def: $vgpr1_vgpr2
	s_cbranch_execnz .LBB514_290
	s_branch .LBB514_306
.LBB514_232:
                                        ; implicit-def: $vgpr3_vgpr4
                                        ; implicit-def: $vgpr5
                                        ; implicit-def: $vgpr1_vgpr2
	s_branch .LBB514_306
.LBB514_233:
                                        ; implicit-def: $vgpr1_vgpr2
                                        ; implicit-def: $vgpr7
	s_cbranch_execz .LBB514_285
; %bb.234:
	s_sub_i32 s10, s22, s30
	s_waitcnt lgkmcnt(0)
	v_mov_b32_e32 v3, 0
	v_mov_b32_e32 v1, 0
	v_cmp_gt_u32_e32 vcc, s10, v0
	v_mov_b32_e32 v6, 0
	v_mov_b32_e32 v4, 0
	;; [unrolled: 1-line block ×4, first 2 shown]
	s_and_saveexec_b64 s[0:1], vcc
	s_cbranch_execz .LBB514_236
; %bb.235:
	v_lshlrev_b32_e32 v1, 1, v0
	global_load_ushort v5, v1, s[16:17]
	global_load_ushort v7, v1, s[28:29]
	v_mov_b32_e32 v2, s34
	v_add_co_u32_e32 v1, vcc, s31, v0
	v_addc_co_u32_e32 v2, vcc, 0, v2, vcc
	s_waitcnt vmcnt(0)
	v_cmp_ne_u16_e32 vcc, v5, v7
	v_cndmask_b32_e64 v5, 0, 1, vcc
.LBB514_236:
	s_or_b64 exec, exec, s[0:1]
	v_or_b32_e32 v7, 0x80, v0
	v_cmp_gt_u32_e32 vcc, s10, v7
	s_and_saveexec_b64 s[2:3], vcc
	s_cbranch_execz .LBB514_238
; %bb.237:
	v_lshlrev_b32_e32 v3, 1, v0
	global_load_ushort v6, v3, s[16:17] offset:256
	global_load_ushort v8, v3, s[28:29] offset:256
	v_mov_b32_e32 v4, s34
	v_add_co_u32_e64 v3, s[0:1], s31, v7
	v_addc_co_u32_e64 v4, s[0:1], 0, v4, s[0:1]
	s_waitcnt vmcnt(0)
	v_cmp_ne_u16_e64 s[0:1], v6, v8
	v_cndmask_b32_e64 v6, 0, 1, s[0:1]
.LBB514_238:
	s_or_b64 exec, exec, s[2:3]
	v_and_b32_e32 v8, 0xffff, v6
	v_and_b32_e32 v6, 1, v6
	v_cmp_lt_i64_e64 s[2:3], v[3:4], v[1:2]
	v_and_b32_e32 v7, 0xffff, v5
	v_cmp_eq_u32_e64 s[0:1], 1, v6
	v_and_b32_e32 v5, 1, v5
	v_cmp_eq_u32_e64 s[8:9], 1, v5
	s_and_b64 s[0:1], s[0:1], s[2:3]
	v_cndmask_b32_e64 v5, v8, 1, s[8:9]
	v_cndmask_b32_e64 v8, v1, v3, s[0:1]
	;; [unrolled: 1-line block ×3, first 2 shown]
	v_cndmask_b32_e32 v1, v1, v3, vcc
	v_mbcnt_lo_u32_b32 v3, -1, 0
	v_cndmask_b32_e64 v6, v2, v4, s[0:1]
	v_cndmask_b32_e32 v7, v7, v5, vcc
	v_mbcnt_hi_u32_b32 v5, -1, v3
	v_cndmask_b32_e64 v4, v4, v6, s[8:9]
	v_and_b32_e32 v6, 63, v5
	v_cndmask_b32_e32 v2, v2, v4, vcc
	v_cmp_ne_u32_e32 vcc, 63, v6
	v_addc_co_u32_e32 v3, vcc, 0, v5, vcc
	v_lshlrev_b32_e32 v4, 2, v3
	ds_bpermute_b32 v9, v4, v7
	ds_bpermute_b32 v3, v4, v1
	;; [unrolled: 1-line block ×3, first 2 shown]
	s_min_u32 s8, s10, 0x80
	v_and_b32_e32 v8, 64, v0
	v_sub_u32_e64 v8, s8, v8 clamp
	v_add_u32_e32 v10, 1, v6
	v_cmp_lt_u32_e32 vcc, v10, v8
	s_and_saveexec_b64 s[0:1], vcc
	s_cbranch_execz .LBB514_244
; %bb.239:
	s_waitcnt lgkmcnt(2)
	v_and_b32_e32 v10, v9, v7
	v_cmp_ne_u32_e32 vcc, 0, v10
	s_and_saveexec_b64 s[2:3], vcc
	s_xor_b64 s[2:3], exec, s[2:3]
	s_cbranch_execz .LBB514_241
; %bb.240:
	s_waitcnt lgkmcnt(0)
	v_cmp_lt_i64_e32 vcc, v[3:4], v[1:2]
                                        ; implicit-def: $vgpr7
                                        ; implicit-def: $vgpr9
	v_cndmask_b32_e32 v2, v2, v4, vcc
	v_cndmask_b32_e32 v1, v1, v3, vcc
                                        ; implicit-def: $vgpr3_vgpr4
.LBB514_241:
	s_or_saveexec_b64 s[2:3], s[2:3]
	v_mov_b32_e32 v10, 1
	s_xor_b64 exec, exec, s[2:3]
	s_cbranch_execz .LBB514_243
; %bb.242:
	v_and_b32_e32 v7, 1, v7
	v_cmp_eq_u32_e32 vcc, 1, v7
	s_waitcnt lgkmcnt(1)
	v_cndmask_b32_e32 v1, v3, v1, vcc
	v_and_b32_e32 v3, 0xff, v9
	s_waitcnt lgkmcnt(0)
	v_cndmask_b32_e32 v2, v4, v2, vcc
	v_cndmask_b32_e64 v10, v3, 1, vcc
.LBB514_243:
	s_or_b64 exec, exec, s[2:3]
	v_mov_b32_e32 v7, v10
.LBB514_244:
	s_or_b64 exec, exec, s[0:1]
	v_cmp_gt_u32_e32 vcc, 62, v6
	s_waitcnt lgkmcnt(1)
	v_cndmask_b32_e64 v3, 0, 2, vcc
	s_waitcnt lgkmcnt(0)
	v_add_lshl_u32 v4, v3, v5, 2
	ds_bpermute_b32 v9, v4, v7
	ds_bpermute_b32 v3, v4, v1
	ds_bpermute_b32 v4, v4, v2
	v_add_u32_e32 v10, 2, v6
	v_cmp_lt_u32_e32 vcc, v10, v8
	s_and_saveexec_b64 s[0:1], vcc
	s_cbranch_execz .LBB514_250
; %bb.245:
	s_waitcnt lgkmcnt(2)
	v_and_b32_e32 v10, v7, v9
	v_and_b32_e32 v10, 1, v10
	v_cmp_eq_u32_e32 vcc, 1, v10
	s_and_saveexec_b64 s[2:3], vcc
	s_xor_b64 s[2:3], exec, s[2:3]
	s_cbranch_execz .LBB514_247
; %bb.246:
	s_waitcnt lgkmcnt(0)
	v_cmp_lt_i64_e32 vcc, v[3:4], v[1:2]
                                        ; implicit-def: $vgpr7
                                        ; implicit-def: $vgpr9
	v_cndmask_b32_e32 v2, v2, v4, vcc
	v_cndmask_b32_e32 v1, v1, v3, vcc
                                        ; implicit-def: $vgpr3_vgpr4
.LBB514_247:
	s_or_saveexec_b64 s[2:3], s[2:3]
	v_mov_b32_e32 v10, 1
	s_xor_b64 exec, exec, s[2:3]
	s_cbranch_execz .LBB514_249
; %bb.248:
	v_and_b32_e32 v7, 1, v7
	v_cmp_eq_u32_e32 vcc, 1, v7
	s_waitcnt lgkmcnt(1)
	v_cndmask_b32_e32 v1, v3, v1, vcc
	v_and_b32_e32 v3, 0xff, v9
	s_waitcnt lgkmcnt(0)
	v_cndmask_b32_e32 v2, v4, v2, vcc
	v_cndmask_b32_e64 v10, v3, 1, vcc
.LBB514_249:
	s_or_b64 exec, exec, s[2:3]
	v_mov_b32_e32 v7, v10
.LBB514_250:
	s_or_b64 exec, exec, s[0:1]
	v_cmp_gt_u32_e32 vcc, 60, v6
	s_waitcnt lgkmcnt(1)
	v_cndmask_b32_e64 v3, 0, 4, vcc
	s_waitcnt lgkmcnt(0)
	v_add_lshl_u32 v4, v3, v5, 2
	ds_bpermute_b32 v9, v4, v7
	ds_bpermute_b32 v3, v4, v1
	ds_bpermute_b32 v4, v4, v2
	v_add_u32_e32 v10, 4, v6
	v_cmp_lt_u32_e32 vcc, v10, v8
	s_and_saveexec_b64 s[0:1], vcc
	s_cbranch_execz .LBB514_256
; %bb.251:
	s_waitcnt lgkmcnt(2)
	v_and_b32_e32 v10, v7, v9
	v_and_b32_e32 v10, 1, v10
	v_cmp_eq_u32_e32 vcc, 1, v10
	s_and_saveexec_b64 s[2:3], vcc
	s_xor_b64 s[2:3], exec, s[2:3]
	s_cbranch_execz .LBB514_253
; %bb.252:
	s_waitcnt lgkmcnt(0)
	v_cmp_lt_i64_e32 vcc, v[3:4], v[1:2]
                                        ; implicit-def: $vgpr7
                                        ; implicit-def: $vgpr9
	v_cndmask_b32_e32 v2, v2, v4, vcc
	v_cndmask_b32_e32 v1, v1, v3, vcc
                                        ; implicit-def: $vgpr3_vgpr4
.LBB514_253:
	s_or_saveexec_b64 s[2:3], s[2:3]
	v_mov_b32_e32 v10, 1
	s_xor_b64 exec, exec, s[2:3]
	s_cbranch_execz .LBB514_255
; %bb.254:
	v_and_b32_e32 v7, 1, v7
	v_cmp_eq_u32_e32 vcc, 1, v7
	s_waitcnt lgkmcnt(1)
	v_cndmask_b32_e32 v1, v3, v1, vcc
	v_and_b32_e32 v3, 0xff, v9
	s_waitcnt lgkmcnt(0)
	v_cndmask_b32_e32 v2, v4, v2, vcc
	v_cndmask_b32_e64 v10, v3, 1, vcc
.LBB514_255:
	s_or_b64 exec, exec, s[2:3]
	v_mov_b32_e32 v7, v10
.LBB514_256:
	;; [unrolled: 47-line block ×4, first 2 shown]
	s_or_b64 exec, exec, s[0:1]
	s_waitcnt lgkmcnt(2)
	v_lshlrev_b32_e32 v9, 2, v5
	s_waitcnt lgkmcnt(0)
	v_or_b32_e32 v4, 0x80, v9
	ds_bpermute_b32 v10, v4, v7
	ds_bpermute_b32 v3, v4, v1
	;; [unrolled: 1-line block ×3, first 2 shown]
	v_add_u32_e32 v6, 32, v6
	v_cmp_lt_u32_e32 vcc, v6, v8
	v_mov_b32_e32 v6, v7
	s_and_saveexec_b64 s[0:1], vcc
	s_cbranch_execz .LBB514_274
; %bb.269:
	s_waitcnt lgkmcnt(2)
	v_and_b32_e32 v6, v7, v10
	v_and_b32_e32 v6, 1, v6
	v_cmp_eq_u32_e32 vcc, 1, v6
	s_and_saveexec_b64 s[2:3], vcc
	s_xor_b64 s[2:3], exec, s[2:3]
	s_cbranch_execz .LBB514_271
; %bb.270:
	s_waitcnt lgkmcnt(0)
	v_cmp_lt_i64_e32 vcc, v[3:4], v[1:2]
                                        ; implicit-def: $vgpr7
                                        ; implicit-def: $vgpr10
	v_cndmask_b32_e32 v2, v2, v4, vcc
	v_cndmask_b32_e32 v1, v1, v3, vcc
                                        ; implicit-def: $vgpr3_vgpr4
.LBB514_271:
	s_or_saveexec_b64 s[2:3], s[2:3]
	v_mov_b32_e32 v6, 1
	s_xor_b64 exec, exec, s[2:3]
	s_cbranch_execz .LBB514_273
; %bb.272:
	v_and_b32_e32 v6, 1, v7
	v_cmp_eq_u32_e32 vcc, 1, v6
	v_cndmask_b32_e64 v6, v10, 1, vcc
	s_waitcnt lgkmcnt(0)
	v_cndmask_b32_e32 v2, v4, v2, vcc
	v_cndmask_b32_e32 v1, v3, v1, vcc
.LBB514_273:
	s_or_b64 exec, exec, s[2:3]
	v_and_b32_e32 v7, 0xff, v6
.LBB514_274:
	s_or_b64 exec, exec, s[0:1]
	v_cmp_eq_u32_e32 vcc, 0, v5
	s_and_saveexec_b64 s[0:1], vcc
	s_cbranch_execz .LBB514_276
; %bb.275:
	s_waitcnt lgkmcnt(1)
	v_lshrrev_b32_e32 v3, 2, v0
	v_and_b32_e32 v3, 16, v3
	ds_write_b8 v3, v6 offset:128
	ds_write_b64 v3, v[1:2] offset:136
.LBB514_276:
	s_or_b64 exec, exec, s[0:1]
	v_cmp_gt_u32_e32 vcc, 2, v0
	s_waitcnt lgkmcnt(0)
	s_barrier
	s_and_saveexec_b64 s[0:1], vcc
	s_cbranch_execz .LBB514_284
; %bb.277:
	v_lshlrev_b32_e32 v1, 4, v5
	ds_read_u8 v6, v1 offset:128
	ds_read_b64 v[1:2], v1 offset:136
	v_or_b32_e32 v4, 4, v9
	s_add_i32 s8, s8, 63
	v_and_b32_e32 v5, 1, v5
	s_waitcnt lgkmcnt(1)
	v_and_b32_e32 v7, 0xff, v6
	s_waitcnt lgkmcnt(0)
	ds_bpermute_b32 v3, v4, v1
	ds_bpermute_b32 v8, v4, v7
	;; [unrolled: 1-line block ×3, first 2 shown]
	s_lshr_b32 s2, s8, 6
	v_add_u32_e32 v5, 1, v5
	v_cmp_gt_u32_e32 vcc, s2, v5
	s_and_saveexec_b64 s[2:3], vcc
	s_cbranch_execz .LBB514_283
; %bb.278:
	s_waitcnt lgkmcnt(1)
	v_and_b32_e32 v5, v7, v8
	v_and_b32_e32 v5, 1, v5
	v_cmp_eq_u32_e32 vcc, 1, v5
	s_and_saveexec_b64 s[8:9], vcc
	s_xor_b64 s[8:9], exec, s[8:9]
	s_cbranch_execz .LBB514_280
; %bb.279:
	s_waitcnt lgkmcnt(0)
	v_cmp_lt_i64_e32 vcc, v[3:4], v[1:2]
                                        ; implicit-def: $vgpr6
                                        ; implicit-def: $vgpr8
	v_cndmask_b32_e32 v2, v2, v4, vcc
	v_cndmask_b32_e32 v1, v1, v3, vcc
                                        ; implicit-def: $vgpr3_vgpr4
.LBB514_280:
	s_or_saveexec_b64 s[8:9], s[8:9]
	v_mov_b32_e32 v7, 1
	s_xor_b64 exec, exec, s[8:9]
	s_cbranch_execz .LBB514_282
; %bb.281:
	v_and_b32_e32 v5, 1, v6
	v_cmp_eq_u32_e32 vcc, 1, v5
	s_waitcnt lgkmcnt(0)
	v_cndmask_b32_e32 v2, v4, v2, vcc
	v_cndmask_b32_e32 v1, v3, v1, vcc
	v_cndmask_b32_e64 v7, v8, 1, vcc
.LBB514_282:
	s_or_b64 exec, exec, s[8:9]
.LBB514_283:
	s_or_b64 exec, exec, s[2:3]
.LBB514_284:
	s_or_b64 exec, exec, s[0:1]
.LBB514_285:
	v_cmp_eq_u32_e32 vcc, 0, v0
                                        ; implicit-def: $vgpr3_vgpr4
                                        ; implicit-def: $vgpr5
	s_and_saveexec_b64 s[0:1], vcc
	s_xor_b64 s[8:9], exec, s[0:1]
	s_cbranch_execz .LBB514_289
; %bb.286:
	s_waitcnt lgkmcnt(0)
	v_mov_b32_e32 v3, s18
	s_cmp_eq_u64 s[22:23], 0
	v_mov_b32_e32 v4, s19
	v_mov_b32_e32 v5, s33
	s_cbranch_scc1 .LBB514_288
; %bb.287:
	v_and_b32_e32 v3, 1, v7
	v_cmp_gt_i64_e64 s[0:1], s[18:19], v[1:2]
	s_bitcmp1_b32 s33, 0
	v_cmp_eq_u32_e32 vcc, 1, v3
	s_cselect_b64 s[2:3], -1, 0
	v_mov_b32_e32 v3, s18
	s_and_b64 vcc, vcc, s[0:1]
	v_mov_b32_e32 v4, s19
	v_cndmask_b32_e32 v3, v3, v1, vcc
	v_cndmask_b32_e32 v4, v4, v2, vcc
	v_cndmask_b32_e64 v5, v7, 1, s[2:3]
	v_cndmask_b32_e64 v4, v2, v4, s[2:3]
	;; [unrolled: 1-line block ×3, first 2 shown]
.LBB514_288:
	s_or_b64 s[14:15], s[14:15], exec
.LBB514_289:
	s_or_b64 exec, exec, s[8:9]
	v_mov_b32_e32 v1, s6
	v_mov_b32_e32 v2, s7
	s_branch .LBB514_306
.LBB514_290:
	s_cmp_eq_u32 s38, 1
	s_cbranch_scc0 .LBB514_305
; %bb.291:
	s_mov_b32 s9, 0
	s_lshl_b32 s8, s6, 7
	s_mov_b32 s7, s9
	s_lshr_b64 s[0:1], s[22:23], 7
	s_cmp_lg_u64 s[0:1], s[6:7]
	s_cbranch_scc0 .LBB514_309
; %bb.292:
	s_lshl_b64 s[0:1], s[8:9], 1
	s_add_u32 s2, s24, s0
	s_addc_u32 s3, s25, s1
	s_add_u32 s0, s26, s0
	v_lshlrev_b32_e32 v1, 1, v0
	s_addc_u32 s1, s27, s1
	s_waitcnt lgkmcnt(1)
	global_load_ushort v5, v1, s[2:3]
	s_waitcnt lgkmcnt(0)
	global_load_ushort v6, v1, s[0:1]
	s_add_u32 s0, s20, s8
	s_addc_u32 s1, s21, 0
	v_mov_b32_e32 v2, s1
	v_add_co_u32_e32 v1, vcc, s0, v0
	v_addc_co_u32_e32 v2, vcc, 0, v2, vcc
	s_nop 0
	v_mov_b32_dpp v3, v1 quad_perm:[1,0,3,2] row_mask:0xf bank_mask:0xf bound_ctrl:1
	v_mov_b32_dpp v4, v2 quad_perm:[1,0,3,2] row_mask:0xf bank_mask:0xf bound_ctrl:1
	v_cmp_lt_i64_e32 vcc, v[1:2], v[3:4]
                                        ; implicit-def: $vgpr7
	s_waitcnt vmcnt(0)
	v_cmp_ne_u16_e64 s[0:1], v5, v6
	v_cndmask_b32_e64 v5, 0, 1, s[0:1]
	s_and_b64 vcc, s[0:1], vcc
	v_cndmask_b32_e32 v3, v3, v1, vcc
	v_mov_b32_dpp v5, v5 quad_perm:[1,0,3,2] row_mask:0xf bank_mask:0xf bound_ctrl:1
	v_and_b32_e32 v5, 1, v5
	v_cndmask_b32_e32 v4, v4, v2, vcc
	v_cmp_eq_u32_e32 vcc, 1, v5
	s_or_b64 s[0:1], vcc, s[0:1]
	v_cndmask_b32_e32 v3, v1, v3, vcc
	v_cndmask_b32_e64 v1, 0, 1, s[0:1]
	v_cndmask_b32_e32 v4, v2, v4, vcc
	v_mov_b32_dpp v5, v3 quad_perm:[2,3,0,1] row_mask:0xf bank_mask:0xf bound_ctrl:1
	v_mov_b32_dpp v1, v1 quad_perm:[2,3,0,1] row_mask:0xf bank_mask:0xf bound_ctrl:1
	v_and_b32_e32 v1, 1, v1
	v_cmp_eq_u32_e32 vcc, 1, v1
	s_and_b64 s[2:3], vcc, s[0:1]
	v_mov_b32_dpp v6, v4 quad_perm:[2,3,0,1] row_mask:0xf bank_mask:0xf bound_ctrl:1
	s_xor_b64 s[2:3], s[2:3], -1
                                        ; implicit-def: $vgpr1_vgpr2
	s_and_saveexec_b64 s[10:11], s[2:3]
	s_xor_b64 s[2:3], exec, s[10:11]
; %bb.293:
	s_or_b64 s[0:1], vcc, s[0:1]
	v_cndmask_b32_e32 v2, v4, v6, vcc
	v_cndmask_b32_e32 v1, v3, v5, vcc
	v_cndmask_b32_e64 v7, 0, 1, s[0:1]
                                        ; implicit-def: $vgpr3_vgpr4
                                        ; implicit-def: $vgpr5_vgpr6
; %bb.294:
	s_andn2_saveexec_b64 s[0:1], s[2:3]
; %bb.295:
	v_cmp_lt_i64_e32 vcc, v[3:4], v[5:6]
	v_mov_b32_e32 v7, 1
	v_cndmask_b32_e32 v2, v6, v4, vcc
	v_cndmask_b32_e32 v1, v5, v3, vcc
; %bb.296:
	s_or_b64 exec, exec, s[0:1]
	s_nop 0
	v_mov_b32_dpp v4, v1 row_ror:4 row_mask:0xf bank_mask:0xf bound_ctrl:1
	v_mov_b32_dpp v5, v2 row_ror:4 row_mask:0xf bank_mask:0xf bound_ctrl:1
	v_and_b32_e32 v8, 1, v7
	v_cmp_lt_i64_e64 s[0:1], v[1:2], v[4:5]
	v_mov_b32_dpp v6, v7 row_ror:4 row_mask:0xf bank_mask:0xf bound_ctrl:1
	v_cmp_eq_u32_e32 vcc, 1, v8
	v_and_b32_e32 v6, 1, v6
	s_and_b64 vcc, vcc, s[0:1]
	v_cmp_eq_u32_e64 s[2:3], 1, v6
	v_cndmask_b32_e32 v4, v4, v1, vcc
	v_cndmask_b32_e32 v5, v5, v2, vcc
	v_cndmask_b32_e64 v2, v2, v5, s[2:3]
	v_cndmask_b32_e64 v1, v1, v4, s[2:3]
	;; [unrolled: 1-line block ×3, first 2 shown]
	v_mov_b32_dpp v5, v2 row_ror:8 row_mask:0xf bank_mask:0xf bound_ctrl:1
	v_mov_b32_dpp v4, v1 row_ror:8 row_mask:0xf bank_mask:0xf bound_ctrl:1
	v_and_b32_e32 v8, 1, v6
	v_cmp_lt_i64_e64 s[0:1], v[1:2], v[4:5]
	v_mov_b32_dpp v7, v6 row_ror:8 row_mask:0xf bank_mask:0xf bound_ctrl:1
	v_cmp_eq_u32_e32 vcc, 1, v8
	v_and_b32_e32 v7, 1, v7
	s_and_b64 vcc, vcc, s[0:1]
	v_cmp_eq_u32_e64 s[2:3], 1, v7
	v_cndmask_b32_e32 v4, v4, v1, vcc
	v_cndmask_b32_e32 v5, v5, v2, vcc
	v_cndmask_b32_e64 v2, v2, v5, s[2:3]
	v_cndmask_b32_e64 v1, v1, v4, s[2:3]
	;; [unrolled: 1-line block ×3, first 2 shown]
	v_mov_b32_dpp v5, v2 row_bcast:15 row_mask:0xf bank_mask:0xf bound_ctrl:1
	v_mov_b32_dpp v4, v1 row_bcast:15 row_mask:0xf bank_mask:0xf bound_ctrl:1
	v_and_b32_e32 v8, 1, v6
	v_cmp_lt_i64_e64 s[0:1], v[1:2], v[4:5]
	v_mov_b32_dpp v7, v6 row_bcast:15 row_mask:0xf bank_mask:0xf bound_ctrl:1
	v_cmp_eq_u32_e32 vcc, 1, v8
	v_and_b32_e32 v7, 1, v7
	s_and_b64 vcc, vcc, s[0:1]
	v_cmp_eq_u32_e64 s[2:3], 1, v7
	v_cndmask_b32_e32 v4, v4, v1, vcc
	v_cndmask_b32_e32 v5, v5, v2, vcc
	v_cndmask_b32_e64 v2, v2, v5, s[2:3]
	v_cndmask_b32_e64 v1, v1, v4, s[2:3]
	;; [unrolled: 1-line block ×3, first 2 shown]
	v_mov_b32_dpp v5, v2 row_bcast:31 row_mask:0xf bank_mask:0xf bound_ctrl:1
	v_mov_b32_dpp v4, v1 row_bcast:31 row_mask:0xf bank_mask:0xf bound_ctrl:1
	v_and_b32_e32 v8, 1, v6
	v_cmp_lt_i64_e64 s[0:1], v[1:2], v[4:5]
	v_mov_b32_dpp v7, v6 row_bcast:31 row_mask:0xf bank_mask:0xf bound_ctrl:1
	v_cmp_eq_u32_e32 vcc, 1, v8
	v_mbcnt_lo_u32_b32 v3, -1, 0
	v_and_b32_e32 v7, 1, v7
	s_and_b64 vcc, vcc, s[0:1]
	v_mbcnt_hi_u32_b32 v3, -1, v3
	v_cmp_eq_u32_e64 s[2:3], 1, v7
	v_cndmask_b32_e32 v5, v5, v2, vcc
	v_cndmask_b32_e32 v4, v4, v1, vcc
	v_cndmask_b32_e64 v2, v2, v5, s[2:3]
	v_lshlrev_b32_e32 v5, 2, v3
	v_cndmask_b32_e64 v6, v6, 1, s[2:3]
	v_cndmask_b32_e64 v1, v1, v4, s[2:3]
	v_or_b32_e32 v4, 0xfc, v5
	ds_bpermute_b32 v7, v4, v6
	ds_bpermute_b32 v1, v4, v1
	;; [unrolled: 1-line block ×3, first 2 shown]
	v_cmp_eq_u32_e32 vcc, 0, v3
	s_and_saveexec_b64 s[0:1], vcc
	s_cbranch_execz .LBB514_298
; %bb.297:
	v_lshrrev_b32_e32 v4, 2, v0
	v_and_b32_e32 v4, 16, v4
	s_waitcnt lgkmcnt(2)
	ds_write_b8 v4, v7
	s_waitcnt lgkmcnt(1)
	ds_write_b64 v4, v[1:2] offset:8
.LBB514_298:
	s_or_b64 exec, exec, s[0:1]
	v_cmp_gt_u32_e32 vcc, 64, v0
	s_waitcnt lgkmcnt(0)
	s_barrier
	s_and_saveexec_b64 s[0:1], vcc
	s_cbranch_execz .LBB514_304
; %bb.299:
	v_and_b32_e32 v1, 1, v3
	v_lshlrev_b32_e32 v1, 4, v1
	ds_read_u8 v8, v1
	ds_read_b64 v[3:4], v1 offset:8
	v_or_b32_e32 v2, 4, v5
	s_waitcnt lgkmcnt(1)
	v_and_b32_e32 v1, 0xff, v8
	ds_bpermute_b32 v9, v2, v1
	s_waitcnt lgkmcnt(1)
	ds_bpermute_b32 v5, v2, v3
	ds_bpermute_b32 v6, v2, v4
	s_waitcnt lgkmcnt(2)
	v_and_b32_e32 v1, v8, v9
	v_and_b32_e32 v1, 1, v1
	v_cmp_eq_u32_e32 vcc, 1, v1
                                        ; implicit-def: $vgpr1_vgpr2
	s_and_saveexec_b64 s[2:3], vcc
	s_xor_b64 s[2:3], exec, s[2:3]
	s_cbranch_execz .LBB514_301
; %bb.300:
	s_waitcnt lgkmcnt(0)
	v_cmp_lt_i64_e32 vcc, v[5:6], v[3:4]
                                        ; implicit-def: $vgpr8
                                        ; implicit-def: $vgpr9
	v_cndmask_b32_e32 v2, v4, v6, vcc
	v_cndmask_b32_e32 v1, v3, v5, vcc
                                        ; implicit-def: $vgpr5_vgpr6
                                        ; implicit-def: $vgpr3_vgpr4
.LBB514_301:
	s_or_saveexec_b64 s[2:3], s[2:3]
	v_mov_b32_e32 v7, 1
	s_xor_b64 exec, exec, s[2:3]
	s_cbranch_execz .LBB514_303
; %bb.302:
	v_and_b32_e32 v1, 1, v8
	v_cmp_eq_u32_e32 vcc, 1, v1
	s_waitcnt lgkmcnt(0)
	v_cndmask_b32_e32 v2, v6, v4, vcc
	v_cndmask_b32_e32 v1, v5, v3, vcc
	v_cndmask_b32_e64 v7, v9, 1, vcc
.LBB514_303:
	s_or_b64 exec, exec, s[2:3]
.LBB514_304:
	s_or_b64 exec, exec, s[0:1]
	s_branch .LBB514_359
.LBB514_305:
                                        ; implicit-def: $vgpr3_vgpr4
                                        ; implicit-def: $vgpr5
                                        ; implicit-def: $vgpr1_vgpr2
.LBB514_306:
	s_and_saveexec_b64 s[0:1], s[14:15]
	s_cbranch_execz .LBB514_308
.LBB514_307:
	s_load_dwordx2 s[0:1], s[4:5], 0x38
	v_lshlrev_b64 v[0:1], 4, v[1:2]
	s_waitcnt lgkmcnt(0)
	v_mov_b32_e32 v2, s1
	v_add_co_u32_e32 v0, vcc, s0, v0
	v_addc_co_u32_e32 v1, vcc, v2, v1, vcc
	global_store_byte v[0:1], v5, off
	global_store_dwordx2 v[0:1], v[3:4], off offset:8
.LBB514_308:
	s_endpgm
.LBB514_309:
                                        ; implicit-def: $vgpr1_vgpr2
                                        ; implicit-def: $vgpr7
	s_cbranch_execz .LBB514_359
; %bb.310:
	s_sub_i32 s2, s22, s8
	v_mov_b32_e32 v1, 0
	v_cmp_gt_u32_e32 vcc, s2, v0
	v_mov_b32_e32 v2, 0
	v_mov_b32_e32 v9, 0
	s_and_saveexec_b64 s[0:1], vcc
	s_cbranch_execz .LBB514_312
; %bb.311:
	s_lshl_b64 s[10:11], s[8:9], 1
	s_add_u32 s12, s26, s10
	s_addc_u32 s13, s27, s11
	s_add_u32 s10, s24, s10
	s_addc_u32 s11, s25, s11
	v_lshlrev_b32_e32 v1, 1, v0
	s_waitcnt lgkmcnt(2)
	global_load_ushort v3, v1, s[10:11]
	s_waitcnt lgkmcnt(0)
	global_load_ushort v4, v1, s[12:13]
	s_add_u32 s3, s20, s8
	s_addc_u32 s8, s21, 0
	v_mov_b32_e32 v2, s8
	v_add_co_u32_e32 v1, vcc, s3, v0
	v_addc_co_u32_e32 v2, vcc, 0, v2, vcc
	s_waitcnt vmcnt(0)
	v_cmp_ne_u16_e32 vcc, v3, v4
	v_cndmask_b32_e64 v9, 0, 1, vcc
.LBB514_312:
	s_or_b64 exec, exec, s[0:1]
	s_waitcnt lgkmcnt(2)
	v_mbcnt_lo_u32_b32 v3, -1, 0
	s_waitcnt lgkmcnt(1)
	v_mbcnt_hi_u32_b32 v5, -1, v3
	s_waitcnt lgkmcnt(0)
	v_and_b32_e32 v6, 63, v5
	v_cmp_ne_u32_e32 vcc, 63, v6
	v_addc_co_u32_e32 v3, vcc, 0, v5, vcc
	v_and_b32_e32 v7, 0xffff, v9
	v_lshlrev_b32_e32 v4, 2, v3
	ds_bpermute_b32 v10, v4, v7
	ds_bpermute_b32 v3, v4, v1
	;; [unrolled: 1-line block ×3, first 2 shown]
	s_min_u32 s8, s2, 0x80
	v_and_b32_e32 v8, 64, v0
	v_sub_u32_e64 v8, s8, v8 clamp
	v_add_u32_e32 v11, 1, v6
	v_cmp_lt_u32_e32 vcc, v11, v8
	s_and_saveexec_b64 s[0:1], vcc
	s_cbranch_execz .LBB514_318
; %bb.313:
	s_waitcnt lgkmcnt(2)
	v_and_b32_e32 v7, v10, v7
	v_and_b32_e32 v7, 1, v7
	v_cmp_eq_u32_e32 vcc, 1, v7
	s_and_saveexec_b64 s[2:3], vcc
	s_xor_b64 s[2:3], exec, s[2:3]
	s_cbranch_execz .LBB514_315
; %bb.314:
	s_waitcnt lgkmcnt(0)
	v_cmp_lt_i64_e32 vcc, v[3:4], v[1:2]
                                        ; implicit-def: $vgpr9
                                        ; implicit-def: $vgpr10
	v_cndmask_b32_e32 v2, v2, v4, vcc
	v_cndmask_b32_e32 v1, v1, v3, vcc
                                        ; implicit-def: $vgpr3_vgpr4
.LBB514_315:
	s_or_saveexec_b64 s[2:3], s[2:3]
	v_mov_b32_e32 v7, 1
	s_xor_b64 exec, exec, s[2:3]
	s_cbranch_execz .LBB514_317
; %bb.316:
	v_and_b32_e32 v7, 1, v9
	v_cmp_eq_u32_e32 vcc, 1, v7
	s_waitcnt lgkmcnt(1)
	v_cndmask_b32_e32 v1, v3, v1, vcc
	v_and_b32_e32 v3, 0xff, v10
	s_waitcnt lgkmcnt(0)
	v_cndmask_b32_e32 v2, v4, v2, vcc
	v_cndmask_b32_e64 v7, v3, 1, vcc
.LBB514_317:
	s_or_b64 exec, exec, s[2:3]
.LBB514_318:
	s_or_b64 exec, exec, s[0:1]
	v_cmp_gt_u32_e32 vcc, 62, v6
	s_waitcnt lgkmcnt(1)
	v_cndmask_b32_e64 v3, 0, 2, vcc
	s_waitcnt lgkmcnt(0)
	v_add_lshl_u32 v4, v3, v5, 2
	ds_bpermute_b32 v9, v4, v7
	ds_bpermute_b32 v3, v4, v1
	ds_bpermute_b32 v4, v4, v2
	v_add_u32_e32 v10, 2, v6
	v_cmp_lt_u32_e32 vcc, v10, v8
	s_and_saveexec_b64 s[0:1], vcc
	s_cbranch_execz .LBB514_324
; %bb.319:
	s_waitcnt lgkmcnt(2)
	v_and_b32_e32 v10, v7, v9
	v_and_b32_e32 v10, 1, v10
	v_cmp_eq_u32_e32 vcc, 1, v10
	s_and_saveexec_b64 s[2:3], vcc
	s_xor_b64 s[2:3], exec, s[2:3]
	s_cbranch_execz .LBB514_321
; %bb.320:
	s_waitcnt lgkmcnt(0)
	v_cmp_lt_i64_e32 vcc, v[3:4], v[1:2]
                                        ; implicit-def: $vgpr7
                                        ; implicit-def: $vgpr9
	v_cndmask_b32_e32 v2, v2, v4, vcc
	v_cndmask_b32_e32 v1, v1, v3, vcc
                                        ; implicit-def: $vgpr3_vgpr4
.LBB514_321:
	s_or_saveexec_b64 s[2:3], s[2:3]
	v_mov_b32_e32 v10, 1
	s_xor_b64 exec, exec, s[2:3]
	s_cbranch_execz .LBB514_323
; %bb.322:
	v_and_b32_e32 v7, 1, v7
	v_cmp_eq_u32_e32 vcc, 1, v7
	s_waitcnt lgkmcnt(1)
	v_cndmask_b32_e32 v1, v3, v1, vcc
	v_and_b32_e32 v3, 0xff, v9
	s_waitcnt lgkmcnt(0)
	v_cndmask_b32_e32 v2, v4, v2, vcc
	v_cndmask_b32_e64 v10, v3, 1, vcc
.LBB514_323:
	s_or_b64 exec, exec, s[2:3]
	v_mov_b32_e32 v7, v10
.LBB514_324:
	s_or_b64 exec, exec, s[0:1]
	v_cmp_gt_u32_e32 vcc, 60, v6
	s_waitcnt lgkmcnt(1)
	v_cndmask_b32_e64 v3, 0, 4, vcc
	s_waitcnt lgkmcnt(0)
	v_add_lshl_u32 v4, v3, v5, 2
	ds_bpermute_b32 v9, v4, v7
	ds_bpermute_b32 v3, v4, v1
	ds_bpermute_b32 v4, v4, v2
	v_add_u32_e32 v10, 4, v6
	v_cmp_lt_u32_e32 vcc, v10, v8
	s_and_saveexec_b64 s[0:1], vcc
	s_cbranch_execz .LBB514_330
; %bb.325:
	s_waitcnt lgkmcnt(2)
	v_and_b32_e32 v10, v7, v9
	v_and_b32_e32 v10, 1, v10
	v_cmp_eq_u32_e32 vcc, 1, v10
	s_and_saveexec_b64 s[2:3], vcc
	s_xor_b64 s[2:3], exec, s[2:3]
	s_cbranch_execz .LBB514_327
; %bb.326:
	s_waitcnt lgkmcnt(0)
	v_cmp_lt_i64_e32 vcc, v[3:4], v[1:2]
                                        ; implicit-def: $vgpr7
                                        ; implicit-def: $vgpr9
	v_cndmask_b32_e32 v2, v2, v4, vcc
	v_cndmask_b32_e32 v1, v1, v3, vcc
                                        ; implicit-def: $vgpr3_vgpr4
.LBB514_327:
	s_or_saveexec_b64 s[2:3], s[2:3]
	v_mov_b32_e32 v10, 1
	s_xor_b64 exec, exec, s[2:3]
	s_cbranch_execz .LBB514_329
; %bb.328:
	v_and_b32_e32 v7, 1, v7
	v_cmp_eq_u32_e32 vcc, 1, v7
	s_waitcnt lgkmcnt(1)
	v_cndmask_b32_e32 v1, v3, v1, vcc
	v_and_b32_e32 v3, 0xff, v9
	s_waitcnt lgkmcnt(0)
	v_cndmask_b32_e32 v2, v4, v2, vcc
	v_cndmask_b32_e64 v10, v3, 1, vcc
.LBB514_329:
	s_or_b64 exec, exec, s[2:3]
	v_mov_b32_e32 v7, v10
.LBB514_330:
	;; [unrolled: 47-line block ×4, first 2 shown]
	s_or_b64 exec, exec, s[0:1]
	s_waitcnt lgkmcnt(2)
	v_lshlrev_b32_e32 v9, 2, v5
	s_waitcnt lgkmcnt(0)
	v_or_b32_e32 v4, 0x80, v9
	ds_bpermute_b32 v10, v4, v7
	ds_bpermute_b32 v3, v4, v1
	;; [unrolled: 1-line block ×3, first 2 shown]
	v_add_u32_e32 v6, 32, v6
	v_cmp_lt_u32_e32 vcc, v6, v8
	v_mov_b32_e32 v6, v7
	s_and_saveexec_b64 s[0:1], vcc
	s_cbranch_execz .LBB514_348
; %bb.343:
	s_waitcnt lgkmcnt(2)
	v_and_b32_e32 v6, v7, v10
	v_and_b32_e32 v6, 1, v6
	v_cmp_eq_u32_e32 vcc, 1, v6
	s_and_saveexec_b64 s[2:3], vcc
	s_xor_b64 s[2:3], exec, s[2:3]
	s_cbranch_execz .LBB514_345
; %bb.344:
	s_waitcnt lgkmcnt(0)
	v_cmp_lt_i64_e32 vcc, v[3:4], v[1:2]
                                        ; implicit-def: $vgpr7
                                        ; implicit-def: $vgpr10
	v_cndmask_b32_e32 v2, v2, v4, vcc
	v_cndmask_b32_e32 v1, v1, v3, vcc
                                        ; implicit-def: $vgpr3_vgpr4
.LBB514_345:
	s_or_saveexec_b64 s[2:3], s[2:3]
	v_mov_b32_e32 v6, 1
	s_xor_b64 exec, exec, s[2:3]
	s_cbranch_execz .LBB514_347
; %bb.346:
	v_and_b32_e32 v6, 1, v7
	v_cmp_eq_u32_e32 vcc, 1, v6
	v_cndmask_b32_e64 v6, v10, 1, vcc
	s_waitcnt lgkmcnt(0)
	v_cndmask_b32_e32 v2, v4, v2, vcc
	v_cndmask_b32_e32 v1, v3, v1, vcc
.LBB514_347:
	s_or_b64 exec, exec, s[2:3]
	v_and_b32_e32 v7, 0xff, v6
.LBB514_348:
	s_or_b64 exec, exec, s[0:1]
	v_cmp_eq_u32_e32 vcc, 0, v5
	s_and_saveexec_b64 s[0:1], vcc
	s_cbranch_execz .LBB514_350
; %bb.349:
	s_waitcnt lgkmcnt(1)
	v_lshrrev_b32_e32 v3, 2, v0
	v_and_b32_e32 v3, 16, v3
	ds_write_b8 v3, v6 offset:128
	ds_write_b64 v3, v[1:2] offset:136
.LBB514_350:
	s_or_b64 exec, exec, s[0:1]
	v_cmp_gt_u32_e32 vcc, 2, v0
	s_waitcnt lgkmcnt(0)
	s_barrier
	s_and_saveexec_b64 s[0:1], vcc
	s_cbranch_execz .LBB514_358
; %bb.351:
	v_lshlrev_b32_e32 v1, 4, v5
	ds_read_u8 v6, v1 offset:128
	ds_read_b64 v[1:2], v1 offset:136
	v_or_b32_e32 v4, 4, v9
	s_add_i32 s8, s8, 63
	v_and_b32_e32 v5, 1, v5
	s_waitcnt lgkmcnt(1)
	v_and_b32_e32 v7, 0xff, v6
	s_waitcnt lgkmcnt(0)
	ds_bpermute_b32 v3, v4, v1
	ds_bpermute_b32 v8, v4, v7
	;; [unrolled: 1-line block ×3, first 2 shown]
	s_lshr_b32 s2, s8, 6
	v_add_u32_e32 v5, 1, v5
	v_cmp_gt_u32_e32 vcc, s2, v5
	s_and_saveexec_b64 s[2:3], vcc
	s_cbranch_execz .LBB514_357
; %bb.352:
	s_waitcnt lgkmcnt(1)
	v_and_b32_e32 v5, v7, v8
	v_and_b32_e32 v5, 1, v5
	v_cmp_eq_u32_e32 vcc, 1, v5
	s_and_saveexec_b64 s[8:9], vcc
	s_xor_b64 s[8:9], exec, s[8:9]
	s_cbranch_execz .LBB514_354
; %bb.353:
	s_waitcnt lgkmcnt(0)
	v_cmp_lt_i64_e32 vcc, v[3:4], v[1:2]
                                        ; implicit-def: $vgpr6
                                        ; implicit-def: $vgpr8
	v_cndmask_b32_e32 v2, v2, v4, vcc
	v_cndmask_b32_e32 v1, v1, v3, vcc
                                        ; implicit-def: $vgpr3_vgpr4
.LBB514_354:
	s_or_saveexec_b64 s[8:9], s[8:9]
	v_mov_b32_e32 v7, 1
	s_xor_b64 exec, exec, s[8:9]
	s_cbranch_execz .LBB514_356
; %bb.355:
	v_and_b32_e32 v5, 1, v6
	v_cmp_eq_u32_e32 vcc, 1, v5
	s_waitcnt lgkmcnt(0)
	v_cndmask_b32_e32 v2, v4, v2, vcc
	v_cndmask_b32_e32 v1, v3, v1, vcc
	v_cndmask_b32_e64 v7, v8, 1, vcc
.LBB514_356:
	s_or_b64 exec, exec, s[8:9]
.LBB514_357:
	s_or_b64 exec, exec, s[2:3]
.LBB514_358:
	s_or_b64 exec, exec, s[0:1]
.LBB514_359:
	v_cmp_eq_u32_e32 vcc, 0, v0
                                        ; implicit-def: $vgpr3_vgpr4
                                        ; implicit-def: $vgpr5
	s_and_saveexec_b64 s[8:9], vcc
	s_cbranch_execz .LBB514_363
; %bb.360:
	s_waitcnt lgkmcnt(0)
	v_mov_b32_e32 v3, s18
	s_cmp_eq_u64 s[22:23], 0
	v_mov_b32_e32 v4, s19
	v_mov_b32_e32 v5, s33
	s_cbranch_scc1 .LBB514_362
; %bb.361:
	v_and_b32_e32 v0, 1, v7
	v_cmp_gt_i64_e64 s[0:1], s[18:19], v[1:2]
	s_bitcmp1_b32 s33, 0
	v_cmp_eq_u32_e32 vcc, 1, v0
	s_cselect_b64 s[2:3], -1, 0
	v_mov_b32_e32 v0, s18
	s_and_b64 vcc, vcc, s[0:1]
	v_mov_b32_e32 v3, s19
	v_cndmask_b32_e32 v0, v0, v1, vcc
	v_cndmask_b32_e32 v3, v3, v2, vcc
	v_cndmask_b32_e64 v5, v7, 1, s[2:3]
	v_cndmask_b32_e64 v4, v2, v3, s[2:3]
	;; [unrolled: 1-line block ×3, first 2 shown]
.LBB514_362:
	s_or_b64 s[14:15], s[14:15], exec
.LBB514_363:
	s_or_b64 exec, exec, s[8:9]
	v_mov_b32_e32 v1, s6
	v_mov_b32_e32 v2, s7
	s_and_saveexec_b64 s[0:1], s[14:15]
	s_cbranch_execnz .LBB514_307
	s_branch .LBB514_308
	.section	.rodata,"a",@progbits
	.p2align	6, 0x0
	.amdhsa_kernel _ZN7rocprim17ROCPRIM_400000_NS6detail17trampoline_kernelINS0_14default_configENS1_22reduce_config_selectorIN6thrust23THRUST_200600_302600_NS5tupleIblNS6_9null_typeES8_S8_S8_S8_S8_S8_S8_EEEEZNS1_11reduce_implILb1ES3_NS6_12zip_iteratorINS7_INS6_11hip_rocprim26transform_input_iterator_tIbNSD_35transform_pair_of_input_iterators_tIbNS6_6detail15normal_iteratorINS6_10device_ptrIKtEEEESL_NS6_8equal_toItEEEENSG_9not_fun_tINSD_8identityEEEEENSD_19counting_iterator_tIlEES8_S8_S8_S8_S8_S8_S8_S8_EEEEPS9_S9_NSD_9__find_if7functorIS9_EEEE10hipError_tPvRmT1_T2_T3_mT4_P12ihipStream_tbEUlT_E1_NS1_11comp_targetILNS1_3genE2ELNS1_11target_archE906ELNS1_3gpuE6ELNS1_3repE0EEENS1_30default_config_static_selectorELNS0_4arch9wavefront6targetE1EEEvS14_
		.amdhsa_group_segment_fixed_size 160
		.amdhsa_private_segment_fixed_size 0
		.amdhsa_kernarg_size 88
		.amdhsa_user_sgpr_count 6
		.amdhsa_user_sgpr_private_segment_buffer 1
		.amdhsa_user_sgpr_dispatch_ptr 0
		.amdhsa_user_sgpr_queue_ptr 0
		.amdhsa_user_sgpr_kernarg_segment_ptr 1
		.amdhsa_user_sgpr_dispatch_id 0
		.amdhsa_user_sgpr_flat_scratch_init 0
		.amdhsa_user_sgpr_private_segment_size 0
		.amdhsa_uses_dynamic_stack 0
		.amdhsa_system_sgpr_private_segment_wavefront_offset 0
		.amdhsa_system_sgpr_workgroup_id_x 1
		.amdhsa_system_sgpr_workgroup_id_y 0
		.amdhsa_system_sgpr_workgroup_id_z 0
		.amdhsa_system_sgpr_workgroup_info 0
		.amdhsa_system_vgpr_workitem_id 0
		.amdhsa_next_free_vgpr 27
		.amdhsa_next_free_sgpr 42
		.amdhsa_reserve_vcc 1
		.amdhsa_reserve_flat_scratch 0
		.amdhsa_float_round_mode_32 0
		.amdhsa_float_round_mode_16_64 0
		.amdhsa_float_denorm_mode_32 3
		.amdhsa_float_denorm_mode_16_64 3
		.amdhsa_dx10_clamp 1
		.amdhsa_ieee_mode 1
		.amdhsa_fp16_overflow 0
		.amdhsa_exception_fp_ieee_invalid_op 0
		.amdhsa_exception_fp_denorm_src 0
		.amdhsa_exception_fp_ieee_div_zero 0
		.amdhsa_exception_fp_ieee_overflow 0
		.amdhsa_exception_fp_ieee_underflow 0
		.amdhsa_exception_fp_ieee_inexact 0
		.amdhsa_exception_int_div_zero 0
	.end_amdhsa_kernel
	.section	.text._ZN7rocprim17ROCPRIM_400000_NS6detail17trampoline_kernelINS0_14default_configENS1_22reduce_config_selectorIN6thrust23THRUST_200600_302600_NS5tupleIblNS6_9null_typeES8_S8_S8_S8_S8_S8_S8_EEEEZNS1_11reduce_implILb1ES3_NS6_12zip_iteratorINS7_INS6_11hip_rocprim26transform_input_iterator_tIbNSD_35transform_pair_of_input_iterators_tIbNS6_6detail15normal_iteratorINS6_10device_ptrIKtEEEESL_NS6_8equal_toItEEEENSG_9not_fun_tINSD_8identityEEEEENSD_19counting_iterator_tIlEES8_S8_S8_S8_S8_S8_S8_S8_EEEEPS9_S9_NSD_9__find_if7functorIS9_EEEE10hipError_tPvRmT1_T2_T3_mT4_P12ihipStream_tbEUlT_E1_NS1_11comp_targetILNS1_3genE2ELNS1_11target_archE906ELNS1_3gpuE6ELNS1_3repE0EEENS1_30default_config_static_selectorELNS0_4arch9wavefront6targetE1EEEvS14_,"axG",@progbits,_ZN7rocprim17ROCPRIM_400000_NS6detail17trampoline_kernelINS0_14default_configENS1_22reduce_config_selectorIN6thrust23THRUST_200600_302600_NS5tupleIblNS6_9null_typeES8_S8_S8_S8_S8_S8_S8_EEEEZNS1_11reduce_implILb1ES3_NS6_12zip_iteratorINS7_INS6_11hip_rocprim26transform_input_iterator_tIbNSD_35transform_pair_of_input_iterators_tIbNS6_6detail15normal_iteratorINS6_10device_ptrIKtEEEESL_NS6_8equal_toItEEEENSG_9not_fun_tINSD_8identityEEEEENSD_19counting_iterator_tIlEES8_S8_S8_S8_S8_S8_S8_S8_EEEEPS9_S9_NSD_9__find_if7functorIS9_EEEE10hipError_tPvRmT1_T2_T3_mT4_P12ihipStream_tbEUlT_E1_NS1_11comp_targetILNS1_3genE2ELNS1_11target_archE906ELNS1_3gpuE6ELNS1_3repE0EEENS1_30default_config_static_selectorELNS0_4arch9wavefront6targetE1EEEvS14_,comdat
.Lfunc_end514:
	.size	_ZN7rocprim17ROCPRIM_400000_NS6detail17trampoline_kernelINS0_14default_configENS1_22reduce_config_selectorIN6thrust23THRUST_200600_302600_NS5tupleIblNS6_9null_typeES8_S8_S8_S8_S8_S8_S8_EEEEZNS1_11reduce_implILb1ES3_NS6_12zip_iteratorINS7_INS6_11hip_rocprim26transform_input_iterator_tIbNSD_35transform_pair_of_input_iterators_tIbNS6_6detail15normal_iteratorINS6_10device_ptrIKtEEEESL_NS6_8equal_toItEEEENSG_9not_fun_tINSD_8identityEEEEENSD_19counting_iterator_tIlEES8_S8_S8_S8_S8_S8_S8_S8_EEEEPS9_S9_NSD_9__find_if7functorIS9_EEEE10hipError_tPvRmT1_T2_T3_mT4_P12ihipStream_tbEUlT_E1_NS1_11comp_targetILNS1_3genE2ELNS1_11target_archE906ELNS1_3gpuE6ELNS1_3repE0EEENS1_30default_config_static_selectorELNS0_4arch9wavefront6targetE1EEEvS14_, .Lfunc_end514-_ZN7rocprim17ROCPRIM_400000_NS6detail17trampoline_kernelINS0_14default_configENS1_22reduce_config_selectorIN6thrust23THRUST_200600_302600_NS5tupleIblNS6_9null_typeES8_S8_S8_S8_S8_S8_S8_EEEEZNS1_11reduce_implILb1ES3_NS6_12zip_iteratorINS7_INS6_11hip_rocprim26transform_input_iterator_tIbNSD_35transform_pair_of_input_iterators_tIbNS6_6detail15normal_iteratorINS6_10device_ptrIKtEEEESL_NS6_8equal_toItEEEENSG_9not_fun_tINSD_8identityEEEEENSD_19counting_iterator_tIlEES8_S8_S8_S8_S8_S8_S8_S8_EEEEPS9_S9_NSD_9__find_if7functorIS9_EEEE10hipError_tPvRmT1_T2_T3_mT4_P12ihipStream_tbEUlT_E1_NS1_11comp_targetILNS1_3genE2ELNS1_11target_archE906ELNS1_3gpuE6ELNS1_3repE0EEENS1_30default_config_static_selectorELNS0_4arch9wavefront6targetE1EEEvS14_
                                        ; -- End function
	.set _ZN7rocprim17ROCPRIM_400000_NS6detail17trampoline_kernelINS0_14default_configENS1_22reduce_config_selectorIN6thrust23THRUST_200600_302600_NS5tupleIblNS6_9null_typeES8_S8_S8_S8_S8_S8_S8_EEEEZNS1_11reduce_implILb1ES3_NS6_12zip_iteratorINS7_INS6_11hip_rocprim26transform_input_iterator_tIbNSD_35transform_pair_of_input_iterators_tIbNS6_6detail15normal_iteratorINS6_10device_ptrIKtEEEESL_NS6_8equal_toItEEEENSG_9not_fun_tINSD_8identityEEEEENSD_19counting_iterator_tIlEES8_S8_S8_S8_S8_S8_S8_S8_EEEEPS9_S9_NSD_9__find_if7functorIS9_EEEE10hipError_tPvRmT1_T2_T3_mT4_P12ihipStream_tbEUlT_E1_NS1_11comp_targetILNS1_3genE2ELNS1_11target_archE906ELNS1_3gpuE6ELNS1_3repE0EEENS1_30default_config_static_selectorELNS0_4arch9wavefront6targetE1EEEvS14_.num_vgpr, 27
	.set _ZN7rocprim17ROCPRIM_400000_NS6detail17trampoline_kernelINS0_14default_configENS1_22reduce_config_selectorIN6thrust23THRUST_200600_302600_NS5tupleIblNS6_9null_typeES8_S8_S8_S8_S8_S8_S8_EEEEZNS1_11reduce_implILb1ES3_NS6_12zip_iteratorINS7_INS6_11hip_rocprim26transform_input_iterator_tIbNSD_35transform_pair_of_input_iterators_tIbNS6_6detail15normal_iteratorINS6_10device_ptrIKtEEEESL_NS6_8equal_toItEEEENSG_9not_fun_tINSD_8identityEEEEENSD_19counting_iterator_tIlEES8_S8_S8_S8_S8_S8_S8_S8_EEEEPS9_S9_NSD_9__find_if7functorIS9_EEEE10hipError_tPvRmT1_T2_T3_mT4_P12ihipStream_tbEUlT_E1_NS1_11comp_targetILNS1_3genE2ELNS1_11target_archE906ELNS1_3gpuE6ELNS1_3repE0EEENS1_30default_config_static_selectorELNS0_4arch9wavefront6targetE1EEEvS14_.num_agpr, 0
	.set _ZN7rocprim17ROCPRIM_400000_NS6detail17trampoline_kernelINS0_14default_configENS1_22reduce_config_selectorIN6thrust23THRUST_200600_302600_NS5tupleIblNS6_9null_typeES8_S8_S8_S8_S8_S8_S8_EEEEZNS1_11reduce_implILb1ES3_NS6_12zip_iteratorINS7_INS6_11hip_rocprim26transform_input_iterator_tIbNSD_35transform_pair_of_input_iterators_tIbNS6_6detail15normal_iteratorINS6_10device_ptrIKtEEEESL_NS6_8equal_toItEEEENSG_9not_fun_tINSD_8identityEEEEENSD_19counting_iterator_tIlEES8_S8_S8_S8_S8_S8_S8_S8_EEEEPS9_S9_NSD_9__find_if7functorIS9_EEEE10hipError_tPvRmT1_T2_T3_mT4_P12ihipStream_tbEUlT_E1_NS1_11comp_targetILNS1_3genE2ELNS1_11target_archE906ELNS1_3gpuE6ELNS1_3repE0EEENS1_30default_config_static_selectorELNS0_4arch9wavefront6targetE1EEEvS14_.numbered_sgpr, 42
	.set _ZN7rocprim17ROCPRIM_400000_NS6detail17trampoline_kernelINS0_14default_configENS1_22reduce_config_selectorIN6thrust23THRUST_200600_302600_NS5tupleIblNS6_9null_typeES8_S8_S8_S8_S8_S8_S8_EEEEZNS1_11reduce_implILb1ES3_NS6_12zip_iteratorINS7_INS6_11hip_rocprim26transform_input_iterator_tIbNSD_35transform_pair_of_input_iterators_tIbNS6_6detail15normal_iteratorINS6_10device_ptrIKtEEEESL_NS6_8equal_toItEEEENSG_9not_fun_tINSD_8identityEEEEENSD_19counting_iterator_tIlEES8_S8_S8_S8_S8_S8_S8_S8_EEEEPS9_S9_NSD_9__find_if7functorIS9_EEEE10hipError_tPvRmT1_T2_T3_mT4_P12ihipStream_tbEUlT_E1_NS1_11comp_targetILNS1_3genE2ELNS1_11target_archE906ELNS1_3gpuE6ELNS1_3repE0EEENS1_30default_config_static_selectorELNS0_4arch9wavefront6targetE1EEEvS14_.num_named_barrier, 0
	.set _ZN7rocprim17ROCPRIM_400000_NS6detail17trampoline_kernelINS0_14default_configENS1_22reduce_config_selectorIN6thrust23THRUST_200600_302600_NS5tupleIblNS6_9null_typeES8_S8_S8_S8_S8_S8_S8_EEEEZNS1_11reduce_implILb1ES3_NS6_12zip_iteratorINS7_INS6_11hip_rocprim26transform_input_iterator_tIbNSD_35transform_pair_of_input_iterators_tIbNS6_6detail15normal_iteratorINS6_10device_ptrIKtEEEESL_NS6_8equal_toItEEEENSG_9not_fun_tINSD_8identityEEEEENSD_19counting_iterator_tIlEES8_S8_S8_S8_S8_S8_S8_S8_EEEEPS9_S9_NSD_9__find_if7functorIS9_EEEE10hipError_tPvRmT1_T2_T3_mT4_P12ihipStream_tbEUlT_E1_NS1_11comp_targetILNS1_3genE2ELNS1_11target_archE906ELNS1_3gpuE6ELNS1_3repE0EEENS1_30default_config_static_selectorELNS0_4arch9wavefront6targetE1EEEvS14_.private_seg_size, 0
	.set _ZN7rocprim17ROCPRIM_400000_NS6detail17trampoline_kernelINS0_14default_configENS1_22reduce_config_selectorIN6thrust23THRUST_200600_302600_NS5tupleIblNS6_9null_typeES8_S8_S8_S8_S8_S8_S8_EEEEZNS1_11reduce_implILb1ES3_NS6_12zip_iteratorINS7_INS6_11hip_rocprim26transform_input_iterator_tIbNSD_35transform_pair_of_input_iterators_tIbNS6_6detail15normal_iteratorINS6_10device_ptrIKtEEEESL_NS6_8equal_toItEEEENSG_9not_fun_tINSD_8identityEEEEENSD_19counting_iterator_tIlEES8_S8_S8_S8_S8_S8_S8_S8_EEEEPS9_S9_NSD_9__find_if7functorIS9_EEEE10hipError_tPvRmT1_T2_T3_mT4_P12ihipStream_tbEUlT_E1_NS1_11comp_targetILNS1_3genE2ELNS1_11target_archE906ELNS1_3gpuE6ELNS1_3repE0EEENS1_30default_config_static_selectorELNS0_4arch9wavefront6targetE1EEEvS14_.uses_vcc, 1
	.set _ZN7rocprim17ROCPRIM_400000_NS6detail17trampoline_kernelINS0_14default_configENS1_22reduce_config_selectorIN6thrust23THRUST_200600_302600_NS5tupleIblNS6_9null_typeES8_S8_S8_S8_S8_S8_S8_EEEEZNS1_11reduce_implILb1ES3_NS6_12zip_iteratorINS7_INS6_11hip_rocprim26transform_input_iterator_tIbNSD_35transform_pair_of_input_iterators_tIbNS6_6detail15normal_iteratorINS6_10device_ptrIKtEEEESL_NS6_8equal_toItEEEENSG_9not_fun_tINSD_8identityEEEEENSD_19counting_iterator_tIlEES8_S8_S8_S8_S8_S8_S8_S8_EEEEPS9_S9_NSD_9__find_if7functorIS9_EEEE10hipError_tPvRmT1_T2_T3_mT4_P12ihipStream_tbEUlT_E1_NS1_11comp_targetILNS1_3genE2ELNS1_11target_archE906ELNS1_3gpuE6ELNS1_3repE0EEENS1_30default_config_static_selectorELNS0_4arch9wavefront6targetE1EEEvS14_.uses_flat_scratch, 0
	.set _ZN7rocprim17ROCPRIM_400000_NS6detail17trampoline_kernelINS0_14default_configENS1_22reduce_config_selectorIN6thrust23THRUST_200600_302600_NS5tupleIblNS6_9null_typeES8_S8_S8_S8_S8_S8_S8_EEEEZNS1_11reduce_implILb1ES3_NS6_12zip_iteratorINS7_INS6_11hip_rocprim26transform_input_iterator_tIbNSD_35transform_pair_of_input_iterators_tIbNS6_6detail15normal_iteratorINS6_10device_ptrIKtEEEESL_NS6_8equal_toItEEEENSG_9not_fun_tINSD_8identityEEEEENSD_19counting_iterator_tIlEES8_S8_S8_S8_S8_S8_S8_S8_EEEEPS9_S9_NSD_9__find_if7functorIS9_EEEE10hipError_tPvRmT1_T2_T3_mT4_P12ihipStream_tbEUlT_E1_NS1_11comp_targetILNS1_3genE2ELNS1_11target_archE906ELNS1_3gpuE6ELNS1_3repE0EEENS1_30default_config_static_selectorELNS0_4arch9wavefront6targetE1EEEvS14_.has_dyn_sized_stack, 0
	.set _ZN7rocprim17ROCPRIM_400000_NS6detail17trampoline_kernelINS0_14default_configENS1_22reduce_config_selectorIN6thrust23THRUST_200600_302600_NS5tupleIblNS6_9null_typeES8_S8_S8_S8_S8_S8_S8_EEEEZNS1_11reduce_implILb1ES3_NS6_12zip_iteratorINS7_INS6_11hip_rocprim26transform_input_iterator_tIbNSD_35transform_pair_of_input_iterators_tIbNS6_6detail15normal_iteratorINS6_10device_ptrIKtEEEESL_NS6_8equal_toItEEEENSG_9not_fun_tINSD_8identityEEEEENSD_19counting_iterator_tIlEES8_S8_S8_S8_S8_S8_S8_S8_EEEEPS9_S9_NSD_9__find_if7functorIS9_EEEE10hipError_tPvRmT1_T2_T3_mT4_P12ihipStream_tbEUlT_E1_NS1_11comp_targetILNS1_3genE2ELNS1_11target_archE906ELNS1_3gpuE6ELNS1_3repE0EEENS1_30default_config_static_selectorELNS0_4arch9wavefront6targetE1EEEvS14_.has_recursion, 0
	.set _ZN7rocprim17ROCPRIM_400000_NS6detail17trampoline_kernelINS0_14default_configENS1_22reduce_config_selectorIN6thrust23THRUST_200600_302600_NS5tupleIblNS6_9null_typeES8_S8_S8_S8_S8_S8_S8_EEEEZNS1_11reduce_implILb1ES3_NS6_12zip_iteratorINS7_INS6_11hip_rocprim26transform_input_iterator_tIbNSD_35transform_pair_of_input_iterators_tIbNS6_6detail15normal_iteratorINS6_10device_ptrIKtEEEESL_NS6_8equal_toItEEEENSG_9not_fun_tINSD_8identityEEEEENSD_19counting_iterator_tIlEES8_S8_S8_S8_S8_S8_S8_S8_EEEEPS9_S9_NSD_9__find_if7functorIS9_EEEE10hipError_tPvRmT1_T2_T3_mT4_P12ihipStream_tbEUlT_E1_NS1_11comp_targetILNS1_3genE2ELNS1_11target_archE906ELNS1_3gpuE6ELNS1_3repE0EEENS1_30default_config_static_selectorELNS0_4arch9wavefront6targetE1EEEvS14_.has_indirect_call, 0
	.section	.AMDGPU.csdata,"",@progbits
; Kernel info:
; codeLenInByte = 13144
; TotalNumSgprs: 46
; NumVgprs: 27
; ScratchSize: 0
; MemoryBound: 0
; FloatMode: 240
; IeeeMode: 1
; LDSByteSize: 160 bytes/workgroup (compile time only)
; SGPRBlocks: 5
; VGPRBlocks: 6
; NumSGPRsForWavesPerEU: 46
; NumVGPRsForWavesPerEU: 27
; Occupancy: 9
; WaveLimiterHint : 0
; COMPUTE_PGM_RSRC2:SCRATCH_EN: 0
; COMPUTE_PGM_RSRC2:USER_SGPR: 6
; COMPUTE_PGM_RSRC2:TRAP_HANDLER: 0
; COMPUTE_PGM_RSRC2:TGID_X_EN: 1
; COMPUTE_PGM_RSRC2:TGID_Y_EN: 0
; COMPUTE_PGM_RSRC2:TGID_Z_EN: 0
; COMPUTE_PGM_RSRC2:TIDIG_COMP_CNT: 0
	.section	.text._ZN7rocprim17ROCPRIM_400000_NS6detail17trampoline_kernelINS0_14default_configENS1_22reduce_config_selectorIN6thrust23THRUST_200600_302600_NS5tupleIblNS6_9null_typeES8_S8_S8_S8_S8_S8_S8_EEEEZNS1_11reduce_implILb1ES3_NS6_12zip_iteratorINS7_INS6_11hip_rocprim26transform_input_iterator_tIbNSD_35transform_pair_of_input_iterators_tIbNS6_6detail15normal_iteratorINS6_10device_ptrIKtEEEESL_NS6_8equal_toItEEEENSG_9not_fun_tINSD_8identityEEEEENSD_19counting_iterator_tIlEES8_S8_S8_S8_S8_S8_S8_S8_EEEEPS9_S9_NSD_9__find_if7functorIS9_EEEE10hipError_tPvRmT1_T2_T3_mT4_P12ihipStream_tbEUlT_E1_NS1_11comp_targetILNS1_3genE10ELNS1_11target_archE1201ELNS1_3gpuE5ELNS1_3repE0EEENS1_30default_config_static_selectorELNS0_4arch9wavefront6targetE1EEEvS14_,"axG",@progbits,_ZN7rocprim17ROCPRIM_400000_NS6detail17trampoline_kernelINS0_14default_configENS1_22reduce_config_selectorIN6thrust23THRUST_200600_302600_NS5tupleIblNS6_9null_typeES8_S8_S8_S8_S8_S8_S8_EEEEZNS1_11reduce_implILb1ES3_NS6_12zip_iteratorINS7_INS6_11hip_rocprim26transform_input_iterator_tIbNSD_35transform_pair_of_input_iterators_tIbNS6_6detail15normal_iteratorINS6_10device_ptrIKtEEEESL_NS6_8equal_toItEEEENSG_9not_fun_tINSD_8identityEEEEENSD_19counting_iterator_tIlEES8_S8_S8_S8_S8_S8_S8_S8_EEEEPS9_S9_NSD_9__find_if7functorIS9_EEEE10hipError_tPvRmT1_T2_T3_mT4_P12ihipStream_tbEUlT_E1_NS1_11comp_targetILNS1_3genE10ELNS1_11target_archE1201ELNS1_3gpuE5ELNS1_3repE0EEENS1_30default_config_static_selectorELNS0_4arch9wavefront6targetE1EEEvS14_,comdat
	.protected	_ZN7rocprim17ROCPRIM_400000_NS6detail17trampoline_kernelINS0_14default_configENS1_22reduce_config_selectorIN6thrust23THRUST_200600_302600_NS5tupleIblNS6_9null_typeES8_S8_S8_S8_S8_S8_S8_EEEEZNS1_11reduce_implILb1ES3_NS6_12zip_iteratorINS7_INS6_11hip_rocprim26transform_input_iterator_tIbNSD_35transform_pair_of_input_iterators_tIbNS6_6detail15normal_iteratorINS6_10device_ptrIKtEEEESL_NS6_8equal_toItEEEENSG_9not_fun_tINSD_8identityEEEEENSD_19counting_iterator_tIlEES8_S8_S8_S8_S8_S8_S8_S8_EEEEPS9_S9_NSD_9__find_if7functorIS9_EEEE10hipError_tPvRmT1_T2_T3_mT4_P12ihipStream_tbEUlT_E1_NS1_11comp_targetILNS1_3genE10ELNS1_11target_archE1201ELNS1_3gpuE5ELNS1_3repE0EEENS1_30default_config_static_selectorELNS0_4arch9wavefront6targetE1EEEvS14_ ; -- Begin function _ZN7rocprim17ROCPRIM_400000_NS6detail17trampoline_kernelINS0_14default_configENS1_22reduce_config_selectorIN6thrust23THRUST_200600_302600_NS5tupleIblNS6_9null_typeES8_S8_S8_S8_S8_S8_S8_EEEEZNS1_11reduce_implILb1ES3_NS6_12zip_iteratorINS7_INS6_11hip_rocprim26transform_input_iterator_tIbNSD_35transform_pair_of_input_iterators_tIbNS6_6detail15normal_iteratorINS6_10device_ptrIKtEEEESL_NS6_8equal_toItEEEENSG_9not_fun_tINSD_8identityEEEEENSD_19counting_iterator_tIlEES8_S8_S8_S8_S8_S8_S8_S8_EEEEPS9_S9_NSD_9__find_if7functorIS9_EEEE10hipError_tPvRmT1_T2_T3_mT4_P12ihipStream_tbEUlT_E1_NS1_11comp_targetILNS1_3genE10ELNS1_11target_archE1201ELNS1_3gpuE5ELNS1_3repE0EEENS1_30default_config_static_selectorELNS0_4arch9wavefront6targetE1EEEvS14_
	.globl	_ZN7rocprim17ROCPRIM_400000_NS6detail17trampoline_kernelINS0_14default_configENS1_22reduce_config_selectorIN6thrust23THRUST_200600_302600_NS5tupleIblNS6_9null_typeES8_S8_S8_S8_S8_S8_S8_EEEEZNS1_11reduce_implILb1ES3_NS6_12zip_iteratorINS7_INS6_11hip_rocprim26transform_input_iterator_tIbNSD_35transform_pair_of_input_iterators_tIbNS6_6detail15normal_iteratorINS6_10device_ptrIKtEEEESL_NS6_8equal_toItEEEENSG_9not_fun_tINSD_8identityEEEEENSD_19counting_iterator_tIlEES8_S8_S8_S8_S8_S8_S8_S8_EEEEPS9_S9_NSD_9__find_if7functorIS9_EEEE10hipError_tPvRmT1_T2_T3_mT4_P12ihipStream_tbEUlT_E1_NS1_11comp_targetILNS1_3genE10ELNS1_11target_archE1201ELNS1_3gpuE5ELNS1_3repE0EEENS1_30default_config_static_selectorELNS0_4arch9wavefront6targetE1EEEvS14_
	.p2align	8
	.type	_ZN7rocprim17ROCPRIM_400000_NS6detail17trampoline_kernelINS0_14default_configENS1_22reduce_config_selectorIN6thrust23THRUST_200600_302600_NS5tupleIblNS6_9null_typeES8_S8_S8_S8_S8_S8_S8_EEEEZNS1_11reduce_implILb1ES3_NS6_12zip_iteratorINS7_INS6_11hip_rocprim26transform_input_iterator_tIbNSD_35transform_pair_of_input_iterators_tIbNS6_6detail15normal_iteratorINS6_10device_ptrIKtEEEESL_NS6_8equal_toItEEEENSG_9not_fun_tINSD_8identityEEEEENSD_19counting_iterator_tIlEES8_S8_S8_S8_S8_S8_S8_S8_EEEEPS9_S9_NSD_9__find_if7functorIS9_EEEE10hipError_tPvRmT1_T2_T3_mT4_P12ihipStream_tbEUlT_E1_NS1_11comp_targetILNS1_3genE10ELNS1_11target_archE1201ELNS1_3gpuE5ELNS1_3repE0EEENS1_30default_config_static_selectorELNS0_4arch9wavefront6targetE1EEEvS14_,@function
_ZN7rocprim17ROCPRIM_400000_NS6detail17trampoline_kernelINS0_14default_configENS1_22reduce_config_selectorIN6thrust23THRUST_200600_302600_NS5tupleIblNS6_9null_typeES8_S8_S8_S8_S8_S8_S8_EEEEZNS1_11reduce_implILb1ES3_NS6_12zip_iteratorINS7_INS6_11hip_rocprim26transform_input_iterator_tIbNSD_35transform_pair_of_input_iterators_tIbNS6_6detail15normal_iteratorINS6_10device_ptrIKtEEEESL_NS6_8equal_toItEEEENSG_9not_fun_tINSD_8identityEEEEENSD_19counting_iterator_tIlEES8_S8_S8_S8_S8_S8_S8_S8_EEEEPS9_S9_NSD_9__find_if7functorIS9_EEEE10hipError_tPvRmT1_T2_T3_mT4_P12ihipStream_tbEUlT_E1_NS1_11comp_targetILNS1_3genE10ELNS1_11target_archE1201ELNS1_3gpuE5ELNS1_3repE0EEENS1_30default_config_static_selectorELNS0_4arch9wavefront6targetE1EEEvS14_: ; @_ZN7rocprim17ROCPRIM_400000_NS6detail17trampoline_kernelINS0_14default_configENS1_22reduce_config_selectorIN6thrust23THRUST_200600_302600_NS5tupleIblNS6_9null_typeES8_S8_S8_S8_S8_S8_S8_EEEEZNS1_11reduce_implILb1ES3_NS6_12zip_iteratorINS7_INS6_11hip_rocprim26transform_input_iterator_tIbNSD_35transform_pair_of_input_iterators_tIbNS6_6detail15normal_iteratorINS6_10device_ptrIKtEEEESL_NS6_8equal_toItEEEENSG_9not_fun_tINSD_8identityEEEEENSD_19counting_iterator_tIlEES8_S8_S8_S8_S8_S8_S8_S8_EEEEPS9_S9_NSD_9__find_if7functorIS9_EEEE10hipError_tPvRmT1_T2_T3_mT4_P12ihipStream_tbEUlT_E1_NS1_11comp_targetILNS1_3genE10ELNS1_11target_archE1201ELNS1_3gpuE5ELNS1_3repE0EEENS1_30default_config_static_selectorELNS0_4arch9wavefront6targetE1EEEvS14_
; %bb.0:
	.section	.rodata,"a",@progbits
	.p2align	6, 0x0
	.amdhsa_kernel _ZN7rocprim17ROCPRIM_400000_NS6detail17trampoline_kernelINS0_14default_configENS1_22reduce_config_selectorIN6thrust23THRUST_200600_302600_NS5tupleIblNS6_9null_typeES8_S8_S8_S8_S8_S8_S8_EEEEZNS1_11reduce_implILb1ES3_NS6_12zip_iteratorINS7_INS6_11hip_rocprim26transform_input_iterator_tIbNSD_35transform_pair_of_input_iterators_tIbNS6_6detail15normal_iteratorINS6_10device_ptrIKtEEEESL_NS6_8equal_toItEEEENSG_9not_fun_tINSD_8identityEEEEENSD_19counting_iterator_tIlEES8_S8_S8_S8_S8_S8_S8_S8_EEEEPS9_S9_NSD_9__find_if7functorIS9_EEEE10hipError_tPvRmT1_T2_T3_mT4_P12ihipStream_tbEUlT_E1_NS1_11comp_targetILNS1_3genE10ELNS1_11target_archE1201ELNS1_3gpuE5ELNS1_3repE0EEENS1_30default_config_static_selectorELNS0_4arch9wavefront6targetE1EEEvS14_
		.amdhsa_group_segment_fixed_size 0
		.amdhsa_private_segment_fixed_size 0
		.amdhsa_kernarg_size 88
		.amdhsa_user_sgpr_count 6
		.amdhsa_user_sgpr_private_segment_buffer 1
		.amdhsa_user_sgpr_dispatch_ptr 0
		.amdhsa_user_sgpr_queue_ptr 0
		.amdhsa_user_sgpr_kernarg_segment_ptr 1
		.amdhsa_user_sgpr_dispatch_id 0
		.amdhsa_user_sgpr_flat_scratch_init 0
		.amdhsa_user_sgpr_private_segment_size 0
		.amdhsa_uses_dynamic_stack 0
		.amdhsa_system_sgpr_private_segment_wavefront_offset 0
		.amdhsa_system_sgpr_workgroup_id_x 1
		.amdhsa_system_sgpr_workgroup_id_y 0
		.amdhsa_system_sgpr_workgroup_id_z 0
		.amdhsa_system_sgpr_workgroup_info 0
		.amdhsa_system_vgpr_workitem_id 0
		.amdhsa_next_free_vgpr 1
		.amdhsa_next_free_sgpr 0
		.amdhsa_reserve_vcc 0
		.amdhsa_reserve_flat_scratch 0
		.amdhsa_float_round_mode_32 0
		.amdhsa_float_round_mode_16_64 0
		.amdhsa_float_denorm_mode_32 3
		.amdhsa_float_denorm_mode_16_64 3
		.amdhsa_dx10_clamp 1
		.amdhsa_ieee_mode 1
		.amdhsa_fp16_overflow 0
		.amdhsa_exception_fp_ieee_invalid_op 0
		.amdhsa_exception_fp_denorm_src 0
		.amdhsa_exception_fp_ieee_div_zero 0
		.amdhsa_exception_fp_ieee_overflow 0
		.amdhsa_exception_fp_ieee_underflow 0
		.amdhsa_exception_fp_ieee_inexact 0
		.amdhsa_exception_int_div_zero 0
	.end_amdhsa_kernel
	.section	.text._ZN7rocprim17ROCPRIM_400000_NS6detail17trampoline_kernelINS0_14default_configENS1_22reduce_config_selectorIN6thrust23THRUST_200600_302600_NS5tupleIblNS6_9null_typeES8_S8_S8_S8_S8_S8_S8_EEEEZNS1_11reduce_implILb1ES3_NS6_12zip_iteratorINS7_INS6_11hip_rocprim26transform_input_iterator_tIbNSD_35transform_pair_of_input_iterators_tIbNS6_6detail15normal_iteratorINS6_10device_ptrIKtEEEESL_NS6_8equal_toItEEEENSG_9not_fun_tINSD_8identityEEEEENSD_19counting_iterator_tIlEES8_S8_S8_S8_S8_S8_S8_S8_EEEEPS9_S9_NSD_9__find_if7functorIS9_EEEE10hipError_tPvRmT1_T2_T3_mT4_P12ihipStream_tbEUlT_E1_NS1_11comp_targetILNS1_3genE10ELNS1_11target_archE1201ELNS1_3gpuE5ELNS1_3repE0EEENS1_30default_config_static_selectorELNS0_4arch9wavefront6targetE1EEEvS14_,"axG",@progbits,_ZN7rocprim17ROCPRIM_400000_NS6detail17trampoline_kernelINS0_14default_configENS1_22reduce_config_selectorIN6thrust23THRUST_200600_302600_NS5tupleIblNS6_9null_typeES8_S8_S8_S8_S8_S8_S8_EEEEZNS1_11reduce_implILb1ES3_NS6_12zip_iteratorINS7_INS6_11hip_rocprim26transform_input_iterator_tIbNSD_35transform_pair_of_input_iterators_tIbNS6_6detail15normal_iteratorINS6_10device_ptrIKtEEEESL_NS6_8equal_toItEEEENSG_9not_fun_tINSD_8identityEEEEENSD_19counting_iterator_tIlEES8_S8_S8_S8_S8_S8_S8_S8_EEEEPS9_S9_NSD_9__find_if7functorIS9_EEEE10hipError_tPvRmT1_T2_T3_mT4_P12ihipStream_tbEUlT_E1_NS1_11comp_targetILNS1_3genE10ELNS1_11target_archE1201ELNS1_3gpuE5ELNS1_3repE0EEENS1_30default_config_static_selectorELNS0_4arch9wavefront6targetE1EEEvS14_,comdat
.Lfunc_end515:
	.size	_ZN7rocprim17ROCPRIM_400000_NS6detail17trampoline_kernelINS0_14default_configENS1_22reduce_config_selectorIN6thrust23THRUST_200600_302600_NS5tupleIblNS6_9null_typeES8_S8_S8_S8_S8_S8_S8_EEEEZNS1_11reduce_implILb1ES3_NS6_12zip_iteratorINS7_INS6_11hip_rocprim26transform_input_iterator_tIbNSD_35transform_pair_of_input_iterators_tIbNS6_6detail15normal_iteratorINS6_10device_ptrIKtEEEESL_NS6_8equal_toItEEEENSG_9not_fun_tINSD_8identityEEEEENSD_19counting_iterator_tIlEES8_S8_S8_S8_S8_S8_S8_S8_EEEEPS9_S9_NSD_9__find_if7functorIS9_EEEE10hipError_tPvRmT1_T2_T3_mT4_P12ihipStream_tbEUlT_E1_NS1_11comp_targetILNS1_3genE10ELNS1_11target_archE1201ELNS1_3gpuE5ELNS1_3repE0EEENS1_30default_config_static_selectorELNS0_4arch9wavefront6targetE1EEEvS14_, .Lfunc_end515-_ZN7rocprim17ROCPRIM_400000_NS6detail17trampoline_kernelINS0_14default_configENS1_22reduce_config_selectorIN6thrust23THRUST_200600_302600_NS5tupleIblNS6_9null_typeES8_S8_S8_S8_S8_S8_S8_EEEEZNS1_11reduce_implILb1ES3_NS6_12zip_iteratorINS7_INS6_11hip_rocprim26transform_input_iterator_tIbNSD_35transform_pair_of_input_iterators_tIbNS6_6detail15normal_iteratorINS6_10device_ptrIKtEEEESL_NS6_8equal_toItEEEENSG_9not_fun_tINSD_8identityEEEEENSD_19counting_iterator_tIlEES8_S8_S8_S8_S8_S8_S8_S8_EEEEPS9_S9_NSD_9__find_if7functorIS9_EEEE10hipError_tPvRmT1_T2_T3_mT4_P12ihipStream_tbEUlT_E1_NS1_11comp_targetILNS1_3genE10ELNS1_11target_archE1201ELNS1_3gpuE5ELNS1_3repE0EEENS1_30default_config_static_selectorELNS0_4arch9wavefront6targetE1EEEvS14_
                                        ; -- End function
	.set _ZN7rocprim17ROCPRIM_400000_NS6detail17trampoline_kernelINS0_14default_configENS1_22reduce_config_selectorIN6thrust23THRUST_200600_302600_NS5tupleIblNS6_9null_typeES8_S8_S8_S8_S8_S8_S8_EEEEZNS1_11reduce_implILb1ES3_NS6_12zip_iteratorINS7_INS6_11hip_rocprim26transform_input_iterator_tIbNSD_35transform_pair_of_input_iterators_tIbNS6_6detail15normal_iteratorINS6_10device_ptrIKtEEEESL_NS6_8equal_toItEEEENSG_9not_fun_tINSD_8identityEEEEENSD_19counting_iterator_tIlEES8_S8_S8_S8_S8_S8_S8_S8_EEEEPS9_S9_NSD_9__find_if7functorIS9_EEEE10hipError_tPvRmT1_T2_T3_mT4_P12ihipStream_tbEUlT_E1_NS1_11comp_targetILNS1_3genE10ELNS1_11target_archE1201ELNS1_3gpuE5ELNS1_3repE0EEENS1_30default_config_static_selectorELNS0_4arch9wavefront6targetE1EEEvS14_.num_vgpr, 0
	.set _ZN7rocprim17ROCPRIM_400000_NS6detail17trampoline_kernelINS0_14default_configENS1_22reduce_config_selectorIN6thrust23THRUST_200600_302600_NS5tupleIblNS6_9null_typeES8_S8_S8_S8_S8_S8_S8_EEEEZNS1_11reduce_implILb1ES3_NS6_12zip_iteratorINS7_INS6_11hip_rocprim26transform_input_iterator_tIbNSD_35transform_pair_of_input_iterators_tIbNS6_6detail15normal_iteratorINS6_10device_ptrIKtEEEESL_NS6_8equal_toItEEEENSG_9not_fun_tINSD_8identityEEEEENSD_19counting_iterator_tIlEES8_S8_S8_S8_S8_S8_S8_S8_EEEEPS9_S9_NSD_9__find_if7functorIS9_EEEE10hipError_tPvRmT1_T2_T3_mT4_P12ihipStream_tbEUlT_E1_NS1_11comp_targetILNS1_3genE10ELNS1_11target_archE1201ELNS1_3gpuE5ELNS1_3repE0EEENS1_30default_config_static_selectorELNS0_4arch9wavefront6targetE1EEEvS14_.num_agpr, 0
	.set _ZN7rocprim17ROCPRIM_400000_NS6detail17trampoline_kernelINS0_14default_configENS1_22reduce_config_selectorIN6thrust23THRUST_200600_302600_NS5tupleIblNS6_9null_typeES8_S8_S8_S8_S8_S8_S8_EEEEZNS1_11reduce_implILb1ES3_NS6_12zip_iteratorINS7_INS6_11hip_rocprim26transform_input_iterator_tIbNSD_35transform_pair_of_input_iterators_tIbNS6_6detail15normal_iteratorINS6_10device_ptrIKtEEEESL_NS6_8equal_toItEEEENSG_9not_fun_tINSD_8identityEEEEENSD_19counting_iterator_tIlEES8_S8_S8_S8_S8_S8_S8_S8_EEEEPS9_S9_NSD_9__find_if7functorIS9_EEEE10hipError_tPvRmT1_T2_T3_mT4_P12ihipStream_tbEUlT_E1_NS1_11comp_targetILNS1_3genE10ELNS1_11target_archE1201ELNS1_3gpuE5ELNS1_3repE0EEENS1_30default_config_static_selectorELNS0_4arch9wavefront6targetE1EEEvS14_.numbered_sgpr, 0
	.set _ZN7rocprim17ROCPRIM_400000_NS6detail17trampoline_kernelINS0_14default_configENS1_22reduce_config_selectorIN6thrust23THRUST_200600_302600_NS5tupleIblNS6_9null_typeES8_S8_S8_S8_S8_S8_S8_EEEEZNS1_11reduce_implILb1ES3_NS6_12zip_iteratorINS7_INS6_11hip_rocprim26transform_input_iterator_tIbNSD_35transform_pair_of_input_iterators_tIbNS6_6detail15normal_iteratorINS6_10device_ptrIKtEEEESL_NS6_8equal_toItEEEENSG_9not_fun_tINSD_8identityEEEEENSD_19counting_iterator_tIlEES8_S8_S8_S8_S8_S8_S8_S8_EEEEPS9_S9_NSD_9__find_if7functorIS9_EEEE10hipError_tPvRmT1_T2_T3_mT4_P12ihipStream_tbEUlT_E1_NS1_11comp_targetILNS1_3genE10ELNS1_11target_archE1201ELNS1_3gpuE5ELNS1_3repE0EEENS1_30default_config_static_selectorELNS0_4arch9wavefront6targetE1EEEvS14_.num_named_barrier, 0
	.set _ZN7rocprim17ROCPRIM_400000_NS6detail17trampoline_kernelINS0_14default_configENS1_22reduce_config_selectorIN6thrust23THRUST_200600_302600_NS5tupleIblNS6_9null_typeES8_S8_S8_S8_S8_S8_S8_EEEEZNS1_11reduce_implILb1ES3_NS6_12zip_iteratorINS7_INS6_11hip_rocprim26transform_input_iterator_tIbNSD_35transform_pair_of_input_iterators_tIbNS6_6detail15normal_iteratorINS6_10device_ptrIKtEEEESL_NS6_8equal_toItEEEENSG_9not_fun_tINSD_8identityEEEEENSD_19counting_iterator_tIlEES8_S8_S8_S8_S8_S8_S8_S8_EEEEPS9_S9_NSD_9__find_if7functorIS9_EEEE10hipError_tPvRmT1_T2_T3_mT4_P12ihipStream_tbEUlT_E1_NS1_11comp_targetILNS1_3genE10ELNS1_11target_archE1201ELNS1_3gpuE5ELNS1_3repE0EEENS1_30default_config_static_selectorELNS0_4arch9wavefront6targetE1EEEvS14_.private_seg_size, 0
	.set _ZN7rocprim17ROCPRIM_400000_NS6detail17trampoline_kernelINS0_14default_configENS1_22reduce_config_selectorIN6thrust23THRUST_200600_302600_NS5tupleIblNS6_9null_typeES8_S8_S8_S8_S8_S8_S8_EEEEZNS1_11reduce_implILb1ES3_NS6_12zip_iteratorINS7_INS6_11hip_rocprim26transform_input_iterator_tIbNSD_35transform_pair_of_input_iterators_tIbNS6_6detail15normal_iteratorINS6_10device_ptrIKtEEEESL_NS6_8equal_toItEEEENSG_9not_fun_tINSD_8identityEEEEENSD_19counting_iterator_tIlEES8_S8_S8_S8_S8_S8_S8_S8_EEEEPS9_S9_NSD_9__find_if7functorIS9_EEEE10hipError_tPvRmT1_T2_T3_mT4_P12ihipStream_tbEUlT_E1_NS1_11comp_targetILNS1_3genE10ELNS1_11target_archE1201ELNS1_3gpuE5ELNS1_3repE0EEENS1_30default_config_static_selectorELNS0_4arch9wavefront6targetE1EEEvS14_.uses_vcc, 0
	.set _ZN7rocprim17ROCPRIM_400000_NS6detail17trampoline_kernelINS0_14default_configENS1_22reduce_config_selectorIN6thrust23THRUST_200600_302600_NS5tupleIblNS6_9null_typeES8_S8_S8_S8_S8_S8_S8_EEEEZNS1_11reduce_implILb1ES3_NS6_12zip_iteratorINS7_INS6_11hip_rocprim26transform_input_iterator_tIbNSD_35transform_pair_of_input_iterators_tIbNS6_6detail15normal_iteratorINS6_10device_ptrIKtEEEESL_NS6_8equal_toItEEEENSG_9not_fun_tINSD_8identityEEEEENSD_19counting_iterator_tIlEES8_S8_S8_S8_S8_S8_S8_S8_EEEEPS9_S9_NSD_9__find_if7functorIS9_EEEE10hipError_tPvRmT1_T2_T3_mT4_P12ihipStream_tbEUlT_E1_NS1_11comp_targetILNS1_3genE10ELNS1_11target_archE1201ELNS1_3gpuE5ELNS1_3repE0EEENS1_30default_config_static_selectorELNS0_4arch9wavefront6targetE1EEEvS14_.uses_flat_scratch, 0
	.set _ZN7rocprim17ROCPRIM_400000_NS6detail17trampoline_kernelINS0_14default_configENS1_22reduce_config_selectorIN6thrust23THRUST_200600_302600_NS5tupleIblNS6_9null_typeES8_S8_S8_S8_S8_S8_S8_EEEEZNS1_11reduce_implILb1ES3_NS6_12zip_iteratorINS7_INS6_11hip_rocprim26transform_input_iterator_tIbNSD_35transform_pair_of_input_iterators_tIbNS6_6detail15normal_iteratorINS6_10device_ptrIKtEEEESL_NS6_8equal_toItEEEENSG_9not_fun_tINSD_8identityEEEEENSD_19counting_iterator_tIlEES8_S8_S8_S8_S8_S8_S8_S8_EEEEPS9_S9_NSD_9__find_if7functorIS9_EEEE10hipError_tPvRmT1_T2_T3_mT4_P12ihipStream_tbEUlT_E1_NS1_11comp_targetILNS1_3genE10ELNS1_11target_archE1201ELNS1_3gpuE5ELNS1_3repE0EEENS1_30default_config_static_selectorELNS0_4arch9wavefront6targetE1EEEvS14_.has_dyn_sized_stack, 0
	.set _ZN7rocprim17ROCPRIM_400000_NS6detail17trampoline_kernelINS0_14default_configENS1_22reduce_config_selectorIN6thrust23THRUST_200600_302600_NS5tupleIblNS6_9null_typeES8_S8_S8_S8_S8_S8_S8_EEEEZNS1_11reduce_implILb1ES3_NS6_12zip_iteratorINS7_INS6_11hip_rocprim26transform_input_iterator_tIbNSD_35transform_pair_of_input_iterators_tIbNS6_6detail15normal_iteratorINS6_10device_ptrIKtEEEESL_NS6_8equal_toItEEEENSG_9not_fun_tINSD_8identityEEEEENSD_19counting_iterator_tIlEES8_S8_S8_S8_S8_S8_S8_S8_EEEEPS9_S9_NSD_9__find_if7functorIS9_EEEE10hipError_tPvRmT1_T2_T3_mT4_P12ihipStream_tbEUlT_E1_NS1_11comp_targetILNS1_3genE10ELNS1_11target_archE1201ELNS1_3gpuE5ELNS1_3repE0EEENS1_30default_config_static_selectorELNS0_4arch9wavefront6targetE1EEEvS14_.has_recursion, 0
	.set _ZN7rocprim17ROCPRIM_400000_NS6detail17trampoline_kernelINS0_14default_configENS1_22reduce_config_selectorIN6thrust23THRUST_200600_302600_NS5tupleIblNS6_9null_typeES8_S8_S8_S8_S8_S8_S8_EEEEZNS1_11reduce_implILb1ES3_NS6_12zip_iteratorINS7_INS6_11hip_rocprim26transform_input_iterator_tIbNSD_35transform_pair_of_input_iterators_tIbNS6_6detail15normal_iteratorINS6_10device_ptrIKtEEEESL_NS6_8equal_toItEEEENSG_9not_fun_tINSD_8identityEEEEENSD_19counting_iterator_tIlEES8_S8_S8_S8_S8_S8_S8_S8_EEEEPS9_S9_NSD_9__find_if7functorIS9_EEEE10hipError_tPvRmT1_T2_T3_mT4_P12ihipStream_tbEUlT_E1_NS1_11comp_targetILNS1_3genE10ELNS1_11target_archE1201ELNS1_3gpuE5ELNS1_3repE0EEENS1_30default_config_static_selectorELNS0_4arch9wavefront6targetE1EEEvS14_.has_indirect_call, 0
	.section	.AMDGPU.csdata,"",@progbits
; Kernel info:
; codeLenInByte = 0
; TotalNumSgprs: 4
; NumVgprs: 0
; ScratchSize: 0
; MemoryBound: 0
; FloatMode: 240
; IeeeMode: 1
; LDSByteSize: 0 bytes/workgroup (compile time only)
; SGPRBlocks: 0
; VGPRBlocks: 0
; NumSGPRsForWavesPerEU: 4
; NumVGPRsForWavesPerEU: 1
; Occupancy: 10
; WaveLimiterHint : 0
; COMPUTE_PGM_RSRC2:SCRATCH_EN: 0
; COMPUTE_PGM_RSRC2:USER_SGPR: 6
; COMPUTE_PGM_RSRC2:TRAP_HANDLER: 0
; COMPUTE_PGM_RSRC2:TGID_X_EN: 1
; COMPUTE_PGM_RSRC2:TGID_Y_EN: 0
; COMPUTE_PGM_RSRC2:TGID_Z_EN: 0
; COMPUTE_PGM_RSRC2:TIDIG_COMP_CNT: 0
	.section	.text._ZN7rocprim17ROCPRIM_400000_NS6detail17trampoline_kernelINS0_14default_configENS1_22reduce_config_selectorIN6thrust23THRUST_200600_302600_NS5tupleIblNS6_9null_typeES8_S8_S8_S8_S8_S8_S8_EEEEZNS1_11reduce_implILb1ES3_NS6_12zip_iteratorINS7_INS6_11hip_rocprim26transform_input_iterator_tIbNSD_35transform_pair_of_input_iterators_tIbNS6_6detail15normal_iteratorINS6_10device_ptrIKtEEEESL_NS6_8equal_toItEEEENSG_9not_fun_tINSD_8identityEEEEENSD_19counting_iterator_tIlEES8_S8_S8_S8_S8_S8_S8_S8_EEEEPS9_S9_NSD_9__find_if7functorIS9_EEEE10hipError_tPvRmT1_T2_T3_mT4_P12ihipStream_tbEUlT_E1_NS1_11comp_targetILNS1_3genE10ELNS1_11target_archE1200ELNS1_3gpuE4ELNS1_3repE0EEENS1_30default_config_static_selectorELNS0_4arch9wavefront6targetE1EEEvS14_,"axG",@progbits,_ZN7rocprim17ROCPRIM_400000_NS6detail17trampoline_kernelINS0_14default_configENS1_22reduce_config_selectorIN6thrust23THRUST_200600_302600_NS5tupleIblNS6_9null_typeES8_S8_S8_S8_S8_S8_S8_EEEEZNS1_11reduce_implILb1ES3_NS6_12zip_iteratorINS7_INS6_11hip_rocprim26transform_input_iterator_tIbNSD_35transform_pair_of_input_iterators_tIbNS6_6detail15normal_iteratorINS6_10device_ptrIKtEEEESL_NS6_8equal_toItEEEENSG_9not_fun_tINSD_8identityEEEEENSD_19counting_iterator_tIlEES8_S8_S8_S8_S8_S8_S8_S8_EEEEPS9_S9_NSD_9__find_if7functorIS9_EEEE10hipError_tPvRmT1_T2_T3_mT4_P12ihipStream_tbEUlT_E1_NS1_11comp_targetILNS1_3genE10ELNS1_11target_archE1200ELNS1_3gpuE4ELNS1_3repE0EEENS1_30default_config_static_selectorELNS0_4arch9wavefront6targetE1EEEvS14_,comdat
	.protected	_ZN7rocprim17ROCPRIM_400000_NS6detail17trampoline_kernelINS0_14default_configENS1_22reduce_config_selectorIN6thrust23THRUST_200600_302600_NS5tupleIblNS6_9null_typeES8_S8_S8_S8_S8_S8_S8_EEEEZNS1_11reduce_implILb1ES3_NS6_12zip_iteratorINS7_INS6_11hip_rocprim26transform_input_iterator_tIbNSD_35transform_pair_of_input_iterators_tIbNS6_6detail15normal_iteratorINS6_10device_ptrIKtEEEESL_NS6_8equal_toItEEEENSG_9not_fun_tINSD_8identityEEEEENSD_19counting_iterator_tIlEES8_S8_S8_S8_S8_S8_S8_S8_EEEEPS9_S9_NSD_9__find_if7functorIS9_EEEE10hipError_tPvRmT1_T2_T3_mT4_P12ihipStream_tbEUlT_E1_NS1_11comp_targetILNS1_3genE10ELNS1_11target_archE1200ELNS1_3gpuE4ELNS1_3repE0EEENS1_30default_config_static_selectorELNS0_4arch9wavefront6targetE1EEEvS14_ ; -- Begin function _ZN7rocprim17ROCPRIM_400000_NS6detail17trampoline_kernelINS0_14default_configENS1_22reduce_config_selectorIN6thrust23THRUST_200600_302600_NS5tupleIblNS6_9null_typeES8_S8_S8_S8_S8_S8_S8_EEEEZNS1_11reduce_implILb1ES3_NS6_12zip_iteratorINS7_INS6_11hip_rocprim26transform_input_iterator_tIbNSD_35transform_pair_of_input_iterators_tIbNS6_6detail15normal_iteratorINS6_10device_ptrIKtEEEESL_NS6_8equal_toItEEEENSG_9not_fun_tINSD_8identityEEEEENSD_19counting_iterator_tIlEES8_S8_S8_S8_S8_S8_S8_S8_EEEEPS9_S9_NSD_9__find_if7functorIS9_EEEE10hipError_tPvRmT1_T2_T3_mT4_P12ihipStream_tbEUlT_E1_NS1_11comp_targetILNS1_3genE10ELNS1_11target_archE1200ELNS1_3gpuE4ELNS1_3repE0EEENS1_30default_config_static_selectorELNS0_4arch9wavefront6targetE1EEEvS14_
	.globl	_ZN7rocprim17ROCPRIM_400000_NS6detail17trampoline_kernelINS0_14default_configENS1_22reduce_config_selectorIN6thrust23THRUST_200600_302600_NS5tupleIblNS6_9null_typeES8_S8_S8_S8_S8_S8_S8_EEEEZNS1_11reduce_implILb1ES3_NS6_12zip_iteratorINS7_INS6_11hip_rocprim26transform_input_iterator_tIbNSD_35transform_pair_of_input_iterators_tIbNS6_6detail15normal_iteratorINS6_10device_ptrIKtEEEESL_NS6_8equal_toItEEEENSG_9not_fun_tINSD_8identityEEEEENSD_19counting_iterator_tIlEES8_S8_S8_S8_S8_S8_S8_S8_EEEEPS9_S9_NSD_9__find_if7functorIS9_EEEE10hipError_tPvRmT1_T2_T3_mT4_P12ihipStream_tbEUlT_E1_NS1_11comp_targetILNS1_3genE10ELNS1_11target_archE1200ELNS1_3gpuE4ELNS1_3repE0EEENS1_30default_config_static_selectorELNS0_4arch9wavefront6targetE1EEEvS14_
	.p2align	8
	.type	_ZN7rocprim17ROCPRIM_400000_NS6detail17trampoline_kernelINS0_14default_configENS1_22reduce_config_selectorIN6thrust23THRUST_200600_302600_NS5tupleIblNS6_9null_typeES8_S8_S8_S8_S8_S8_S8_EEEEZNS1_11reduce_implILb1ES3_NS6_12zip_iteratorINS7_INS6_11hip_rocprim26transform_input_iterator_tIbNSD_35transform_pair_of_input_iterators_tIbNS6_6detail15normal_iteratorINS6_10device_ptrIKtEEEESL_NS6_8equal_toItEEEENSG_9not_fun_tINSD_8identityEEEEENSD_19counting_iterator_tIlEES8_S8_S8_S8_S8_S8_S8_S8_EEEEPS9_S9_NSD_9__find_if7functorIS9_EEEE10hipError_tPvRmT1_T2_T3_mT4_P12ihipStream_tbEUlT_E1_NS1_11comp_targetILNS1_3genE10ELNS1_11target_archE1200ELNS1_3gpuE4ELNS1_3repE0EEENS1_30default_config_static_selectorELNS0_4arch9wavefront6targetE1EEEvS14_,@function
_ZN7rocprim17ROCPRIM_400000_NS6detail17trampoline_kernelINS0_14default_configENS1_22reduce_config_selectorIN6thrust23THRUST_200600_302600_NS5tupleIblNS6_9null_typeES8_S8_S8_S8_S8_S8_S8_EEEEZNS1_11reduce_implILb1ES3_NS6_12zip_iteratorINS7_INS6_11hip_rocprim26transform_input_iterator_tIbNSD_35transform_pair_of_input_iterators_tIbNS6_6detail15normal_iteratorINS6_10device_ptrIKtEEEESL_NS6_8equal_toItEEEENSG_9not_fun_tINSD_8identityEEEEENSD_19counting_iterator_tIlEES8_S8_S8_S8_S8_S8_S8_S8_EEEEPS9_S9_NSD_9__find_if7functorIS9_EEEE10hipError_tPvRmT1_T2_T3_mT4_P12ihipStream_tbEUlT_E1_NS1_11comp_targetILNS1_3genE10ELNS1_11target_archE1200ELNS1_3gpuE4ELNS1_3repE0EEENS1_30default_config_static_selectorELNS0_4arch9wavefront6targetE1EEEvS14_: ; @_ZN7rocprim17ROCPRIM_400000_NS6detail17trampoline_kernelINS0_14default_configENS1_22reduce_config_selectorIN6thrust23THRUST_200600_302600_NS5tupleIblNS6_9null_typeES8_S8_S8_S8_S8_S8_S8_EEEEZNS1_11reduce_implILb1ES3_NS6_12zip_iteratorINS7_INS6_11hip_rocprim26transform_input_iterator_tIbNSD_35transform_pair_of_input_iterators_tIbNS6_6detail15normal_iteratorINS6_10device_ptrIKtEEEESL_NS6_8equal_toItEEEENSG_9not_fun_tINSD_8identityEEEEENSD_19counting_iterator_tIlEES8_S8_S8_S8_S8_S8_S8_S8_EEEEPS9_S9_NSD_9__find_if7functorIS9_EEEE10hipError_tPvRmT1_T2_T3_mT4_P12ihipStream_tbEUlT_E1_NS1_11comp_targetILNS1_3genE10ELNS1_11target_archE1200ELNS1_3gpuE4ELNS1_3repE0EEENS1_30default_config_static_selectorELNS0_4arch9wavefront6targetE1EEEvS14_
; %bb.0:
	.section	.rodata,"a",@progbits
	.p2align	6, 0x0
	.amdhsa_kernel _ZN7rocprim17ROCPRIM_400000_NS6detail17trampoline_kernelINS0_14default_configENS1_22reduce_config_selectorIN6thrust23THRUST_200600_302600_NS5tupleIblNS6_9null_typeES8_S8_S8_S8_S8_S8_S8_EEEEZNS1_11reduce_implILb1ES3_NS6_12zip_iteratorINS7_INS6_11hip_rocprim26transform_input_iterator_tIbNSD_35transform_pair_of_input_iterators_tIbNS6_6detail15normal_iteratorINS6_10device_ptrIKtEEEESL_NS6_8equal_toItEEEENSG_9not_fun_tINSD_8identityEEEEENSD_19counting_iterator_tIlEES8_S8_S8_S8_S8_S8_S8_S8_EEEEPS9_S9_NSD_9__find_if7functorIS9_EEEE10hipError_tPvRmT1_T2_T3_mT4_P12ihipStream_tbEUlT_E1_NS1_11comp_targetILNS1_3genE10ELNS1_11target_archE1200ELNS1_3gpuE4ELNS1_3repE0EEENS1_30default_config_static_selectorELNS0_4arch9wavefront6targetE1EEEvS14_
		.amdhsa_group_segment_fixed_size 0
		.amdhsa_private_segment_fixed_size 0
		.amdhsa_kernarg_size 88
		.amdhsa_user_sgpr_count 6
		.amdhsa_user_sgpr_private_segment_buffer 1
		.amdhsa_user_sgpr_dispatch_ptr 0
		.amdhsa_user_sgpr_queue_ptr 0
		.amdhsa_user_sgpr_kernarg_segment_ptr 1
		.amdhsa_user_sgpr_dispatch_id 0
		.amdhsa_user_sgpr_flat_scratch_init 0
		.amdhsa_user_sgpr_private_segment_size 0
		.amdhsa_uses_dynamic_stack 0
		.amdhsa_system_sgpr_private_segment_wavefront_offset 0
		.amdhsa_system_sgpr_workgroup_id_x 1
		.amdhsa_system_sgpr_workgroup_id_y 0
		.amdhsa_system_sgpr_workgroup_id_z 0
		.amdhsa_system_sgpr_workgroup_info 0
		.amdhsa_system_vgpr_workitem_id 0
		.amdhsa_next_free_vgpr 1
		.amdhsa_next_free_sgpr 0
		.amdhsa_reserve_vcc 0
		.amdhsa_reserve_flat_scratch 0
		.amdhsa_float_round_mode_32 0
		.amdhsa_float_round_mode_16_64 0
		.amdhsa_float_denorm_mode_32 3
		.amdhsa_float_denorm_mode_16_64 3
		.amdhsa_dx10_clamp 1
		.amdhsa_ieee_mode 1
		.amdhsa_fp16_overflow 0
		.amdhsa_exception_fp_ieee_invalid_op 0
		.amdhsa_exception_fp_denorm_src 0
		.amdhsa_exception_fp_ieee_div_zero 0
		.amdhsa_exception_fp_ieee_overflow 0
		.amdhsa_exception_fp_ieee_underflow 0
		.amdhsa_exception_fp_ieee_inexact 0
		.amdhsa_exception_int_div_zero 0
	.end_amdhsa_kernel
	.section	.text._ZN7rocprim17ROCPRIM_400000_NS6detail17trampoline_kernelINS0_14default_configENS1_22reduce_config_selectorIN6thrust23THRUST_200600_302600_NS5tupleIblNS6_9null_typeES8_S8_S8_S8_S8_S8_S8_EEEEZNS1_11reduce_implILb1ES3_NS6_12zip_iteratorINS7_INS6_11hip_rocprim26transform_input_iterator_tIbNSD_35transform_pair_of_input_iterators_tIbNS6_6detail15normal_iteratorINS6_10device_ptrIKtEEEESL_NS6_8equal_toItEEEENSG_9not_fun_tINSD_8identityEEEEENSD_19counting_iterator_tIlEES8_S8_S8_S8_S8_S8_S8_S8_EEEEPS9_S9_NSD_9__find_if7functorIS9_EEEE10hipError_tPvRmT1_T2_T3_mT4_P12ihipStream_tbEUlT_E1_NS1_11comp_targetILNS1_3genE10ELNS1_11target_archE1200ELNS1_3gpuE4ELNS1_3repE0EEENS1_30default_config_static_selectorELNS0_4arch9wavefront6targetE1EEEvS14_,"axG",@progbits,_ZN7rocprim17ROCPRIM_400000_NS6detail17trampoline_kernelINS0_14default_configENS1_22reduce_config_selectorIN6thrust23THRUST_200600_302600_NS5tupleIblNS6_9null_typeES8_S8_S8_S8_S8_S8_S8_EEEEZNS1_11reduce_implILb1ES3_NS6_12zip_iteratorINS7_INS6_11hip_rocprim26transform_input_iterator_tIbNSD_35transform_pair_of_input_iterators_tIbNS6_6detail15normal_iteratorINS6_10device_ptrIKtEEEESL_NS6_8equal_toItEEEENSG_9not_fun_tINSD_8identityEEEEENSD_19counting_iterator_tIlEES8_S8_S8_S8_S8_S8_S8_S8_EEEEPS9_S9_NSD_9__find_if7functorIS9_EEEE10hipError_tPvRmT1_T2_T3_mT4_P12ihipStream_tbEUlT_E1_NS1_11comp_targetILNS1_3genE10ELNS1_11target_archE1200ELNS1_3gpuE4ELNS1_3repE0EEENS1_30default_config_static_selectorELNS0_4arch9wavefront6targetE1EEEvS14_,comdat
.Lfunc_end516:
	.size	_ZN7rocprim17ROCPRIM_400000_NS6detail17trampoline_kernelINS0_14default_configENS1_22reduce_config_selectorIN6thrust23THRUST_200600_302600_NS5tupleIblNS6_9null_typeES8_S8_S8_S8_S8_S8_S8_EEEEZNS1_11reduce_implILb1ES3_NS6_12zip_iteratorINS7_INS6_11hip_rocprim26transform_input_iterator_tIbNSD_35transform_pair_of_input_iterators_tIbNS6_6detail15normal_iteratorINS6_10device_ptrIKtEEEESL_NS6_8equal_toItEEEENSG_9not_fun_tINSD_8identityEEEEENSD_19counting_iterator_tIlEES8_S8_S8_S8_S8_S8_S8_S8_EEEEPS9_S9_NSD_9__find_if7functorIS9_EEEE10hipError_tPvRmT1_T2_T3_mT4_P12ihipStream_tbEUlT_E1_NS1_11comp_targetILNS1_3genE10ELNS1_11target_archE1200ELNS1_3gpuE4ELNS1_3repE0EEENS1_30default_config_static_selectorELNS0_4arch9wavefront6targetE1EEEvS14_, .Lfunc_end516-_ZN7rocprim17ROCPRIM_400000_NS6detail17trampoline_kernelINS0_14default_configENS1_22reduce_config_selectorIN6thrust23THRUST_200600_302600_NS5tupleIblNS6_9null_typeES8_S8_S8_S8_S8_S8_S8_EEEEZNS1_11reduce_implILb1ES3_NS6_12zip_iteratorINS7_INS6_11hip_rocprim26transform_input_iterator_tIbNSD_35transform_pair_of_input_iterators_tIbNS6_6detail15normal_iteratorINS6_10device_ptrIKtEEEESL_NS6_8equal_toItEEEENSG_9not_fun_tINSD_8identityEEEEENSD_19counting_iterator_tIlEES8_S8_S8_S8_S8_S8_S8_S8_EEEEPS9_S9_NSD_9__find_if7functorIS9_EEEE10hipError_tPvRmT1_T2_T3_mT4_P12ihipStream_tbEUlT_E1_NS1_11comp_targetILNS1_3genE10ELNS1_11target_archE1200ELNS1_3gpuE4ELNS1_3repE0EEENS1_30default_config_static_selectorELNS0_4arch9wavefront6targetE1EEEvS14_
                                        ; -- End function
	.set _ZN7rocprim17ROCPRIM_400000_NS6detail17trampoline_kernelINS0_14default_configENS1_22reduce_config_selectorIN6thrust23THRUST_200600_302600_NS5tupleIblNS6_9null_typeES8_S8_S8_S8_S8_S8_S8_EEEEZNS1_11reduce_implILb1ES3_NS6_12zip_iteratorINS7_INS6_11hip_rocprim26transform_input_iterator_tIbNSD_35transform_pair_of_input_iterators_tIbNS6_6detail15normal_iteratorINS6_10device_ptrIKtEEEESL_NS6_8equal_toItEEEENSG_9not_fun_tINSD_8identityEEEEENSD_19counting_iterator_tIlEES8_S8_S8_S8_S8_S8_S8_S8_EEEEPS9_S9_NSD_9__find_if7functorIS9_EEEE10hipError_tPvRmT1_T2_T3_mT4_P12ihipStream_tbEUlT_E1_NS1_11comp_targetILNS1_3genE10ELNS1_11target_archE1200ELNS1_3gpuE4ELNS1_3repE0EEENS1_30default_config_static_selectorELNS0_4arch9wavefront6targetE1EEEvS14_.num_vgpr, 0
	.set _ZN7rocprim17ROCPRIM_400000_NS6detail17trampoline_kernelINS0_14default_configENS1_22reduce_config_selectorIN6thrust23THRUST_200600_302600_NS5tupleIblNS6_9null_typeES8_S8_S8_S8_S8_S8_S8_EEEEZNS1_11reduce_implILb1ES3_NS6_12zip_iteratorINS7_INS6_11hip_rocprim26transform_input_iterator_tIbNSD_35transform_pair_of_input_iterators_tIbNS6_6detail15normal_iteratorINS6_10device_ptrIKtEEEESL_NS6_8equal_toItEEEENSG_9not_fun_tINSD_8identityEEEEENSD_19counting_iterator_tIlEES8_S8_S8_S8_S8_S8_S8_S8_EEEEPS9_S9_NSD_9__find_if7functorIS9_EEEE10hipError_tPvRmT1_T2_T3_mT4_P12ihipStream_tbEUlT_E1_NS1_11comp_targetILNS1_3genE10ELNS1_11target_archE1200ELNS1_3gpuE4ELNS1_3repE0EEENS1_30default_config_static_selectorELNS0_4arch9wavefront6targetE1EEEvS14_.num_agpr, 0
	.set _ZN7rocprim17ROCPRIM_400000_NS6detail17trampoline_kernelINS0_14default_configENS1_22reduce_config_selectorIN6thrust23THRUST_200600_302600_NS5tupleIblNS6_9null_typeES8_S8_S8_S8_S8_S8_S8_EEEEZNS1_11reduce_implILb1ES3_NS6_12zip_iteratorINS7_INS6_11hip_rocprim26transform_input_iterator_tIbNSD_35transform_pair_of_input_iterators_tIbNS6_6detail15normal_iteratorINS6_10device_ptrIKtEEEESL_NS6_8equal_toItEEEENSG_9not_fun_tINSD_8identityEEEEENSD_19counting_iterator_tIlEES8_S8_S8_S8_S8_S8_S8_S8_EEEEPS9_S9_NSD_9__find_if7functorIS9_EEEE10hipError_tPvRmT1_T2_T3_mT4_P12ihipStream_tbEUlT_E1_NS1_11comp_targetILNS1_3genE10ELNS1_11target_archE1200ELNS1_3gpuE4ELNS1_3repE0EEENS1_30default_config_static_selectorELNS0_4arch9wavefront6targetE1EEEvS14_.numbered_sgpr, 0
	.set _ZN7rocprim17ROCPRIM_400000_NS6detail17trampoline_kernelINS0_14default_configENS1_22reduce_config_selectorIN6thrust23THRUST_200600_302600_NS5tupleIblNS6_9null_typeES8_S8_S8_S8_S8_S8_S8_EEEEZNS1_11reduce_implILb1ES3_NS6_12zip_iteratorINS7_INS6_11hip_rocprim26transform_input_iterator_tIbNSD_35transform_pair_of_input_iterators_tIbNS6_6detail15normal_iteratorINS6_10device_ptrIKtEEEESL_NS6_8equal_toItEEEENSG_9not_fun_tINSD_8identityEEEEENSD_19counting_iterator_tIlEES8_S8_S8_S8_S8_S8_S8_S8_EEEEPS9_S9_NSD_9__find_if7functorIS9_EEEE10hipError_tPvRmT1_T2_T3_mT4_P12ihipStream_tbEUlT_E1_NS1_11comp_targetILNS1_3genE10ELNS1_11target_archE1200ELNS1_3gpuE4ELNS1_3repE0EEENS1_30default_config_static_selectorELNS0_4arch9wavefront6targetE1EEEvS14_.num_named_barrier, 0
	.set _ZN7rocprim17ROCPRIM_400000_NS6detail17trampoline_kernelINS0_14default_configENS1_22reduce_config_selectorIN6thrust23THRUST_200600_302600_NS5tupleIblNS6_9null_typeES8_S8_S8_S8_S8_S8_S8_EEEEZNS1_11reduce_implILb1ES3_NS6_12zip_iteratorINS7_INS6_11hip_rocprim26transform_input_iterator_tIbNSD_35transform_pair_of_input_iterators_tIbNS6_6detail15normal_iteratorINS6_10device_ptrIKtEEEESL_NS6_8equal_toItEEEENSG_9not_fun_tINSD_8identityEEEEENSD_19counting_iterator_tIlEES8_S8_S8_S8_S8_S8_S8_S8_EEEEPS9_S9_NSD_9__find_if7functorIS9_EEEE10hipError_tPvRmT1_T2_T3_mT4_P12ihipStream_tbEUlT_E1_NS1_11comp_targetILNS1_3genE10ELNS1_11target_archE1200ELNS1_3gpuE4ELNS1_3repE0EEENS1_30default_config_static_selectorELNS0_4arch9wavefront6targetE1EEEvS14_.private_seg_size, 0
	.set _ZN7rocprim17ROCPRIM_400000_NS6detail17trampoline_kernelINS0_14default_configENS1_22reduce_config_selectorIN6thrust23THRUST_200600_302600_NS5tupleIblNS6_9null_typeES8_S8_S8_S8_S8_S8_S8_EEEEZNS1_11reduce_implILb1ES3_NS6_12zip_iteratorINS7_INS6_11hip_rocprim26transform_input_iterator_tIbNSD_35transform_pair_of_input_iterators_tIbNS6_6detail15normal_iteratorINS6_10device_ptrIKtEEEESL_NS6_8equal_toItEEEENSG_9not_fun_tINSD_8identityEEEEENSD_19counting_iterator_tIlEES8_S8_S8_S8_S8_S8_S8_S8_EEEEPS9_S9_NSD_9__find_if7functorIS9_EEEE10hipError_tPvRmT1_T2_T3_mT4_P12ihipStream_tbEUlT_E1_NS1_11comp_targetILNS1_3genE10ELNS1_11target_archE1200ELNS1_3gpuE4ELNS1_3repE0EEENS1_30default_config_static_selectorELNS0_4arch9wavefront6targetE1EEEvS14_.uses_vcc, 0
	.set _ZN7rocprim17ROCPRIM_400000_NS6detail17trampoline_kernelINS0_14default_configENS1_22reduce_config_selectorIN6thrust23THRUST_200600_302600_NS5tupleIblNS6_9null_typeES8_S8_S8_S8_S8_S8_S8_EEEEZNS1_11reduce_implILb1ES3_NS6_12zip_iteratorINS7_INS6_11hip_rocprim26transform_input_iterator_tIbNSD_35transform_pair_of_input_iterators_tIbNS6_6detail15normal_iteratorINS6_10device_ptrIKtEEEESL_NS6_8equal_toItEEEENSG_9not_fun_tINSD_8identityEEEEENSD_19counting_iterator_tIlEES8_S8_S8_S8_S8_S8_S8_S8_EEEEPS9_S9_NSD_9__find_if7functorIS9_EEEE10hipError_tPvRmT1_T2_T3_mT4_P12ihipStream_tbEUlT_E1_NS1_11comp_targetILNS1_3genE10ELNS1_11target_archE1200ELNS1_3gpuE4ELNS1_3repE0EEENS1_30default_config_static_selectorELNS0_4arch9wavefront6targetE1EEEvS14_.uses_flat_scratch, 0
	.set _ZN7rocprim17ROCPRIM_400000_NS6detail17trampoline_kernelINS0_14default_configENS1_22reduce_config_selectorIN6thrust23THRUST_200600_302600_NS5tupleIblNS6_9null_typeES8_S8_S8_S8_S8_S8_S8_EEEEZNS1_11reduce_implILb1ES3_NS6_12zip_iteratorINS7_INS6_11hip_rocprim26transform_input_iterator_tIbNSD_35transform_pair_of_input_iterators_tIbNS6_6detail15normal_iteratorINS6_10device_ptrIKtEEEESL_NS6_8equal_toItEEEENSG_9not_fun_tINSD_8identityEEEEENSD_19counting_iterator_tIlEES8_S8_S8_S8_S8_S8_S8_S8_EEEEPS9_S9_NSD_9__find_if7functorIS9_EEEE10hipError_tPvRmT1_T2_T3_mT4_P12ihipStream_tbEUlT_E1_NS1_11comp_targetILNS1_3genE10ELNS1_11target_archE1200ELNS1_3gpuE4ELNS1_3repE0EEENS1_30default_config_static_selectorELNS0_4arch9wavefront6targetE1EEEvS14_.has_dyn_sized_stack, 0
	.set _ZN7rocprim17ROCPRIM_400000_NS6detail17trampoline_kernelINS0_14default_configENS1_22reduce_config_selectorIN6thrust23THRUST_200600_302600_NS5tupleIblNS6_9null_typeES8_S8_S8_S8_S8_S8_S8_EEEEZNS1_11reduce_implILb1ES3_NS6_12zip_iteratorINS7_INS6_11hip_rocprim26transform_input_iterator_tIbNSD_35transform_pair_of_input_iterators_tIbNS6_6detail15normal_iteratorINS6_10device_ptrIKtEEEESL_NS6_8equal_toItEEEENSG_9not_fun_tINSD_8identityEEEEENSD_19counting_iterator_tIlEES8_S8_S8_S8_S8_S8_S8_S8_EEEEPS9_S9_NSD_9__find_if7functorIS9_EEEE10hipError_tPvRmT1_T2_T3_mT4_P12ihipStream_tbEUlT_E1_NS1_11comp_targetILNS1_3genE10ELNS1_11target_archE1200ELNS1_3gpuE4ELNS1_3repE0EEENS1_30default_config_static_selectorELNS0_4arch9wavefront6targetE1EEEvS14_.has_recursion, 0
	.set _ZN7rocprim17ROCPRIM_400000_NS6detail17trampoline_kernelINS0_14default_configENS1_22reduce_config_selectorIN6thrust23THRUST_200600_302600_NS5tupleIblNS6_9null_typeES8_S8_S8_S8_S8_S8_S8_EEEEZNS1_11reduce_implILb1ES3_NS6_12zip_iteratorINS7_INS6_11hip_rocprim26transform_input_iterator_tIbNSD_35transform_pair_of_input_iterators_tIbNS6_6detail15normal_iteratorINS6_10device_ptrIKtEEEESL_NS6_8equal_toItEEEENSG_9not_fun_tINSD_8identityEEEEENSD_19counting_iterator_tIlEES8_S8_S8_S8_S8_S8_S8_S8_EEEEPS9_S9_NSD_9__find_if7functorIS9_EEEE10hipError_tPvRmT1_T2_T3_mT4_P12ihipStream_tbEUlT_E1_NS1_11comp_targetILNS1_3genE10ELNS1_11target_archE1200ELNS1_3gpuE4ELNS1_3repE0EEENS1_30default_config_static_selectorELNS0_4arch9wavefront6targetE1EEEvS14_.has_indirect_call, 0
	.section	.AMDGPU.csdata,"",@progbits
; Kernel info:
; codeLenInByte = 0
; TotalNumSgprs: 4
; NumVgprs: 0
; ScratchSize: 0
; MemoryBound: 0
; FloatMode: 240
; IeeeMode: 1
; LDSByteSize: 0 bytes/workgroup (compile time only)
; SGPRBlocks: 0
; VGPRBlocks: 0
; NumSGPRsForWavesPerEU: 4
; NumVGPRsForWavesPerEU: 1
; Occupancy: 10
; WaveLimiterHint : 0
; COMPUTE_PGM_RSRC2:SCRATCH_EN: 0
; COMPUTE_PGM_RSRC2:USER_SGPR: 6
; COMPUTE_PGM_RSRC2:TRAP_HANDLER: 0
; COMPUTE_PGM_RSRC2:TGID_X_EN: 1
; COMPUTE_PGM_RSRC2:TGID_Y_EN: 0
; COMPUTE_PGM_RSRC2:TGID_Z_EN: 0
; COMPUTE_PGM_RSRC2:TIDIG_COMP_CNT: 0
	.section	.text._ZN7rocprim17ROCPRIM_400000_NS6detail17trampoline_kernelINS0_14default_configENS1_22reduce_config_selectorIN6thrust23THRUST_200600_302600_NS5tupleIblNS6_9null_typeES8_S8_S8_S8_S8_S8_S8_EEEEZNS1_11reduce_implILb1ES3_NS6_12zip_iteratorINS7_INS6_11hip_rocprim26transform_input_iterator_tIbNSD_35transform_pair_of_input_iterators_tIbNS6_6detail15normal_iteratorINS6_10device_ptrIKtEEEESL_NS6_8equal_toItEEEENSG_9not_fun_tINSD_8identityEEEEENSD_19counting_iterator_tIlEES8_S8_S8_S8_S8_S8_S8_S8_EEEEPS9_S9_NSD_9__find_if7functorIS9_EEEE10hipError_tPvRmT1_T2_T3_mT4_P12ihipStream_tbEUlT_E1_NS1_11comp_targetILNS1_3genE9ELNS1_11target_archE1100ELNS1_3gpuE3ELNS1_3repE0EEENS1_30default_config_static_selectorELNS0_4arch9wavefront6targetE1EEEvS14_,"axG",@progbits,_ZN7rocprim17ROCPRIM_400000_NS6detail17trampoline_kernelINS0_14default_configENS1_22reduce_config_selectorIN6thrust23THRUST_200600_302600_NS5tupleIblNS6_9null_typeES8_S8_S8_S8_S8_S8_S8_EEEEZNS1_11reduce_implILb1ES3_NS6_12zip_iteratorINS7_INS6_11hip_rocprim26transform_input_iterator_tIbNSD_35transform_pair_of_input_iterators_tIbNS6_6detail15normal_iteratorINS6_10device_ptrIKtEEEESL_NS6_8equal_toItEEEENSG_9not_fun_tINSD_8identityEEEEENSD_19counting_iterator_tIlEES8_S8_S8_S8_S8_S8_S8_S8_EEEEPS9_S9_NSD_9__find_if7functorIS9_EEEE10hipError_tPvRmT1_T2_T3_mT4_P12ihipStream_tbEUlT_E1_NS1_11comp_targetILNS1_3genE9ELNS1_11target_archE1100ELNS1_3gpuE3ELNS1_3repE0EEENS1_30default_config_static_selectorELNS0_4arch9wavefront6targetE1EEEvS14_,comdat
	.protected	_ZN7rocprim17ROCPRIM_400000_NS6detail17trampoline_kernelINS0_14default_configENS1_22reduce_config_selectorIN6thrust23THRUST_200600_302600_NS5tupleIblNS6_9null_typeES8_S8_S8_S8_S8_S8_S8_EEEEZNS1_11reduce_implILb1ES3_NS6_12zip_iteratorINS7_INS6_11hip_rocprim26transform_input_iterator_tIbNSD_35transform_pair_of_input_iterators_tIbNS6_6detail15normal_iteratorINS6_10device_ptrIKtEEEESL_NS6_8equal_toItEEEENSG_9not_fun_tINSD_8identityEEEEENSD_19counting_iterator_tIlEES8_S8_S8_S8_S8_S8_S8_S8_EEEEPS9_S9_NSD_9__find_if7functorIS9_EEEE10hipError_tPvRmT1_T2_T3_mT4_P12ihipStream_tbEUlT_E1_NS1_11comp_targetILNS1_3genE9ELNS1_11target_archE1100ELNS1_3gpuE3ELNS1_3repE0EEENS1_30default_config_static_selectorELNS0_4arch9wavefront6targetE1EEEvS14_ ; -- Begin function _ZN7rocprim17ROCPRIM_400000_NS6detail17trampoline_kernelINS0_14default_configENS1_22reduce_config_selectorIN6thrust23THRUST_200600_302600_NS5tupleIblNS6_9null_typeES8_S8_S8_S8_S8_S8_S8_EEEEZNS1_11reduce_implILb1ES3_NS6_12zip_iteratorINS7_INS6_11hip_rocprim26transform_input_iterator_tIbNSD_35transform_pair_of_input_iterators_tIbNS6_6detail15normal_iteratorINS6_10device_ptrIKtEEEESL_NS6_8equal_toItEEEENSG_9not_fun_tINSD_8identityEEEEENSD_19counting_iterator_tIlEES8_S8_S8_S8_S8_S8_S8_S8_EEEEPS9_S9_NSD_9__find_if7functorIS9_EEEE10hipError_tPvRmT1_T2_T3_mT4_P12ihipStream_tbEUlT_E1_NS1_11comp_targetILNS1_3genE9ELNS1_11target_archE1100ELNS1_3gpuE3ELNS1_3repE0EEENS1_30default_config_static_selectorELNS0_4arch9wavefront6targetE1EEEvS14_
	.globl	_ZN7rocprim17ROCPRIM_400000_NS6detail17trampoline_kernelINS0_14default_configENS1_22reduce_config_selectorIN6thrust23THRUST_200600_302600_NS5tupleIblNS6_9null_typeES8_S8_S8_S8_S8_S8_S8_EEEEZNS1_11reduce_implILb1ES3_NS6_12zip_iteratorINS7_INS6_11hip_rocprim26transform_input_iterator_tIbNSD_35transform_pair_of_input_iterators_tIbNS6_6detail15normal_iteratorINS6_10device_ptrIKtEEEESL_NS6_8equal_toItEEEENSG_9not_fun_tINSD_8identityEEEEENSD_19counting_iterator_tIlEES8_S8_S8_S8_S8_S8_S8_S8_EEEEPS9_S9_NSD_9__find_if7functorIS9_EEEE10hipError_tPvRmT1_T2_T3_mT4_P12ihipStream_tbEUlT_E1_NS1_11comp_targetILNS1_3genE9ELNS1_11target_archE1100ELNS1_3gpuE3ELNS1_3repE0EEENS1_30default_config_static_selectorELNS0_4arch9wavefront6targetE1EEEvS14_
	.p2align	8
	.type	_ZN7rocprim17ROCPRIM_400000_NS6detail17trampoline_kernelINS0_14default_configENS1_22reduce_config_selectorIN6thrust23THRUST_200600_302600_NS5tupleIblNS6_9null_typeES8_S8_S8_S8_S8_S8_S8_EEEEZNS1_11reduce_implILb1ES3_NS6_12zip_iteratorINS7_INS6_11hip_rocprim26transform_input_iterator_tIbNSD_35transform_pair_of_input_iterators_tIbNS6_6detail15normal_iteratorINS6_10device_ptrIKtEEEESL_NS6_8equal_toItEEEENSG_9not_fun_tINSD_8identityEEEEENSD_19counting_iterator_tIlEES8_S8_S8_S8_S8_S8_S8_S8_EEEEPS9_S9_NSD_9__find_if7functorIS9_EEEE10hipError_tPvRmT1_T2_T3_mT4_P12ihipStream_tbEUlT_E1_NS1_11comp_targetILNS1_3genE9ELNS1_11target_archE1100ELNS1_3gpuE3ELNS1_3repE0EEENS1_30default_config_static_selectorELNS0_4arch9wavefront6targetE1EEEvS14_,@function
_ZN7rocprim17ROCPRIM_400000_NS6detail17trampoline_kernelINS0_14default_configENS1_22reduce_config_selectorIN6thrust23THRUST_200600_302600_NS5tupleIblNS6_9null_typeES8_S8_S8_S8_S8_S8_S8_EEEEZNS1_11reduce_implILb1ES3_NS6_12zip_iteratorINS7_INS6_11hip_rocprim26transform_input_iterator_tIbNSD_35transform_pair_of_input_iterators_tIbNS6_6detail15normal_iteratorINS6_10device_ptrIKtEEEESL_NS6_8equal_toItEEEENSG_9not_fun_tINSD_8identityEEEEENSD_19counting_iterator_tIlEES8_S8_S8_S8_S8_S8_S8_S8_EEEEPS9_S9_NSD_9__find_if7functorIS9_EEEE10hipError_tPvRmT1_T2_T3_mT4_P12ihipStream_tbEUlT_E1_NS1_11comp_targetILNS1_3genE9ELNS1_11target_archE1100ELNS1_3gpuE3ELNS1_3repE0EEENS1_30default_config_static_selectorELNS0_4arch9wavefront6targetE1EEEvS14_: ; @_ZN7rocprim17ROCPRIM_400000_NS6detail17trampoline_kernelINS0_14default_configENS1_22reduce_config_selectorIN6thrust23THRUST_200600_302600_NS5tupleIblNS6_9null_typeES8_S8_S8_S8_S8_S8_S8_EEEEZNS1_11reduce_implILb1ES3_NS6_12zip_iteratorINS7_INS6_11hip_rocprim26transform_input_iterator_tIbNSD_35transform_pair_of_input_iterators_tIbNS6_6detail15normal_iteratorINS6_10device_ptrIKtEEEESL_NS6_8equal_toItEEEENSG_9not_fun_tINSD_8identityEEEEENSD_19counting_iterator_tIlEES8_S8_S8_S8_S8_S8_S8_S8_EEEEPS9_S9_NSD_9__find_if7functorIS9_EEEE10hipError_tPvRmT1_T2_T3_mT4_P12ihipStream_tbEUlT_E1_NS1_11comp_targetILNS1_3genE9ELNS1_11target_archE1100ELNS1_3gpuE3ELNS1_3repE0EEENS1_30default_config_static_selectorELNS0_4arch9wavefront6targetE1EEEvS14_
; %bb.0:
	.section	.rodata,"a",@progbits
	.p2align	6, 0x0
	.amdhsa_kernel _ZN7rocprim17ROCPRIM_400000_NS6detail17trampoline_kernelINS0_14default_configENS1_22reduce_config_selectorIN6thrust23THRUST_200600_302600_NS5tupleIblNS6_9null_typeES8_S8_S8_S8_S8_S8_S8_EEEEZNS1_11reduce_implILb1ES3_NS6_12zip_iteratorINS7_INS6_11hip_rocprim26transform_input_iterator_tIbNSD_35transform_pair_of_input_iterators_tIbNS6_6detail15normal_iteratorINS6_10device_ptrIKtEEEESL_NS6_8equal_toItEEEENSG_9not_fun_tINSD_8identityEEEEENSD_19counting_iterator_tIlEES8_S8_S8_S8_S8_S8_S8_S8_EEEEPS9_S9_NSD_9__find_if7functorIS9_EEEE10hipError_tPvRmT1_T2_T3_mT4_P12ihipStream_tbEUlT_E1_NS1_11comp_targetILNS1_3genE9ELNS1_11target_archE1100ELNS1_3gpuE3ELNS1_3repE0EEENS1_30default_config_static_selectorELNS0_4arch9wavefront6targetE1EEEvS14_
		.amdhsa_group_segment_fixed_size 0
		.amdhsa_private_segment_fixed_size 0
		.amdhsa_kernarg_size 88
		.amdhsa_user_sgpr_count 6
		.amdhsa_user_sgpr_private_segment_buffer 1
		.amdhsa_user_sgpr_dispatch_ptr 0
		.amdhsa_user_sgpr_queue_ptr 0
		.amdhsa_user_sgpr_kernarg_segment_ptr 1
		.amdhsa_user_sgpr_dispatch_id 0
		.amdhsa_user_sgpr_flat_scratch_init 0
		.amdhsa_user_sgpr_private_segment_size 0
		.amdhsa_uses_dynamic_stack 0
		.amdhsa_system_sgpr_private_segment_wavefront_offset 0
		.amdhsa_system_sgpr_workgroup_id_x 1
		.amdhsa_system_sgpr_workgroup_id_y 0
		.amdhsa_system_sgpr_workgroup_id_z 0
		.amdhsa_system_sgpr_workgroup_info 0
		.amdhsa_system_vgpr_workitem_id 0
		.amdhsa_next_free_vgpr 1
		.amdhsa_next_free_sgpr 0
		.amdhsa_reserve_vcc 0
		.amdhsa_reserve_flat_scratch 0
		.amdhsa_float_round_mode_32 0
		.amdhsa_float_round_mode_16_64 0
		.amdhsa_float_denorm_mode_32 3
		.amdhsa_float_denorm_mode_16_64 3
		.amdhsa_dx10_clamp 1
		.amdhsa_ieee_mode 1
		.amdhsa_fp16_overflow 0
		.amdhsa_exception_fp_ieee_invalid_op 0
		.amdhsa_exception_fp_denorm_src 0
		.amdhsa_exception_fp_ieee_div_zero 0
		.amdhsa_exception_fp_ieee_overflow 0
		.amdhsa_exception_fp_ieee_underflow 0
		.amdhsa_exception_fp_ieee_inexact 0
		.amdhsa_exception_int_div_zero 0
	.end_amdhsa_kernel
	.section	.text._ZN7rocprim17ROCPRIM_400000_NS6detail17trampoline_kernelINS0_14default_configENS1_22reduce_config_selectorIN6thrust23THRUST_200600_302600_NS5tupleIblNS6_9null_typeES8_S8_S8_S8_S8_S8_S8_EEEEZNS1_11reduce_implILb1ES3_NS6_12zip_iteratorINS7_INS6_11hip_rocprim26transform_input_iterator_tIbNSD_35transform_pair_of_input_iterators_tIbNS6_6detail15normal_iteratorINS6_10device_ptrIKtEEEESL_NS6_8equal_toItEEEENSG_9not_fun_tINSD_8identityEEEEENSD_19counting_iterator_tIlEES8_S8_S8_S8_S8_S8_S8_S8_EEEEPS9_S9_NSD_9__find_if7functorIS9_EEEE10hipError_tPvRmT1_T2_T3_mT4_P12ihipStream_tbEUlT_E1_NS1_11comp_targetILNS1_3genE9ELNS1_11target_archE1100ELNS1_3gpuE3ELNS1_3repE0EEENS1_30default_config_static_selectorELNS0_4arch9wavefront6targetE1EEEvS14_,"axG",@progbits,_ZN7rocprim17ROCPRIM_400000_NS6detail17trampoline_kernelINS0_14default_configENS1_22reduce_config_selectorIN6thrust23THRUST_200600_302600_NS5tupleIblNS6_9null_typeES8_S8_S8_S8_S8_S8_S8_EEEEZNS1_11reduce_implILb1ES3_NS6_12zip_iteratorINS7_INS6_11hip_rocprim26transform_input_iterator_tIbNSD_35transform_pair_of_input_iterators_tIbNS6_6detail15normal_iteratorINS6_10device_ptrIKtEEEESL_NS6_8equal_toItEEEENSG_9not_fun_tINSD_8identityEEEEENSD_19counting_iterator_tIlEES8_S8_S8_S8_S8_S8_S8_S8_EEEEPS9_S9_NSD_9__find_if7functorIS9_EEEE10hipError_tPvRmT1_T2_T3_mT4_P12ihipStream_tbEUlT_E1_NS1_11comp_targetILNS1_3genE9ELNS1_11target_archE1100ELNS1_3gpuE3ELNS1_3repE0EEENS1_30default_config_static_selectorELNS0_4arch9wavefront6targetE1EEEvS14_,comdat
.Lfunc_end517:
	.size	_ZN7rocprim17ROCPRIM_400000_NS6detail17trampoline_kernelINS0_14default_configENS1_22reduce_config_selectorIN6thrust23THRUST_200600_302600_NS5tupleIblNS6_9null_typeES8_S8_S8_S8_S8_S8_S8_EEEEZNS1_11reduce_implILb1ES3_NS6_12zip_iteratorINS7_INS6_11hip_rocprim26transform_input_iterator_tIbNSD_35transform_pair_of_input_iterators_tIbNS6_6detail15normal_iteratorINS6_10device_ptrIKtEEEESL_NS6_8equal_toItEEEENSG_9not_fun_tINSD_8identityEEEEENSD_19counting_iterator_tIlEES8_S8_S8_S8_S8_S8_S8_S8_EEEEPS9_S9_NSD_9__find_if7functorIS9_EEEE10hipError_tPvRmT1_T2_T3_mT4_P12ihipStream_tbEUlT_E1_NS1_11comp_targetILNS1_3genE9ELNS1_11target_archE1100ELNS1_3gpuE3ELNS1_3repE0EEENS1_30default_config_static_selectorELNS0_4arch9wavefront6targetE1EEEvS14_, .Lfunc_end517-_ZN7rocprim17ROCPRIM_400000_NS6detail17trampoline_kernelINS0_14default_configENS1_22reduce_config_selectorIN6thrust23THRUST_200600_302600_NS5tupleIblNS6_9null_typeES8_S8_S8_S8_S8_S8_S8_EEEEZNS1_11reduce_implILb1ES3_NS6_12zip_iteratorINS7_INS6_11hip_rocprim26transform_input_iterator_tIbNSD_35transform_pair_of_input_iterators_tIbNS6_6detail15normal_iteratorINS6_10device_ptrIKtEEEESL_NS6_8equal_toItEEEENSG_9not_fun_tINSD_8identityEEEEENSD_19counting_iterator_tIlEES8_S8_S8_S8_S8_S8_S8_S8_EEEEPS9_S9_NSD_9__find_if7functorIS9_EEEE10hipError_tPvRmT1_T2_T3_mT4_P12ihipStream_tbEUlT_E1_NS1_11comp_targetILNS1_3genE9ELNS1_11target_archE1100ELNS1_3gpuE3ELNS1_3repE0EEENS1_30default_config_static_selectorELNS0_4arch9wavefront6targetE1EEEvS14_
                                        ; -- End function
	.set _ZN7rocprim17ROCPRIM_400000_NS6detail17trampoline_kernelINS0_14default_configENS1_22reduce_config_selectorIN6thrust23THRUST_200600_302600_NS5tupleIblNS6_9null_typeES8_S8_S8_S8_S8_S8_S8_EEEEZNS1_11reduce_implILb1ES3_NS6_12zip_iteratorINS7_INS6_11hip_rocprim26transform_input_iterator_tIbNSD_35transform_pair_of_input_iterators_tIbNS6_6detail15normal_iteratorINS6_10device_ptrIKtEEEESL_NS6_8equal_toItEEEENSG_9not_fun_tINSD_8identityEEEEENSD_19counting_iterator_tIlEES8_S8_S8_S8_S8_S8_S8_S8_EEEEPS9_S9_NSD_9__find_if7functorIS9_EEEE10hipError_tPvRmT1_T2_T3_mT4_P12ihipStream_tbEUlT_E1_NS1_11comp_targetILNS1_3genE9ELNS1_11target_archE1100ELNS1_3gpuE3ELNS1_3repE0EEENS1_30default_config_static_selectorELNS0_4arch9wavefront6targetE1EEEvS14_.num_vgpr, 0
	.set _ZN7rocprim17ROCPRIM_400000_NS6detail17trampoline_kernelINS0_14default_configENS1_22reduce_config_selectorIN6thrust23THRUST_200600_302600_NS5tupleIblNS6_9null_typeES8_S8_S8_S8_S8_S8_S8_EEEEZNS1_11reduce_implILb1ES3_NS6_12zip_iteratorINS7_INS6_11hip_rocprim26transform_input_iterator_tIbNSD_35transform_pair_of_input_iterators_tIbNS6_6detail15normal_iteratorINS6_10device_ptrIKtEEEESL_NS6_8equal_toItEEEENSG_9not_fun_tINSD_8identityEEEEENSD_19counting_iterator_tIlEES8_S8_S8_S8_S8_S8_S8_S8_EEEEPS9_S9_NSD_9__find_if7functorIS9_EEEE10hipError_tPvRmT1_T2_T3_mT4_P12ihipStream_tbEUlT_E1_NS1_11comp_targetILNS1_3genE9ELNS1_11target_archE1100ELNS1_3gpuE3ELNS1_3repE0EEENS1_30default_config_static_selectorELNS0_4arch9wavefront6targetE1EEEvS14_.num_agpr, 0
	.set _ZN7rocprim17ROCPRIM_400000_NS6detail17trampoline_kernelINS0_14default_configENS1_22reduce_config_selectorIN6thrust23THRUST_200600_302600_NS5tupleIblNS6_9null_typeES8_S8_S8_S8_S8_S8_S8_EEEEZNS1_11reduce_implILb1ES3_NS6_12zip_iteratorINS7_INS6_11hip_rocprim26transform_input_iterator_tIbNSD_35transform_pair_of_input_iterators_tIbNS6_6detail15normal_iteratorINS6_10device_ptrIKtEEEESL_NS6_8equal_toItEEEENSG_9not_fun_tINSD_8identityEEEEENSD_19counting_iterator_tIlEES8_S8_S8_S8_S8_S8_S8_S8_EEEEPS9_S9_NSD_9__find_if7functorIS9_EEEE10hipError_tPvRmT1_T2_T3_mT4_P12ihipStream_tbEUlT_E1_NS1_11comp_targetILNS1_3genE9ELNS1_11target_archE1100ELNS1_3gpuE3ELNS1_3repE0EEENS1_30default_config_static_selectorELNS0_4arch9wavefront6targetE1EEEvS14_.numbered_sgpr, 0
	.set _ZN7rocprim17ROCPRIM_400000_NS6detail17trampoline_kernelINS0_14default_configENS1_22reduce_config_selectorIN6thrust23THRUST_200600_302600_NS5tupleIblNS6_9null_typeES8_S8_S8_S8_S8_S8_S8_EEEEZNS1_11reduce_implILb1ES3_NS6_12zip_iteratorINS7_INS6_11hip_rocprim26transform_input_iterator_tIbNSD_35transform_pair_of_input_iterators_tIbNS6_6detail15normal_iteratorINS6_10device_ptrIKtEEEESL_NS6_8equal_toItEEEENSG_9not_fun_tINSD_8identityEEEEENSD_19counting_iterator_tIlEES8_S8_S8_S8_S8_S8_S8_S8_EEEEPS9_S9_NSD_9__find_if7functorIS9_EEEE10hipError_tPvRmT1_T2_T3_mT4_P12ihipStream_tbEUlT_E1_NS1_11comp_targetILNS1_3genE9ELNS1_11target_archE1100ELNS1_3gpuE3ELNS1_3repE0EEENS1_30default_config_static_selectorELNS0_4arch9wavefront6targetE1EEEvS14_.num_named_barrier, 0
	.set _ZN7rocprim17ROCPRIM_400000_NS6detail17trampoline_kernelINS0_14default_configENS1_22reduce_config_selectorIN6thrust23THRUST_200600_302600_NS5tupleIblNS6_9null_typeES8_S8_S8_S8_S8_S8_S8_EEEEZNS1_11reduce_implILb1ES3_NS6_12zip_iteratorINS7_INS6_11hip_rocprim26transform_input_iterator_tIbNSD_35transform_pair_of_input_iterators_tIbNS6_6detail15normal_iteratorINS6_10device_ptrIKtEEEESL_NS6_8equal_toItEEEENSG_9not_fun_tINSD_8identityEEEEENSD_19counting_iterator_tIlEES8_S8_S8_S8_S8_S8_S8_S8_EEEEPS9_S9_NSD_9__find_if7functorIS9_EEEE10hipError_tPvRmT1_T2_T3_mT4_P12ihipStream_tbEUlT_E1_NS1_11comp_targetILNS1_3genE9ELNS1_11target_archE1100ELNS1_3gpuE3ELNS1_3repE0EEENS1_30default_config_static_selectorELNS0_4arch9wavefront6targetE1EEEvS14_.private_seg_size, 0
	.set _ZN7rocprim17ROCPRIM_400000_NS6detail17trampoline_kernelINS0_14default_configENS1_22reduce_config_selectorIN6thrust23THRUST_200600_302600_NS5tupleIblNS6_9null_typeES8_S8_S8_S8_S8_S8_S8_EEEEZNS1_11reduce_implILb1ES3_NS6_12zip_iteratorINS7_INS6_11hip_rocprim26transform_input_iterator_tIbNSD_35transform_pair_of_input_iterators_tIbNS6_6detail15normal_iteratorINS6_10device_ptrIKtEEEESL_NS6_8equal_toItEEEENSG_9not_fun_tINSD_8identityEEEEENSD_19counting_iterator_tIlEES8_S8_S8_S8_S8_S8_S8_S8_EEEEPS9_S9_NSD_9__find_if7functorIS9_EEEE10hipError_tPvRmT1_T2_T3_mT4_P12ihipStream_tbEUlT_E1_NS1_11comp_targetILNS1_3genE9ELNS1_11target_archE1100ELNS1_3gpuE3ELNS1_3repE0EEENS1_30default_config_static_selectorELNS0_4arch9wavefront6targetE1EEEvS14_.uses_vcc, 0
	.set _ZN7rocprim17ROCPRIM_400000_NS6detail17trampoline_kernelINS0_14default_configENS1_22reduce_config_selectorIN6thrust23THRUST_200600_302600_NS5tupleIblNS6_9null_typeES8_S8_S8_S8_S8_S8_S8_EEEEZNS1_11reduce_implILb1ES3_NS6_12zip_iteratorINS7_INS6_11hip_rocprim26transform_input_iterator_tIbNSD_35transform_pair_of_input_iterators_tIbNS6_6detail15normal_iteratorINS6_10device_ptrIKtEEEESL_NS6_8equal_toItEEEENSG_9not_fun_tINSD_8identityEEEEENSD_19counting_iterator_tIlEES8_S8_S8_S8_S8_S8_S8_S8_EEEEPS9_S9_NSD_9__find_if7functorIS9_EEEE10hipError_tPvRmT1_T2_T3_mT4_P12ihipStream_tbEUlT_E1_NS1_11comp_targetILNS1_3genE9ELNS1_11target_archE1100ELNS1_3gpuE3ELNS1_3repE0EEENS1_30default_config_static_selectorELNS0_4arch9wavefront6targetE1EEEvS14_.uses_flat_scratch, 0
	.set _ZN7rocprim17ROCPRIM_400000_NS6detail17trampoline_kernelINS0_14default_configENS1_22reduce_config_selectorIN6thrust23THRUST_200600_302600_NS5tupleIblNS6_9null_typeES8_S8_S8_S8_S8_S8_S8_EEEEZNS1_11reduce_implILb1ES3_NS6_12zip_iteratorINS7_INS6_11hip_rocprim26transform_input_iterator_tIbNSD_35transform_pair_of_input_iterators_tIbNS6_6detail15normal_iteratorINS6_10device_ptrIKtEEEESL_NS6_8equal_toItEEEENSG_9not_fun_tINSD_8identityEEEEENSD_19counting_iterator_tIlEES8_S8_S8_S8_S8_S8_S8_S8_EEEEPS9_S9_NSD_9__find_if7functorIS9_EEEE10hipError_tPvRmT1_T2_T3_mT4_P12ihipStream_tbEUlT_E1_NS1_11comp_targetILNS1_3genE9ELNS1_11target_archE1100ELNS1_3gpuE3ELNS1_3repE0EEENS1_30default_config_static_selectorELNS0_4arch9wavefront6targetE1EEEvS14_.has_dyn_sized_stack, 0
	.set _ZN7rocprim17ROCPRIM_400000_NS6detail17trampoline_kernelINS0_14default_configENS1_22reduce_config_selectorIN6thrust23THRUST_200600_302600_NS5tupleIblNS6_9null_typeES8_S8_S8_S8_S8_S8_S8_EEEEZNS1_11reduce_implILb1ES3_NS6_12zip_iteratorINS7_INS6_11hip_rocprim26transform_input_iterator_tIbNSD_35transform_pair_of_input_iterators_tIbNS6_6detail15normal_iteratorINS6_10device_ptrIKtEEEESL_NS6_8equal_toItEEEENSG_9not_fun_tINSD_8identityEEEEENSD_19counting_iterator_tIlEES8_S8_S8_S8_S8_S8_S8_S8_EEEEPS9_S9_NSD_9__find_if7functorIS9_EEEE10hipError_tPvRmT1_T2_T3_mT4_P12ihipStream_tbEUlT_E1_NS1_11comp_targetILNS1_3genE9ELNS1_11target_archE1100ELNS1_3gpuE3ELNS1_3repE0EEENS1_30default_config_static_selectorELNS0_4arch9wavefront6targetE1EEEvS14_.has_recursion, 0
	.set _ZN7rocprim17ROCPRIM_400000_NS6detail17trampoline_kernelINS0_14default_configENS1_22reduce_config_selectorIN6thrust23THRUST_200600_302600_NS5tupleIblNS6_9null_typeES8_S8_S8_S8_S8_S8_S8_EEEEZNS1_11reduce_implILb1ES3_NS6_12zip_iteratorINS7_INS6_11hip_rocprim26transform_input_iterator_tIbNSD_35transform_pair_of_input_iterators_tIbNS6_6detail15normal_iteratorINS6_10device_ptrIKtEEEESL_NS6_8equal_toItEEEENSG_9not_fun_tINSD_8identityEEEEENSD_19counting_iterator_tIlEES8_S8_S8_S8_S8_S8_S8_S8_EEEEPS9_S9_NSD_9__find_if7functorIS9_EEEE10hipError_tPvRmT1_T2_T3_mT4_P12ihipStream_tbEUlT_E1_NS1_11comp_targetILNS1_3genE9ELNS1_11target_archE1100ELNS1_3gpuE3ELNS1_3repE0EEENS1_30default_config_static_selectorELNS0_4arch9wavefront6targetE1EEEvS14_.has_indirect_call, 0
	.section	.AMDGPU.csdata,"",@progbits
; Kernel info:
; codeLenInByte = 0
; TotalNumSgprs: 4
; NumVgprs: 0
; ScratchSize: 0
; MemoryBound: 0
; FloatMode: 240
; IeeeMode: 1
; LDSByteSize: 0 bytes/workgroup (compile time only)
; SGPRBlocks: 0
; VGPRBlocks: 0
; NumSGPRsForWavesPerEU: 4
; NumVGPRsForWavesPerEU: 1
; Occupancy: 10
; WaveLimiterHint : 0
; COMPUTE_PGM_RSRC2:SCRATCH_EN: 0
; COMPUTE_PGM_RSRC2:USER_SGPR: 6
; COMPUTE_PGM_RSRC2:TRAP_HANDLER: 0
; COMPUTE_PGM_RSRC2:TGID_X_EN: 1
; COMPUTE_PGM_RSRC2:TGID_Y_EN: 0
; COMPUTE_PGM_RSRC2:TGID_Z_EN: 0
; COMPUTE_PGM_RSRC2:TIDIG_COMP_CNT: 0
	.section	.text._ZN7rocprim17ROCPRIM_400000_NS6detail17trampoline_kernelINS0_14default_configENS1_22reduce_config_selectorIN6thrust23THRUST_200600_302600_NS5tupleIblNS6_9null_typeES8_S8_S8_S8_S8_S8_S8_EEEEZNS1_11reduce_implILb1ES3_NS6_12zip_iteratorINS7_INS6_11hip_rocprim26transform_input_iterator_tIbNSD_35transform_pair_of_input_iterators_tIbNS6_6detail15normal_iteratorINS6_10device_ptrIKtEEEESL_NS6_8equal_toItEEEENSG_9not_fun_tINSD_8identityEEEEENSD_19counting_iterator_tIlEES8_S8_S8_S8_S8_S8_S8_S8_EEEEPS9_S9_NSD_9__find_if7functorIS9_EEEE10hipError_tPvRmT1_T2_T3_mT4_P12ihipStream_tbEUlT_E1_NS1_11comp_targetILNS1_3genE8ELNS1_11target_archE1030ELNS1_3gpuE2ELNS1_3repE0EEENS1_30default_config_static_selectorELNS0_4arch9wavefront6targetE1EEEvS14_,"axG",@progbits,_ZN7rocprim17ROCPRIM_400000_NS6detail17trampoline_kernelINS0_14default_configENS1_22reduce_config_selectorIN6thrust23THRUST_200600_302600_NS5tupleIblNS6_9null_typeES8_S8_S8_S8_S8_S8_S8_EEEEZNS1_11reduce_implILb1ES3_NS6_12zip_iteratorINS7_INS6_11hip_rocprim26transform_input_iterator_tIbNSD_35transform_pair_of_input_iterators_tIbNS6_6detail15normal_iteratorINS6_10device_ptrIKtEEEESL_NS6_8equal_toItEEEENSG_9not_fun_tINSD_8identityEEEEENSD_19counting_iterator_tIlEES8_S8_S8_S8_S8_S8_S8_S8_EEEEPS9_S9_NSD_9__find_if7functorIS9_EEEE10hipError_tPvRmT1_T2_T3_mT4_P12ihipStream_tbEUlT_E1_NS1_11comp_targetILNS1_3genE8ELNS1_11target_archE1030ELNS1_3gpuE2ELNS1_3repE0EEENS1_30default_config_static_selectorELNS0_4arch9wavefront6targetE1EEEvS14_,comdat
	.protected	_ZN7rocprim17ROCPRIM_400000_NS6detail17trampoline_kernelINS0_14default_configENS1_22reduce_config_selectorIN6thrust23THRUST_200600_302600_NS5tupleIblNS6_9null_typeES8_S8_S8_S8_S8_S8_S8_EEEEZNS1_11reduce_implILb1ES3_NS6_12zip_iteratorINS7_INS6_11hip_rocprim26transform_input_iterator_tIbNSD_35transform_pair_of_input_iterators_tIbNS6_6detail15normal_iteratorINS6_10device_ptrIKtEEEESL_NS6_8equal_toItEEEENSG_9not_fun_tINSD_8identityEEEEENSD_19counting_iterator_tIlEES8_S8_S8_S8_S8_S8_S8_S8_EEEEPS9_S9_NSD_9__find_if7functorIS9_EEEE10hipError_tPvRmT1_T2_T3_mT4_P12ihipStream_tbEUlT_E1_NS1_11comp_targetILNS1_3genE8ELNS1_11target_archE1030ELNS1_3gpuE2ELNS1_3repE0EEENS1_30default_config_static_selectorELNS0_4arch9wavefront6targetE1EEEvS14_ ; -- Begin function _ZN7rocprim17ROCPRIM_400000_NS6detail17trampoline_kernelINS0_14default_configENS1_22reduce_config_selectorIN6thrust23THRUST_200600_302600_NS5tupleIblNS6_9null_typeES8_S8_S8_S8_S8_S8_S8_EEEEZNS1_11reduce_implILb1ES3_NS6_12zip_iteratorINS7_INS6_11hip_rocprim26transform_input_iterator_tIbNSD_35transform_pair_of_input_iterators_tIbNS6_6detail15normal_iteratorINS6_10device_ptrIKtEEEESL_NS6_8equal_toItEEEENSG_9not_fun_tINSD_8identityEEEEENSD_19counting_iterator_tIlEES8_S8_S8_S8_S8_S8_S8_S8_EEEEPS9_S9_NSD_9__find_if7functorIS9_EEEE10hipError_tPvRmT1_T2_T3_mT4_P12ihipStream_tbEUlT_E1_NS1_11comp_targetILNS1_3genE8ELNS1_11target_archE1030ELNS1_3gpuE2ELNS1_3repE0EEENS1_30default_config_static_selectorELNS0_4arch9wavefront6targetE1EEEvS14_
	.globl	_ZN7rocprim17ROCPRIM_400000_NS6detail17trampoline_kernelINS0_14default_configENS1_22reduce_config_selectorIN6thrust23THRUST_200600_302600_NS5tupleIblNS6_9null_typeES8_S8_S8_S8_S8_S8_S8_EEEEZNS1_11reduce_implILb1ES3_NS6_12zip_iteratorINS7_INS6_11hip_rocprim26transform_input_iterator_tIbNSD_35transform_pair_of_input_iterators_tIbNS6_6detail15normal_iteratorINS6_10device_ptrIKtEEEESL_NS6_8equal_toItEEEENSG_9not_fun_tINSD_8identityEEEEENSD_19counting_iterator_tIlEES8_S8_S8_S8_S8_S8_S8_S8_EEEEPS9_S9_NSD_9__find_if7functorIS9_EEEE10hipError_tPvRmT1_T2_T3_mT4_P12ihipStream_tbEUlT_E1_NS1_11comp_targetILNS1_3genE8ELNS1_11target_archE1030ELNS1_3gpuE2ELNS1_3repE0EEENS1_30default_config_static_selectorELNS0_4arch9wavefront6targetE1EEEvS14_
	.p2align	8
	.type	_ZN7rocprim17ROCPRIM_400000_NS6detail17trampoline_kernelINS0_14default_configENS1_22reduce_config_selectorIN6thrust23THRUST_200600_302600_NS5tupleIblNS6_9null_typeES8_S8_S8_S8_S8_S8_S8_EEEEZNS1_11reduce_implILb1ES3_NS6_12zip_iteratorINS7_INS6_11hip_rocprim26transform_input_iterator_tIbNSD_35transform_pair_of_input_iterators_tIbNS6_6detail15normal_iteratorINS6_10device_ptrIKtEEEESL_NS6_8equal_toItEEEENSG_9not_fun_tINSD_8identityEEEEENSD_19counting_iterator_tIlEES8_S8_S8_S8_S8_S8_S8_S8_EEEEPS9_S9_NSD_9__find_if7functorIS9_EEEE10hipError_tPvRmT1_T2_T3_mT4_P12ihipStream_tbEUlT_E1_NS1_11comp_targetILNS1_3genE8ELNS1_11target_archE1030ELNS1_3gpuE2ELNS1_3repE0EEENS1_30default_config_static_selectorELNS0_4arch9wavefront6targetE1EEEvS14_,@function
_ZN7rocprim17ROCPRIM_400000_NS6detail17trampoline_kernelINS0_14default_configENS1_22reduce_config_selectorIN6thrust23THRUST_200600_302600_NS5tupleIblNS6_9null_typeES8_S8_S8_S8_S8_S8_S8_EEEEZNS1_11reduce_implILb1ES3_NS6_12zip_iteratorINS7_INS6_11hip_rocprim26transform_input_iterator_tIbNSD_35transform_pair_of_input_iterators_tIbNS6_6detail15normal_iteratorINS6_10device_ptrIKtEEEESL_NS6_8equal_toItEEEENSG_9not_fun_tINSD_8identityEEEEENSD_19counting_iterator_tIlEES8_S8_S8_S8_S8_S8_S8_S8_EEEEPS9_S9_NSD_9__find_if7functorIS9_EEEE10hipError_tPvRmT1_T2_T3_mT4_P12ihipStream_tbEUlT_E1_NS1_11comp_targetILNS1_3genE8ELNS1_11target_archE1030ELNS1_3gpuE2ELNS1_3repE0EEENS1_30default_config_static_selectorELNS0_4arch9wavefront6targetE1EEEvS14_: ; @_ZN7rocprim17ROCPRIM_400000_NS6detail17trampoline_kernelINS0_14default_configENS1_22reduce_config_selectorIN6thrust23THRUST_200600_302600_NS5tupleIblNS6_9null_typeES8_S8_S8_S8_S8_S8_S8_EEEEZNS1_11reduce_implILb1ES3_NS6_12zip_iteratorINS7_INS6_11hip_rocprim26transform_input_iterator_tIbNSD_35transform_pair_of_input_iterators_tIbNS6_6detail15normal_iteratorINS6_10device_ptrIKtEEEESL_NS6_8equal_toItEEEENSG_9not_fun_tINSD_8identityEEEEENSD_19counting_iterator_tIlEES8_S8_S8_S8_S8_S8_S8_S8_EEEEPS9_S9_NSD_9__find_if7functorIS9_EEEE10hipError_tPvRmT1_T2_T3_mT4_P12ihipStream_tbEUlT_E1_NS1_11comp_targetILNS1_3genE8ELNS1_11target_archE1030ELNS1_3gpuE2ELNS1_3repE0EEENS1_30default_config_static_selectorELNS0_4arch9wavefront6targetE1EEEvS14_
; %bb.0:
	.section	.rodata,"a",@progbits
	.p2align	6, 0x0
	.amdhsa_kernel _ZN7rocprim17ROCPRIM_400000_NS6detail17trampoline_kernelINS0_14default_configENS1_22reduce_config_selectorIN6thrust23THRUST_200600_302600_NS5tupleIblNS6_9null_typeES8_S8_S8_S8_S8_S8_S8_EEEEZNS1_11reduce_implILb1ES3_NS6_12zip_iteratorINS7_INS6_11hip_rocprim26transform_input_iterator_tIbNSD_35transform_pair_of_input_iterators_tIbNS6_6detail15normal_iteratorINS6_10device_ptrIKtEEEESL_NS6_8equal_toItEEEENSG_9not_fun_tINSD_8identityEEEEENSD_19counting_iterator_tIlEES8_S8_S8_S8_S8_S8_S8_S8_EEEEPS9_S9_NSD_9__find_if7functorIS9_EEEE10hipError_tPvRmT1_T2_T3_mT4_P12ihipStream_tbEUlT_E1_NS1_11comp_targetILNS1_3genE8ELNS1_11target_archE1030ELNS1_3gpuE2ELNS1_3repE0EEENS1_30default_config_static_selectorELNS0_4arch9wavefront6targetE1EEEvS14_
		.amdhsa_group_segment_fixed_size 0
		.amdhsa_private_segment_fixed_size 0
		.amdhsa_kernarg_size 88
		.amdhsa_user_sgpr_count 6
		.amdhsa_user_sgpr_private_segment_buffer 1
		.amdhsa_user_sgpr_dispatch_ptr 0
		.amdhsa_user_sgpr_queue_ptr 0
		.amdhsa_user_sgpr_kernarg_segment_ptr 1
		.amdhsa_user_sgpr_dispatch_id 0
		.amdhsa_user_sgpr_flat_scratch_init 0
		.amdhsa_user_sgpr_private_segment_size 0
		.amdhsa_uses_dynamic_stack 0
		.amdhsa_system_sgpr_private_segment_wavefront_offset 0
		.amdhsa_system_sgpr_workgroup_id_x 1
		.amdhsa_system_sgpr_workgroup_id_y 0
		.amdhsa_system_sgpr_workgroup_id_z 0
		.amdhsa_system_sgpr_workgroup_info 0
		.amdhsa_system_vgpr_workitem_id 0
		.amdhsa_next_free_vgpr 1
		.amdhsa_next_free_sgpr 0
		.amdhsa_reserve_vcc 0
		.amdhsa_reserve_flat_scratch 0
		.amdhsa_float_round_mode_32 0
		.amdhsa_float_round_mode_16_64 0
		.amdhsa_float_denorm_mode_32 3
		.amdhsa_float_denorm_mode_16_64 3
		.amdhsa_dx10_clamp 1
		.amdhsa_ieee_mode 1
		.amdhsa_fp16_overflow 0
		.amdhsa_exception_fp_ieee_invalid_op 0
		.amdhsa_exception_fp_denorm_src 0
		.amdhsa_exception_fp_ieee_div_zero 0
		.amdhsa_exception_fp_ieee_overflow 0
		.amdhsa_exception_fp_ieee_underflow 0
		.amdhsa_exception_fp_ieee_inexact 0
		.amdhsa_exception_int_div_zero 0
	.end_amdhsa_kernel
	.section	.text._ZN7rocprim17ROCPRIM_400000_NS6detail17trampoline_kernelINS0_14default_configENS1_22reduce_config_selectorIN6thrust23THRUST_200600_302600_NS5tupleIblNS6_9null_typeES8_S8_S8_S8_S8_S8_S8_EEEEZNS1_11reduce_implILb1ES3_NS6_12zip_iteratorINS7_INS6_11hip_rocprim26transform_input_iterator_tIbNSD_35transform_pair_of_input_iterators_tIbNS6_6detail15normal_iteratorINS6_10device_ptrIKtEEEESL_NS6_8equal_toItEEEENSG_9not_fun_tINSD_8identityEEEEENSD_19counting_iterator_tIlEES8_S8_S8_S8_S8_S8_S8_S8_EEEEPS9_S9_NSD_9__find_if7functorIS9_EEEE10hipError_tPvRmT1_T2_T3_mT4_P12ihipStream_tbEUlT_E1_NS1_11comp_targetILNS1_3genE8ELNS1_11target_archE1030ELNS1_3gpuE2ELNS1_3repE0EEENS1_30default_config_static_selectorELNS0_4arch9wavefront6targetE1EEEvS14_,"axG",@progbits,_ZN7rocprim17ROCPRIM_400000_NS6detail17trampoline_kernelINS0_14default_configENS1_22reduce_config_selectorIN6thrust23THRUST_200600_302600_NS5tupleIblNS6_9null_typeES8_S8_S8_S8_S8_S8_S8_EEEEZNS1_11reduce_implILb1ES3_NS6_12zip_iteratorINS7_INS6_11hip_rocprim26transform_input_iterator_tIbNSD_35transform_pair_of_input_iterators_tIbNS6_6detail15normal_iteratorINS6_10device_ptrIKtEEEESL_NS6_8equal_toItEEEENSG_9not_fun_tINSD_8identityEEEEENSD_19counting_iterator_tIlEES8_S8_S8_S8_S8_S8_S8_S8_EEEEPS9_S9_NSD_9__find_if7functorIS9_EEEE10hipError_tPvRmT1_T2_T3_mT4_P12ihipStream_tbEUlT_E1_NS1_11comp_targetILNS1_3genE8ELNS1_11target_archE1030ELNS1_3gpuE2ELNS1_3repE0EEENS1_30default_config_static_selectorELNS0_4arch9wavefront6targetE1EEEvS14_,comdat
.Lfunc_end518:
	.size	_ZN7rocprim17ROCPRIM_400000_NS6detail17trampoline_kernelINS0_14default_configENS1_22reduce_config_selectorIN6thrust23THRUST_200600_302600_NS5tupleIblNS6_9null_typeES8_S8_S8_S8_S8_S8_S8_EEEEZNS1_11reduce_implILb1ES3_NS6_12zip_iteratorINS7_INS6_11hip_rocprim26transform_input_iterator_tIbNSD_35transform_pair_of_input_iterators_tIbNS6_6detail15normal_iteratorINS6_10device_ptrIKtEEEESL_NS6_8equal_toItEEEENSG_9not_fun_tINSD_8identityEEEEENSD_19counting_iterator_tIlEES8_S8_S8_S8_S8_S8_S8_S8_EEEEPS9_S9_NSD_9__find_if7functorIS9_EEEE10hipError_tPvRmT1_T2_T3_mT4_P12ihipStream_tbEUlT_E1_NS1_11comp_targetILNS1_3genE8ELNS1_11target_archE1030ELNS1_3gpuE2ELNS1_3repE0EEENS1_30default_config_static_selectorELNS0_4arch9wavefront6targetE1EEEvS14_, .Lfunc_end518-_ZN7rocprim17ROCPRIM_400000_NS6detail17trampoline_kernelINS0_14default_configENS1_22reduce_config_selectorIN6thrust23THRUST_200600_302600_NS5tupleIblNS6_9null_typeES8_S8_S8_S8_S8_S8_S8_EEEEZNS1_11reduce_implILb1ES3_NS6_12zip_iteratorINS7_INS6_11hip_rocprim26transform_input_iterator_tIbNSD_35transform_pair_of_input_iterators_tIbNS6_6detail15normal_iteratorINS6_10device_ptrIKtEEEESL_NS6_8equal_toItEEEENSG_9not_fun_tINSD_8identityEEEEENSD_19counting_iterator_tIlEES8_S8_S8_S8_S8_S8_S8_S8_EEEEPS9_S9_NSD_9__find_if7functorIS9_EEEE10hipError_tPvRmT1_T2_T3_mT4_P12ihipStream_tbEUlT_E1_NS1_11comp_targetILNS1_3genE8ELNS1_11target_archE1030ELNS1_3gpuE2ELNS1_3repE0EEENS1_30default_config_static_selectorELNS0_4arch9wavefront6targetE1EEEvS14_
                                        ; -- End function
	.set _ZN7rocprim17ROCPRIM_400000_NS6detail17trampoline_kernelINS0_14default_configENS1_22reduce_config_selectorIN6thrust23THRUST_200600_302600_NS5tupleIblNS6_9null_typeES8_S8_S8_S8_S8_S8_S8_EEEEZNS1_11reduce_implILb1ES3_NS6_12zip_iteratorINS7_INS6_11hip_rocprim26transform_input_iterator_tIbNSD_35transform_pair_of_input_iterators_tIbNS6_6detail15normal_iteratorINS6_10device_ptrIKtEEEESL_NS6_8equal_toItEEEENSG_9not_fun_tINSD_8identityEEEEENSD_19counting_iterator_tIlEES8_S8_S8_S8_S8_S8_S8_S8_EEEEPS9_S9_NSD_9__find_if7functorIS9_EEEE10hipError_tPvRmT1_T2_T3_mT4_P12ihipStream_tbEUlT_E1_NS1_11comp_targetILNS1_3genE8ELNS1_11target_archE1030ELNS1_3gpuE2ELNS1_3repE0EEENS1_30default_config_static_selectorELNS0_4arch9wavefront6targetE1EEEvS14_.num_vgpr, 0
	.set _ZN7rocprim17ROCPRIM_400000_NS6detail17trampoline_kernelINS0_14default_configENS1_22reduce_config_selectorIN6thrust23THRUST_200600_302600_NS5tupleIblNS6_9null_typeES8_S8_S8_S8_S8_S8_S8_EEEEZNS1_11reduce_implILb1ES3_NS6_12zip_iteratorINS7_INS6_11hip_rocprim26transform_input_iterator_tIbNSD_35transform_pair_of_input_iterators_tIbNS6_6detail15normal_iteratorINS6_10device_ptrIKtEEEESL_NS6_8equal_toItEEEENSG_9not_fun_tINSD_8identityEEEEENSD_19counting_iterator_tIlEES8_S8_S8_S8_S8_S8_S8_S8_EEEEPS9_S9_NSD_9__find_if7functorIS9_EEEE10hipError_tPvRmT1_T2_T3_mT4_P12ihipStream_tbEUlT_E1_NS1_11comp_targetILNS1_3genE8ELNS1_11target_archE1030ELNS1_3gpuE2ELNS1_3repE0EEENS1_30default_config_static_selectorELNS0_4arch9wavefront6targetE1EEEvS14_.num_agpr, 0
	.set _ZN7rocprim17ROCPRIM_400000_NS6detail17trampoline_kernelINS0_14default_configENS1_22reduce_config_selectorIN6thrust23THRUST_200600_302600_NS5tupleIblNS6_9null_typeES8_S8_S8_S8_S8_S8_S8_EEEEZNS1_11reduce_implILb1ES3_NS6_12zip_iteratorINS7_INS6_11hip_rocprim26transform_input_iterator_tIbNSD_35transform_pair_of_input_iterators_tIbNS6_6detail15normal_iteratorINS6_10device_ptrIKtEEEESL_NS6_8equal_toItEEEENSG_9not_fun_tINSD_8identityEEEEENSD_19counting_iterator_tIlEES8_S8_S8_S8_S8_S8_S8_S8_EEEEPS9_S9_NSD_9__find_if7functorIS9_EEEE10hipError_tPvRmT1_T2_T3_mT4_P12ihipStream_tbEUlT_E1_NS1_11comp_targetILNS1_3genE8ELNS1_11target_archE1030ELNS1_3gpuE2ELNS1_3repE0EEENS1_30default_config_static_selectorELNS0_4arch9wavefront6targetE1EEEvS14_.numbered_sgpr, 0
	.set _ZN7rocprim17ROCPRIM_400000_NS6detail17trampoline_kernelINS0_14default_configENS1_22reduce_config_selectorIN6thrust23THRUST_200600_302600_NS5tupleIblNS6_9null_typeES8_S8_S8_S8_S8_S8_S8_EEEEZNS1_11reduce_implILb1ES3_NS6_12zip_iteratorINS7_INS6_11hip_rocprim26transform_input_iterator_tIbNSD_35transform_pair_of_input_iterators_tIbNS6_6detail15normal_iteratorINS6_10device_ptrIKtEEEESL_NS6_8equal_toItEEEENSG_9not_fun_tINSD_8identityEEEEENSD_19counting_iterator_tIlEES8_S8_S8_S8_S8_S8_S8_S8_EEEEPS9_S9_NSD_9__find_if7functorIS9_EEEE10hipError_tPvRmT1_T2_T3_mT4_P12ihipStream_tbEUlT_E1_NS1_11comp_targetILNS1_3genE8ELNS1_11target_archE1030ELNS1_3gpuE2ELNS1_3repE0EEENS1_30default_config_static_selectorELNS0_4arch9wavefront6targetE1EEEvS14_.num_named_barrier, 0
	.set _ZN7rocprim17ROCPRIM_400000_NS6detail17trampoline_kernelINS0_14default_configENS1_22reduce_config_selectorIN6thrust23THRUST_200600_302600_NS5tupleIblNS6_9null_typeES8_S8_S8_S8_S8_S8_S8_EEEEZNS1_11reduce_implILb1ES3_NS6_12zip_iteratorINS7_INS6_11hip_rocprim26transform_input_iterator_tIbNSD_35transform_pair_of_input_iterators_tIbNS6_6detail15normal_iteratorINS6_10device_ptrIKtEEEESL_NS6_8equal_toItEEEENSG_9not_fun_tINSD_8identityEEEEENSD_19counting_iterator_tIlEES8_S8_S8_S8_S8_S8_S8_S8_EEEEPS9_S9_NSD_9__find_if7functorIS9_EEEE10hipError_tPvRmT1_T2_T3_mT4_P12ihipStream_tbEUlT_E1_NS1_11comp_targetILNS1_3genE8ELNS1_11target_archE1030ELNS1_3gpuE2ELNS1_3repE0EEENS1_30default_config_static_selectorELNS0_4arch9wavefront6targetE1EEEvS14_.private_seg_size, 0
	.set _ZN7rocprim17ROCPRIM_400000_NS6detail17trampoline_kernelINS0_14default_configENS1_22reduce_config_selectorIN6thrust23THRUST_200600_302600_NS5tupleIblNS6_9null_typeES8_S8_S8_S8_S8_S8_S8_EEEEZNS1_11reduce_implILb1ES3_NS6_12zip_iteratorINS7_INS6_11hip_rocprim26transform_input_iterator_tIbNSD_35transform_pair_of_input_iterators_tIbNS6_6detail15normal_iteratorINS6_10device_ptrIKtEEEESL_NS6_8equal_toItEEEENSG_9not_fun_tINSD_8identityEEEEENSD_19counting_iterator_tIlEES8_S8_S8_S8_S8_S8_S8_S8_EEEEPS9_S9_NSD_9__find_if7functorIS9_EEEE10hipError_tPvRmT1_T2_T3_mT4_P12ihipStream_tbEUlT_E1_NS1_11comp_targetILNS1_3genE8ELNS1_11target_archE1030ELNS1_3gpuE2ELNS1_3repE0EEENS1_30default_config_static_selectorELNS0_4arch9wavefront6targetE1EEEvS14_.uses_vcc, 0
	.set _ZN7rocprim17ROCPRIM_400000_NS6detail17trampoline_kernelINS0_14default_configENS1_22reduce_config_selectorIN6thrust23THRUST_200600_302600_NS5tupleIblNS6_9null_typeES8_S8_S8_S8_S8_S8_S8_EEEEZNS1_11reduce_implILb1ES3_NS6_12zip_iteratorINS7_INS6_11hip_rocprim26transform_input_iterator_tIbNSD_35transform_pair_of_input_iterators_tIbNS6_6detail15normal_iteratorINS6_10device_ptrIKtEEEESL_NS6_8equal_toItEEEENSG_9not_fun_tINSD_8identityEEEEENSD_19counting_iterator_tIlEES8_S8_S8_S8_S8_S8_S8_S8_EEEEPS9_S9_NSD_9__find_if7functorIS9_EEEE10hipError_tPvRmT1_T2_T3_mT4_P12ihipStream_tbEUlT_E1_NS1_11comp_targetILNS1_3genE8ELNS1_11target_archE1030ELNS1_3gpuE2ELNS1_3repE0EEENS1_30default_config_static_selectorELNS0_4arch9wavefront6targetE1EEEvS14_.uses_flat_scratch, 0
	.set _ZN7rocprim17ROCPRIM_400000_NS6detail17trampoline_kernelINS0_14default_configENS1_22reduce_config_selectorIN6thrust23THRUST_200600_302600_NS5tupleIblNS6_9null_typeES8_S8_S8_S8_S8_S8_S8_EEEEZNS1_11reduce_implILb1ES3_NS6_12zip_iteratorINS7_INS6_11hip_rocprim26transform_input_iterator_tIbNSD_35transform_pair_of_input_iterators_tIbNS6_6detail15normal_iteratorINS6_10device_ptrIKtEEEESL_NS6_8equal_toItEEEENSG_9not_fun_tINSD_8identityEEEEENSD_19counting_iterator_tIlEES8_S8_S8_S8_S8_S8_S8_S8_EEEEPS9_S9_NSD_9__find_if7functorIS9_EEEE10hipError_tPvRmT1_T2_T3_mT4_P12ihipStream_tbEUlT_E1_NS1_11comp_targetILNS1_3genE8ELNS1_11target_archE1030ELNS1_3gpuE2ELNS1_3repE0EEENS1_30default_config_static_selectorELNS0_4arch9wavefront6targetE1EEEvS14_.has_dyn_sized_stack, 0
	.set _ZN7rocprim17ROCPRIM_400000_NS6detail17trampoline_kernelINS0_14default_configENS1_22reduce_config_selectorIN6thrust23THRUST_200600_302600_NS5tupleIblNS6_9null_typeES8_S8_S8_S8_S8_S8_S8_EEEEZNS1_11reduce_implILb1ES3_NS6_12zip_iteratorINS7_INS6_11hip_rocprim26transform_input_iterator_tIbNSD_35transform_pair_of_input_iterators_tIbNS6_6detail15normal_iteratorINS6_10device_ptrIKtEEEESL_NS6_8equal_toItEEEENSG_9not_fun_tINSD_8identityEEEEENSD_19counting_iterator_tIlEES8_S8_S8_S8_S8_S8_S8_S8_EEEEPS9_S9_NSD_9__find_if7functorIS9_EEEE10hipError_tPvRmT1_T2_T3_mT4_P12ihipStream_tbEUlT_E1_NS1_11comp_targetILNS1_3genE8ELNS1_11target_archE1030ELNS1_3gpuE2ELNS1_3repE0EEENS1_30default_config_static_selectorELNS0_4arch9wavefront6targetE1EEEvS14_.has_recursion, 0
	.set _ZN7rocprim17ROCPRIM_400000_NS6detail17trampoline_kernelINS0_14default_configENS1_22reduce_config_selectorIN6thrust23THRUST_200600_302600_NS5tupleIblNS6_9null_typeES8_S8_S8_S8_S8_S8_S8_EEEEZNS1_11reduce_implILb1ES3_NS6_12zip_iteratorINS7_INS6_11hip_rocprim26transform_input_iterator_tIbNSD_35transform_pair_of_input_iterators_tIbNS6_6detail15normal_iteratorINS6_10device_ptrIKtEEEESL_NS6_8equal_toItEEEENSG_9not_fun_tINSD_8identityEEEEENSD_19counting_iterator_tIlEES8_S8_S8_S8_S8_S8_S8_S8_EEEEPS9_S9_NSD_9__find_if7functorIS9_EEEE10hipError_tPvRmT1_T2_T3_mT4_P12ihipStream_tbEUlT_E1_NS1_11comp_targetILNS1_3genE8ELNS1_11target_archE1030ELNS1_3gpuE2ELNS1_3repE0EEENS1_30default_config_static_selectorELNS0_4arch9wavefront6targetE1EEEvS14_.has_indirect_call, 0
	.section	.AMDGPU.csdata,"",@progbits
; Kernel info:
; codeLenInByte = 0
; TotalNumSgprs: 4
; NumVgprs: 0
; ScratchSize: 0
; MemoryBound: 0
; FloatMode: 240
; IeeeMode: 1
; LDSByteSize: 0 bytes/workgroup (compile time only)
; SGPRBlocks: 0
; VGPRBlocks: 0
; NumSGPRsForWavesPerEU: 4
; NumVGPRsForWavesPerEU: 1
; Occupancy: 10
; WaveLimiterHint : 0
; COMPUTE_PGM_RSRC2:SCRATCH_EN: 0
; COMPUTE_PGM_RSRC2:USER_SGPR: 6
; COMPUTE_PGM_RSRC2:TRAP_HANDLER: 0
; COMPUTE_PGM_RSRC2:TGID_X_EN: 1
; COMPUTE_PGM_RSRC2:TGID_Y_EN: 0
; COMPUTE_PGM_RSRC2:TGID_Z_EN: 0
; COMPUTE_PGM_RSRC2:TIDIG_COMP_CNT: 0
	.section	.text._ZN7rocprim17ROCPRIM_400000_NS6detail17trampoline_kernelINS0_14default_configENS1_22reduce_config_selectorIN6thrust23THRUST_200600_302600_NS5tupleIblNS6_9null_typeES8_S8_S8_S8_S8_S8_S8_EEEEZNS1_11reduce_implILb1ES3_NS6_12zip_iteratorINS7_INS6_11hip_rocprim26transform_input_iterator_tIbNSD_35transform_pair_of_input_iterators_tIbNS6_6detail15normal_iteratorINS6_10device_ptrIKxEEEESL_NS6_8equal_toIxEEEENSG_9not_fun_tINSD_8identityEEEEENSD_19counting_iterator_tIlEES8_S8_S8_S8_S8_S8_S8_S8_EEEEPS9_S9_NSD_9__find_if7functorIS9_EEEE10hipError_tPvRmT1_T2_T3_mT4_P12ihipStream_tbEUlT_E0_NS1_11comp_targetILNS1_3genE0ELNS1_11target_archE4294967295ELNS1_3gpuE0ELNS1_3repE0EEENS1_30default_config_static_selectorELNS0_4arch9wavefront6targetE1EEEvS14_,"axG",@progbits,_ZN7rocprim17ROCPRIM_400000_NS6detail17trampoline_kernelINS0_14default_configENS1_22reduce_config_selectorIN6thrust23THRUST_200600_302600_NS5tupleIblNS6_9null_typeES8_S8_S8_S8_S8_S8_S8_EEEEZNS1_11reduce_implILb1ES3_NS6_12zip_iteratorINS7_INS6_11hip_rocprim26transform_input_iterator_tIbNSD_35transform_pair_of_input_iterators_tIbNS6_6detail15normal_iteratorINS6_10device_ptrIKxEEEESL_NS6_8equal_toIxEEEENSG_9not_fun_tINSD_8identityEEEEENSD_19counting_iterator_tIlEES8_S8_S8_S8_S8_S8_S8_S8_EEEEPS9_S9_NSD_9__find_if7functorIS9_EEEE10hipError_tPvRmT1_T2_T3_mT4_P12ihipStream_tbEUlT_E0_NS1_11comp_targetILNS1_3genE0ELNS1_11target_archE4294967295ELNS1_3gpuE0ELNS1_3repE0EEENS1_30default_config_static_selectorELNS0_4arch9wavefront6targetE1EEEvS14_,comdat
	.protected	_ZN7rocprim17ROCPRIM_400000_NS6detail17trampoline_kernelINS0_14default_configENS1_22reduce_config_selectorIN6thrust23THRUST_200600_302600_NS5tupleIblNS6_9null_typeES8_S8_S8_S8_S8_S8_S8_EEEEZNS1_11reduce_implILb1ES3_NS6_12zip_iteratorINS7_INS6_11hip_rocprim26transform_input_iterator_tIbNSD_35transform_pair_of_input_iterators_tIbNS6_6detail15normal_iteratorINS6_10device_ptrIKxEEEESL_NS6_8equal_toIxEEEENSG_9not_fun_tINSD_8identityEEEEENSD_19counting_iterator_tIlEES8_S8_S8_S8_S8_S8_S8_S8_EEEEPS9_S9_NSD_9__find_if7functorIS9_EEEE10hipError_tPvRmT1_T2_T3_mT4_P12ihipStream_tbEUlT_E0_NS1_11comp_targetILNS1_3genE0ELNS1_11target_archE4294967295ELNS1_3gpuE0ELNS1_3repE0EEENS1_30default_config_static_selectorELNS0_4arch9wavefront6targetE1EEEvS14_ ; -- Begin function _ZN7rocprim17ROCPRIM_400000_NS6detail17trampoline_kernelINS0_14default_configENS1_22reduce_config_selectorIN6thrust23THRUST_200600_302600_NS5tupleIblNS6_9null_typeES8_S8_S8_S8_S8_S8_S8_EEEEZNS1_11reduce_implILb1ES3_NS6_12zip_iteratorINS7_INS6_11hip_rocprim26transform_input_iterator_tIbNSD_35transform_pair_of_input_iterators_tIbNS6_6detail15normal_iteratorINS6_10device_ptrIKxEEEESL_NS6_8equal_toIxEEEENSG_9not_fun_tINSD_8identityEEEEENSD_19counting_iterator_tIlEES8_S8_S8_S8_S8_S8_S8_S8_EEEEPS9_S9_NSD_9__find_if7functorIS9_EEEE10hipError_tPvRmT1_T2_T3_mT4_P12ihipStream_tbEUlT_E0_NS1_11comp_targetILNS1_3genE0ELNS1_11target_archE4294967295ELNS1_3gpuE0ELNS1_3repE0EEENS1_30default_config_static_selectorELNS0_4arch9wavefront6targetE1EEEvS14_
	.globl	_ZN7rocprim17ROCPRIM_400000_NS6detail17trampoline_kernelINS0_14default_configENS1_22reduce_config_selectorIN6thrust23THRUST_200600_302600_NS5tupleIblNS6_9null_typeES8_S8_S8_S8_S8_S8_S8_EEEEZNS1_11reduce_implILb1ES3_NS6_12zip_iteratorINS7_INS6_11hip_rocprim26transform_input_iterator_tIbNSD_35transform_pair_of_input_iterators_tIbNS6_6detail15normal_iteratorINS6_10device_ptrIKxEEEESL_NS6_8equal_toIxEEEENSG_9not_fun_tINSD_8identityEEEEENSD_19counting_iterator_tIlEES8_S8_S8_S8_S8_S8_S8_S8_EEEEPS9_S9_NSD_9__find_if7functorIS9_EEEE10hipError_tPvRmT1_T2_T3_mT4_P12ihipStream_tbEUlT_E0_NS1_11comp_targetILNS1_3genE0ELNS1_11target_archE4294967295ELNS1_3gpuE0ELNS1_3repE0EEENS1_30default_config_static_selectorELNS0_4arch9wavefront6targetE1EEEvS14_
	.p2align	8
	.type	_ZN7rocprim17ROCPRIM_400000_NS6detail17trampoline_kernelINS0_14default_configENS1_22reduce_config_selectorIN6thrust23THRUST_200600_302600_NS5tupleIblNS6_9null_typeES8_S8_S8_S8_S8_S8_S8_EEEEZNS1_11reduce_implILb1ES3_NS6_12zip_iteratorINS7_INS6_11hip_rocprim26transform_input_iterator_tIbNSD_35transform_pair_of_input_iterators_tIbNS6_6detail15normal_iteratorINS6_10device_ptrIKxEEEESL_NS6_8equal_toIxEEEENSG_9not_fun_tINSD_8identityEEEEENSD_19counting_iterator_tIlEES8_S8_S8_S8_S8_S8_S8_S8_EEEEPS9_S9_NSD_9__find_if7functorIS9_EEEE10hipError_tPvRmT1_T2_T3_mT4_P12ihipStream_tbEUlT_E0_NS1_11comp_targetILNS1_3genE0ELNS1_11target_archE4294967295ELNS1_3gpuE0ELNS1_3repE0EEENS1_30default_config_static_selectorELNS0_4arch9wavefront6targetE1EEEvS14_,@function
_ZN7rocprim17ROCPRIM_400000_NS6detail17trampoline_kernelINS0_14default_configENS1_22reduce_config_selectorIN6thrust23THRUST_200600_302600_NS5tupleIblNS6_9null_typeES8_S8_S8_S8_S8_S8_S8_EEEEZNS1_11reduce_implILb1ES3_NS6_12zip_iteratorINS7_INS6_11hip_rocprim26transform_input_iterator_tIbNSD_35transform_pair_of_input_iterators_tIbNS6_6detail15normal_iteratorINS6_10device_ptrIKxEEEESL_NS6_8equal_toIxEEEENSG_9not_fun_tINSD_8identityEEEEENSD_19counting_iterator_tIlEES8_S8_S8_S8_S8_S8_S8_S8_EEEEPS9_S9_NSD_9__find_if7functorIS9_EEEE10hipError_tPvRmT1_T2_T3_mT4_P12ihipStream_tbEUlT_E0_NS1_11comp_targetILNS1_3genE0ELNS1_11target_archE4294967295ELNS1_3gpuE0ELNS1_3repE0EEENS1_30default_config_static_selectorELNS0_4arch9wavefront6targetE1EEEvS14_: ; @_ZN7rocprim17ROCPRIM_400000_NS6detail17trampoline_kernelINS0_14default_configENS1_22reduce_config_selectorIN6thrust23THRUST_200600_302600_NS5tupleIblNS6_9null_typeES8_S8_S8_S8_S8_S8_S8_EEEEZNS1_11reduce_implILb1ES3_NS6_12zip_iteratorINS7_INS6_11hip_rocprim26transform_input_iterator_tIbNSD_35transform_pair_of_input_iterators_tIbNS6_6detail15normal_iteratorINS6_10device_ptrIKxEEEESL_NS6_8equal_toIxEEEENSG_9not_fun_tINSD_8identityEEEEENSD_19counting_iterator_tIlEES8_S8_S8_S8_S8_S8_S8_S8_EEEEPS9_S9_NSD_9__find_if7functorIS9_EEEE10hipError_tPvRmT1_T2_T3_mT4_P12ihipStream_tbEUlT_E0_NS1_11comp_targetILNS1_3genE0ELNS1_11target_archE4294967295ELNS1_3gpuE0ELNS1_3repE0EEENS1_30default_config_static_selectorELNS0_4arch9wavefront6targetE1EEEvS14_
; %bb.0:
	.section	.rodata,"a",@progbits
	.p2align	6, 0x0
	.amdhsa_kernel _ZN7rocprim17ROCPRIM_400000_NS6detail17trampoline_kernelINS0_14default_configENS1_22reduce_config_selectorIN6thrust23THRUST_200600_302600_NS5tupleIblNS6_9null_typeES8_S8_S8_S8_S8_S8_S8_EEEEZNS1_11reduce_implILb1ES3_NS6_12zip_iteratorINS7_INS6_11hip_rocprim26transform_input_iterator_tIbNSD_35transform_pair_of_input_iterators_tIbNS6_6detail15normal_iteratorINS6_10device_ptrIKxEEEESL_NS6_8equal_toIxEEEENSG_9not_fun_tINSD_8identityEEEEENSD_19counting_iterator_tIlEES8_S8_S8_S8_S8_S8_S8_S8_EEEEPS9_S9_NSD_9__find_if7functorIS9_EEEE10hipError_tPvRmT1_T2_T3_mT4_P12ihipStream_tbEUlT_E0_NS1_11comp_targetILNS1_3genE0ELNS1_11target_archE4294967295ELNS1_3gpuE0ELNS1_3repE0EEENS1_30default_config_static_selectorELNS0_4arch9wavefront6targetE1EEEvS14_
		.amdhsa_group_segment_fixed_size 0
		.amdhsa_private_segment_fixed_size 0
		.amdhsa_kernarg_size 104
		.amdhsa_user_sgpr_count 6
		.amdhsa_user_sgpr_private_segment_buffer 1
		.amdhsa_user_sgpr_dispatch_ptr 0
		.amdhsa_user_sgpr_queue_ptr 0
		.amdhsa_user_sgpr_kernarg_segment_ptr 1
		.amdhsa_user_sgpr_dispatch_id 0
		.amdhsa_user_sgpr_flat_scratch_init 0
		.amdhsa_user_sgpr_private_segment_size 0
		.amdhsa_uses_dynamic_stack 0
		.amdhsa_system_sgpr_private_segment_wavefront_offset 0
		.amdhsa_system_sgpr_workgroup_id_x 1
		.amdhsa_system_sgpr_workgroup_id_y 0
		.amdhsa_system_sgpr_workgroup_id_z 0
		.amdhsa_system_sgpr_workgroup_info 0
		.amdhsa_system_vgpr_workitem_id 0
		.amdhsa_next_free_vgpr 1
		.amdhsa_next_free_sgpr 0
		.amdhsa_reserve_vcc 0
		.amdhsa_reserve_flat_scratch 0
		.amdhsa_float_round_mode_32 0
		.amdhsa_float_round_mode_16_64 0
		.amdhsa_float_denorm_mode_32 3
		.amdhsa_float_denorm_mode_16_64 3
		.amdhsa_dx10_clamp 1
		.amdhsa_ieee_mode 1
		.amdhsa_fp16_overflow 0
		.amdhsa_exception_fp_ieee_invalid_op 0
		.amdhsa_exception_fp_denorm_src 0
		.amdhsa_exception_fp_ieee_div_zero 0
		.amdhsa_exception_fp_ieee_overflow 0
		.amdhsa_exception_fp_ieee_underflow 0
		.amdhsa_exception_fp_ieee_inexact 0
		.amdhsa_exception_int_div_zero 0
	.end_amdhsa_kernel
	.section	.text._ZN7rocprim17ROCPRIM_400000_NS6detail17trampoline_kernelINS0_14default_configENS1_22reduce_config_selectorIN6thrust23THRUST_200600_302600_NS5tupleIblNS6_9null_typeES8_S8_S8_S8_S8_S8_S8_EEEEZNS1_11reduce_implILb1ES3_NS6_12zip_iteratorINS7_INS6_11hip_rocprim26transform_input_iterator_tIbNSD_35transform_pair_of_input_iterators_tIbNS6_6detail15normal_iteratorINS6_10device_ptrIKxEEEESL_NS6_8equal_toIxEEEENSG_9not_fun_tINSD_8identityEEEEENSD_19counting_iterator_tIlEES8_S8_S8_S8_S8_S8_S8_S8_EEEEPS9_S9_NSD_9__find_if7functorIS9_EEEE10hipError_tPvRmT1_T2_T3_mT4_P12ihipStream_tbEUlT_E0_NS1_11comp_targetILNS1_3genE0ELNS1_11target_archE4294967295ELNS1_3gpuE0ELNS1_3repE0EEENS1_30default_config_static_selectorELNS0_4arch9wavefront6targetE1EEEvS14_,"axG",@progbits,_ZN7rocprim17ROCPRIM_400000_NS6detail17trampoline_kernelINS0_14default_configENS1_22reduce_config_selectorIN6thrust23THRUST_200600_302600_NS5tupleIblNS6_9null_typeES8_S8_S8_S8_S8_S8_S8_EEEEZNS1_11reduce_implILb1ES3_NS6_12zip_iteratorINS7_INS6_11hip_rocprim26transform_input_iterator_tIbNSD_35transform_pair_of_input_iterators_tIbNS6_6detail15normal_iteratorINS6_10device_ptrIKxEEEESL_NS6_8equal_toIxEEEENSG_9not_fun_tINSD_8identityEEEEENSD_19counting_iterator_tIlEES8_S8_S8_S8_S8_S8_S8_S8_EEEEPS9_S9_NSD_9__find_if7functorIS9_EEEE10hipError_tPvRmT1_T2_T3_mT4_P12ihipStream_tbEUlT_E0_NS1_11comp_targetILNS1_3genE0ELNS1_11target_archE4294967295ELNS1_3gpuE0ELNS1_3repE0EEENS1_30default_config_static_selectorELNS0_4arch9wavefront6targetE1EEEvS14_,comdat
.Lfunc_end519:
	.size	_ZN7rocprim17ROCPRIM_400000_NS6detail17trampoline_kernelINS0_14default_configENS1_22reduce_config_selectorIN6thrust23THRUST_200600_302600_NS5tupleIblNS6_9null_typeES8_S8_S8_S8_S8_S8_S8_EEEEZNS1_11reduce_implILb1ES3_NS6_12zip_iteratorINS7_INS6_11hip_rocprim26transform_input_iterator_tIbNSD_35transform_pair_of_input_iterators_tIbNS6_6detail15normal_iteratorINS6_10device_ptrIKxEEEESL_NS6_8equal_toIxEEEENSG_9not_fun_tINSD_8identityEEEEENSD_19counting_iterator_tIlEES8_S8_S8_S8_S8_S8_S8_S8_EEEEPS9_S9_NSD_9__find_if7functorIS9_EEEE10hipError_tPvRmT1_T2_T3_mT4_P12ihipStream_tbEUlT_E0_NS1_11comp_targetILNS1_3genE0ELNS1_11target_archE4294967295ELNS1_3gpuE0ELNS1_3repE0EEENS1_30default_config_static_selectorELNS0_4arch9wavefront6targetE1EEEvS14_, .Lfunc_end519-_ZN7rocprim17ROCPRIM_400000_NS6detail17trampoline_kernelINS0_14default_configENS1_22reduce_config_selectorIN6thrust23THRUST_200600_302600_NS5tupleIblNS6_9null_typeES8_S8_S8_S8_S8_S8_S8_EEEEZNS1_11reduce_implILb1ES3_NS6_12zip_iteratorINS7_INS6_11hip_rocprim26transform_input_iterator_tIbNSD_35transform_pair_of_input_iterators_tIbNS6_6detail15normal_iteratorINS6_10device_ptrIKxEEEESL_NS6_8equal_toIxEEEENSG_9not_fun_tINSD_8identityEEEEENSD_19counting_iterator_tIlEES8_S8_S8_S8_S8_S8_S8_S8_EEEEPS9_S9_NSD_9__find_if7functorIS9_EEEE10hipError_tPvRmT1_T2_T3_mT4_P12ihipStream_tbEUlT_E0_NS1_11comp_targetILNS1_3genE0ELNS1_11target_archE4294967295ELNS1_3gpuE0ELNS1_3repE0EEENS1_30default_config_static_selectorELNS0_4arch9wavefront6targetE1EEEvS14_
                                        ; -- End function
	.set _ZN7rocprim17ROCPRIM_400000_NS6detail17trampoline_kernelINS0_14default_configENS1_22reduce_config_selectorIN6thrust23THRUST_200600_302600_NS5tupleIblNS6_9null_typeES8_S8_S8_S8_S8_S8_S8_EEEEZNS1_11reduce_implILb1ES3_NS6_12zip_iteratorINS7_INS6_11hip_rocprim26transform_input_iterator_tIbNSD_35transform_pair_of_input_iterators_tIbNS6_6detail15normal_iteratorINS6_10device_ptrIKxEEEESL_NS6_8equal_toIxEEEENSG_9not_fun_tINSD_8identityEEEEENSD_19counting_iterator_tIlEES8_S8_S8_S8_S8_S8_S8_S8_EEEEPS9_S9_NSD_9__find_if7functorIS9_EEEE10hipError_tPvRmT1_T2_T3_mT4_P12ihipStream_tbEUlT_E0_NS1_11comp_targetILNS1_3genE0ELNS1_11target_archE4294967295ELNS1_3gpuE0ELNS1_3repE0EEENS1_30default_config_static_selectorELNS0_4arch9wavefront6targetE1EEEvS14_.num_vgpr, 0
	.set _ZN7rocprim17ROCPRIM_400000_NS6detail17trampoline_kernelINS0_14default_configENS1_22reduce_config_selectorIN6thrust23THRUST_200600_302600_NS5tupleIblNS6_9null_typeES8_S8_S8_S8_S8_S8_S8_EEEEZNS1_11reduce_implILb1ES3_NS6_12zip_iteratorINS7_INS6_11hip_rocprim26transform_input_iterator_tIbNSD_35transform_pair_of_input_iterators_tIbNS6_6detail15normal_iteratorINS6_10device_ptrIKxEEEESL_NS6_8equal_toIxEEEENSG_9not_fun_tINSD_8identityEEEEENSD_19counting_iterator_tIlEES8_S8_S8_S8_S8_S8_S8_S8_EEEEPS9_S9_NSD_9__find_if7functorIS9_EEEE10hipError_tPvRmT1_T2_T3_mT4_P12ihipStream_tbEUlT_E0_NS1_11comp_targetILNS1_3genE0ELNS1_11target_archE4294967295ELNS1_3gpuE0ELNS1_3repE0EEENS1_30default_config_static_selectorELNS0_4arch9wavefront6targetE1EEEvS14_.num_agpr, 0
	.set _ZN7rocprim17ROCPRIM_400000_NS6detail17trampoline_kernelINS0_14default_configENS1_22reduce_config_selectorIN6thrust23THRUST_200600_302600_NS5tupleIblNS6_9null_typeES8_S8_S8_S8_S8_S8_S8_EEEEZNS1_11reduce_implILb1ES3_NS6_12zip_iteratorINS7_INS6_11hip_rocprim26transform_input_iterator_tIbNSD_35transform_pair_of_input_iterators_tIbNS6_6detail15normal_iteratorINS6_10device_ptrIKxEEEESL_NS6_8equal_toIxEEEENSG_9not_fun_tINSD_8identityEEEEENSD_19counting_iterator_tIlEES8_S8_S8_S8_S8_S8_S8_S8_EEEEPS9_S9_NSD_9__find_if7functorIS9_EEEE10hipError_tPvRmT1_T2_T3_mT4_P12ihipStream_tbEUlT_E0_NS1_11comp_targetILNS1_3genE0ELNS1_11target_archE4294967295ELNS1_3gpuE0ELNS1_3repE0EEENS1_30default_config_static_selectorELNS0_4arch9wavefront6targetE1EEEvS14_.numbered_sgpr, 0
	.set _ZN7rocprim17ROCPRIM_400000_NS6detail17trampoline_kernelINS0_14default_configENS1_22reduce_config_selectorIN6thrust23THRUST_200600_302600_NS5tupleIblNS6_9null_typeES8_S8_S8_S8_S8_S8_S8_EEEEZNS1_11reduce_implILb1ES3_NS6_12zip_iteratorINS7_INS6_11hip_rocprim26transform_input_iterator_tIbNSD_35transform_pair_of_input_iterators_tIbNS6_6detail15normal_iteratorINS6_10device_ptrIKxEEEESL_NS6_8equal_toIxEEEENSG_9not_fun_tINSD_8identityEEEEENSD_19counting_iterator_tIlEES8_S8_S8_S8_S8_S8_S8_S8_EEEEPS9_S9_NSD_9__find_if7functorIS9_EEEE10hipError_tPvRmT1_T2_T3_mT4_P12ihipStream_tbEUlT_E0_NS1_11comp_targetILNS1_3genE0ELNS1_11target_archE4294967295ELNS1_3gpuE0ELNS1_3repE0EEENS1_30default_config_static_selectorELNS0_4arch9wavefront6targetE1EEEvS14_.num_named_barrier, 0
	.set _ZN7rocprim17ROCPRIM_400000_NS6detail17trampoline_kernelINS0_14default_configENS1_22reduce_config_selectorIN6thrust23THRUST_200600_302600_NS5tupleIblNS6_9null_typeES8_S8_S8_S8_S8_S8_S8_EEEEZNS1_11reduce_implILb1ES3_NS6_12zip_iteratorINS7_INS6_11hip_rocprim26transform_input_iterator_tIbNSD_35transform_pair_of_input_iterators_tIbNS6_6detail15normal_iteratorINS6_10device_ptrIKxEEEESL_NS6_8equal_toIxEEEENSG_9not_fun_tINSD_8identityEEEEENSD_19counting_iterator_tIlEES8_S8_S8_S8_S8_S8_S8_S8_EEEEPS9_S9_NSD_9__find_if7functorIS9_EEEE10hipError_tPvRmT1_T2_T3_mT4_P12ihipStream_tbEUlT_E0_NS1_11comp_targetILNS1_3genE0ELNS1_11target_archE4294967295ELNS1_3gpuE0ELNS1_3repE0EEENS1_30default_config_static_selectorELNS0_4arch9wavefront6targetE1EEEvS14_.private_seg_size, 0
	.set _ZN7rocprim17ROCPRIM_400000_NS6detail17trampoline_kernelINS0_14default_configENS1_22reduce_config_selectorIN6thrust23THRUST_200600_302600_NS5tupleIblNS6_9null_typeES8_S8_S8_S8_S8_S8_S8_EEEEZNS1_11reduce_implILb1ES3_NS6_12zip_iteratorINS7_INS6_11hip_rocprim26transform_input_iterator_tIbNSD_35transform_pair_of_input_iterators_tIbNS6_6detail15normal_iteratorINS6_10device_ptrIKxEEEESL_NS6_8equal_toIxEEEENSG_9not_fun_tINSD_8identityEEEEENSD_19counting_iterator_tIlEES8_S8_S8_S8_S8_S8_S8_S8_EEEEPS9_S9_NSD_9__find_if7functorIS9_EEEE10hipError_tPvRmT1_T2_T3_mT4_P12ihipStream_tbEUlT_E0_NS1_11comp_targetILNS1_3genE0ELNS1_11target_archE4294967295ELNS1_3gpuE0ELNS1_3repE0EEENS1_30default_config_static_selectorELNS0_4arch9wavefront6targetE1EEEvS14_.uses_vcc, 0
	.set _ZN7rocprim17ROCPRIM_400000_NS6detail17trampoline_kernelINS0_14default_configENS1_22reduce_config_selectorIN6thrust23THRUST_200600_302600_NS5tupleIblNS6_9null_typeES8_S8_S8_S8_S8_S8_S8_EEEEZNS1_11reduce_implILb1ES3_NS6_12zip_iteratorINS7_INS6_11hip_rocprim26transform_input_iterator_tIbNSD_35transform_pair_of_input_iterators_tIbNS6_6detail15normal_iteratorINS6_10device_ptrIKxEEEESL_NS6_8equal_toIxEEEENSG_9not_fun_tINSD_8identityEEEEENSD_19counting_iterator_tIlEES8_S8_S8_S8_S8_S8_S8_S8_EEEEPS9_S9_NSD_9__find_if7functorIS9_EEEE10hipError_tPvRmT1_T2_T3_mT4_P12ihipStream_tbEUlT_E0_NS1_11comp_targetILNS1_3genE0ELNS1_11target_archE4294967295ELNS1_3gpuE0ELNS1_3repE0EEENS1_30default_config_static_selectorELNS0_4arch9wavefront6targetE1EEEvS14_.uses_flat_scratch, 0
	.set _ZN7rocprim17ROCPRIM_400000_NS6detail17trampoline_kernelINS0_14default_configENS1_22reduce_config_selectorIN6thrust23THRUST_200600_302600_NS5tupleIblNS6_9null_typeES8_S8_S8_S8_S8_S8_S8_EEEEZNS1_11reduce_implILb1ES3_NS6_12zip_iteratorINS7_INS6_11hip_rocprim26transform_input_iterator_tIbNSD_35transform_pair_of_input_iterators_tIbNS6_6detail15normal_iteratorINS6_10device_ptrIKxEEEESL_NS6_8equal_toIxEEEENSG_9not_fun_tINSD_8identityEEEEENSD_19counting_iterator_tIlEES8_S8_S8_S8_S8_S8_S8_S8_EEEEPS9_S9_NSD_9__find_if7functorIS9_EEEE10hipError_tPvRmT1_T2_T3_mT4_P12ihipStream_tbEUlT_E0_NS1_11comp_targetILNS1_3genE0ELNS1_11target_archE4294967295ELNS1_3gpuE0ELNS1_3repE0EEENS1_30default_config_static_selectorELNS0_4arch9wavefront6targetE1EEEvS14_.has_dyn_sized_stack, 0
	.set _ZN7rocprim17ROCPRIM_400000_NS6detail17trampoline_kernelINS0_14default_configENS1_22reduce_config_selectorIN6thrust23THRUST_200600_302600_NS5tupleIblNS6_9null_typeES8_S8_S8_S8_S8_S8_S8_EEEEZNS1_11reduce_implILb1ES3_NS6_12zip_iteratorINS7_INS6_11hip_rocprim26transform_input_iterator_tIbNSD_35transform_pair_of_input_iterators_tIbNS6_6detail15normal_iteratorINS6_10device_ptrIKxEEEESL_NS6_8equal_toIxEEEENSG_9not_fun_tINSD_8identityEEEEENSD_19counting_iterator_tIlEES8_S8_S8_S8_S8_S8_S8_S8_EEEEPS9_S9_NSD_9__find_if7functorIS9_EEEE10hipError_tPvRmT1_T2_T3_mT4_P12ihipStream_tbEUlT_E0_NS1_11comp_targetILNS1_3genE0ELNS1_11target_archE4294967295ELNS1_3gpuE0ELNS1_3repE0EEENS1_30default_config_static_selectorELNS0_4arch9wavefront6targetE1EEEvS14_.has_recursion, 0
	.set _ZN7rocprim17ROCPRIM_400000_NS6detail17trampoline_kernelINS0_14default_configENS1_22reduce_config_selectorIN6thrust23THRUST_200600_302600_NS5tupleIblNS6_9null_typeES8_S8_S8_S8_S8_S8_S8_EEEEZNS1_11reduce_implILb1ES3_NS6_12zip_iteratorINS7_INS6_11hip_rocprim26transform_input_iterator_tIbNSD_35transform_pair_of_input_iterators_tIbNS6_6detail15normal_iteratorINS6_10device_ptrIKxEEEESL_NS6_8equal_toIxEEEENSG_9not_fun_tINSD_8identityEEEEENSD_19counting_iterator_tIlEES8_S8_S8_S8_S8_S8_S8_S8_EEEEPS9_S9_NSD_9__find_if7functorIS9_EEEE10hipError_tPvRmT1_T2_T3_mT4_P12ihipStream_tbEUlT_E0_NS1_11comp_targetILNS1_3genE0ELNS1_11target_archE4294967295ELNS1_3gpuE0ELNS1_3repE0EEENS1_30default_config_static_selectorELNS0_4arch9wavefront6targetE1EEEvS14_.has_indirect_call, 0
	.section	.AMDGPU.csdata,"",@progbits
; Kernel info:
; codeLenInByte = 0
; TotalNumSgprs: 4
; NumVgprs: 0
; ScratchSize: 0
; MemoryBound: 0
; FloatMode: 240
; IeeeMode: 1
; LDSByteSize: 0 bytes/workgroup (compile time only)
; SGPRBlocks: 0
; VGPRBlocks: 0
; NumSGPRsForWavesPerEU: 4
; NumVGPRsForWavesPerEU: 1
; Occupancy: 10
; WaveLimiterHint : 0
; COMPUTE_PGM_RSRC2:SCRATCH_EN: 0
; COMPUTE_PGM_RSRC2:USER_SGPR: 6
; COMPUTE_PGM_RSRC2:TRAP_HANDLER: 0
; COMPUTE_PGM_RSRC2:TGID_X_EN: 1
; COMPUTE_PGM_RSRC2:TGID_Y_EN: 0
; COMPUTE_PGM_RSRC2:TGID_Z_EN: 0
; COMPUTE_PGM_RSRC2:TIDIG_COMP_CNT: 0
	.section	.text._ZN7rocprim17ROCPRIM_400000_NS6detail17trampoline_kernelINS0_14default_configENS1_22reduce_config_selectorIN6thrust23THRUST_200600_302600_NS5tupleIblNS6_9null_typeES8_S8_S8_S8_S8_S8_S8_EEEEZNS1_11reduce_implILb1ES3_NS6_12zip_iteratorINS7_INS6_11hip_rocprim26transform_input_iterator_tIbNSD_35transform_pair_of_input_iterators_tIbNS6_6detail15normal_iteratorINS6_10device_ptrIKxEEEESL_NS6_8equal_toIxEEEENSG_9not_fun_tINSD_8identityEEEEENSD_19counting_iterator_tIlEES8_S8_S8_S8_S8_S8_S8_S8_EEEEPS9_S9_NSD_9__find_if7functorIS9_EEEE10hipError_tPvRmT1_T2_T3_mT4_P12ihipStream_tbEUlT_E0_NS1_11comp_targetILNS1_3genE5ELNS1_11target_archE942ELNS1_3gpuE9ELNS1_3repE0EEENS1_30default_config_static_selectorELNS0_4arch9wavefront6targetE1EEEvS14_,"axG",@progbits,_ZN7rocprim17ROCPRIM_400000_NS6detail17trampoline_kernelINS0_14default_configENS1_22reduce_config_selectorIN6thrust23THRUST_200600_302600_NS5tupleIblNS6_9null_typeES8_S8_S8_S8_S8_S8_S8_EEEEZNS1_11reduce_implILb1ES3_NS6_12zip_iteratorINS7_INS6_11hip_rocprim26transform_input_iterator_tIbNSD_35transform_pair_of_input_iterators_tIbNS6_6detail15normal_iteratorINS6_10device_ptrIKxEEEESL_NS6_8equal_toIxEEEENSG_9not_fun_tINSD_8identityEEEEENSD_19counting_iterator_tIlEES8_S8_S8_S8_S8_S8_S8_S8_EEEEPS9_S9_NSD_9__find_if7functorIS9_EEEE10hipError_tPvRmT1_T2_T3_mT4_P12ihipStream_tbEUlT_E0_NS1_11comp_targetILNS1_3genE5ELNS1_11target_archE942ELNS1_3gpuE9ELNS1_3repE0EEENS1_30default_config_static_selectorELNS0_4arch9wavefront6targetE1EEEvS14_,comdat
	.protected	_ZN7rocprim17ROCPRIM_400000_NS6detail17trampoline_kernelINS0_14default_configENS1_22reduce_config_selectorIN6thrust23THRUST_200600_302600_NS5tupleIblNS6_9null_typeES8_S8_S8_S8_S8_S8_S8_EEEEZNS1_11reduce_implILb1ES3_NS6_12zip_iteratorINS7_INS6_11hip_rocprim26transform_input_iterator_tIbNSD_35transform_pair_of_input_iterators_tIbNS6_6detail15normal_iteratorINS6_10device_ptrIKxEEEESL_NS6_8equal_toIxEEEENSG_9not_fun_tINSD_8identityEEEEENSD_19counting_iterator_tIlEES8_S8_S8_S8_S8_S8_S8_S8_EEEEPS9_S9_NSD_9__find_if7functorIS9_EEEE10hipError_tPvRmT1_T2_T3_mT4_P12ihipStream_tbEUlT_E0_NS1_11comp_targetILNS1_3genE5ELNS1_11target_archE942ELNS1_3gpuE9ELNS1_3repE0EEENS1_30default_config_static_selectorELNS0_4arch9wavefront6targetE1EEEvS14_ ; -- Begin function _ZN7rocprim17ROCPRIM_400000_NS6detail17trampoline_kernelINS0_14default_configENS1_22reduce_config_selectorIN6thrust23THRUST_200600_302600_NS5tupleIblNS6_9null_typeES8_S8_S8_S8_S8_S8_S8_EEEEZNS1_11reduce_implILb1ES3_NS6_12zip_iteratorINS7_INS6_11hip_rocprim26transform_input_iterator_tIbNSD_35transform_pair_of_input_iterators_tIbNS6_6detail15normal_iteratorINS6_10device_ptrIKxEEEESL_NS6_8equal_toIxEEEENSG_9not_fun_tINSD_8identityEEEEENSD_19counting_iterator_tIlEES8_S8_S8_S8_S8_S8_S8_S8_EEEEPS9_S9_NSD_9__find_if7functorIS9_EEEE10hipError_tPvRmT1_T2_T3_mT4_P12ihipStream_tbEUlT_E0_NS1_11comp_targetILNS1_3genE5ELNS1_11target_archE942ELNS1_3gpuE9ELNS1_3repE0EEENS1_30default_config_static_selectorELNS0_4arch9wavefront6targetE1EEEvS14_
	.globl	_ZN7rocprim17ROCPRIM_400000_NS6detail17trampoline_kernelINS0_14default_configENS1_22reduce_config_selectorIN6thrust23THRUST_200600_302600_NS5tupleIblNS6_9null_typeES8_S8_S8_S8_S8_S8_S8_EEEEZNS1_11reduce_implILb1ES3_NS6_12zip_iteratorINS7_INS6_11hip_rocprim26transform_input_iterator_tIbNSD_35transform_pair_of_input_iterators_tIbNS6_6detail15normal_iteratorINS6_10device_ptrIKxEEEESL_NS6_8equal_toIxEEEENSG_9not_fun_tINSD_8identityEEEEENSD_19counting_iterator_tIlEES8_S8_S8_S8_S8_S8_S8_S8_EEEEPS9_S9_NSD_9__find_if7functorIS9_EEEE10hipError_tPvRmT1_T2_T3_mT4_P12ihipStream_tbEUlT_E0_NS1_11comp_targetILNS1_3genE5ELNS1_11target_archE942ELNS1_3gpuE9ELNS1_3repE0EEENS1_30default_config_static_selectorELNS0_4arch9wavefront6targetE1EEEvS14_
	.p2align	8
	.type	_ZN7rocprim17ROCPRIM_400000_NS6detail17trampoline_kernelINS0_14default_configENS1_22reduce_config_selectorIN6thrust23THRUST_200600_302600_NS5tupleIblNS6_9null_typeES8_S8_S8_S8_S8_S8_S8_EEEEZNS1_11reduce_implILb1ES3_NS6_12zip_iteratorINS7_INS6_11hip_rocprim26transform_input_iterator_tIbNSD_35transform_pair_of_input_iterators_tIbNS6_6detail15normal_iteratorINS6_10device_ptrIKxEEEESL_NS6_8equal_toIxEEEENSG_9not_fun_tINSD_8identityEEEEENSD_19counting_iterator_tIlEES8_S8_S8_S8_S8_S8_S8_S8_EEEEPS9_S9_NSD_9__find_if7functorIS9_EEEE10hipError_tPvRmT1_T2_T3_mT4_P12ihipStream_tbEUlT_E0_NS1_11comp_targetILNS1_3genE5ELNS1_11target_archE942ELNS1_3gpuE9ELNS1_3repE0EEENS1_30default_config_static_selectorELNS0_4arch9wavefront6targetE1EEEvS14_,@function
_ZN7rocprim17ROCPRIM_400000_NS6detail17trampoline_kernelINS0_14default_configENS1_22reduce_config_selectorIN6thrust23THRUST_200600_302600_NS5tupleIblNS6_9null_typeES8_S8_S8_S8_S8_S8_S8_EEEEZNS1_11reduce_implILb1ES3_NS6_12zip_iteratorINS7_INS6_11hip_rocprim26transform_input_iterator_tIbNSD_35transform_pair_of_input_iterators_tIbNS6_6detail15normal_iteratorINS6_10device_ptrIKxEEEESL_NS6_8equal_toIxEEEENSG_9not_fun_tINSD_8identityEEEEENSD_19counting_iterator_tIlEES8_S8_S8_S8_S8_S8_S8_S8_EEEEPS9_S9_NSD_9__find_if7functorIS9_EEEE10hipError_tPvRmT1_T2_T3_mT4_P12ihipStream_tbEUlT_E0_NS1_11comp_targetILNS1_3genE5ELNS1_11target_archE942ELNS1_3gpuE9ELNS1_3repE0EEENS1_30default_config_static_selectorELNS0_4arch9wavefront6targetE1EEEvS14_: ; @_ZN7rocprim17ROCPRIM_400000_NS6detail17trampoline_kernelINS0_14default_configENS1_22reduce_config_selectorIN6thrust23THRUST_200600_302600_NS5tupleIblNS6_9null_typeES8_S8_S8_S8_S8_S8_S8_EEEEZNS1_11reduce_implILb1ES3_NS6_12zip_iteratorINS7_INS6_11hip_rocprim26transform_input_iterator_tIbNSD_35transform_pair_of_input_iterators_tIbNS6_6detail15normal_iteratorINS6_10device_ptrIKxEEEESL_NS6_8equal_toIxEEEENSG_9not_fun_tINSD_8identityEEEEENSD_19counting_iterator_tIlEES8_S8_S8_S8_S8_S8_S8_S8_EEEEPS9_S9_NSD_9__find_if7functorIS9_EEEE10hipError_tPvRmT1_T2_T3_mT4_P12ihipStream_tbEUlT_E0_NS1_11comp_targetILNS1_3genE5ELNS1_11target_archE942ELNS1_3gpuE9ELNS1_3repE0EEENS1_30default_config_static_selectorELNS0_4arch9wavefront6targetE1EEEvS14_
; %bb.0:
	.section	.rodata,"a",@progbits
	.p2align	6, 0x0
	.amdhsa_kernel _ZN7rocprim17ROCPRIM_400000_NS6detail17trampoline_kernelINS0_14default_configENS1_22reduce_config_selectorIN6thrust23THRUST_200600_302600_NS5tupleIblNS6_9null_typeES8_S8_S8_S8_S8_S8_S8_EEEEZNS1_11reduce_implILb1ES3_NS6_12zip_iteratorINS7_INS6_11hip_rocprim26transform_input_iterator_tIbNSD_35transform_pair_of_input_iterators_tIbNS6_6detail15normal_iteratorINS6_10device_ptrIKxEEEESL_NS6_8equal_toIxEEEENSG_9not_fun_tINSD_8identityEEEEENSD_19counting_iterator_tIlEES8_S8_S8_S8_S8_S8_S8_S8_EEEEPS9_S9_NSD_9__find_if7functorIS9_EEEE10hipError_tPvRmT1_T2_T3_mT4_P12ihipStream_tbEUlT_E0_NS1_11comp_targetILNS1_3genE5ELNS1_11target_archE942ELNS1_3gpuE9ELNS1_3repE0EEENS1_30default_config_static_selectorELNS0_4arch9wavefront6targetE1EEEvS14_
		.amdhsa_group_segment_fixed_size 0
		.amdhsa_private_segment_fixed_size 0
		.amdhsa_kernarg_size 104
		.amdhsa_user_sgpr_count 6
		.amdhsa_user_sgpr_private_segment_buffer 1
		.amdhsa_user_sgpr_dispatch_ptr 0
		.amdhsa_user_sgpr_queue_ptr 0
		.amdhsa_user_sgpr_kernarg_segment_ptr 1
		.amdhsa_user_sgpr_dispatch_id 0
		.amdhsa_user_sgpr_flat_scratch_init 0
		.amdhsa_user_sgpr_private_segment_size 0
		.amdhsa_uses_dynamic_stack 0
		.amdhsa_system_sgpr_private_segment_wavefront_offset 0
		.amdhsa_system_sgpr_workgroup_id_x 1
		.amdhsa_system_sgpr_workgroup_id_y 0
		.amdhsa_system_sgpr_workgroup_id_z 0
		.amdhsa_system_sgpr_workgroup_info 0
		.amdhsa_system_vgpr_workitem_id 0
		.amdhsa_next_free_vgpr 1
		.amdhsa_next_free_sgpr 0
		.amdhsa_reserve_vcc 0
		.amdhsa_reserve_flat_scratch 0
		.amdhsa_float_round_mode_32 0
		.amdhsa_float_round_mode_16_64 0
		.amdhsa_float_denorm_mode_32 3
		.amdhsa_float_denorm_mode_16_64 3
		.amdhsa_dx10_clamp 1
		.amdhsa_ieee_mode 1
		.amdhsa_fp16_overflow 0
		.amdhsa_exception_fp_ieee_invalid_op 0
		.amdhsa_exception_fp_denorm_src 0
		.amdhsa_exception_fp_ieee_div_zero 0
		.amdhsa_exception_fp_ieee_overflow 0
		.amdhsa_exception_fp_ieee_underflow 0
		.amdhsa_exception_fp_ieee_inexact 0
		.amdhsa_exception_int_div_zero 0
	.end_amdhsa_kernel
	.section	.text._ZN7rocprim17ROCPRIM_400000_NS6detail17trampoline_kernelINS0_14default_configENS1_22reduce_config_selectorIN6thrust23THRUST_200600_302600_NS5tupleIblNS6_9null_typeES8_S8_S8_S8_S8_S8_S8_EEEEZNS1_11reduce_implILb1ES3_NS6_12zip_iteratorINS7_INS6_11hip_rocprim26transform_input_iterator_tIbNSD_35transform_pair_of_input_iterators_tIbNS6_6detail15normal_iteratorINS6_10device_ptrIKxEEEESL_NS6_8equal_toIxEEEENSG_9not_fun_tINSD_8identityEEEEENSD_19counting_iterator_tIlEES8_S8_S8_S8_S8_S8_S8_S8_EEEEPS9_S9_NSD_9__find_if7functorIS9_EEEE10hipError_tPvRmT1_T2_T3_mT4_P12ihipStream_tbEUlT_E0_NS1_11comp_targetILNS1_3genE5ELNS1_11target_archE942ELNS1_3gpuE9ELNS1_3repE0EEENS1_30default_config_static_selectorELNS0_4arch9wavefront6targetE1EEEvS14_,"axG",@progbits,_ZN7rocprim17ROCPRIM_400000_NS6detail17trampoline_kernelINS0_14default_configENS1_22reduce_config_selectorIN6thrust23THRUST_200600_302600_NS5tupleIblNS6_9null_typeES8_S8_S8_S8_S8_S8_S8_EEEEZNS1_11reduce_implILb1ES3_NS6_12zip_iteratorINS7_INS6_11hip_rocprim26transform_input_iterator_tIbNSD_35transform_pair_of_input_iterators_tIbNS6_6detail15normal_iteratorINS6_10device_ptrIKxEEEESL_NS6_8equal_toIxEEEENSG_9not_fun_tINSD_8identityEEEEENSD_19counting_iterator_tIlEES8_S8_S8_S8_S8_S8_S8_S8_EEEEPS9_S9_NSD_9__find_if7functorIS9_EEEE10hipError_tPvRmT1_T2_T3_mT4_P12ihipStream_tbEUlT_E0_NS1_11comp_targetILNS1_3genE5ELNS1_11target_archE942ELNS1_3gpuE9ELNS1_3repE0EEENS1_30default_config_static_selectorELNS0_4arch9wavefront6targetE1EEEvS14_,comdat
.Lfunc_end520:
	.size	_ZN7rocprim17ROCPRIM_400000_NS6detail17trampoline_kernelINS0_14default_configENS1_22reduce_config_selectorIN6thrust23THRUST_200600_302600_NS5tupleIblNS6_9null_typeES8_S8_S8_S8_S8_S8_S8_EEEEZNS1_11reduce_implILb1ES3_NS6_12zip_iteratorINS7_INS6_11hip_rocprim26transform_input_iterator_tIbNSD_35transform_pair_of_input_iterators_tIbNS6_6detail15normal_iteratorINS6_10device_ptrIKxEEEESL_NS6_8equal_toIxEEEENSG_9not_fun_tINSD_8identityEEEEENSD_19counting_iterator_tIlEES8_S8_S8_S8_S8_S8_S8_S8_EEEEPS9_S9_NSD_9__find_if7functorIS9_EEEE10hipError_tPvRmT1_T2_T3_mT4_P12ihipStream_tbEUlT_E0_NS1_11comp_targetILNS1_3genE5ELNS1_11target_archE942ELNS1_3gpuE9ELNS1_3repE0EEENS1_30default_config_static_selectorELNS0_4arch9wavefront6targetE1EEEvS14_, .Lfunc_end520-_ZN7rocprim17ROCPRIM_400000_NS6detail17trampoline_kernelINS0_14default_configENS1_22reduce_config_selectorIN6thrust23THRUST_200600_302600_NS5tupleIblNS6_9null_typeES8_S8_S8_S8_S8_S8_S8_EEEEZNS1_11reduce_implILb1ES3_NS6_12zip_iteratorINS7_INS6_11hip_rocprim26transform_input_iterator_tIbNSD_35transform_pair_of_input_iterators_tIbNS6_6detail15normal_iteratorINS6_10device_ptrIKxEEEESL_NS6_8equal_toIxEEEENSG_9not_fun_tINSD_8identityEEEEENSD_19counting_iterator_tIlEES8_S8_S8_S8_S8_S8_S8_S8_EEEEPS9_S9_NSD_9__find_if7functorIS9_EEEE10hipError_tPvRmT1_T2_T3_mT4_P12ihipStream_tbEUlT_E0_NS1_11comp_targetILNS1_3genE5ELNS1_11target_archE942ELNS1_3gpuE9ELNS1_3repE0EEENS1_30default_config_static_selectorELNS0_4arch9wavefront6targetE1EEEvS14_
                                        ; -- End function
	.set _ZN7rocprim17ROCPRIM_400000_NS6detail17trampoline_kernelINS0_14default_configENS1_22reduce_config_selectorIN6thrust23THRUST_200600_302600_NS5tupleIblNS6_9null_typeES8_S8_S8_S8_S8_S8_S8_EEEEZNS1_11reduce_implILb1ES3_NS6_12zip_iteratorINS7_INS6_11hip_rocprim26transform_input_iterator_tIbNSD_35transform_pair_of_input_iterators_tIbNS6_6detail15normal_iteratorINS6_10device_ptrIKxEEEESL_NS6_8equal_toIxEEEENSG_9not_fun_tINSD_8identityEEEEENSD_19counting_iterator_tIlEES8_S8_S8_S8_S8_S8_S8_S8_EEEEPS9_S9_NSD_9__find_if7functorIS9_EEEE10hipError_tPvRmT1_T2_T3_mT4_P12ihipStream_tbEUlT_E0_NS1_11comp_targetILNS1_3genE5ELNS1_11target_archE942ELNS1_3gpuE9ELNS1_3repE0EEENS1_30default_config_static_selectorELNS0_4arch9wavefront6targetE1EEEvS14_.num_vgpr, 0
	.set _ZN7rocprim17ROCPRIM_400000_NS6detail17trampoline_kernelINS0_14default_configENS1_22reduce_config_selectorIN6thrust23THRUST_200600_302600_NS5tupleIblNS6_9null_typeES8_S8_S8_S8_S8_S8_S8_EEEEZNS1_11reduce_implILb1ES3_NS6_12zip_iteratorINS7_INS6_11hip_rocprim26transform_input_iterator_tIbNSD_35transform_pair_of_input_iterators_tIbNS6_6detail15normal_iteratorINS6_10device_ptrIKxEEEESL_NS6_8equal_toIxEEEENSG_9not_fun_tINSD_8identityEEEEENSD_19counting_iterator_tIlEES8_S8_S8_S8_S8_S8_S8_S8_EEEEPS9_S9_NSD_9__find_if7functorIS9_EEEE10hipError_tPvRmT1_T2_T3_mT4_P12ihipStream_tbEUlT_E0_NS1_11comp_targetILNS1_3genE5ELNS1_11target_archE942ELNS1_3gpuE9ELNS1_3repE0EEENS1_30default_config_static_selectorELNS0_4arch9wavefront6targetE1EEEvS14_.num_agpr, 0
	.set _ZN7rocprim17ROCPRIM_400000_NS6detail17trampoline_kernelINS0_14default_configENS1_22reduce_config_selectorIN6thrust23THRUST_200600_302600_NS5tupleIblNS6_9null_typeES8_S8_S8_S8_S8_S8_S8_EEEEZNS1_11reduce_implILb1ES3_NS6_12zip_iteratorINS7_INS6_11hip_rocprim26transform_input_iterator_tIbNSD_35transform_pair_of_input_iterators_tIbNS6_6detail15normal_iteratorINS6_10device_ptrIKxEEEESL_NS6_8equal_toIxEEEENSG_9not_fun_tINSD_8identityEEEEENSD_19counting_iterator_tIlEES8_S8_S8_S8_S8_S8_S8_S8_EEEEPS9_S9_NSD_9__find_if7functorIS9_EEEE10hipError_tPvRmT1_T2_T3_mT4_P12ihipStream_tbEUlT_E0_NS1_11comp_targetILNS1_3genE5ELNS1_11target_archE942ELNS1_3gpuE9ELNS1_3repE0EEENS1_30default_config_static_selectorELNS0_4arch9wavefront6targetE1EEEvS14_.numbered_sgpr, 0
	.set _ZN7rocprim17ROCPRIM_400000_NS6detail17trampoline_kernelINS0_14default_configENS1_22reduce_config_selectorIN6thrust23THRUST_200600_302600_NS5tupleIblNS6_9null_typeES8_S8_S8_S8_S8_S8_S8_EEEEZNS1_11reduce_implILb1ES3_NS6_12zip_iteratorINS7_INS6_11hip_rocprim26transform_input_iterator_tIbNSD_35transform_pair_of_input_iterators_tIbNS6_6detail15normal_iteratorINS6_10device_ptrIKxEEEESL_NS6_8equal_toIxEEEENSG_9not_fun_tINSD_8identityEEEEENSD_19counting_iterator_tIlEES8_S8_S8_S8_S8_S8_S8_S8_EEEEPS9_S9_NSD_9__find_if7functorIS9_EEEE10hipError_tPvRmT1_T2_T3_mT4_P12ihipStream_tbEUlT_E0_NS1_11comp_targetILNS1_3genE5ELNS1_11target_archE942ELNS1_3gpuE9ELNS1_3repE0EEENS1_30default_config_static_selectorELNS0_4arch9wavefront6targetE1EEEvS14_.num_named_barrier, 0
	.set _ZN7rocprim17ROCPRIM_400000_NS6detail17trampoline_kernelINS0_14default_configENS1_22reduce_config_selectorIN6thrust23THRUST_200600_302600_NS5tupleIblNS6_9null_typeES8_S8_S8_S8_S8_S8_S8_EEEEZNS1_11reduce_implILb1ES3_NS6_12zip_iteratorINS7_INS6_11hip_rocprim26transform_input_iterator_tIbNSD_35transform_pair_of_input_iterators_tIbNS6_6detail15normal_iteratorINS6_10device_ptrIKxEEEESL_NS6_8equal_toIxEEEENSG_9not_fun_tINSD_8identityEEEEENSD_19counting_iterator_tIlEES8_S8_S8_S8_S8_S8_S8_S8_EEEEPS9_S9_NSD_9__find_if7functorIS9_EEEE10hipError_tPvRmT1_T2_T3_mT4_P12ihipStream_tbEUlT_E0_NS1_11comp_targetILNS1_3genE5ELNS1_11target_archE942ELNS1_3gpuE9ELNS1_3repE0EEENS1_30default_config_static_selectorELNS0_4arch9wavefront6targetE1EEEvS14_.private_seg_size, 0
	.set _ZN7rocprim17ROCPRIM_400000_NS6detail17trampoline_kernelINS0_14default_configENS1_22reduce_config_selectorIN6thrust23THRUST_200600_302600_NS5tupleIblNS6_9null_typeES8_S8_S8_S8_S8_S8_S8_EEEEZNS1_11reduce_implILb1ES3_NS6_12zip_iteratorINS7_INS6_11hip_rocprim26transform_input_iterator_tIbNSD_35transform_pair_of_input_iterators_tIbNS6_6detail15normal_iteratorINS6_10device_ptrIKxEEEESL_NS6_8equal_toIxEEEENSG_9not_fun_tINSD_8identityEEEEENSD_19counting_iterator_tIlEES8_S8_S8_S8_S8_S8_S8_S8_EEEEPS9_S9_NSD_9__find_if7functorIS9_EEEE10hipError_tPvRmT1_T2_T3_mT4_P12ihipStream_tbEUlT_E0_NS1_11comp_targetILNS1_3genE5ELNS1_11target_archE942ELNS1_3gpuE9ELNS1_3repE0EEENS1_30default_config_static_selectorELNS0_4arch9wavefront6targetE1EEEvS14_.uses_vcc, 0
	.set _ZN7rocprim17ROCPRIM_400000_NS6detail17trampoline_kernelINS0_14default_configENS1_22reduce_config_selectorIN6thrust23THRUST_200600_302600_NS5tupleIblNS6_9null_typeES8_S8_S8_S8_S8_S8_S8_EEEEZNS1_11reduce_implILb1ES3_NS6_12zip_iteratorINS7_INS6_11hip_rocprim26transform_input_iterator_tIbNSD_35transform_pair_of_input_iterators_tIbNS6_6detail15normal_iteratorINS6_10device_ptrIKxEEEESL_NS6_8equal_toIxEEEENSG_9not_fun_tINSD_8identityEEEEENSD_19counting_iterator_tIlEES8_S8_S8_S8_S8_S8_S8_S8_EEEEPS9_S9_NSD_9__find_if7functorIS9_EEEE10hipError_tPvRmT1_T2_T3_mT4_P12ihipStream_tbEUlT_E0_NS1_11comp_targetILNS1_3genE5ELNS1_11target_archE942ELNS1_3gpuE9ELNS1_3repE0EEENS1_30default_config_static_selectorELNS0_4arch9wavefront6targetE1EEEvS14_.uses_flat_scratch, 0
	.set _ZN7rocprim17ROCPRIM_400000_NS6detail17trampoline_kernelINS0_14default_configENS1_22reduce_config_selectorIN6thrust23THRUST_200600_302600_NS5tupleIblNS6_9null_typeES8_S8_S8_S8_S8_S8_S8_EEEEZNS1_11reduce_implILb1ES3_NS6_12zip_iteratorINS7_INS6_11hip_rocprim26transform_input_iterator_tIbNSD_35transform_pair_of_input_iterators_tIbNS6_6detail15normal_iteratorINS6_10device_ptrIKxEEEESL_NS6_8equal_toIxEEEENSG_9not_fun_tINSD_8identityEEEEENSD_19counting_iterator_tIlEES8_S8_S8_S8_S8_S8_S8_S8_EEEEPS9_S9_NSD_9__find_if7functorIS9_EEEE10hipError_tPvRmT1_T2_T3_mT4_P12ihipStream_tbEUlT_E0_NS1_11comp_targetILNS1_3genE5ELNS1_11target_archE942ELNS1_3gpuE9ELNS1_3repE0EEENS1_30default_config_static_selectorELNS0_4arch9wavefront6targetE1EEEvS14_.has_dyn_sized_stack, 0
	.set _ZN7rocprim17ROCPRIM_400000_NS6detail17trampoline_kernelINS0_14default_configENS1_22reduce_config_selectorIN6thrust23THRUST_200600_302600_NS5tupleIblNS6_9null_typeES8_S8_S8_S8_S8_S8_S8_EEEEZNS1_11reduce_implILb1ES3_NS6_12zip_iteratorINS7_INS6_11hip_rocprim26transform_input_iterator_tIbNSD_35transform_pair_of_input_iterators_tIbNS6_6detail15normal_iteratorINS6_10device_ptrIKxEEEESL_NS6_8equal_toIxEEEENSG_9not_fun_tINSD_8identityEEEEENSD_19counting_iterator_tIlEES8_S8_S8_S8_S8_S8_S8_S8_EEEEPS9_S9_NSD_9__find_if7functorIS9_EEEE10hipError_tPvRmT1_T2_T3_mT4_P12ihipStream_tbEUlT_E0_NS1_11comp_targetILNS1_3genE5ELNS1_11target_archE942ELNS1_3gpuE9ELNS1_3repE0EEENS1_30default_config_static_selectorELNS0_4arch9wavefront6targetE1EEEvS14_.has_recursion, 0
	.set _ZN7rocprim17ROCPRIM_400000_NS6detail17trampoline_kernelINS0_14default_configENS1_22reduce_config_selectorIN6thrust23THRUST_200600_302600_NS5tupleIblNS6_9null_typeES8_S8_S8_S8_S8_S8_S8_EEEEZNS1_11reduce_implILb1ES3_NS6_12zip_iteratorINS7_INS6_11hip_rocprim26transform_input_iterator_tIbNSD_35transform_pair_of_input_iterators_tIbNS6_6detail15normal_iteratorINS6_10device_ptrIKxEEEESL_NS6_8equal_toIxEEEENSG_9not_fun_tINSD_8identityEEEEENSD_19counting_iterator_tIlEES8_S8_S8_S8_S8_S8_S8_S8_EEEEPS9_S9_NSD_9__find_if7functorIS9_EEEE10hipError_tPvRmT1_T2_T3_mT4_P12ihipStream_tbEUlT_E0_NS1_11comp_targetILNS1_3genE5ELNS1_11target_archE942ELNS1_3gpuE9ELNS1_3repE0EEENS1_30default_config_static_selectorELNS0_4arch9wavefront6targetE1EEEvS14_.has_indirect_call, 0
	.section	.AMDGPU.csdata,"",@progbits
; Kernel info:
; codeLenInByte = 0
; TotalNumSgprs: 4
; NumVgprs: 0
; ScratchSize: 0
; MemoryBound: 0
; FloatMode: 240
; IeeeMode: 1
; LDSByteSize: 0 bytes/workgroup (compile time only)
; SGPRBlocks: 0
; VGPRBlocks: 0
; NumSGPRsForWavesPerEU: 4
; NumVGPRsForWavesPerEU: 1
; Occupancy: 10
; WaveLimiterHint : 0
; COMPUTE_PGM_RSRC2:SCRATCH_EN: 0
; COMPUTE_PGM_RSRC2:USER_SGPR: 6
; COMPUTE_PGM_RSRC2:TRAP_HANDLER: 0
; COMPUTE_PGM_RSRC2:TGID_X_EN: 1
; COMPUTE_PGM_RSRC2:TGID_Y_EN: 0
; COMPUTE_PGM_RSRC2:TGID_Z_EN: 0
; COMPUTE_PGM_RSRC2:TIDIG_COMP_CNT: 0
	.section	.text._ZN7rocprim17ROCPRIM_400000_NS6detail17trampoline_kernelINS0_14default_configENS1_22reduce_config_selectorIN6thrust23THRUST_200600_302600_NS5tupleIblNS6_9null_typeES8_S8_S8_S8_S8_S8_S8_EEEEZNS1_11reduce_implILb1ES3_NS6_12zip_iteratorINS7_INS6_11hip_rocprim26transform_input_iterator_tIbNSD_35transform_pair_of_input_iterators_tIbNS6_6detail15normal_iteratorINS6_10device_ptrIKxEEEESL_NS6_8equal_toIxEEEENSG_9not_fun_tINSD_8identityEEEEENSD_19counting_iterator_tIlEES8_S8_S8_S8_S8_S8_S8_S8_EEEEPS9_S9_NSD_9__find_if7functorIS9_EEEE10hipError_tPvRmT1_T2_T3_mT4_P12ihipStream_tbEUlT_E0_NS1_11comp_targetILNS1_3genE4ELNS1_11target_archE910ELNS1_3gpuE8ELNS1_3repE0EEENS1_30default_config_static_selectorELNS0_4arch9wavefront6targetE1EEEvS14_,"axG",@progbits,_ZN7rocprim17ROCPRIM_400000_NS6detail17trampoline_kernelINS0_14default_configENS1_22reduce_config_selectorIN6thrust23THRUST_200600_302600_NS5tupleIblNS6_9null_typeES8_S8_S8_S8_S8_S8_S8_EEEEZNS1_11reduce_implILb1ES3_NS6_12zip_iteratorINS7_INS6_11hip_rocprim26transform_input_iterator_tIbNSD_35transform_pair_of_input_iterators_tIbNS6_6detail15normal_iteratorINS6_10device_ptrIKxEEEESL_NS6_8equal_toIxEEEENSG_9not_fun_tINSD_8identityEEEEENSD_19counting_iterator_tIlEES8_S8_S8_S8_S8_S8_S8_S8_EEEEPS9_S9_NSD_9__find_if7functorIS9_EEEE10hipError_tPvRmT1_T2_T3_mT4_P12ihipStream_tbEUlT_E0_NS1_11comp_targetILNS1_3genE4ELNS1_11target_archE910ELNS1_3gpuE8ELNS1_3repE0EEENS1_30default_config_static_selectorELNS0_4arch9wavefront6targetE1EEEvS14_,comdat
	.protected	_ZN7rocprim17ROCPRIM_400000_NS6detail17trampoline_kernelINS0_14default_configENS1_22reduce_config_selectorIN6thrust23THRUST_200600_302600_NS5tupleIblNS6_9null_typeES8_S8_S8_S8_S8_S8_S8_EEEEZNS1_11reduce_implILb1ES3_NS6_12zip_iteratorINS7_INS6_11hip_rocprim26transform_input_iterator_tIbNSD_35transform_pair_of_input_iterators_tIbNS6_6detail15normal_iteratorINS6_10device_ptrIKxEEEESL_NS6_8equal_toIxEEEENSG_9not_fun_tINSD_8identityEEEEENSD_19counting_iterator_tIlEES8_S8_S8_S8_S8_S8_S8_S8_EEEEPS9_S9_NSD_9__find_if7functorIS9_EEEE10hipError_tPvRmT1_T2_T3_mT4_P12ihipStream_tbEUlT_E0_NS1_11comp_targetILNS1_3genE4ELNS1_11target_archE910ELNS1_3gpuE8ELNS1_3repE0EEENS1_30default_config_static_selectorELNS0_4arch9wavefront6targetE1EEEvS14_ ; -- Begin function _ZN7rocprim17ROCPRIM_400000_NS6detail17trampoline_kernelINS0_14default_configENS1_22reduce_config_selectorIN6thrust23THRUST_200600_302600_NS5tupleIblNS6_9null_typeES8_S8_S8_S8_S8_S8_S8_EEEEZNS1_11reduce_implILb1ES3_NS6_12zip_iteratorINS7_INS6_11hip_rocprim26transform_input_iterator_tIbNSD_35transform_pair_of_input_iterators_tIbNS6_6detail15normal_iteratorINS6_10device_ptrIKxEEEESL_NS6_8equal_toIxEEEENSG_9not_fun_tINSD_8identityEEEEENSD_19counting_iterator_tIlEES8_S8_S8_S8_S8_S8_S8_S8_EEEEPS9_S9_NSD_9__find_if7functorIS9_EEEE10hipError_tPvRmT1_T2_T3_mT4_P12ihipStream_tbEUlT_E0_NS1_11comp_targetILNS1_3genE4ELNS1_11target_archE910ELNS1_3gpuE8ELNS1_3repE0EEENS1_30default_config_static_selectorELNS0_4arch9wavefront6targetE1EEEvS14_
	.globl	_ZN7rocprim17ROCPRIM_400000_NS6detail17trampoline_kernelINS0_14default_configENS1_22reduce_config_selectorIN6thrust23THRUST_200600_302600_NS5tupleIblNS6_9null_typeES8_S8_S8_S8_S8_S8_S8_EEEEZNS1_11reduce_implILb1ES3_NS6_12zip_iteratorINS7_INS6_11hip_rocprim26transform_input_iterator_tIbNSD_35transform_pair_of_input_iterators_tIbNS6_6detail15normal_iteratorINS6_10device_ptrIKxEEEESL_NS6_8equal_toIxEEEENSG_9not_fun_tINSD_8identityEEEEENSD_19counting_iterator_tIlEES8_S8_S8_S8_S8_S8_S8_S8_EEEEPS9_S9_NSD_9__find_if7functorIS9_EEEE10hipError_tPvRmT1_T2_T3_mT4_P12ihipStream_tbEUlT_E0_NS1_11comp_targetILNS1_3genE4ELNS1_11target_archE910ELNS1_3gpuE8ELNS1_3repE0EEENS1_30default_config_static_selectorELNS0_4arch9wavefront6targetE1EEEvS14_
	.p2align	8
	.type	_ZN7rocprim17ROCPRIM_400000_NS6detail17trampoline_kernelINS0_14default_configENS1_22reduce_config_selectorIN6thrust23THRUST_200600_302600_NS5tupleIblNS6_9null_typeES8_S8_S8_S8_S8_S8_S8_EEEEZNS1_11reduce_implILb1ES3_NS6_12zip_iteratorINS7_INS6_11hip_rocprim26transform_input_iterator_tIbNSD_35transform_pair_of_input_iterators_tIbNS6_6detail15normal_iteratorINS6_10device_ptrIKxEEEESL_NS6_8equal_toIxEEEENSG_9not_fun_tINSD_8identityEEEEENSD_19counting_iterator_tIlEES8_S8_S8_S8_S8_S8_S8_S8_EEEEPS9_S9_NSD_9__find_if7functorIS9_EEEE10hipError_tPvRmT1_T2_T3_mT4_P12ihipStream_tbEUlT_E0_NS1_11comp_targetILNS1_3genE4ELNS1_11target_archE910ELNS1_3gpuE8ELNS1_3repE0EEENS1_30default_config_static_selectorELNS0_4arch9wavefront6targetE1EEEvS14_,@function
_ZN7rocprim17ROCPRIM_400000_NS6detail17trampoline_kernelINS0_14default_configENS1_22reduce_config_selectorIN6thrust23THRUST_200600_302600_NS5tupleIblNS6_9null_typeES8_S8_S8_S8_S8_S8_S8_EEEEZNS1_11reduce_implILb1ES3_NS6_12zip_iteratorINS7_INS6_11hip_rocprim26transform_input_iterator_tIbNSD_35transform_pair_of_input_iterators_tIbNS6_6detail15normal_iteratorINS6_10device_ptrIKxEEEESL_NS6_8equal_toIxEEEENSG_9not_fun_tINSD_8identityEEEEENSD_19counting_iterator_tIlEES8_S8_S8_S8_S8_S8_S8_S8_EEEEPS9_S9_NSD_9__find_if7functorIS9_EEEE10hipError_tPvRmT1_T2_T3_mT4_P12ihipStream_tbEUlT_E0_NS1_11comp_targetILNS1_3genE4ELNS1_11target_archE910ELNS1_3gpuE8ELNS1_3repE0EEENS1_30default_config_static_selectorELNS0_4arch9wavefront6targetE1EEEvS14_: ; @_ZN7rocprim17ROCPRIM_400000_NS6detail17trampoline_kernelINS0_14default_configENS1_22reduce_config_selectorIN6thrust23THRUST_200600_302600_NS5tupleIblNS6_9null_typeES8_S8_S8_S8_S8_S8_S8_EEEEZNS1_11reduce_implILb1ES3_NS6_12zip_iteratorINS7_INS6_11hip_rocprim26transform_input_iterator_tIbNSD_35transform_pair_of_input_iterators_tIbNS6_6detail15normal_iteratorINS6_10device_ptrIKxEEEESL_NS6_8equal_toIxEEEENSG_9not_fun_tINSD_8identityEEEEENSD_19counting_iterator_tIlEES8_S8_S8_S8_S8_S8_S8_S8_EEEEPS9_S9_NSD_9__find_if7functorIS9_EEEE10hipError_tPvRmT1_T2_T3_mT4_P12ihipStream_tbEUlT_E0_NS1_11comp_targetILNS1_3genE4ELNS1_11target_archE910ELNS1_3gpuE8ELNS1_3repE0EEENS1_30default_config_static_selectorELNS0_4arch9wavefront6targetE1EEEvS14_
; %bb.0:
	.section	.rodata,"a",@progbits
	.p2align	6, 0x0
	.amdhsa_kernel _ZN7rocprim17ROCPRIM_400000_NS6detail17trampoline_kernelINS0_14default_configENS1_22reduce_config_selectorIN6thrust23THRUST_200600_302600_NS5tupleIblNS6_9null_typeES8_S8_S8_S8_S8_S8_S8_EEEEZNS1_11reduce_implILb1ES3_NS6_12zip_iteratorINS7_INS6_11hip_rocprim26transform_input_iterator_tIbNSD_35transform_pair_of_input_iterators_tIbNS6_6detail15normal_iteratorINS6_10device_ptrIKxEEEESL_NS6_8equal_toIxEEEENSG_9not_fun_tINSD_8identityEEEEENSD_19counting_iterator_tIlEES8_S8_S8_S8_S8_S8_S8_S8_EEEEPS9_S9_NSD_9__find_if7functorIS9_EEEE10hipError_tPvRmT1_T2_T3_mT4_P12ihipStream_tbEUlT_E0_NS1_11comp_targetILNS1_3genE4ELNS1_11target_archE910ELNS1_3gpuE8ELNS1_3repE0EEENS1_30default_config_static_selectorELNS0_4arch9wavefront6targetE1EEEvS14_
		.amdhsa_group_segment_fixed_size 0
		.amdhsa_private_segment_fixed_size 0
		.amdhsa_kernarg_size 104
		.amdhsa_user_sgpr_count 6
		.amdhsa_user_sgpr_private_segment_buffer 1
		.amdhsa_user_sgpr_dispatch_ptr 0
		.amdhsa_user_sgpr_queue_ptr 0
		.amdhsa_user_sgpr_kernarg_segment_ptr 1
		.amdhsa_user_sgpr_dispatch_id 0
		.amdhsa_user_sgpr_flat_scratch_init 0
		.amdhsa_user_sgpr_private_segment_size 0
		.amdhsa_uses_dynamic_stack 0
		.amdhsa_system_sgpr_private_segment_wavefront_offset 0
		.amdhsa_system_sgpr_workgroup_id_x 1
		.amdhsa_system_sgpr_workgroup_id_y 0
		.amdhsa_system_sgpr_workgroup_id_z 0
		.amdhsa_system_sgpr_workgroup_info 0
		.amdhsa_system_vgpr_workitem_id 0
		.amdhsa_next_free_vgpr 1
		.amdhsa_next_free_sgpr 0
		.amdhsa_reserve_vcc 0
		.amdhsa_reserve_flat_scratch 0
		.amdhsa_float_round_mode_32 0
		.amdhsa_float_round_mode_16_64 0
		.amdhsa_float_denorm_mode_32 3
		.amdhsa_float_denorm_mode_16_64 3
		.amdhsa_dx10_clamp 1
		.amdhsa_ieee_mode 1
		.amdhsa_fp16_overflow 0
		.amdhsa_exception_fp_ieee_invalid_op 0
		.amdhsa_exception_fp_denorm_src 0
		.amdhsa_exception_fp_ieee_div_zero 0
		.amdhsa_exception_fp_ieee_overflow 0
		.amdhsa_exception_fp_ieee_underflow 0
		.amdhsa_exception_fp_ieee_inexact 0
		.amdhsa_exception_int_div_zero 0
	.end_amdhsa_kernel
	.section	.text._ZN7rocprim17ROCPRIM_400000_NS6detail17trampoline_kernelINS0_14default_configENS1_22reduce_config_selectorIN6thrust23THRUST_200600_302600_NS5tupleIblNS6_9null_typeES8_S8_S8_S8_S8_S8_S8_EEEEZNS1_11reduce_implILb1ES3_NS6_12zip_iteratorINS7_INS6_11hip_rocprim26transform_input_iterator_tIbNSD_35transform_pair_of_input_iterators_tIbNS6_6detail15normal_iteratorINS6_10device_ptrIKxEEEESL_NS6_8equal_toIxEEEENSG_9not_fun_tINSD_8identityEEEEENSD_19counting_iterator_tIlEES8_S8_S8_S8_S8_S8_S8_S8_EEEEPS9_S9_NSD_9__find_if7functorIS9_EEEE10hipError_tPvRmT1_T2_T3_mT4_P12ihipStream_tbEUlT_E0_NS1_11comp_targetILNS1_3genE4ELNS1_11target_archE910ELNS1_3gpuE8ELNS1_3repE0EEENS1_30default_config_static_selectorELNS0_4arch9wavefront6targetE1EEEvS14_,"axG",@progbits,_ZN7rocprim17ROCPRIM_400000_NS6detail17trampoline_kernelINS0_14default_configENS1_22reduce_config_selectorIN6thrust23THRUST_200600_302600_NS5tupleIblNS6_9null_typeES8_S8_S8_S8_S8_S8_S8_EEEEZNS1_11reduce_implILb1ES3_NS6_12zip_iteratorINS7_INS6_11hip_rocprim26transform_input_iterator_tIbNSD_35transform_pair_of_input_iterators_tIbNS6_6detail15normal_iteratorINS6_10device_ptrIKxEEEESL_NS6_8equal_toIxEEEENSG_9not_fun_tINSD_8identityEEEEENSD_19counting_iterator_tIlEES8_S8_S8_S8_S8_S8_S8_S8_EEEEPS9_S9_NSD_9__find_if7functorIS9_EEEE10hipError_tPvRmT1_T2_T3_mT4_P12ihipStream_tbEUlT_E0_NS1_11comp_targetILNS1_3genE4ELNS1_11target_archE910ELNS1_3gpuE8ELNS1_3repE0EEENS1_30default_config_static_selectorELNS0_4arch9wavefront6targetE1EEEvS14_,comdat
.Lfunc_end521:
	.size	_ZN7rocprim17ROCPRIM_400000_NS6detail17trampoline_kernelINS0_14default_configENS1_22reduce_config_selectorIN6thrust23THRUST_200600_302600_NS5tupleIblNS6_9null_typeES8_S8_S8_S8_S8_S8_S8_EEEEZNS1_11reduce_implILb1ES3_NS6_12zip_iteratorINS7_INS6_11hip_rocprim26transform_input_iterator_tIbNSD_35transform_pair_of_input_iterators_tIbNS6_6detail15normal_iteratorINS6_10device_ptrIKxEEEESL_NS6_8equal_toIxEEEENSG_9not_fun_tINSD_8identityEEEEENSD_19counting_iterator_tIlEES8_S8_S8_S8_S8_S8_S8_S8_EEEEPS9_S9_NSD_9__find_if7functorIS9_EEEE10hipError_tPvRmT1_T2_T3_mT4_P12ihipStream_tbEUlT_E0_NS1_11comp_targetILNS1_3genE4ELNS1_11target_archE910ELNS1_3gpuE8ELNS1_3repE0EEENS1_30default_config_static_selectorELNS0_4arch9wavefront6targetE1EEEvS14_, .Lfunc_end521-_ZN7rocprim17ROCPRIM_400000_NS6detail17trampoline_kernelINS0_14default_configENS1_22reduce_config_selectorIN6thrust23THRUST_200600_302600_NS5tupleIblNS6_9null_typeES8_S8_S8_S8_S8_S8_S8_EEEEZNS1_11reduce_implILb1ES3_NS6_12zip_iteratorINS7_INS6_11hip_rocprim26transform_input_iterator_tIbNSD_35transform_pair_of_input_iterators_tIbNS6_6detail15normal_iteratorINS6_10device_ptrIKxEEEESL_NS6_8equal_toIxEEEENSG_9not_fun_tINSD_8identityEEEEENSD_19counting_iterator_tIlEES8_S8_S8_S8_S8_S8_S8_S8_EEEEPS9_S9_NSD_9__find_if7functorIS9_EEEE10hipError_tPvRmT1_T2_T3_mT4_P12ihipStream_tbEUlT_E0_NS1_11comp_targetILNS1_3genE4ELNS1_11target_archE910ELNS1_3gpuE8ELNS1_3repE0EEENS1_30default_config_static_selectorELNS0_4arch9wavefront6targetE1EEEvS14_
                                        ; -- End function
	.set _ZN7rocprim17ROCPRIM_400000_NS6detail17trampoline_kernelINS0_14default_configENS1_22reduce_config_selectorIN6thrust23THRUST_200600_302600_NS5tupleIblNS6_9null_typeES8_S8_S8_S8_S8_S8_S8_EEEEZNS1_11reduce_implILb1ES3_NS6_12zip_iteratorINS7_INS6_11hip_rocprim26transform_input_iterator_tIbNSD_35transform_pair_of_input_iterators_tIbNS6_6detail15normal_iteratorINS6_10device_ptrIKxEEEESL_NS6_8equal_toIxEEEENSG_9not_fun_tINSD_8identityEEEEENSD_19counting_iterator_tIlEES8_S8_S8_S8_S8_S8_S8_S8_EEEEPS9_S9_NSD_9__find_if7functorIS9_EEEE10hipError_tPvRmT1_T2_T3_mT4_P12ihipStream_tbEUlT_E0_NS1_11comp_targetILNS1_3genE4ELNS1_11target_archE910ELNS1_3gpuE8ELNS1_3repE0EEENS1_30default_config_static_selectorELNS0_4arch9wavefront6targetE1EEEvS14_.num_vgpr, 0
	.set _ZN7rocprim17ROCPRIM_400000_NS6detail17trampoline_kernelINS0_14default_configENS1_22reduce_config_selectorIN6thrust23THRUST_200600_302600_NS5tupleIblNS6_9null_typeES8_S8_S8_S8_S8_S8_S8_EEEEZNS1_11reduce_implILb1ES3_NS6_12zip_iteratorINS7_INS6_11hip_rocprim26transform_input_iterator_tIbNSD_35transform_pair_of_input_iterators_tIbNS6_6detail15normal_iteratorINS6_10device_ptrIKxEEEESL_NS6_8equal_toIxEEEENSG_9not_fun_tINSD_8identityEEEEENSD_19counting_iterator_tIlEES8_S8_S8_S8_S8_S8_S8_S8_EEEEPS9_S9_NSD_9__find_if7functorIS9_EEEE10hipError_tPvRmT1_T2_T3_mT4_P12ihipStream_tbEUlT_E0_NS1_11comp_targetILNS1_3genE4ELNS1_11target_archE910ELNS1_3gpuE8ELNS1_3repE0EEENS1_30default_config_static_selectorELNS0_4arch9wavefront6targetE1EEEvS14_.num_agpr, 0
	.set _ZN7rocprim17ROCPRIM_400000_NS6detail17trampoline_kernelINS0_14default_configENS1_22reduce_config_selectorIN6thrust23THRUST_200600_302600_NS5tupleIblNS6_9null_typeES8_S8_S8_S8_S8_S8_S8_EEEEZNS1_11reduce_implILb1ES3_NS6_12zip_iteratorINS7_INS6_11hip_rocprim26transform_input_iterator_tIbNSD_35transform_pair_of_input_iterators_tIbNS6_6detail15normal_iteratorINS6_10device_ptrIKxEEEESL_NS6_8equal_toIxEEEENSG_9not_fun_tINSD_8identityEEEEENSD_19counting_iterator_tIlEES8_S8_S8_S8_S8_S8_S8_S8_EEEEPS9_S9_NSD_9__find_if7functorIS9_EEEE10hipError_tPvRmT1_T2_T3_mT4_P12ihipStream_tbEUlT_E0_NS1_11comp_targetILNS1_3genE4ELNS1_11target_archE910ELNS1_3gpuE8ELNS1_3repE0EEENS1_30default_config_static_selectorELNS0_4arch9wavefront6targetE1EEEvS14_.numbered_sgpr, 0
	.set _ZN7rocprim17ROCPRIM_400000_NS6detail17trampoline_kernelINS0_14default_configENS1_22reduce_config_selectorIN6thrust23THRUST_200600_302600_NS5tupleIblNS6_9null_typeES8_S8_S8_S8_S8_S8_S8_EEEEZNS1_11reduce_implILb1ES3_NS6_12zip_iteratorINS7_INS6_11hip_rocprim26transform_input_iterator_tIbNSD_35transform_pair_of_input_iterators_tIbNS6_6detail15normal_iteratorINS6_10device_ptrIKxEEEESL_NS6_8equal_toIxEEEENSG_9not_fun_tINSD_8identityEEEEENSD_19counting_iterator_tIlEES8_S8_S8_S8_S8_S8_S8_S8_EEEEPS9_S9_NSD_9__find_if7functorIS9_EEEE10hipError_tPvRmT1_T2_T3_mT4_P12ihipStream_tbEUlT_E0_NS1_11comp_targetILNS1_3genE4ELNS1_11target_archE910ELNS1_3gpuE8ELNS1_3repE0EEENS1_30default_config_static_selectorELNS0_4arch9wavefront6targetE1EEEvS14_.num_named_barrier, 0
	.set _ZN7rocprim17ROCPRIM_400000_NS6detail17trampoline_kernelINS0_14default_configENS1_22reduce_config_selectorIN6thrust23THRUST_200600_302600_NS5tupleIblNS6_9null_typeES8_S8_S8_S8_S8_S8_S8_EEEEZNS1_11reduce_implILb1ES3_NS6_12zip_iteratorINS7_INS6_11hip_rocprim26transform_input_iterator_tIbNSD_35transform_pair_of_input_iterators_tIbNS6_6detail15normal_iteratorINS6_10device_ptrIKxEEEESL_NS6_8equal_toIxEEEENSG_9not_fun_tINSD_8identityEEEEENSD_19counting_iterator_tIlEES8_S8_S8_S8_S8_S8_S8_S8_EEEEPS9_S9_NSD_9__find_if7functorIS9_EEEE10hipError_tPvRmT1_T2_T3_mT4_P12ihipStream_tbEUlT_E0_NS1_11comp_targetILNS1_3genE4ELNS1_11target_archE910ELNS1_3gpuE8ELNS1_3repE0EEENS1_30default_config_static_selectorELNS0_4arch9wavefront6targetE1EEEvS14_.private_seg_size, 0
	.set _ZN7rocprim17ROCPRIM_400000_NS6detail17trampoline_kernelINS0_14default_configENS1_22reduce_config_selectorIN6thrust23THRUST_200600_302600_NS5tupleIblNS6_9null_typeES8_S8_S8_S8_S8_S8_S8_EEEEZNS1_11reduce_implILb1ES3_NS6_12zip_iteratorINS7_INS6_11hip_rocprim26transform_input_iterator_tIbNSD_35transform_pair_of_input_iterators_tIbNS6_6detail15normal_iteratorINS6_10device_ptrIKxEEEESL_NS6_8equal_toIxEEEENSG_9not_fun_tINSD_8identityEEEEENSD_19counting_iterator_tIlEES8_S8_S8_S8_S8_S8_S8_S8_EEEEPS9_S9_NSD_9__find_if7functorIS9_EEEE10hipError_tPvRmT1_T2_T3_mT4_P12ihipStream_tbEUlT_E0_NS1_11comp_targetILNS1_3genE4ELNS1_11target_archE910ELNS1_3gpuE8ELNS1_3repE0EEENS1_30default_config_static_selectorELNS0_4arch9wavefront6targetE1EEEvS14_.uses_vcc, 0
	.set _ZN7rocprim17ROCPRIM_400000_NS6detail17trampoline_kernelINS0_14default_configENS1_22reduce_config_selectorIN6thrust23THRUST_200600_302600_NS5tupleIblNS6_9null_typeES8_S8_S8_S8_S8_S8_S8_EEEEZNS1_11reduce_implILb1ES3_NS6_12zip_iteratorINS7_INS6_11hip_rocprim26transform_input_iterator_tIbNSD_35transform_pair_of_input_iterators_tIbNS6_6detail15normal_iteratorINS6_10device_ptrIKxEEEESL_NS6_8equal_toIxEEEENSG_9not_fun_tINSD_8identityEEEEENSD_19counting_iterator_tIlEES8_S8_S8_S8_S8_S8_S8_S8_EEEEPS9_S9_NSD_9__find_if7functorIS9_EEEE10hipError_tPvRmT1_T2_T3_mT4_P12ihipStream_tbEUlT_E0_NS1_11comp_targetILNS1_3genE4ELNS1_11target_archE910ELNS1_3gpuE8ELNS1_3repE0EEENS1_30default_config_static_selectorELNS0_4arch9wavefront6targetE1EEEvS14_.uses_flat_scratch, 0
	.set _ZN7rocprim17ROCPRIM_400000_NS6detail17trampoline_kernelINS0_14default_configENS1_22reduce_config_selectorIN6thrust23THRUST_200600_302600_NS5tupleIblNS6_9null_typeES8_S8_S8_S8_S8_S8_S8_EEEEZNS1_11reduce_implILb1ES3_NS6_12zip_iteratorINS7_INS6_11hip_rocprim26transform_input_iterator_tIbNSD_35transform_pair_of_input_iterators_tIbNS6_6detail15normal_iteratorINS6_10device_ptrIKxEEEESL_NS6_8equal_toIxEEEENSG_9not_fun_tINSD_8identityEEEEENSD_19counting_iterator_tIlEES8_S8_S8_S8_S8_S8_S8_S8_EEEEPS9_S9_NSD_9__find_if7functorIS9_EEEE10hipError_tPvRmT1_T2_T3_mT4_P12ihipStream_tbEUlT_E0_NS1_11comp_targetILNS1_3genE4ELNS1_11target_archE910ELNS1_3gpuE8ELNS1_3repE0EEENS1_30default_config_static_selectorELNS0_4arch9wavefront6targetE1EEEvS14_.has_dyn_sized_stack, 0
	.set _ZN7rocprim17ROCPRIM_400000_NS6detail17trampoline_kernelINS0_14default_configENS1_22reduce_config_selectorIN6thrust23THRUST_200600_302600_NS5tupleIblNS6_9null_typeES8_S8_S8_S8_S8_S8_S8_EEEEZNS1_11reduce_implILb1ES3_NS6_12zip_iteratorINS7_INS6_11hip_rocprim26transform_input_iterator_tIbNSD_35transform_pair_of_input_iterators_tIbNS6_6detail15normal_iteratorINS6_10device_ptrIKxEEEESL_NS6_8equal_toIxEEEENSG_9not_fun_tINSD_8identityEEEEENSD_19counting_iterator_tIlEES8_S8_S8_S8_S8_S8_S8_S8_EEEEPS9_S9_NSD_9__find_if7functorIS9_EEEE10hipError_tPvRmT1_T2_T3_mT4_P12ihipStream_tbEUlT_E0_NS1_11comp_targetILNS1_3genE4ELNS1_11target_archE910ELNS1_3gpuE8ELNS1_3repE0EEENS1_30default_config_static_selectorELNS0_4arch9wavefront6targetE1EEEvS14_.has_recursion, 0
	.set _ZN7rocprim17ROCPRIM_400000_NS6detail17trampoline_kernelINS0_14default_configENS1_22reduce_config_selectorIN6thrust23THRUST_200600_302600_NS5tupleIblNS6_9null_typeES8_S8_S8_S8_S8_S8_S8_EEEEZNS1_11reduce_implILb1ES3_NS6_12zip_iteratorINS7_INS6_11hip_rocprim26transform_input_iterator_tIbNSD_35transform_pair_of_input_iterators_tIbNS6_6detail15normal_iteratorINS6_10device_ptrIKxEEEESL_NS6_8equal_toIxEEEENSG_9not_fun_tINSD_8identityEEEEENSD_19counting_iterator_tIlEES8_S8_S8_S8_S8_S8_S8_S8_EEEEPS9_S9_NSD_9__find_if7functorIS9_EEEE10hipError_tPvRmT1_T2_T3_mT4_P12ihipStream_tbEUlT_E0_NS1_11comp_targetILNS1_3genE4ELNS1_11target_archE910ELNS1_3gpuE8ELNS1_3repE0EEENS1_30default_config_static_selectorELNS0_4arch9wavefront6targetE1EEEvS14_.has_indirect_call, 0
	.section	.AMDGPU.csdata,"",@progbits
; Kernel info:
; codeLenInByte = 0
; TotalNumSgprs: 4
; NumVgprs: 0
; ScratchSize: 0
; MemoryBound: 0
; FloatMode: 240
; IeeeMode: 1
; LDSByteSize: 0 bytes/workgroup (compile time only)
; SGPRBlocks: 0
; VGPRBlocks: 0
; NumSGPRsForWavesPerEU: 4
; NumVGPRsForWavesPerEU: 1
; Occupancy: 10
; WaveLimiterHint : 0
; COMPUTE_PGM_RSRC2:SCRATCH_EN: 0
; COMPUTE_PGM_RSRC2:USER_SGPR: 6
; COMPUTE_PGM_RSRC2:TRAP_HANDLER: 0
; COMPUTE_PGM_RSRC2:TGID_X_EN: 1
; COMPUTE_PGM_RSRC2:TGID_Y_EN: 0
; COMPUTE_PGM_RSRC2:TGID_Z_EN: 0
; COMPUTE_PGM_RSRC2:TIDIG_COMP_CNT: 0
	.section	.text._ZN7rocprim17ROCPRIM_400000_NS6detail17trampoline_kernelINS0_14default_configENS1_22reduce_config_selectorIN6thrust23THRUST_200600_302600_NS5tupleIblNS6_9null_typeES8_S8_S8_S8_S8_S8_S8_EEEEZNS1_11reduce_implILb1ES3_NS6_12zip_iteratorINS7_INS6_11hip_rocprim26transform_input_iterator_tIbNSD_35transform_pair_of_input_iterators_tIbNS6_6detail15normal_iteratorINS6_10device_ptrIKxEEEESL_NS6_8equal_toIxEEEENSG_9not_fun_tINSD_8identityEEEEENSD_19counting_iterator_tIlEES8_S8_S8_S8_S8_S8_S8_S8_EEEEPS9_S9_NSD_9__find_if7functorIS9_EEEE10hipError_tPvRmT1_T2_T3_mT4_P12ihipStream_tbEUlT_E0_NS1_11comp_targetILNS1_3genE3ELNS1_11target_archE908ELNS1_3gpuE7ELNS1_3repE0EEENS1_30default_config_static_selectorELNS0_4arch9wavefront6targetE1EEEvS14_,"axG",@progbits,_ZN7rocprim17ROCPRIM_400000_NS6detail17trampoline_kernelINS0_14default_configENS1_22reduce_config_selectorIN6thrust23THRUST_200600_302600_NS5tupleIblNS6_9null_typeES8_S8_S8_S8_S8_S8_S8_EEEEZNS1_11reduce_implILb1ES3_NS6_12zip_iteratorINS7_INS6_11hip_rocprim26transform_input_iterator_tIbNSD_35transform_pair_of_input_iterators_tIbNS6_6detail15normal_iteratorINS6_10device_ptrIKxEEEESL_NS6_8equal_toIxEEEENSG_9not_fun_tINSD_8identityEEEEENSD_19counting_iterator_tIlEES8_S8_S8_S8_S8_S8_S8_S8_EEEEPS9_S9_NSD_9__find_if7functorIS9_EEEE10hipError_tPvRmT1_T2_T3_mT4_P12ihipStream_tbEUlT_E0_NS1_11comp_targetILNS1_3genE3ELNS1_11target_archE908ELNS1_3gpuE7ELNS1_3repE0EEENS1_30default_config_static_selectorELNS0_4arch9wavefront6targetE1EEEvS14_,comdat
	.protected	_ZN7rocprim17ROCPRIM_400000_NS6detail17trampoline_kernelINS0_14default_configENS1_22reduce_config_selectorIN6thrust23THRUST_200600_302600_NS5tupleIblNS6_9null_typeES8_S8_S8_S8_S8_S8_S8_EEEEZNS1_11reduce_implILb1ES3_NS6_12zip_iteratorINS7_INS6_11hip_rocprim26transform_input_iterator_tIbNSD_35transform_pair_of_input_iterators_tIbNS6_6detail15normal_iteratorINS6_10device_ptrIKxEEEESL_NS6_8equal_toIxEEEENSG_9not_fun_tINSD_8identityEEEEENSD_19counting_iterator_tIlEES8_S8_S8_S8_S8_S8_S8_S8_EEEEPS9_S9_NSD_9__find_if7functorIS9_EEEE10hipError_tPvRmT1_T2_T3_mT4_P12ihipStream_tbEUlT_E0_NS1_11comp_targetILNS1_3genE3ELNS1_11target_archE908ELNS1_3gpuE7ELNS1_3repE0EEENS1_30default_config_static_selectorELNS0_4arch9wavefront6targetE1EEEvS14_ ; -- Begin function _ZN7rocprim17ROCPRIM_400000_NS6detail17trampoline_kernelINS0_14default_configENS1_22reduce_config_selectorIN6thrust23THRUST_200600_302600_NS5tupleIblNS6_9null_typeES8_S8_S8_S8_S8_S8_S8_EEEEZNS1_11reduce_implILb1ES3_NS6_12zip_iteratorINS7_INS6_11hip_rocprim26transform_input_iterator_tIbNSD_35transform_pair_of_input_iterators_tIbNS6_6detail15normal_iteratorINS6_10device_ptrIKxEEEESL_NS6_8equal_toIxEEEENSG_9not_fun_tINSD_8identityEEEEENSD_19counting_iterator_tIlEES8_S8_S8_S8_S8_S8_S8_S8_EEEEPS9_S9_NSD_9__find_if7functorIS9_EEEE10hipError_tPvRmT1_T2_T3_mT4_P12ihipStream_tbEUlT_E0_NS1_11comp_targetILNS1_3genE3ELNS1_11target_archE908ELNS1_3gpuE7ELNS1_3repE0EEENS1_30default_config_static_selectorELNS0_4arch9wavefront6targetE1EEEvS14_
	.globl	_ZN7rocprim17ROCPRIM_400000_NS6detail17trampoline_kernelINS0_14default_configENS1_22reduce_config_selectorIN6thrust23THRUST_200600_302600_NS5tupleIblNS6_9null_typeES8_S8_S8_S8_S8_S8_S8_EEEEZNS1_11reduce_implILb1ES3_NS6_12zip_iteratorINS7_INS6_11hip_rocprim26transform_input_iterator_tIbNSD_35transform_pair_of_input_iterators_tIbNS6_6detail15normal_iteratorINS6_10device_ptrIKxEEEESL_NS6_8equal_toIxEEEENSG_9not_fun_tINSD_8identityEEEEENSD_19counting_iterator_tIlEES8_S8_S8_S8_S8_S8_S8_S8_EEEEPS9_S9_NSD_9__find_if7functorIS9_EEEE10hipError_tPvRmT1_T2_T3_mT4_P12ihipStream_tbEUlT_E0_NS1_11comp_targetILNS1_3genE3ELNS1_11target_archE908ELNS1_3gpuE7ELNS1_3repE0EEENS1_30default_config_static_selectorELNS0_4arch9wavefront6targetE1EEEvS14_
	.p2align	8
	.type	_ZN7rocprim17ROCPRIM_400000_NS6detail17trampoline_kernelINS0_14default_configENS1_22reduce_config_selectorIN6thrust23THRUST_200600_302600_NS5tupleIblNS6_9null_typeES8_S8_S8_S8_S8_S8_S8_EEEEZNS1_11reduce_implILb1ES3_NS6_12zip_iteratorINS7_INS6_11hip_rocprim26transform_input_iterator_tIbNSD_35transform_pair_of_input_iterators_tIbNS6_6detail15normal_iteratorINS6_10device_ptrIKxEEEESL_NS6_8equal_toIxEEEENSG_9not_fun_tINSD_8identityEEEEENSD_19counting_iterator_tIlEES8_S8_S8_S8_S8_S8_S8_S8_EEEEPS9_S9_NSD_9__find_if7functorIS9_EEEE10hipError_tPvRmT1_T2_T3_mT4_P12ihipStream_tbEUlT_E0_NS1_11comp_targetILNS1_3genE3ELNS1_11target_archE908ELNS1_3gpuE7ELNS1_3repE0EEENS1_30default_config_static_selectorELNS0_4arch9wavefront6targetE1EEEvS14_,@function
_ZN7rocprim17ROCPRIM_400000_NS6detail17trampoline_kernelINS0_14default_configENS1_22reduce_config_selectorIN6thrust23THRUST_200600_302600_NS5tupleIblNS6_9null_typeES8_S8_S8_S8_S8_S8_S8_EEEEZNS1_11reduce_implILb1ES3_NS6_12zip_iteratorINS7_INS6_11hip_rocprim26transform_input_iterator_tIbNSD_35transform_pair_of_input_iterators_tIbNS6_6detail15normal_iteratorINS6_10device_ptrIKxEEEESL_NS6_8equal_toIxEEEENSG_9not_fun_tINSD_8identityEEEEENSD_19counting_iterator_tIlEES8_S8_S8_S8_S8_S8_S8_S8_EEEEPS9_S9_NSD_9__find_if7functorIS9_EEEE10hipError_tPvRmT1_T2_T3_mT4_P12ihipStream_tbEUlT_E0_NS1_11comp_targetILNS1_3genE3ELNS1_11target_archE908ELNS1_3gpuE7ELNS1_3repE0EEENS1_30default_config_static_selectorELNS0_4arch9wavefront6targetE1EEEvS14_: ; @_ZN7rocprim17ROCPRIM_400000_NS6detail17trampoline_kernelINS0_14default_configENS1_22reduce_config_selectorIN6thrust23THRUST_200600_302600_NS5tupleIblNS6_9null_typeES8_S8_S8_S8_S8_S8_S8_EEEEZNS1_11reduce_implILb1ES3_NS6_12zip_iteratorINS7_INS6_11hip_rocprim26transform_input_iterator_tIbNSD_35transform_pair_of_input_iterators_tIbNS6_6detail15normal_iteratorINS6_10device_ptrIKxEEEESL_NS6_8equal_toIxEEEENSG_9not_fun_tINSD_8identityEEEEENSD_19counting_iterator_tIlEES8_S8_S8_S8_S8_S8_S8_S8_EEEEPS9_S9_NSD_9__find_if7functorIS9_EEEE10hipError_tPvRmT1_T2_T3_mT4_P12ihipStream_tbEUlT_E0_NS1_11comp_targetILNS1_3genE3ELNS1_11target_archE908ELNS1_3gpuE7ELNS1_3repE0EEENS1_30default_config_static_selectorELNS0_4arch9wavefront6targetE1EEEvS14_
; %bb.0:
	.section	.rodata,"a",@progbits
	.p2align	6, 0x0
	.amdhsa_kernel _ZN7rocprim17ROCPRIM_400000_NS6detail17trampoline_kernelINS0_14default_configENS1_22reduce_config_selectorIN6thrust23THRUST_200600_302600_NS5tupleIblNS6_9null_typeES8_S8_S8_S8_S8_S8_S8_EEEEZNS1_11reduce_implILb1ES3_NS6_12zip_iteratorINS7_INS6_11hip_rocprim26transform_input_iterator_tIbNSD_35transform_pair_of_input_iterators_tIbNS6_6detail15normal_iteratorINS6_10device_ptrIKxEEEESL_NS6_8equal_toIxEEEENSG_9not_fun_tINSD_8identityEEEEENSD_19counting_iterator_tIlEES8_S8_S8_S8_S8_S8_S8_S8_EEEEPS9_S9_NSD_9__find_if7functorIS9_EEEE10hipError_tPvRmT1_T2_T3_mT4_P12ihipStream_tbEUlT_E0_NS1_11comp_targetILNS1_3genE3ELNS1_11target_archE908ELNS1_3gpuE7ELNS1_3repE0EEENS1_30default_config_static_selectorELNS0_4arch9wavefront6targetE1EEEvS14_
		.amdhsa_group_segment_fixed_size 0
		.amdhsa_private_segment_fixed_size 0
		.amdhsa_kernarg_size 104
		.amdhsa_user_sgpr_count 6
		.amdhsa_user_sgpr_private_segment_buffer 1
		.amdhsa_user_sgpr_dispatch_ptr 0
		.amdhsa_user_sgpr_queue_ptr 0
		.amdhsa_user_sgpr_kernarg_segment_ptr 1
		.amdhsa_user_sgpr_dispatch_id 0
		.amdhsa_user_sgpr_flat_scratch_init 0
		.amdhsa_user_sgpr_private_segment_size 0
		.amdhsa_uses_dynamic_stack 0
		.amdhsa_system_sgpr_private_segment_wavefront_offset 0
		.amdhsa_system_sgpr_workgroup_id_x 1
		.amdhsa_system_sgpr_workgroup_id_y 0
		.amdhsa_system_sgpr_workgroup_id_z 0
		.amdhsa_system_sgpr_workgroup_info 0
		.amdhsa_system_vgpr_workitem_id 0
		.amdhsa_next_free_vgpr 1
		.amdhsa_next_free_sgpr 0
		.amdhsa_reserve_vcc 0
		.amdhsa_reserve_flat_scratch 0
		.amdhsa_float_round_mode_32 0
		.amdhsa_float_round_mode_16_64 0
		.amdhsa_float_denorm_mode_32 3
		.amdhsa_float_denorm_mode_16_64 3
		.amdhsa_dx10_clamp 1
		.amdhsa_ieee_mode 1
		.amdhsa_fp16_overflow 0
		.amdhsa_exception_fp_ieee_invalid_op 0
		.amdhsa_exception_fp_denorm_src 0
		.amdhsa_exception_fp_ieee_div_zero 0
		.amdhsa_exception_fp_ieee_overflow 0
		.amdhsa_exception_fp_ieee_underflow 0
		.amdhsa_exception_fp_ieee_inexact 0
		.amdhsa_exception_int_div_zero 0
	.end_amdhsa_kernel
	.section	.text._ZN7rocprim17ROCPRIM_400000_NS6detail17trampoline_kernelINS0_14default_configENS1_22reduce_config_selectorIN6thrust23THRUST_200600_302600_NS5tupleIblNS6_9null_typeES8_S8_S8_S8_S8_S8_S8_EEEEZNS1_11reduce_implILb1ES3_NS6_12zip_iteratorINS7_INS6_11hip_rocprim26transform_input_iterator_tIbNSD_35transform_pair_of_input_iterators_tIbNS6_6detail15normal_iteratorINS6_10device_ptrIKxEEEESL_NS6_8equal_toIxEEEENSG_9not_fun_tINSD_8identityEEEEENSD_19counting_iterator_tIlEES8_S8_S8_S8_S8_S8_S8_S8_EEEEPS9_S9_NSD_9__find_if7functorIS9_EEEE10hipError_tPvRmT1_T2_T3_mT4_P12ihipStream_tbEUlT_E0_NS1_11comp_targetILNS1_3genE3ELNS1_11target_archE908ELNS1_3gpuE7ELNS1_3repE0EEENS1_30default_config_static_selectorELNS0_4arch9wavefront6targetE1EEEvS14_,"axG",@progbits,_ZN7rocprim17ROCPRIM_400000_NS6detail17trampoline_kernelINS0_14default_configENS1_22reduce_config_selectorIN6thrust23THRUST_200600_302600_NS5tupleIblNS6_9null_typeES8_S8_S8_S8_S8_S8_S8_EEEEZNS1_11reduce_implILb1ES3_NS6_12zip_iteratorINS7_INS6_11hip_rocprim26transform_input_iterator_tIbNSD_35transform_pair_of_input_iterators_tIbNS6_6detail15normal_iteratorINS6_10device_ptrIKxEEEESL_NS6_8equal_toIxEEEENSG_9not_fun_tINSD_8identityEEEEENSD_19counting_iterator_tIlEES8_S8_S8_S8_S8_S8_S8_S8_EEEEPS9_S9_NSD_9__find_if7functorIS9_EEEE10hipError_tPvRmT1_T2_T3_mT4_P12ihipStream_tbEUlT_E0_NS1_11comp_targetILNS1_3genE3ELNS1_11target_archE908ELNS1_3gpuE7ELNS1_3repE0EEENS1_30default_config_static_selectorELNS0_4arch9wavefront6targetE1EEEvS14_,comdat
.Lfunc_end522:
	.size	_ZN7rocprim17ROCPRIM_400000_NS6detail17trampoline_kernelINS0_14default_configENS1_22reduce_config_selectorIN6thrust23THRUST_200600_302600_NS5tupleIblNS6_9null_typeES8_S8_S8_S8_S8_S8_S8_EEEEZNS1_11reduce_implILb1ES3_NS6_12zip_iteratorINS7_INS6_11hip_rocprim26transform_input_iterator_tIbNSD_35transform_pair_of_input_iterators_tIbNS6_6detail15normal_iteratorINS6_10device_ptrIKxEEEESL_NS6_8equal_toIxEEEENSG_9not_fun_tINSD_8identityEEEEENSD_19counting_iterator_tIlEES8_S8_S8_S8_S8_S8_S8_S8_EEEEPS9_S9_NSD_9__find_if7functorIS9_EEEE10hipError_tPvRmT1_T2_T3_mT4_P12ihipStream_tbEUlT_E0_NS1_11comp_targetILNS1_3genE3ELNS1_11target_archE908ELNS1_3gpuE7ELNS1_3repE0EEENS1_30default_config_static_selectorELNS0_4arch9wavefront6targetE1EEEvS14_, .Lfunc_end522-_ZN7rocprim17ROCPRIM_400000_NS6detail17trampoline_kernelINS0_14default_configENS1_22reduce_config_selectorIN6thrust23THRUST_200600_302600_NS5tupleIblNS6_9null_typeES8_S8_S8_S8_S8_S8_S8_EEEEZNS1_11reduce_implILb1ES3_NS6_12zip_iteratorINS7_INS6_11hip_rocprim26transform_input_iterator_tIbNSD_35transform_pair_of_input_iterators_tIbNS6_6detail15normal_iteratorINS6_10device_ptrIKxEEEESL_NS6_8equal_toIxEEEENSG_9not_fun_tINSD_8identityEEEEENSD_19counting_iterator_tIlEES8_S8_S8_S8_S8_S8_S8_S8_EEEEPS9_S9_NSD_9__find_if7functorIS9_EEEE10hipError_tPvRmT1_T2_T3_mT4_P12ihipStream_tbEUlT_E0_NS1_11comp_targetILNS1_3genE3ELNS1_11target_archE908ELNS1_3gpuE7ELNS1_3repE0EEENS1_30default_config_static_selectorELNS0_4arch9wavefront6targetE1EEEvS14_
                                        ; -- End function
	.set _ZN7rocprim17ROCPRIM_400000_NS6detail17trampoline_kernelINS0_14default_configENS1_22reduce_config_selectorIN6thrust23THRUST_200600_302600_NS5tupleIblNS6_9null_typeES8_S8_S8_S8_S8_S8_S8_EEEEZNS1_11reduce_implILb1ES3_NS6_12zip_iteratorINS7_INS6_11hip_rocprim26transform_input_iterator_tIbNSD_35transform_pair_of_input_iterators_tIbNS6_6detail15normal_iteratorINS6_10device_ptrIKxEEEESL_NS6_8equal_toIxEEEENSG_9not_fun_tINSD_8identityEEEEENSD_19counting_iterator_tIlEES8_S8_S8_S8_S8_S8_S8_S8_EEEEPS9_S9_NSD_9__find_if7functorIS9_EEEE10hipError_tPvRmT1_T2_T3_mT4_P12ihipStream_tbEUlT_E0_NS1_11comp_targetILNS1_3genE3ELNS1_11target_archE908ELNS1_3gpuE7ELNS1_3repE0EEENS1_30default_config_static_selectorELNS0_4arch9wavefront6targetE1EEEvS14_.num_vgpr, 0
	.set _ZN7rocprim17ROCPRIM_400000_NS6detail17trampoline_kernelINS0_14default_configENS1_22reduce_config_selectorIN6thrust23THRUST_200600_302600_NS5tupleIblNS6_9null_typeES8_S8_S8_S8_S8_S8_S8_EEEEZNS1_11reduce_implILb1ES3_NS6_12zip_iteratorINS7_INS6_11hip_rocprim26transform_input_iterator_tIbNSD_35transform_pair_of_input_iterators_tIbNS6_6detail15normal_iteratorINS6_10device_ptrIKxEEEESL_NS6_8equal_toIxEEEENSG_9not_fun_tINSD_8identityEEEEENSD_19counting_iterator_tIlEES8_S8_S8_S8_S8_S8_S8_S8_EEEEPS9_S9_NSD_9__find_if7functorIS9_EEEE10hipError_tPvRmT1_T2_T3_mT4_P12ihipStream_tbEUlT_E0_NS1_11comp_targetILNS1_3genE3ELNS1_11target_archE908ELNS1_3gpuE7ELNS1_3repE0EEENS1_30default_config_static_selectorELNS0_4arch9wavefront6targetE1EEEvS14_.num_agpr, 0
	.set _ZN7rocprim17ROCPRIM_400000_NS6detail17trampoline_kernelINS0_14default_configENS1_22reduce_config_selectorIN6thrust23THRUST_200600_302600_NS5tupleIblNS6_9null_typeES8_S8_S8_S8_S8_S8_S8_EEEEZNS1_11reduce_implILb1ES3_NS6_12zip_iteratorINS7_INS6_11hip_rocprim26transform_input_iterator_tIbNSD_35transform_pair_of_input_iterators_tIbNS6_6detail15normal_iteratorINS6_10device_ptrIKxEEEESL_NS6_8equal_toIxEEEENSG_9not_fun_tINSD_8identityEEEEENSD_19counting_iterator_tIlEES8_S8_S8_S8_S8_S8_S8_S8_EEEEPS9_S9_NSD_9__find_if7functorIS9_EEEE10hipError_tPvRmT1_T2_T3_mT4_P12ihipStream_tbEUlT_E0_NS1_11comp_targetILNS1_3genE3ELNS1_11target_archE908ELNS1_3gpuE7ELNS1_3repE0EEENS1_30default_config_static_selectorELNS0_4arch9wavefront6targetE1EEEvS14_.numbered_sgpr, 0
	.set _ZN7rocprim17ROCPRIM_400000_NS6detail17trampoline_kernelINS0_14default_configENS1_22reduce_config_selectorIN6thrust23THRUST_200600_302600_NS5tupleIblNS6_9null_typeES8_S8_S8_S8_S8_S8_S8_EEEEZNS1_11reduce_implILb1ES3_NS6_12zip_iteratorINS7_INS6_11hip_rocprim26transform_input_iterator_tIbNSD_35transform_pair_of_input_iterators_tIbNS6_6detail15normal_iteratorINS6_10device_ptrIKxEEEESL_NS6_8equal_toIxEEEENSG_9not_fun_tINSD_8identityEEEEENSD_19counting_iterator_tIlEES8_S8_S8_S8_S8_S8_S8_S8_EEEEPS9_S9_NSD_9__find_if7functorIS9_EEEE10hipError_tPvRmT1_T2_T3_mT4_P12ihipStream_tbEUlT_E0_NS1_11comp_targetILNS1_3genE3ELNS1_11target_archE908ELNS1_3gpuE7ELNS1_3repE0EEENS1_30default_config_static_selectorELNS0_4arch9wavefront6targetE1EEEvS14_.num_named_barrier, 0
	.set _ZN7rocprim17ROCPRIM_400000_NS6detail17trampoline_kernelINS0_14default_configENS1_22reduce_config_selectorIN6thrust23THRUST_200600_302600_NS5tupleIblNS6_9null_typeES8_S8_S8_S8_S8_S8_S8_EEEEZNS1_11reduce_implILb1ES3_NS6_12zip_iteratorINS7_INS6_11hip_rocprim26transform_input_iterator_tIbNSD_35transform_pair_of_input_iterators_tIbNS6_6detail15normal_iteratorINS6_10device_ptrIKxEEEESL_NS6_8equal_toIxEEEENSG_9not_fun_tINSD_8identityEEEEENSD_19counting_iterator_tIlEES8_S8_S8_S8_S8_S8_S8_S8_EEEEPS9_S9_NSD_9__find_if7functorIS9_EEEE10hipError_tPvRmT1_T2_T3_mT4_P12ihipStream_tbEUlT_E0_NS1_11comp_targetILNS1_3genE3ELNS1_11target_archE908ELNS1_3gpuE7ELNS1_3repE0EEENS1_30default_config_static_selectorELNS0_4arch9wavefront6targetE1EEEvS14_.private_seg_size, 0
	.set _ZN7rocprim17ROCPRIM_400000_NS6detail17trampoline_kernelINS0_14default_configENS1_22reduce_config_selectorIN6thrust23THRUST_200600_302600_NS5tupleIblNS6_9null_typeES8_S8_S8_S8_S8_S8_S8_EEEEZNS1_11reduce_implILb1ES3_NS6_12zip_iteratorINS7_INS6_11hip_rocprim26transform_input_iterator_tIbNSD_35transform_pair_of_input_iterators_tIbNS6_6detail15normal_iteratorINS6_10device_ptrIKxEEEESL_NS6_8equal_toIxEEEENSG_9not_fun_tINSD_8identityEEEEENSD_19counting_iterator_tIlEES8_S8_S8_S8_S8_S8_S8_S8_EEEEPS9_S9_NSD_9__find_if7functorIS9_EEEE10hipError_tPvRmT1_T2_T3_mT4_P12ihipStream_tbEUlT_E0_NS1_11comp_targetILNS1_3genE3ELNS1_11target_archE908ELNS1_3gpuE7ELNS1_3repE0EEENS1_30default_config_static_selectorELNS0_4arch9wavefront6targetE1EEEvS14_.uses_vcc, 0
	.set _ZN7rocprim17ROCPRIM_400000_NS6detail17trampoline_kernelINS0_14default_configENS1_22reduce_config_selectorIN6thrust23THRUST_200600_302600_NS5tupleIblNS6_9null_typeES8_S8_S8_S8_S8_S8_S8_EEEEZNS1_11reduce_implILb1ES3_NS6_12zip_iteratorINS7_INS6_11hip_rocprim26transform_input_iterator_tIbNSD_35transform_pair_of_input_iterators_tIbNS6_6detail15normal_iteratorINS6_10device_ptrIKxEEEESL_NS6_8equal_toIxEEEENSG_9not_fun_tINSD_8identityEEEEENSD_19counting_iterator_tIlEES8_S8_S8_S8_S8_S8_S8_S8_EEEEPS9_S9_NSD_9__find_if7functorIS9_EEEE10hipError_tPvRmT1_T2_T3_mT4_P12ihipStream_tbEUlT_E0_NS1_11comp_targetILNS1_3genE3ELNS1_11target_archE908ELNS1_3gpuE7ELNS1_3repE0EEENS1_30default_config_static_selectorELNS0_4arch9wavefront6targetE1EEEvS14_.uses_flat_scratch, 0
	.set _ZN7rocprim17ROCPRIM_400000_NS6detail17trampoline_kernelINS0_14default_configENS1_22reduce_config_selectorIN6thrust23THRUST_200600_302600_NS5tupleIblNS6_9null_typeES8_S8_S8_S8_S8_S8_S8_EEEEZNS1_11reduce_implILb1ES3_NS6_12zip_iteratorINS7_INS6_11hip_rocprim26transform_input_iterator_tIbNSD_35transform_pair_of_input_iterators_tIbNS6_6detail15normal_iteratorINS6_10device_ptrIKxEEEESL_NS6_8equal_toIxEEEENSG_9not_fun_tINSD_8identityEEEEENSD_19counting_iterator_tIlEES8_S8_S8_S8_S8_S8_S8_S8_EEEEPS9_S9_NSD_9__find_if7functorIS9_EEEE10hipError_tPvRmT1_T2_T3_mT4_P12ihipStream_tbEUlT_E0_NS1_11comp_targetILNS1_3genE3ELNS1_11target_archE908ELNS1_3gpuE7ELNS1_3repE0EEENS1_30default_config_static_selectorELNS0_4arch9wavefront6targetE1EEEvS14_.has_dyn_sized_stack, 0
	.set _ZN7rocprim17ROCPRIM_400000_NS6detail17trampoline_kernelINS0_14default_configENS1_22reduce_config_selectorIN6thrust23THRUST_200600_302600_NS5tupleIblNS6_9null_typeES8_S8_S8_S8_S8_S8_S8_EEEEZNS1_11reduce_implILb1ES3_NS6_12zip_iteratorINS7_INS6_11hip_rocprim26transform_input_iterator_tIbNSD_35transform_pair_of_input_iterators_tIbNS6_6detail15normal_iteratorINS6_10device_ptrIKxEEEESL_NS6_8equal_toIxEEEENSG_9not_fun_tINSD_8identityEEEEENSD_19counting_iterator_tIlEES8_S8_S8_S8_S8_S8_S8_S8_EEEEPS9_S9_NSD_9__find_if7functorIS9_EEEE10hipError_tPvRmT1_T2_T3_mT4_P12ihipStream_tbEUlT_E0_NS1_11comp_targetILNS1_3genE3ELNS1_11target_archE908ELNS1_3gpuE7ELNS1_3repE0EEENS1_30default_config_static_selectorELNS0_4arch9wavefront6targetE1EEEvS14_.has_recursion, 0
	.set _ZN7rocprim17ROCPRIM_400000_NS6detail17trampoline_kernelINS0_14default_configENS1_22reduce_config_selectorIN6thrust23THRUST_200600_302600_NS5tupleIblNS6_9null_typeES8_S8_S8_S8_S8_S8_S8_EEEEZNS1_11reduce_implILb1ES3_NS6_12zip_iteratorINS7_INS6_11hip_rocprim26transform_input_iterator_tIbNSD_35transform_pair_of_input_iterators_tIbNS6_6detail15normal_iteratorINS6_10device_ptrIKxEEEESL_NS6_8equal_toIxEEEENSG_9not_fun_tINSD_8identityEEEEENSD_19counting_iterator_tIlEES8_S8_S8_S8_S8_S8_S8_S8_EEEEPS9_S9_NSD_9__find_if7functorIS9_EEEE10hipError_tPvRmT1_T2_T3_mT4_P12ihipStream_tbEUlT_E0_NS1_11comp_targetILNS1_3genE3ELNS1_11target_archE908ELNS1_3gpuE7ELNS1_3repE0EEENS1_30default_config_static_selectorELNS0_4arch9wavefront6targetE1EEEvS14_.has_indirect_call, 0
	.section	.AMDGPU.csdata,"",@progbits
; Kernel info:
; codeLenInByte = 0
; TotalNumSgprs: 4
; NumVgprs: 0
; ScratchSize: 0
; MemoryBound: 0
; FloatMode: 240
; IeeeMode: 1
; LDSByteSize: 0 bytes/workgroup (compile time only)
; SGPRBlocks: 0
; VGPRBlocks: 0
; NumSGPRsForWavesPerEU: 4
; NumVGPRsForWavesPerEU: 1
; Occupancy: 10
; WaveLimiterHint : 0
; COMPUTE_PGM_RSRC2:SCRATCH_EN: 0
; COMPUTE_PGM_RSRC2:USER_SGPR: 6
; COMPUTE_PGM_RSRC2:TRAP_HANDLER: 0
; COMPUTE_PGM_RSRC2:TGID_X_EN: 1
; COMPUTE_PGM_RSRC2:TGID_Y_EN: 0
; COMPUTE_PGM_RSRC2:TGID_Z_EN: 0
; COMPUTE_PGM_RSRC2:TIDIG_COMP_CNT: 0
	.section	.text._ZN7rocprim17ROCPRIM_400000_NS6detail17trampoline_kernelINS0_14default_configENS1_22reduce_config_selectorIN6thrust23THRUST_200600_302600_NS5tupleIblNS6_9null_typeES8_S8_S8_S8_S8_S8_S8_EEEEZNS1_11reduce_implILb1ES3_NS6_12zip_iteratorINS7_INS6_11hip_rocprim26transform_input_iterator_tIbNSD_35transform_pair_of_input_iterators_tIbNS6_6detail15normal_iteratorINS6_10device_ptrIKxEEEESL_NS6_8equal_toIxEEEENSG_9not_fun_tINSD_8identityEEEEENSD_19counting_iterator_tIlEES8_S8_S8_S8_S8_S8_S8_S8_EEEEPS9_S9_NSD_9__find_if7functorIS9_EEEE10hipError_tPvRmT1_T2_T3_mT4_P12ihipStream_tbEUlT_E0_NS1_11comp_targetILNS1_3genE2ELNS1_11target_archE906ELNS1_3gpuE6ELNS1_3repE0EEENS1_30default_config_static_selectorELNS0_4arch9wavefront6targetE1EEEvS14_,"axG",@progbits,_ZN7rocprim17ROCPRIM_400000_NS6detail17trampoline_kernelINS0_14default_configENS1_22reduce_config_selectorIN6thrust23THRUST_200600_302600_NS5tupleIblNS6_9null_typeES8_S8_S8_S8_S8_S8_S8_EEEEZNS1_11reduce_implILb1ES3_NS6_12zip_iteratorINS7_INS6_11hip_rocprim26transform_input_iterator_tIbNSD_35transform_pair_of_input_iterators_tIbNS6_6detail15normal_iteratorINS6_10device_ptrIKxEEEESL_NS6_8equal_toIxEEEENSG_9not_fun_tINSD_8identityEEEEENSD_19counting_iterator_tIlEES8_S8_S8_S8_S8_S8_S8_S8_EEEEPS9_S9_NSD_9__find_if7functorIS9_EEEE10hipError_tPvRmT1_T2_T3_mT4_P12ihipStream_tbEUlT_E0_NS1_11comp_targetILNS1_3genE2ELNS1_11target_archE906ELNS1_3gpuE6ELNS1_3repE0EEENS1_30default_config_static_selectorELNS0_4arch9wavefront6targetE1EEEvS14_,comdat
	.protected	_ZN7rocprim17ROCPRIM_400000_NS6detail17trampoline_kernelINS0_14default_configENS1_22reduce_config_selectorIN6thrust23THRUST_200600_302600_NS5tupleIblNS6_9null_typeES8_S8_S8_S8_S8_S8_S8_EEEEZNS1_11reduce_implILb1ES3_NS6_12zip_iteratorINS7_INS6_11hip_rocprim26transform_input_iterator_tIbNSD_35transform_pair_of_input_iterators_tIbNS6_6detail15normal_iteratorINS6_10device_ptrIKxEEEESL_NS6_8equal_toIxEEEENSG_9not_fun_tINSD_8identityEEEEENSD_19counting_iterator_tIlEES8_S8_S8_S8_S8_S8_S8_S8_EEEEPS9_S9_NSD_9__find_if7functorIS9_EEEE10hipError_tPvRmT1_T2_T3_mT4_P12ihipStream_tbEUlT_E0_NS1_11comp_targetILNS1_3genE2ELNS1_11target_archE906ELNS1_3gpuE6ELNS1_3repE0EEENS1_30default_config_static_selectorELNS0_4arch9wavefront6targetE1EEEvS14_ ; -- Begin function _ZN7rocprim17ROCPRIM_400000_NS6detail17trampoline_kernelINS0_14default_configENS1_22reduce_config_selectorIN6thrust23THRUST_200600_302600_NS5tupleIblNS6_9null_typeES8_S8_S8_S8_S8_S8_S8_EEEEZNS1_11reduce_implILb1ES3_NS6_12zip_iteratorINS7_INS6_11hip_rocprim26transform_input_iterator_tIbNSD_35transform_pair_of_input_iterators_tIbNS6_6detail15normal_iteratorINS6_10device_ptrIKxEEEESL_NS6_8equal_toIxEEEENSG_9not_fun_tINSD_8identityEEEEENSD_19counting_iterator_tIlEES8_S8_S8_S8_S8_S8_S8_S8_EEEEPS9_S9_NSD_9__find_if7functorIS9_EEEE10hipError_tPvRmT1_T2_T3_mT4_P12ihipStream_tbEUlT_E0_NS1_11comp_targetILNS1_3genE2ELNS1_11target_archE906ELNS1_3gpuE6ELNS1_3repE0EEENS1_30default_config_static_selectorELNS0_4arch9wavefront6targetE1EEEvS14_
	.globl	_ZN7rocprim17ROCPRIM_400000_NS6detail17trampoline_kernelINS0_14default_configENS1_22reduce_config_selectorIN6thrust23THRUST_200600_302600_NS5tupleIblNS6_9null_typeES8_S8_S8_S8_S8_S8_S8_EEEEZNS1_11reduce_implILb1ES3_NS6_12zip_iteratorINS7_INS6_11hip_rocprim26transform_input_iterator_tIbNSD_35transform_pair_of_input_iterators_tIbNS6_6detail15normal_iteratorINS6_10device_ptrIKxEEEESL_NS6_8equal_toIxEEEENSG_9not_fun_tINSD_8identityEEEEENSD_19counting_iterator_tIlEES8_S8_S8_S8_S8_S8_S8_S8_EEEEPS9_S9_NSD_9__find_if7functorIS9_EEEE10hipError_tPvRmT1_T2_T3_mT4_P12ihipStream_tbEUlT_E0_NS1_11comp_targetILNS1_3genE2ELNS1_11target_archE906ELNS1_3gpuE6ELNS1_3repE0EEENS1_30default_config_static_selectorELNS0_4arch9wavefront6targetE1EEEvS14_
	.p2align	8
	.type	_ZN7rocprim17ROCPRIM_400000_NS6detail17trampoline_kernelINS0_14default_configENS1_22reduce_config_selectorIN6thrust23THRUST_200600_302600_NS5tupleIblNS6_9null_typeES8_S8_S8_S8_S8_S8_S8_EEEEZNS1_11reduce_implILb1ES3_NS6_12zip_iteratorINS7_INS6_11hip_rocprim26transform_input_iterator_tIbNSD_35transform_pair_of_input_iterators_tIbNS6_6detail15normal_iteratorINS6_10device_ptrIKxEEEESL_NS6_8equal_toIxEEEENSG_9not_fun_tINSD_8identityEEEEENSD_19counting_iterator_tIlEES8_S8_S8_S8_S8_S8_S8_S8_EEEEPS9_S9_NSD_9__find_if7functorIS9_EEEE10hipError_tPvRmT1_T2_T3_mT4_P12ihipStream_tbEUlT_E0_NS1_11comp_targetILNS1_3genE2ELNS1_11target_archE906ELNS1_3gpuE6ELNS1_3repE0EEENS1_30default_config_static_selectorELNS0_4arch9wavefront6targetE1EEEvS14_,@function
_ZN7rocprim17ROCPRIM_400000_NS6detail17trampoline_kernelINS0_14default_configENS1_22reduce_config_selectorIN6thrust23THRUST_200600_302600_NS5tupleIblNS6_9null_typeES8_S8_S8_S8_S8_S8_S8_EEEEZNS1_11reduce_implILb1ES3_NS6_12zip_iteratorINS7_INS6_11hip_rocprim26transform_input_iterator_tIbNSD_35transform_pair_of_input_iterators_tIbNS6_6detail15normal_iteratorINS6_10device_ptrIKxEEEESL_NS6_8equal_toIxEEEENSG_9not_fun_tINSD_8identityEEEEENSD_19counting_iterator_tIlEES8_S8_S8_S8_S8_S8_S8_S8_EEEEPS9_S9_NSD_9__find_if7functorIS9_EEEE10hipError_tPvRmT1_T2_T3_mT4_P12ihipStream_tbEUlT_E0_NS1_11comp_targetILNS1_3genE2ELNS1_11target_archE906ELNS1_3gpuE6ELNS1_3repE0EEENS1_30default_config_static_selectorELNS0_4arch9wavefront6targetE1EEEvS14_: ; @_ZN7rocprim17ROCPRIM_400000_NS6detail17trampoline_kernelINS0_14default_configENS1_22reduce_config_selectorIN6thrust23THRUST_200600_302600_NS5tupleIblNS6_9null_typeES8_S8_S8_S8_S8_S8_S8_EEEEZNS1_11reduce_implILb1ES3_NS6_12zip_iteratorINS7_INS6_11hip_rocprim26transform_input_iterator_tIbNSD_35transform_pair_of_input_iterators_tIbNS6_6detail15normal_iteratorINS6_10device_ptrIKxEEEESL_NS6_8equal_toIxEEEENSG_9not_fun_tINSD_8identityEEEEENSD_19counting_iterator_tIlEES8_S8_S8_S8_S8_S8_S8_S8_EEEEPS9_S9_NSD_9__find_if7functorIS9_EEEE10hipError_tPvRmT1_T2_T3_mT4_P12ihipStream_tbEUlT_E0_NS1_11comp_targetILNS1_3genE2ELNS1_11target_archE906ELNS1_3gpuE6ELNS1_3repE0EEENS1_30default_config_static_selectorELNS0_4arch9wavefront6targetE1EEEvS14_
; %bb.0:
	s_load_dwordx8 s[12:19], s[4:5], 0x20
	s_load_dwordx4 s[0:3], s[4:5], 0x0
	s_load_dwordx4 s[20:23], s[4:5], 0x40
	s_mov_b32 s29, 0
	s_mov_b32 s7, s29
	s_waitcnt lgkmcnt(0)
	s_lshl_b64 s[8:9], s[14:15], 3
	s_add_u32 s10, s0, s8
	s_addc_u32 s11, s1, s9
	s_add_u32 s8, s2, s8
	s_addc_u32 s9, s3, s9
	s_lshl_b32 s28, s6, 8
	s_lshr_b64 s[0:1], s[16:17], 8
	s_lshl_b64 s[2:3], s[28:29], 3
	s_add_u32 s24, s10, s2
	s_addc_u32 s25, s11, s3
	s_add_u32 s26, s8, s2
	s_addc_u32 s27, s9, s3
	;; [unrolled: 2-line block ×4, first 2 shown]
	s_cmp_lg_u64 s[0:1], s[6:7]
	v_lshlrev_b32_e32 v9, 3, v0
	v_mbcnt_lo_u32_b32 v8, -1, 0
	s_cbranch_scc0 .LBB523_10
; %bb.1:
	global_load_dwordx2 v[1:2], v9, s[26:27]
	global_load_dwordx2 v[6:7], v9, s[26:27] offset:1024
	global_load_dwordx2 v[10:11], v9, s[24:25] offset:1024
	global_load_dwordx2 v[12:13], v9, s[24:25]
	v_mov_b32_e32 v4, s15
	v_add_co_u32_e32 v14, vcc, s14, v0
	v_addc_co_u32_e32 v4, vcc, 0, v4, vcc
	v_add_co_u32_e32 v15, vcc, 0x80, v14
	v_addc_co_u32_e32 v16, vcc, 0, v4, vcc
	v_mbcnt_hi_u32_b32 v3, -1, v8
	v_lshlrev_b32_e32 v5, 2, v3
	v_or_b32_e32 v17, 0xfc, v5
	s_waitcnt vmcnt(1)
	v_cmp_ne_u64_e32 vcc, v[10:11], v[6:7]
	s_waitcnt vmcnt(0)
	v_cmp_ne_u64_e64 s[0:1], v[12:13], v[1:2]
	v_cndmask_b32_e64 v2, v16, v4, s[0:1]
	v_cndmask_b32_e64 v1, v15, v14, s[0:1]
	s_nop 0
	v_mov_b32_dpp v7, v2 quad_perm:[1,0,3,2] row_mask:0xf bank_mask:0xf bound_ctrl:1
	s_or_b64 s[0:1], s[0:1], vcc
	v_mov_b32_dpp v6, v1 quad_perm:[1,0,3,2] row_mask:0xf bank_mask:0xf bound_ctrl:1
	v_cndmask_b32_e64 v4, 0, 1, s[0:1]
	v_cmp_lt_i64_e32 vcc, v[1:2], v[6:7]
	s_and_b64 vcc, s[0:1], vcc
	v_mov_b32_dpp v10, v4 quad_perm:[1,0,3,2] row_mask:0xf bank_mask:0xf bound_ctrl:1
	v_and_b32_e32 v10, 1, v10
	v_cndmask_b32_e32 v6, v6, v1, vcc
	v_cndmask_b32_e32 v7, v7, v2, vcc
	v_cmp_eq_u32_e32 vcc, 1, v10
	v_cndmask_b32_e32 v2, v2, v7, vcc
	v_cndmask_b32_e32 v1, v1, v6, vcc
	v_cndmask_b32_e64 v4, v4, 1, vcc
	v_mov_b32_dpp v7, v2 quad_perm:[2,3,0,1] row_mask:0xf bank_mask:0xf bound_ctrl:1
	v_mov_b32_dpp v6, v1 quad_perm:[2,3,0,1] row_mask:0xf bank_mask:0xf bound_ctrl:1
	v_and_b32_e32 v11, 1, v4
	v_cmp_lt_i64_e64 s[0:1], v[1:2], v[6:7]
	v_mov_b32_dpp v10, v4 quad_perm:[2,3,0,1] row_mask:0xf bank_mask:0xf bound_ctrl:1
	v_cmp_eq_u32_e32 vcc, 1, v11
	v_and_b32_e32 v10, 1, v10
	s_and_b64 vcc, vcc, s[0:1]
	v_cmp_eq_u32_e64 s[2:3], 1, v10
	v_cndmask_b32_e32 v6, v6, v1, vcc
	v_cndmask_b32_e32 v7, v7, v2, vcc
	v_cndmask_b32_e64 v1, v1, v6, s[2:3]
	v_cndmask_b32_e64 v2, v2, v7, s[2:3]
	;; [unrolled: 1-line block ×3, first 2 shown]
	v_mov_b32_dpp v6, v1 row_ror:4 row_mask:0xf bank_mask:0xf bound_ctrl:1
	v_mov_b32_dpp v7, v2 row_ror:4 row_mask:0xf bank_mask:0xf bound_ctrl:1
	v_and_b32_e32 v11, 1, v4
	v_cmp_lt_i64_e64 s[2:3], v[1:2], v[6:7]
	v_mov_b32_dpp v10, v4 row_ror:4 row_mask:0xf bank_mask:0xf bound_ctrl:1
	v_cmp_eq_u32_e32 vcc, 1, v11
	v_and_b32_e32 v10, 1, v10
	s_and_b64 vcc, vcc, s[2:3]
	v_cmp_eq_u32_e64 s[0:1], 1, v10
	v_cndmask_b32_e32 v6, v6, v1, vcc
	v_cndmask_b32_e32 v7, v7, v2, vcc
	v_cndmask_b32_e64 v1, v1, v6, s[0:1]
	v_cndmask_b32_e64 v2, v2, v7, s[0:1]
	;; [unrolled: 1-line block ×3, first 2 shown]
	v_mov_b32_dpp v6, v1 row_ror:8 row_mask:0xf bank_mask:0xf bound_ctrl:1
	v_mov_b32_dpp v7, v2 row_ror:8 row_mask:0xf bank_mask:0xf bound_ctrl:1
	v_and_b32_e32 v11, 1, v4
	v_cmp_lt_i64_e64 s[2:3], v[1:2], v[6:7]
	v_mov_b32_dpp v10, v4 row_ror:8 row_mask:0xf bank_mask:0xf bound_ctrl:1
	v_cmp_eq_u32_e64 s[8:9], 1, v11
	v_and_b32_e32 v10, 1, v10
	s_and_b64 s[2:3], s[8:9], s[2:3]
	v_cmp_eq_u32_e64 s[10:11], 1, v10
	v_cndmask_b32_e64 v6, v6, v1, s[2:3]
	v_cndmask_b32_e64 v7, v7, v2, s[2:3]
	;; [unrolled: 1-line block ×5, first 2 shown]
	v_mov_b32_dpp v10, v4 row_bcast:15 row_mask:0xf bank_mask:0xf bound_ctrl:1
	v_mov_b32_dpp v6, v1 row_bcast:15 row_mask:0xf bank_mask:0xf bound_ctrl:1
	;; [unrolled: 1-line block ×3, first 2 shown]
	v_and_b32_e32 v11, 1, v4
	v_and_b32_e32 v10, 1, v10
	v_cmp_lt_i64_e64 s[2:3], v[1:2], v[6:7]
	v_cmp_eq_u32_e32 vcc, 1, v11
	v_cmp_eq_u32_e64 s[0:1], 1, v10
	v_cndmask_b32_e64 v4, v4, 1, s[0:1]
	s_and_b64 vcc, vcc, s[2:3]
	v_cndmask_b32_e32 v6, v6, v1, vcc
	v_mov_b32_dpp v10, v4 row_bcast:31 row_mask:0xf bank_mask:0xf bound_ctrl:1
	v_cndmask_b32_e32 v7, v7, v2, vcc
	v_and_b32_e32 v11, 1, v4
	v_and_b32_e32 v10, 1, v10
	v_cndmask_b32_e64 v1, v1, v6, s[0:1]
	v_cndmask_b32_e64 v2, v2, v7, s[0:1]
	v_cmp_eq_u32_e64 s[12:13], 1, v11
	v_cmp_eq_u32_e64 s[8:9], 1, v10
	v_mov_b32_dpp v10, v1 row_bcast:31 row_mask:0xf bank_mask:0xf bound_ctrl:1
	v_mov_b32_dpp v11, v2 row_bcast:31 row_mask:0xf bank_mask:0xf bound_ctrl:1
	v_cmp_lt_i64_e32 vcc, v[1:2], v[10:11]
	v_cndmask_b32_e64 v4, v4, 1, s[8:9]
	s_and_b64 vcc, s[12:13], vcc
	ds_bpermute_b32 v7, v17, v4
	v_cndmask_b32_e32 v4, v10, v1, vcc
	v_cndmask_b32_e32 v6, v11, v2, vcc
	v_cndmask_b32_e64 v1, v1, v4, s[8:9]
	v_cndmask_b32_e64 v2, v2, v6, s[8:9]
	ds_bpermute_b32 v1, v17, v1
	ds_bpermute_b32 v2, v17, v2
	v_cmp_eq_u32_e32 vcc, 0, v3
	s_and_saveexec_b64 s[0:1], vcc
	s_cbranch_execz .LBB523_3
; %bb.2:
	v_lshrrev_b32_e32 v4, 2, v0
	v_and_b32_e32 v4, 16, v4
	s_waitcnt lgkmcnt(2)
	ds_write_b8 v4, v7
	s_waitcnt lgkmcnt(1)
	ds_write_b64 v4, v[1:2] offset:8
.LBB523_3:
	s_or_b64 exec, exec, s[0:1]
	v_cmp_gt_u32_e32 vcc, 64, v0
	s_waitcnt lgkmcnt(0)
	s_barrier
	s_and_saveexec_b64 s[0:1], vcc
	s_cbranch_execz .LBB523_9
; %bb.4:
	v_and_b32_e32 v1, 1, v3
	v_lshlrev_b32_e32 v1, 4, v1
	ds_read_u8 v10, v1
	ds_read_b64 v[3:4], v1 offset:8
	v_or_b32_e32 v2, 4, v5
	s_waitcnt lgkmcnt(1)
	v_and_b32_e32 v1, 0xff, v10
	ds_bpermute_b32 v11, v2, v1
	s_waitcnt lgkmcnt(1)
	ds_bpermute_b32 v5, v2, v3
	ds_bpermute_b32 v6, v2, v4
	s_waitcnt lgkmcnt(2)
	v_and_b32_e32 v1, v10, v11
	v_and_b32_e32 v1, 1, v1
	v_cmp_eq_u32_e32 vcc, 1, v1
                                        ; implicit-def: $vgpr1_vgpr2
	s_and_saveexec_b64 s[2:3], vcc
	s_xor_b64 s[2:3], exec, s[2:3]
	s_cbranch_execz .LBB523_6
; %bb.5:
	s_waitcnt lgkmcnt(0)
	v_cmp_lt_i64_e32 vcc, v[5:6], v[3:4]
                                        ; implicit-def: $vgpr10
                                        ; implicit-def: $vgpr11
	v_cndmask_b32_e32 v2, v4, v6, vcc
	v_cndmask_b32_e32 v1, v3, v5, vcc
                                        ; implicit-def: $vgpr5_vgpr6
                                        ; implicit-def: $vgpr3_vgpr4
.LBB523_6:
	s_or_saveexec_b64 s[2:3], s[2:3]
	v_mov_b32_e32 v7, 1
	s_xor_b64 exec, exec, s[2:3]
	s_cbranch_execz .LBB523_8
; %bb.7:
	v_and_b32_e32 v1, 1, v10
	v_cmp_eq_u32_e32 vcc, 1, v1
	s_waitcnt lgkmcnt(0)
	v_cndmask_b32_e32 v2, v6, v4, vcc
	v_cndmask_b32_e32 v1, v5, v3, vcc
	v_cndmask_b32_e64 v7, v11, 1, vcc
.LBB523_8:
	s_or_b64 exec, exec, s[2:3]
.LBB523_9:
	s_or_b64 exec, exec, s[0:1]
	s_load_dword s10, s[4:5], 0x50
	s_load_dwordx2 s[8:9], s[4:5], 0x58
	s_branch .LBB523_62
.LBB523_10:
                                        ; implicit-def: $vgpr1_vgpr2
                                        ; implicit-def: $vgpr7
	s_load_dword s10, s[4:5], 0x50
	s_load_dwordx2 s[8:9], s[4:5], 0x58
	s_cbranch_execz .LBB523_62
; %bb.11:
	s_sub_i32 s11, s16, s28
	v_mov_b32_e32 v3, 0
	v_mov_b32_e32 v1, 0
	v_cmp_gt_u32_e32 vcc, s11, v0
	s_waitcnt lgkmcnt(0)
	v_mov_b32_e32 v6, 0
	v_mov_b32_e32 v4, 0
	;; [unrolled: 1-line block ×4, first 2 shown]
	s_and_saveexec_b64 s[0:1], vcc
	s_cbranch_execz .LBB523_13
; %bb.12:
	global_load_dwordx2 v[10:11], v9, s[24:25]
	global_load_dwordx2 v[12:13], v9, s[26:27]
	v_mov_b32_e32 v2, s15
	v_add_co_u32_e32 v1, vcc, s14, v0
	v_addc_co_u32_e32 v2, vcc, 0, v2, vcc
	s_waitcnt vmcnt(0)
	v_cmp_ne_u64_e32 vcc, v[10:11], v[12:13]
	v_cndmask_b32_e64 v5, 0, 1, vcc
.LBB523_13:
	s_or_b64 exec, exec, s[0:1]
	v_or_b32_e32 v7, 0x80, v0
	v_cmp_gt_u32_e32 vcc, s11, v7
	s_and_saveexec_b64 s[2:3], vcc
	s_cbranch_execz .LBB523_15
; %bb.14:
	global_load_dwordx2 v[10:11], v9, s[24:25] offset:1024
	global_load_dwordx2 v[12:13], v9, s[26:27] offset:1024
	v_mov_b32_e32 v4, s15
	v_add_co_u32_e64 v3, s[0:1], s14, v7
	v_addc_co_u32_e64 v4, s[0:1], 0, v4, s[0:1]
	s_waitcnt vmcnt(0)
	v_cmp_ne_u64_e64 s[0:1], v[10:11], v[12:13]
	v_cndmask_b32_e64 v6, 0, 1, s[0:1]
.LBB523_15:
	s_or_b64 exec, exec, s[2:3]
	v_and_b32_e32 v7, 0xffff, v5
	v_and_b32_e32 v9, 0xffff, v6
	;; [unrolled: 1-line block ×4, first 2 shown]
	v_cmp_lt_i64_e64 s[2:3], v[3:4], v[1:2]
	v_cmp_eq_u32_e64 s[0:1], 1, v6
	v_cmp_eq_u32_e64 s[4:5], 1, v5
	v_cndmask_b32_e64 v5, v9, 1, s[4:5]
	s_and_b64 s[0:1], s[0:1], s[2:3]
	v_cndmask_b32_e64 v6, v2, v4, s[0:1]
	v_cndmask_b32_e64 v9, v1, v3, s[0:1]
	v_cndmask_b32_e32 v7, v7, v5, vcc
	v_mbcnt_hi_u32_b32 v5, -1, v8
	v_cndmask_b32_e64 v3, v3, v9, s[4:5]
	v_cndmask_b32_e64 v4, v4, v6, s[4:5]
	v_and_b32_e32 v6, 63, v5
	v_cndmask_b32_e32 v2, v2, v4, vcc
	v_cndmask_b32_e32 v1, v1, v3, vcc
	v_cmp_ne_u32_e32 vcc, 63, v6
	v_addc_co_u32_e32 v3, vcc, 0, v5, vcc
	v_lshlrev_b32_e32 v4, 2, v3
	ds_bpermute_b32 v9, v4, v7
	ds_bpermute_b32 v3, v4, v1
	;; [unrolled: 1-line block ×3, first 2 shown]
	s_min_u32 s4, s11, 0x80
	v_and_b32_e32 v8, 64, v0
	v_sub_u32_e64 v8, s4, v8 clamp
	v_add_u32_e32 v10, 1, v6
	v_cmp_lt_u32_e32 vcc, v10, v8
	s_and_saveexec_b64 s[0:1], vcc
	s_cbranch_execz .LBB523_21
; %bb.16:
	s_waitcnt lgkmcnt(2)
	v_and_b32_e32 v10, v9, v7
	v_cmp_ne_u32_e32 vcc, 0, v10
	s_and_saveexec_b64 s[2:3], vcc
	s_xor_b64 s[2:3], exec, s[2:3]
	s_cbranch_execz .LBB523_18
; %bb.17:
	s_waitcnt lgkmcnt(0)
	v_cmp_lt_i64_e32 vcc, v[3:4], v[1:2]
                                        ; implicit-def: $vgpr7
                                        ; implicit-def: $vgpr9
	v_cndmask_b32_e32 v2, v2, v4, vcc
	v_cndmask_b32_e32 v1, v1, v3, vcc
                                        ; implicit-def: $vgpr3_vgpr4
.LBB523_18:
	s_or_saveexec_b64 s[2:3], s[2:3]
	v_mov_b32_e32 v10, 1
	s_xor_b64 exec, exec, s[2:3]
	s_cbranch_execz .LBB523_20
; %bb.19:
	v_and_b32_e32 v7, 1, v7
	v_cmp_eq_u32_e32 vcc, 1, v7
	s_waitcnt lgkmcnt(1)
	v_cndmask_b32_e32 v1, v3, v1, vcc
	v_and_b32_e32 v3, 0xff, v9
	s_waitcnt lgkmcnt(0)
	v_cndmask_b32_e32 v2, v4, v2, vcc
	v_cndmask_b32_e64 v10, v3, 1, vcc
.LBB523_20:
	s_or_b64 exec, exec, s[2:3]
	v_mov_b32_e32 v7, v10
.LBB523_21:
	s_or_b64 exec, exec, s[0:1]
	v_cmp_gt_u32_e32 vcc, 62, v6
	s_waitcnt lgkmcnt(1)
	v_cndmask_b32_e64 v3, 0, 2, vcc
	s_waitcnt lgkmcnt(0)
	v_add_lshl_u32 v4, v3, v5, 2
	ds_bpermute_b32 v9, v4, v7
	ds_bpermute_b32 v3, v4, v1
	ds_bpermute_b32 v4, v4, v2
	v_add_u32_e32 v10, 2, v6
	v_cmp_lt_u32_e32 vcc, v10, v8
	s_and_saveexec_b64 s[0:1], vcc
	s_cbranch_execz .LBB523_27
; %bb.22:
	s_waitcnt lgkmcnt(2)
	v_and_b32_e32 v10, v7, v9
	v_and_b32_e32 v10, 1, v10
	v_cmp_eq_u32_e32 vcc, 1, v10
	s_and_saveexec_b64 s[2:3], vcc
	s_xor_b64 s[2:3], exec, s[2:3]
	s_cbranch_execz .LBB523_24
; %bb.23:
	s_waitcnt lgkmcnt(0)
	v_cmp_lt_i64_e32 vcc, v[3:4], v[1:2]
                                        ; implicit-def: $vgpr7
                                        ; implicit-def: $vgpr9
	v_cndmask_b32_e32 v2, v2, v4, vcc
	v_cndmask_b32_e32 v1, v1, v3, vcc
                                        ; implicit-def: $vgpr3_vgpr4
.LBB523_24:
	s_or_saveexec_b64 s[2:3], s[2:3]
	v_mov_b32_e32 v10, 1
	s_xor_b64 exec, exec, s[2:3]
	s_cbranch_execz .LBB523_26
; %bb.25:
	v_and_b32_e32 v7, 1, v7
	v_cmp_eq_u32_e32 vcc, 1, v7
	s_waitcnt lgkmcnt(1)
	v_cndmask_b32_e32 v1, v3, v1, vcc
	v_and_b32_e32 v3, 0xff, v9
	s_waitcnt lgkmcnt(0)
	v_cndmask_b32_e32 v2, v4, v2, vcc
	v_cndmask_b32_e64 v10, v3, 1, vcc
.LBB523_26:
	s_or_b64 exec, exec, s[2:3]
	v_mov_b32_e32 v7, v10
.LBB523_27:
	s_or_b64 exec, exec, s[0:1]
	v_cmp_gt_u32_e32 vcc, 60, v6
	s_waitcnt lgkmcnt(1)
	v_cndmask_b32_e64 v3, 0, 4, vcc
	s_waitcnt lgkmcnt(0)
	v_add_lshl_u32 v4, v3, v5, 2
	ds_bpermute_b32 v9, v4, v7
	ds_bpermute_b32 v3, v4, v1
	ds_bpermute_b32 v4, v4, v2
	v_add_u32_e32 v10, 4, v6
	v_cmp_lt_u32_e32 vcc, v10, v8
	s_and_saveexec_b64 s[0:1], vcc
	s_cbranch_execz .LBB523_33
; %bb.28:
	s_waitcnt lgkmcnt(2)
	v_and_b32_e32 v10, v7, v9
	v_and_b32_e32 v10, 1, v10
	v_cmp_eq_u32_e32 vcc, 1, v10
	s_and_saveexec_b64 s[2:3], vcc
	s_xor_b64 s[2:3], exec, s[2:3]
	s_cbranch_execz .LBB523_30
; %bb.29:
	s_waitcnt lgkmcnt(0)
	v_cmp_lt_i64_e32 vcc, v[3:4], v[1:2]
                                        ; implicit-def: $vgpr7
                                        ; implicit-def: $vgpr9
	v_cndmask_b32_e32 v2, v2, v4, vcc
	v_cndmask_b32_e32 v1, v1, v3, vcc
                                        ; implicit-def: $vgpr3_vgpr4
.LBB523_30:
	s_or_saveexec_b64 s[2:3], s[2:3]
	v_mov_b32_e32 v10, 1
	s_xor_b64 exec, exec, s[2:3]
	s_cbranch_execz .LBB523_32
; %bb.31:
	v_and_b32_e32 v7, 1, v7
	v_cmp_eq_u32_e32 vcc, 1, v7
	s_waitcnt lgkmcnt(1)
	v_cndmask_b32_e32 v1, v3, v1, vcc
	v_and_b32_e32 v3, 0xff, v9
	s_waitcnt lgkmcnt(0)
	v_cndmask_b32_e32 v2, v4, v2, vcc
	v_cndmask_b32_e64 v10, v3, 1, vcc
.LBB523_32:
	s_or_b64 exec, exec, s[2:3]
	v_mov_b32_e32 v7, v10
.LBB523_33:
	s_or_b64 exec, exec, s[0:1]
	v_cmp_gt_u32_e32 vcc, 56, v6
	s_waitcnt lgkmcnt(1)
	v_cndmask_b32_e64 v3, 0, 8, vcc
	s_waitcnt lgkmcnt(0)
	v_add_lshl_u32 v4, v3, v5, 2
	ds_bpermute_b32 v9, v4, v7
	ds_bpermute_b32 v3, v4, v1
	ds_bpermute_b32 v4, v4, v2
	v_add_u32_e32 v10, 8, v6
	v_cmp_lt_u32_e32 vcc, v10, v8
	s_and_saveexec_b64 s[0:1], vcc
	s_cbranch_execz .LBB523_39
; %bb.34:
	s_waitcnt lgkmcnt(2)
	v_and_b32_e32 v10, v7, v9
	v_and_b32_e32 v10, 1, v10
	v_cmp_eq_u32_e32 vcc, 1, v10
	s_and_saveexec_b64 s[2:3], vcc
	s_xor_b64 s[2:3], exec, s[2:3]
	s_cbranch_execz .LBB523_36
; %bb.35:
	s_waitcnt lgkmcnt(0)
	v_cmp_lt_i64_e32 vcc, v[3:4], v[1:2]
                                        ; implicit-def: $vgpr7
                                        ; implicit-def: $vgpr9
	v_cndmask_b32_e32 v2, v2, v4, vcc
	v_cndmask_b32_e32 v1, v1, v3, vcc
                                        ; implicit-def: $vgpr3_vgpr4
.LBB523_36:
	s_or_saveexec_b64 s[2:3], s[2:3]
	v_mov_b32_e32 v10, 1
	s_xor_b64 exec, exec, s[2:3]
	s_cbranch_execz .LBB523_38
; %bb.37:
	v_and_b32_e32 v7, 1, v7
	v_cmp_eq_u32_e32 vcc, 1, v7
	s_waitcnt lgkmcnt(1)
	v_cndmask_b32_e32 v1, v3, v1, vcc
	v_and_b32_e32 v3, 0xff, v9
	s_waitcnt lgkmcnt(0)
	v_cndmask_b32_e32 v2, v4, v2, vcc
	v_cndmask_b32_e64 v10, v3, 1, vcc
.LBB523_38:
	s_or_b64 exec, exec, s[2:3]
	v_mov_b32_e32 v7, v10
.LBB523_39:
	s_or_b64 exec, exec, s[0:1]
	v_cmp_gt_u32_e32 vcc, 48, v6
	s_waitcnt lgkmcnt(1)
	v_cndmask_b32_e64 v3, 0, 16, vcc
	s_waitcnt lgkmcnt(0)
	v_add_lshl_u32 v4, v3, v5, 2
	ds_bpermute_b32 v9, v4, v7
	ds_bpermute_b32 v3, v4, v1
	ds_bpermute_b32 v4, v4, v2
	v_add_u32_e32 v10, 16, v6
	v_cmp_lt_u32_e32 vcc, v10, v8
	s_and_saveexec_b64 s[0:1], vcc
	s_cbranch_execz .LBB523_45
; %bb.40:
	s_waitcnt lgkmcnt(2)
	v_and_b32_e32 v10, v7, v9
	v_and_b32_e32 v10, 1, v10
	v_cmp_eq_u32_e32 vcc, 1, v10
	s_and_saveexec_b64 s[2:3], vcc
	s_xor_b64 s[2:3], exec, s[2:3]
	s_cbranch_execz .LBB523_42
; %bb.41:
	s_waitcnt lgkmcnt(0)
	v_cmp_lt_i64_e32 vcc, v[3:4], v[1:2]
                                        ; implicit-def: $vgpr7
                                        ; implicit-def: $vgpr9
	v_cndmask_b32_e32 v2, v2, v4, vcc
	v_cndmask_b32_e32 v1, v1, v3, vcc
                                        ; implicit-def: $vgpr3_vgpr4
.LBB523_42:
	s_or_saveexec_b64 s[2:3], s[2:3]
	v_mov_b32_e32 v10, 1
	s_xor_b64 exec, exec, s[2:3]
	s_cbranch_execz .LBB523_44
; %bb.43:
	v_and_b32_e32 v7, 1, v7
	v_cmp_eq_u32_e32 vcc, 1, v7
	s_waitcnt lgkmcnt(1)
	v_cndmask_b32_e32 v1, v3, v1, vcc
	v_and_b32_e32 v3, 0xff, v9
	s_waitcnt lgkmcnt(0)
	v_cndmask_b32_e32 v2, v4, v2, vcc
	v_cndmask_b32_e64 v10, v3, 1, vcc
.LBB523_44:
	s_or_b64 exec, exec, s[2:3]
	v_mov_b32_e32 v7, v10
.LBB523_45:
	s_or_b64 exec, exec, s[0:1]
	s_waitcnt lgkmcnt(2)
	v_lshlrev_b32_e32 v9, 2, v5
	s_waitcnt lgkmcnt(0)
	v_or_b32_e32 v4, 0x80, v9
	ds_bpermute_b32 v10, v4, v7
	ds_bpermute_b32 v3, v4, v1
	;; [unrolled: 1-line block ×3, first 2 shown]
	v_add_u32_e32 v6, 32, v6
	v_cmp_lt_u32_e32 vcc, v6, v8
	v_mov_b32_e32 v6, v7
	s_and_saveexec_b64 s[0:1], vcc
	s_cbranch_execz .LBB523_51
; %bb.46:
	s_waitcnt lgkmcnt(2)
	v_and_b32_e32 v6, v7, v10
	v_and_b32_e32 v6, 1, v6
	v_cmp_eq_u32_e32 vcc, 1, v6
	s_and_saveexec_b64 s[2:3], vcc
	s_xor_b64 s[2:3], exec, s[2:3]
	s_cbranch_execz .LBB523_48
; %bb.47:
	s_waitcnt lgkmcnt(0)
	v_cmp_lt_i64_e32 vcc, v[3:4], v[1:2]
                                        ; implicit-def: $vgpr7
                                        ; implicit-def: $vgpr10
	v_cndmask_b32_e32 v2, v2, v4, vcc
	v_cndmask_b32_e32 v1, v1, v3, vcc
                                        ; implicit-def: $vgpr3_vgpr4
.LBB523_48:
	s_or_saveexec_b64 s[2:3], s[2:3]
	v_mov_b32_e32 v6, 1
	s_xor_b64 exec, exec, s[2:3]
	s_cbranch_execz .LBB523_50
; %bb.49:
	v_and_b32_e32 v6, 1, v7
	v_cmp_eq_u32_e32 vcc, 1, v6
	v_cndmask_b32_e64 v6, v10, 1, vcc
	s_waitcnt lgkmcnt(0)
	v_cndmask_b32_e32 v2, v4, v2, vcc
	v_cndmask_b32_e32 v1, v3, v1, vcc
.LBB523_50:
	s_or_b64 exec, exec, s[2:3]
	v_and_b32_e32 v7, 0xff, v6
.LBB523_51:
	s_or_b64 exec, exec, s[0:1]
	v_cmp_eq_u32_e32 vcc, 0, v5
	s_and_saveexec_b64 s[0:1], vcc
	s_cbranch_execz .LBB523_53
; %bb.52:
	s_waitcnt lgkmcnt(1)
	v_lshrrev_b32_e32 v3, 2, v0
	v_and_b32_e32 v3, 16, v3
	ds_write_b8 v3, v6 offset:32
	ds_write_b64 v3, v[1:2] offset:40
.LBB523_53:
	s_or_b64 exec, exec, s[0:1]
	v_cmp_gt_u32_e32 vcc, 2, v0
	s_waitcnt lgkmcnt(0)
	s_barrier
	s_and_saveexec_b64 s[0:1], vcc
	s_cbranch_execz .LBB523_61
; %bb.54:
	v_lshlrev_b32_e32 v1, 4, v5
	ds_read_u8 v6, v1 offset:32
	ds_read_b64 v[1:2], v1 offset:40
	v_or_b32_e32 v4, 4, v9
	s_add_i32 s4, s4, 63
	v_and_b32_e32 v5, 1, v5
	s_waitcnt lgkmcnt(1)
	v_and_b32_e32 v7, 0xff, v6
	s_waitcnt lgkmcnt(0)
	ds_bpermute_b32 v3, v4, v1
	ds_bpermute_b32 v8, v4, v7
	;; [unrolled: 1-line block ×3, first 2 shown]
	s_lshr_b32 s2, s4, 6
	v_add_u32_e32 v5, 1, v5
	v_cmp_gt_u32_e32 vcc, s2, v5
	s_and_saveexec_b64 s[2:3], vcc
	s_cbranch_execz .LBB523_60
; %bb.55:
	s_waitcnt lgkmcnt(1)
	v_and_b32_e32 v5, v7, v8
	v_and_b32_e32 v5, 1, v5
	v_cmp_eq_u32_e32 vcc, 1, v5
	s_and_saveexec_b64 s[4:5], vcc
	s_xor_b64 s[4:5], exec, s[4:5]
	s_cbranch_execz .LBB523_57
; %bb.56:
	s_waitcnt lgkmcnt(0)
	v_cmp_lt_i64_e32 vcc, v[3:4], v[1:2]
                                        ; implicit-def: $vgpr6
                                        ; implicit-def: $vgpr8
	v_cndmask_b32_e32 v2, v2, v4, vcc
	v_cndmask_b32_e32 v1, v1, v3, vcc
                                        ; implicit-def: $vgpr3_vgpr4
.LBB523_57:
	s_or_saveexec_b64 s[4:5], s[4:5]
	v_mov_b32_e32 v7, 1
	s_xor_b64 exec, exec, s[4:5]
	s_cbranch_execz .LBB523_59
; %bb.58:
	v_and_b32_e32 v5, 1, v6
	v_cmp_eq_u32_e32 vcc, 1, v5
	s_waitcnt lgkmcnt(0)
	v_cndmask_b32_e32 v2, v4, v2, vcc
	v_cndmask_b32_e32 v1, v3, v1, vcc
	v_cndmask_b32_e64 v7, v8, 1, vcc
.LBB523_59:
	s_or_b64 exec, exec, s[4:5]
.LBB523_60:
	s_or_b64 exec, exec, s[2:3]
.LBB523_61:
	s_or_b64 exec, exec, s[0:1]
.LBB523_62:
	v_cmp_eq_u32_e32 vcc, 0, v0
	s_and_saveexec_b64 s[0:1], vcc
	s_cbranch_execnz .LBB523_64
; %bb.63:
	s_endpgm
.LBB523_64:
	s_mul_i32 s0, s22, s21
	s_mul_hi_u32 s1, s22, s20
	s_add_i32 s0, s1, s0
	s_mul_i32 s1, s23, s20
	s_add_i32 s1, s0, s1
	s_mul_i32 s0, s22, s20
	s_lshl_b64 s[0:1], s[0:1], 4
	s_add_u32 s2, s18, s0
	s_addc_u32 s3, s19, s1
	s_cmp_eq_u64 s[16:17], 0
	s_waitcnt lgkmcnt(0)
	v_mov_b32_e32 v0, s9
	s_cselect_b64 vcc, -1, 0
	v_cndmask_b32_e32 v2, v2, v0, vcc
	v_mov_b32_e32 v0, s8
	s_lshl_b64 s[0:1], s[6:7], 4
	v_cndmask_b32_e32 v1, v1, v0, vcc
	v_mov_b32_e32 v0, s10
	s_add_u32 s0, s2, s0
	v_cndmask_b32_e32 v0, v7, v0, vcc
	s_addc_u32 s1, s3, s1
	v_mov_b32_e32 v3, 0
	global_store_byte v3, v0, s[0:1]
	global_store_dwordx2 v3, v[1:2], s[0:1] offset:8
	s_endpgm
	.section	.rodata,"a",@progbits
	.p2align	6, 0x0
	.amdhsa_kernel _ZN7rocprim17ROCPRIM_400000_NS6detail17trampoline_kernelINS0_14default_configENS1_22reduce_config_selectorIN6thrust23THRUST_200600_302600_NS5tupleIblNS6_9null_typeES8_S8_S8_S8_S8_S8_S8_EEEEZNS1_11reduce_implILb1ES3_NS6_12zip_iteratorINS7_INS6_11hip_rocprim26transform_input_iterator_tIbNSD_35transform_pair_of_input_iterators_tIbNS6_6detail15normal_iteratorINS6_10device_ptrIKxEEEESL_NS6_8equal_toIxEEEENSG_9not_fun_tINSD_8identityEEEEENSD_19counting_iterator_tIlEES8_S8_S8_S8_S8_S8_S8_S8_EEEEPS9_S9_NSD_9__find_if7functorIS9_EEEE10hipError_tPvRmT1_T2_T3_mT4_P12ihipStream_tbEUlT_E0_NS1_11comp_targetILNS1_3genE2ELNS1_11target_archE906ELNS1_3gpuE6ELNS1_3repE0EEENS1_30default_config_static_selectorELNS0_4arch9wavefront6targetE1EEEvS14_
		.amdhsa_group_segment_fixed_size 64
		.amdhsa_private_segment_fixed_size 0
		.amdhsa_kernarg_size 104
		.amdhsa_user_sgpr_count 6
		.amdhsa_user_sgpr_private_segment_buffer 1
		.amdhsa_user_sgpr_dispatch_ptr 0
		.amdhsa_user_sgpr_queue_ptr 0
		.amdhsa_user_sgpr_kernarg_segment_ptr 1
		.amdhsa_user_sgpr_dispatch_id 0
		.amdhsa_user_sgpr_flat_scratch_init 0
		.amdhsa_user_sgpr_private_segment_size 0
		.amdhsa_uses_dynamic_stack 0
		.amdhsa_system_sgpr_private_segment_wavefront_offset 0
		.amdhsa_system_sgpr_workgroup_id_x 1
		.amdhsa_system_sgpr_workgroup_id_y 0
		.amdhsa_system_sgpr_workgroup_id_z 0
		.amdhsa_system_sgpr_workgroup_info 0
		.amdhsa_system_vgpr_workitem_id 0
		.amdhsa_next_free_vgpr 18
		.amdhsa_next_free_sgpr 30
		.amdhsa_reserve_vcc 1
		.amdhsa_reserve_flat_scratch 0
		.amdhsa_float_round_mode_32 0
		.amdhsa_float_round_mode_16_64 0
		.amdhsa_float_denorm_mode_32 3
		.amdhsa_float_denorm_mode_16_64 3
		.amdhsa_dx10_clamp 1
		.amdhsa_ieee_mode 1
		.amdhsa_fp16_overflow 0
		.amdhsa_exception_fp_ieee_invalid_op 0
		.amdhsa_exception_fp_denorm_src 0
		.amdhsa_exception_fp_ieee_div_zero 0
		.amdhsa_exception_fp_ieee_overflow 0
		.amdhsa_exception_fp_ieee_underflow 0
		.amdhsa_exception_fp_ieee_inexact 0
		.amdhsa_exception_int_div_zero 0
	.end_amdhsa_kernel
	.section	.text._ZN7rocprim17ROCPRIM_400000_NS6detail17trampoline_kernelINS0_14default_configENS1_22reduce_config_selectorIN6thrust23THRUST_200600_302600_NS5tupleIblNS6_9null_typeES8_S8_S8_S8_S8_S8_S8_EEEEZNS1_11reduce_implILb1ES3_NS6_12zip_iteratorINS7_INS6_11hip_rocprim26transform_input_iterator_tIbNSD_35transform_pair_of_input_iterators_tIbNS6_6detail15normal_iteratorINS6_10device_ptrIKxEEEESL_NS6_8equal_toIxEEEENSG_9not_fun_tINSD_8identityEEEEENSD_19counting_iterator_tIlEES8_S8_S8_S8_S8_S8_S8_S8_EEEEPS9_S9_NSD_9__find_if7functorIS9_EEEE10hipError_tPvRmT1_T2_T3_mT4_P12ihipStream_tbEUlT_E0_NS1_11comp_targetILNS1_3genE2ELNS1_11target_archE906ELNS1_3gpuE6ELNS1_3repE0EEENS1_30default_config_static_selectorELNS0_4arch9wavefront6targetE1EEEvS14_,"axG",@progbits,_ZN7rocprim17ROCPRIM_400000_NS6detail17trampoline_kernelINS0_14default_configENS1_22reduce_config_selectorIN6thrust23THRUST_200600_302600_NS5tupleIblNS6_9null_typeES8_S8_S8_S8_S8_S8_S8_EEEEZNS1_11reduce_implILb1ES3_NS6_12zip_iteratorINS7_INS6_11hip_rocprim26transform_input_iterator_tIbNSD_35transform_pair_of_input_iterators_tIbNS6_6detail15normal_iteratorINS6_10device_ptrIKxEEEESL_NS6_8equal_toIxEEEENSG_9not_fun_tINSD_8identityEEEEENSD_19counting_iterator_tIlEES8_S8_S8_S8_S8_S8_S8_S8_EEEEPS9_S9_NSD_9__find_if7functorIS9_EEEE10hipError_tPvRmT1_T2_T3_mT4_P12ihipStream_tbEUlT_E0_NS1_11comp_targetILNS1_3genE2ELNS1_11target_archE906ELNS1_3gpuE6ELNS1_3repE0EEENS1_30default_config_static_selectorELNS0_4arch9wavefront6targetE1EEEvS14_,comdat
.Lfunc_end523:
	.size	_ZN7rocprim17ROCPRIM_400000_NS6detail17trampoline_kernelINS0_14default_configENS1_22reduce_config_selectorIN6thrust23THRUST_200600_302600_NS5tupleIblNS6_9null_typeES8_S8_S8_S8_S8_S8_S8_EEEEZNS1_11reduce_implILb1ES3_NS6_12zip_iteratorINS7_INS6_11hip_rocprim26transform_input_iterator_tIbNSD_35transform_pair_of_input_iterators_tIbNS6_6detail15normal_iteratorINS6_10device_ptrIKxEEEESL_NS6_8equal_toIxEEEENSG_9not_fun_tINSD_8identityEEEEENSD_19counting_iterator_tIlEES8_S8_S8_S8_S8_S8_S8_S8_EEEEPS9_S9_NSD_9__find_if7functorIS9_EEEE10hipError_tPvRmT1_T2_T3_mT4_P12ihipStream_tbEUlT_E0_NS1_11comp_targetILNS1_3genE2ELNS1_11target_archE906ELNS1_3gpuE6ELNS1_3repE0EEENS1_30default_config_static_selectorELNS0_4arch9wavefront6targetE1EEEvS14_, .Lfunc_end523-_ZN7rocprim17ROCPRIM_400000_NS6detail17trampoline_kernelINS0_14default_configENS1_22reduce_config_selectorIN6thrust23THRUST_200600_302600_NS5tupleIblNS6_9null_typeES8_S8_S8_S8_S8_S8_S8_EEEEZNS1_11reduce_implILb1ES3_NS6_12zip_iteratorINS7_INS6_11hip_rocprim26transform_input_iterator_tIbNSD_35transform_pair_of_input_iterators_tIbNS6_6detail15normal_iteratorINS6_10device_ptrIKxEEEESL_NS6_8equal_toIxEEEENSG_9not_fun_tINSD_8identityEEEEENSD_19counting_iterator_tIlEES8_S8_S8_S8_S8_S8_S8_S8_EEEEPS9_S9_NSD_9__find_if7functorIS9_EEEE10hipError_tPvRmT1_T2_T3_mT4_P12ihipStream_tbEUlT_E0_NS1_11comp_targetILNS1_3genE2ELNS1_11target_archE906ELNS1_3gpuE6ELNS1_3repE0EEENS1_30default_config_static_selectorELNS0_4arch9wavefront6targetE1EEEvS14_
                                        ; -- End function
	.set _ZN7rocprim17ROCPRIM_400000_NS6detail17trampoline_kernelINS0_14default_configENS1_22reduce_config_selectorIN6thrust23THRUST_200600_302600_NS5tupleIblNS6_9null_typeES8_S8_S8_S8_S8_S8_S8_EEEEZNS1_11reduce_implILb1ES3_NS6_12zip_iteratorINS7_INS6_11hip_rocprim26transform_input_iterator_tIbNSD_35transform_pair_of_input_iterators_tIbNS6_6detail15normal_iteratorINS6_10device_ptrIKxEEEESL_NS6_8equal_toIxEEEENSG_9not_fun_tINSD_8identityEEEEENSD_19counting_iterator_tIlEES8_S8_S8_S8_S8_S8_S8_S8_EEEEPS9_S9_NSD_9__find_if7functorIS9_EEEE10hipError_tPvRmT1_T2_T3_mT4_P12ihipStream_tbEUlT_E0_NS1_11comp_targetILNS1_3genE2ELNS1_11target_archE906ELNS1_3gpuE6ELNS1_3repE0EEENS1_30default_config_static_selectorELNS0_4arch9wavefront6targetE1EEEvS14_.num_vgpr, 18
	.set _ZN7rocprim17ROCPRIM_400000_NS6detail17trampoline_kernelINS0_14default_configENS1_22reduce_config_selectorIN6thrust23THRUST_200600_302600_NS5tupleIblNS6_9null_typeES8_S8_S8_S8_S8_S8_S8_EEEEZNS1_11reduce_implILb1ES3_NS6_12zip_iteratorINS7_INS6_11hip_rocprim26transform_input_iterator_tIbNSD_35transform_pair_of_input_iterators_tIbNS6_6detail15normal_iteratorINS6_10device_ptrIKxEEEESL_NS6_8equal_toIxEEEENSG_9not_fun_tINSD_8identityEEEEENSD_19counting_iterator_tIlEES8_S8_S8_S8_S8_S8_S8_S8_EEEEPS9_S9_NSD_9__find_if7functorIS9_EEEE10hipError_tPvRmT1_T2_T3_mT4_P12ihipStream_tbEUlT_E0_NS1_11comp_targetILNS1_3genE2ELNS1_11target_archE906ELNS1_3gpuE6ELNS1_3repE0EEENS1_30default_config_static_selectorELNS0_4arch9wavefront6targetE1EEEvS14_.num_agpr, 0
	.set _ZN7rocprim17ROCPRIM_400000_NS6detail17trampoline_kernelINS0_14default_configENS1_22reduce_config_selectorIN6thrust23THRUST_200600_302600_NS5tupleIblNS6_9null_typeES8_S8_S8_S8_S8_S8_S8_EEEEZNS1_11reduce_implILb1ES3_NS6_12zip_iteratorINS7_INS6_11hip_rocprim26transform_input_iterator_tIbNSD_35transform_pair_of_input_iterators_tIbNS6_6detail15normal_iteratorINS6_10device_ptrIKxEEEESL_NS6_8equal_toIxEEEENSG_9not_fun_tINSD_8identityEEEEENSD_19counting_iterator_tIlEES8_S8_S8_S8_S8_S8_S8_S8_EEEEPS9_S9_NSD_9__find_if7functorIS9_EEEE10hipError_tPvRmT1_T2_T3_mT4_P12ihipStream_tbEUlT_E0_NS1_11comp_targetILNS1_3genE2ELNS1_11target_archE906ELNS1_3gpuE6ELNS1_3repE0EEENS1_30default_config_static_selectorELNS0_4arch9wavefront6targetE1EEEvS14_.numbered_sgpr, 30
	.set _ZN7rocprim17ROCPRIM_400000_NS6detail17trampoline_kernelINS0_14default_configENS1_22reduce_config_selectorIN6thrust23THRUST_200600_302600_NS5tupleIblNS6_9null_typeES8_S8_S8_S8_S8_S8_S8_EEEEZNS1_11reduce_implILb1ES3_NS6_12zip_iteratorINS7_INS6_11hip_rocprim26transform_input_iterator_tIbNSD_35transform_pair_of_input_iterators_tIbNS6_6detail15normal_iteratorINS6_10device_ptrIKxEEEESL_NS6_8equal_toIxEEEENSG_9not_fun_tINSD_8identityEEEEENSD_19counting_iterator_tIlEES8_S8_S8_S8_S8_S8_S8_S8_EEEEPS9_S9_NSD_9__find_if7functorIS9_EEEE10hipError_tPvRmT1_T2_T3_mT4_P12ihipStream_tbEUlT_E0_NS1_11comp_targetILNS1_3genE2ELNS1_11target_archE906ELNS1_3gpuE6ELNS1_3repE0EEENS1_30default_config_static_selectorELNS0_4arch9wavefront6targetE1EEEvS14_.num_named_barrier, 0
	.set _ZN7rocprim17ROCPRIM_400000_NS6detail17trampoline_kernelINS0_14default_configENS1_22reduce_config_selectorIN6thrust23THRUST_200600_302600_NS5tupleIblNS6_9null_typeES8_S8_S8_S8_S8_S8_S8_EEEEZNS1_11reduce_implILb1ES3_NS6_12zip_iteratorINS7_INS6_11hip_rocprim26transform_input_iterator_tIbNSD_35transform_pair_of_input_iterators_tIbNS6_6detail15normal_iteratorINS6_10device_ptrIKxEEEESL_NS6_8equal_toIxEEEENSG_9not_fun_tINSD_8identityEEEEENSD_19counting_iterator_tIlEES8_S8_S8_S8_S8_S8_S8_S8_EEEEPS9_S9_NSD_9__find_if7functorIS9_EEEE10hipError_tPvRmT1_T2_T3_mT4_P12ihipStream_tbEUlT_E0_NS1_11comp_targetILNS1_3genE2ELNS1_11target_archE906ELNS1_3gpuE6ELNS1_3repE0EEENS1_30default_config_static_selectorELNS0_4arch9wavefront6targetE1EEEvS14_.private_seg_size, 0
	.set _ZN7rocprim17ROCPRIM_400000_NS6detail17trampoline_kernelINS0_14default_configENS1_22reduce_config_selectorIN6thrust23THRUST_200600_302600_NS5tupleIblNS6_9null_typeES8_S8_S8_S8_S8_S8_S8_EEEEZNS1_11reduce_implILb1ES3_NS6_12zip_iteratorINS7_INS6_11hip_rocprim26transform_input_iterator_tIbNSD_35transform_pair_of_input_iterators_tIbNS6_6detail15normal_iteratorINS6_10device_ptrIKxEEEESL_NS6_8equal_toIxEEEENSG_9not_fun_tINSD_8identityEEEEENSD_19counting_iterator_tIlEES8_S8_S8_S8_S8_S8_S8_S8_EEEEPS9_S9_NSD_9__find_if7functorIS9_EEEE10hipError_tPvRmT1_T2_T3_mT4_P12ihipStream_tbEUlT_E0_NS1_11comp_targetILNS1_3genE2ELNS1_11target_archE906ELNS1_3gpuE6ELNS1_3repE0EEENS1_30default_config_static_selectorELNS0_4arch9wavefront6targetE1EEEvS14_.uses_vcc, 1
	.set _ZN7rocprim17ROCPRIM_400000_NS6detail17trampoline_kernelINS0_14default_configENS1_22reduce_config_selectorIN6thrust23THRUST_200600_302600_NS5tupleIblNS6_9null_typeES8_S8_S8_S8_S8_S8_S8_EEEEZNS1_11reduce_implILb1ES3_NS6_12zip_iteratorINS7_INS6_11hip_rocprim26transform_input_iterator_tIbNSD_35transform_pair_of_input_iterators_tIbNS6_6detail15normal_iteratorINS6_10device_ptrIKxEEEESL_NS6_8equal_toIxEEEENSG_9not_fun_tINSD_8identityEEEEENSD_19counting_iterator_tIlEES8_S8_S8_S8_S8_S8_S8_S8_EEEEPS9_S9_NSD_9__find_if7functorIS9_EEEE10hipError_tPvRmT1_T2_T3_mT4_P12ihipStream_tbEUlT_E0_NS1_11comp_targetILNS1_3genE2ELNS1_11target_archE906ELNS1_3gpuE6ELNS1_3repE0EEENS1_30default_config_static_selectorELNS0_4arch9wavefront6targetE1EEEvS14_.uses_flat_scratch, 0
	.set _ZN7rocprim17ROCPRIM_400000_NS6detail17trampoline_kernelINS0_14default_configENS1_22reduce_config_selectorIN6thrust23THRUST_200600_302600_NS5tupleIblNS6_9null_typeES8_S8_S8_S8_S8_S8_S8_EEEEZNS1_11reduce_implILb1ES3_NS6_12zip_iteratorINS7_INS6_11hip_rocprim26transform_input_iterator_tIbNSD_35transform_pair_of_input_iterators_tIbNS6_6detail15normal_iteratorINS6_10device_ptrIKxEEEESL_NS6_8equal_toIxEEEENSG_9not_fun_tINSD_8identityEEEEENSD_19counting_iterator_tIlEES8_S8_S8_S8_S8_S8_S8_S8_EEEEPS9_S9_NSD_9__find_if7functorIS9_EEEE10hipError_tPvRmT1_T2_T3_mT4_P12ihipStream_tbEUlT_E0_NS1_11comp_targetILNS1_3genE2ELNS1_11target_archE906ELNS1_3gpuE6ELNS1_3repE0EEENS1_30default_config_static_selectorELNS0_4arch9wavefront6targetE1EEEvS14_.has_dyn_sized_stack, 0
	.set _ZN7rocprim17ROCPRIM_400000_NS6detail17trampoline_kernelINS0_14default_configENS1_22reduce_config_selectorIN6thrust23THRUST_200600_302600_NS5tupleIblNS6_9null_typeES8_S8_S8_S8_S8_S8_S8_EEEEZNS1_11reduce_implILb1ES3_NS6_12zip_iteratorINS7_INS6_11hip_rocprim26transform_input_iterator_tIbNSD_35transform_pair_of_input_iterators_tIbNS6_6detail15normal_iteratorINS6_10device_ptrIKxEEEESL_NS6_8equal_toIxEEEENSG_9not_fun_tINSD_8identityEEEEENSD_19counting_iterator_tIlEES8_S8_S8_S8_S8_S8_S8_S8_EEEEPS9_S9_NSD_9__find_if7functorIS9_EEEE10hipError_tPvRmT1_T2_T3_mT4_P12ihipStream_tbEUlT_E0_NS1_11comp_targetILNS1_3genE2ELNS1_11target_archE906ELNS1_3gpuE6ELNS1_3repE0EEENS1_30default_config_static_selectorELNS0_4arch9wavefront6targetE1EEEvS14_.has_recursion, 0
	.set _ZN7rocprim17ROCPRIM_400000_NS6detail17trampoline_kernelINS0_14default_configENS1_22reduce_config_selectorIN6thrust23THRUST_200600_302600_NS5tupleIblNS6_9null_typeES8_S8_S8_S8_S8_S8_S8_EEEEZNS1_11reduce_implILb1ES3_NS6_12zip_iteratorINS7_INS6_11hip_rocprim26transform_input_iterator_tIbNSD_35transform_pair_of_input_iterators_tIbNS6_6detail15normal_iteratorINS6_10device_ptrIKxEEEESL_NS6_8equal_toIxEEEENSG_9not_fun_tINSD_8identityEEEEENSD_19counting_iterator_tIlEES8_S8_S8_S8_S8_S8_S8_S8_EEEEPS9_S9_NSD_9__find_if7functorIS9_EEEE10hipError_tPvRmT1_T2_T3_mT4_P12ihipStream_tbEUlT_E0_NS1_11comp_targetILNS1_3genE2ELNS1_11target_archE906ELNS1_3gpuE6ELNS1_3repE0EEENS1_30default_config_static_selectorELNS0_4arch9wavefront6targetE1EEEvS14_.has_indirect_call, 0
	.section	.AMDGPU.csdata,"",@progbits
; Kernel info:
; codeLenInByte = 2796
; TotalNumSgprs: 34
; NumVgprs: 18
; ScratchSize: 0
; MemoryBound: 0
; FloatMode: 240
; IeeeMode: 1
; LDSByteSize: 64 bytes/workgroup (compile time only)
; SGPRBlocks: 4
; VGPRBlocks: 4
; NumSGPRsForWavesPerEU: 34
; NumVGPRsForWavesPerEU: 18
; Occupancy: 10
; WaveLimiterHint : 0
; COMPUTE_PGM_RSRC2:SCRATCH_EN: 0
; COMPUTE_PGM_RSRC2:USER_SGPR: 6
; COMPUTE_PGM_RSRC2:TRAP_HANDLER: 0
; COMPUTE_PGM_RSRC2:TGID_X_EN: 1
; COMPUTE_PGM_RSRC2:TGID_Y_EN: 0
; COMPUTE_PGM_RSRC2:TGID_Z_EN: 0
; COMPUTE_PGM_RSRC2:TIDIG_COMP_CNT: 0
	.section	.text._ZN7rocprim17ROCPRIM_400000_NS6detail17trampoline_kernelINS0_14default_configENS1_22reduce_config_selectorIN6thrust23THRUST_200600_302600_NS5tupleIblNS6_9null_typeES8_S8_S8_S8_S8_S8_S8_EEEEZNS1_11reduce_implILb1ES3_NS6_12zip_iteratorINS7_INS6_11hip_rocprim26transform_input_iterator_tIbNSD_35transform_pair_of_input_iterators_tIbNS6_6detail15normal_iteratorINS6_10device_ptrIKxEEEESL_NS6_8equal_toIxEEEENSG_9not_fun_tINSD_8identityEEEEENSD_19counting_iterator_tIlEES8_S8_S8_S8_S8_S8_S8_S8_EEEEPS9_S9_NSD_9__find_if7functorIS9_EEEE10hipError_tPvRmT1_T2_T3_mT4_P12ihipStream_tbEUlT_E0_NS1_11comp_targetILNS1_3genE10ELNS1_11target_archE1201ELNS1_3gpuE5ELNS1_3repE0EEENS1_30default_config_static_selectorELNS0_4arch9wavefront6targetE1EEEvS14_,"axG",@progbits,_ZN7rocprim17ROCPRIM_400000_NS6detail17trampoline_kernelINS0_14default_configENS1_22reduce_config_selectorIN6thrust23THRUST_200600_302600_NS5tupleIblNS6_9null_typeES8_S8_S8_S8_S8_S8_S8_EEEEZNS1_11reduce_implILb1ES3_NS6_12zip_iteratorINS7_INS6_11hip_rocprim26transform_input_iterator_tIbNSD_35transform_pair_of_input_iterators_tIbNS6_6detail15normal_iteratorINS6_10device_ptrIKxEEEESL_NS6_8equal_toIxEEEENSG_9not_fun_tINSD_8identityEEEEENSD_19counting_iterator_tIlEES8_S8_S8_S8_S8_S8_S8_S8_EEEEPS9_S9_NSD_9__find_if7functorIS9_EEEE10hipError_tPvRmT1_T2_T3_mT4_P12ihipStream_tbEUlT_E0_NS1_11comp_targetILNS1_3genE10ELNS1_11target_archE1201ELNS1_3gpuE5ELNS1_3repE0EEENS1_30default_config_static_selectorELNS0_4arch9wavefront6targetE1EEEvS14_,comdat
	.protected	_ZN7rocprim17ROCPRIM_400000_NS6detail17trampoline_kernelINS0_14default_configENS1_22reduce_config_selectorIN6thrust23THRUST_200600_302600_NS5tupleIblNS6_9null_typeES8_S8_S8_S8_S8_S8_S8_EEEEZNS1_11reduce_implILb1ES3_NS6_12zip_iteratorINS7_INS6_11hip_rocprim26transform_input_iterator_tIbNSD_35transform_pair_of_input_iterators_tIbNS6_6detail15normal_iteratorINS6_10device_ptrIKxEEEESL_NS6_8equal_toIxEEEENSG_9not_fun_tINSD_8identityEEEEENSD_19counting_iterator_tIlEES8_S8_S8_S8_S8_S8_S8_S8_EEEEPS9_S9_NSD_9__find_if7functorIS9_EEEE10hipError_tPvRmT1_T2_T3_mT4_P12ihipStream_tbEUlT_E0_NS1_11comp_targetILNS1_3genE10ELNS1_11target_archE1201ELNS1_3gpuE5ELNS1_3repE0EEENS1_30default_config_static_selectorELNS0_4arch9wavefront6targetE1EEEvS14_ ; -- Begin function _ZN7rocprim17ROCPRIM_400000_NS6detail17trampoline_kernelINS0_14default_configENS1_22reduce_config_selectorIN6thrust23THRUST_200600_302600_NS5tupleIblNS6_9null_typeES8_S8_S8_S8_S8_S8_S8_EEEEZNS1_11reduce_implILb1ES3_NS6_12zip_iteratorINS7_INS6_11hip_rocprim26transform_input_iterator_tIbNSD_35transform_pair_of_input_iterators_tIbNS6_6detail15normal_iteratorINS6_10device_ptrIKxEEEESL_NS6_8equal_toIxEEEENSG_9not_fun_tINSD_8identityEEEEENSD_19counting_iterator_tIlEES8_S8_S8_S8_S8_S8_S8_S8_EEEEPS9_S9_NSD_9__find_if7functorIS9_EEEE10hipError_tPvRmT1_T2_T3_mT4_P12ihipStream_tbEUlT_E0_NS1_11comp_targetILNS1_3genE10ELNS1_11target_archE1201ELNS1_3gpuE5ELNS1_3repE0EEENS1_30default_config_static_selectorELNS0_4arch9wavefront6targetE1EEEvS14_
	.globl	_ZN7rocprim17ROCPRIM_400000_NS6detail17trampoline_kernelINS0_14default_configENS1_22reduce_config_selectorIN6thrust23THRUST_200600_302600_NS5tupleIblNS6_9null_typeES8_S8_S8_S8_S8_S8_S8_EEEEZNS1_11reduce_implILb1ES3_NS6_12zip_iteratorINS7_INS6_11hip_rocprim26transform_input_iterator_tIbNSD_35transform_pair_of_input_iterators_tIbNS6_6detail15normal_iteratorINS6_10device_ptrIKxEEEESL_NS6_8equal_toIxEEEENSG_9not_fun_tINSD_8identityEEEEENSD_19counting_iterator_tIlEES8_S8_S8_S8_S8_S8_S8_S8_EEEEPS9_S9_NSD_9__find_if7functorIS9_EEEE10hipError_tPvRmT1_T2_T3_mT4_P12ihipStream_tbEUlT_E0_NS1_11comp_targetILNS1_3genE10ELNS1_11target_archE1201ELNS1_3gpuE5ELNS1_3repE0EEENS1_30default_config_static_selectorELNS0_4arch9wavefront6targetE1EEEvS14_
	.p2align	8
	.type	_ZN7rocprim17ROCPRIM_400000_NS6detail17trampoline_kernelINS0_14default_configENS1_22reduce_config_selectorIN6thrust23THRUST_200600_302600_NS5tupleIblNS6_9null_typeES8_S8_S8_S8_S8_S8_S8_EEEEZNS1_11reduce_implILb1ES3_NS6_12zip_iteratorINS7_INS6_11hip_rocprim26transform_input_iterator_tIbNSD_35transform_pair_of_input_iterators_tIbNS6_6detail15normal_iteratorINS6_10device_ptrIKxEEEESL_NS6_8equal_toIxEEEENSG_9not_fun_tINSD_8identityEEEEENSD_19counting_iterator_tIlEES8_S8_S8_S8_S8_S8_S8_S8_EEEEPS9_S9_NSD_9__find_if7functorIS9_EEEE10hipError_tPvRmT1_T2_T3_mT4_P12ihipStream_tbEUlT_E0_NS1_11comp_targetILNS1_3genE10ELNS1_11target_archE1201ELNS1_3gpuE5ELNS1_3repE0EEENS1_30default_config_static_selectorELNS0_4arch9wavefront6targetE1EEEvS14_,@function
_ZN7rocprim17ROCPRIM_400000_NS6detail17trampoline_kernelINS0_14default_configENS1_22reduce_config_selectorIN6thrust23THRUST_200600_302600_NS5tupleIblNS6_9null_typeES8_S8_S8_S8_S8_S8_S8_EEEEZNS1_11reduce_implILb1ES3_NS6_12zip_iteratorINS7_INS6_11hip_rocprim26transform_input_iterator_tIbNSD_35transform_pair_of_input_iterators_tIbNS6_6detail15normal_iteratorINS6_10device_ptrIKxEEEESL_NS6_8equal_toIxEEEENSG_9not_fun_tINSD_8identityEEEEENSD_19counting_iterator_tIlEES8_S8_S8_S8_S8_S8_S8_S8_EEEEPS9_S9_NSD_9__find_if7functorIS9_EEEE10hipError_tPvRmT1_T2_T3_mT4_P12ihipStream_tbEUlT_E0_NS1_11comp_targetILNS1_3genE10ELNS1_11target_archE1201ELNS1_3gpuE5ELNS1_3repE0EEENS1_30default_config_static_selectorELNS0_4arch9wavefront6targetE1EEEvS14_: ; @_ZN7rocprim17ROCPRIM_400000_NS6detail17trampoline_kernelINS0_14default_configENS1_22reduce_config_selectorIN6thrust23THRUST_200600_302600_NS5tupleIblNS6_9null_typeES8_S8_S8_S8_S8_S8_S8_EEEEZNS1_11reduce_implILb1ES3_NS6_12zip_iteratorINS7_INS6_11hip_rocprim26transform_input_iterator_tIbNSD_35transform_pair_of_input_iterators_tIbNS6_6detail15normal_iteratorINS6_10device_ptrIKxEEEESL_NS6_8equal_toIxEEEENSG_9not_fun_tINSD_8identityEEEEENSD_19counting_iterator_tIlEES8_S8_S8_S8_S8_S8_S8_S8_EEEEPS9_S9_NSD_9__find_if7functorIS9_EEEE10hipError_tPvRmT1_T2_T3_mT4_P12ihipStream_tbEUlT_E0_NS1_11comp_targetILNS1_3genE10ELNS1_11target_archE1201ELNS1_3gpuE5ELNS1_3repE0EEENS1_30default_config_static_selectorELNS0_4arch9wavefront6targetE1EEEvS14_
; %bb.0:
	.section	.rodata,"a",@progbits
	.p2align	6, 0x0
	.amdhsa_kernel _ZN7rocprim17ROCPRIM_400000_NS6detail17trampoline_kernelINS0_14default_configENS1_22reduce_config_selectorIN6thrust23THRUST_200600_302600_NS5tupleIblNS6_9null_typeES8_S8_S8_S8_S8_S8_S8_EEEEZNS1_11reduce_implILb1ES3_NS6_12zip_iteratorINS7_INS6_11hip_rocprim26transform_input_iterator_tIbNSD_35transform_pair_of_input_iterators_tIbNS6_6detail15normal_iteratorINS6_10device_ptrIKxEEEESL_NS6_8equal_toIxEEEENSG_9not_fun_tINSD_8identityEEEEENSD_19counting_iterator_tIlEES8_S8_S8_S8_S8_S8_S8_S8_EEEEPS9_S9_NSD_9__find_if7functorIS9_EEEE10hipError_tPvRmT1_T2_T3_mT4_P12ihipStream_tbEUlT_E0_NS1_11comp_targetILNS1_3genE10ELNS1_11target_archE1201ELNS1_3gpuE5ELNS1_3repE0EEENS1_30default_config_static_selectorELNS0_4arch9wavefront6targetE1EEEvS14_
		.amdhsa_group_segment_fixed_size 0
		.amdhsa_private_segment_fixed_size 0
		.amdhsa_kernarg_size 104
		.amdhsa_user_sgpr_count 6
		.amdhsa_user_sgpr_private_segment_buffer 1
		.amdhsa_user_sgpr_dispatch_ptr 0
		.amdhsa_user_sgpr_queue_ptr 0
		.amdhsa_user_sgpr_kernarg_segment_ptr 1
		.amdhsa_user_sgpr_dispatch_id 0
		.amdhsa_user_sgpr_flat_scratch_init 0
		.amdhsa_user_sgpr_private_segment_size 0
		.amdhsa_uses_dynamic_stack 0
		.amdhsa_system_sgpr_private_segment_wavefront_offset 0
		.amdhsa_system_sgpr_workgroup_id_x 1
		.amdhsa_system_sgpr_workgroup_id_y 0
		.amdhsa_system_sgpr_workgroup_id_z 0
		.amdhsa_system_sgpr_workgroup_info 0
		.amdhsa_system_vgpr_workitem_id 0
		.amdhsa_next_free_vgpr 1
		.amdhsa_next_free_sgpr 0
		.amdhsa_reserve_vcc 0
		.amdhsa_reserve_flat_scratch 0
		.amdhsa_float_round_mode_32 0
		.amdhsa_float_round_mode_16_64 0
		.amdhsa_float_denorm_mode_32 3
		.amdhsa_float_denorm_mode_16_64 3
		.amdhsa_dx10_clamp 1
		.amdhsa_ieee_mode 1
		.amdhsa_fp16_overflow 0
		.amdhsa_exception_fp_ieee_invalid_op 0
		.amdhsa_exception_fp_denorm_src 0
		.amdhsa_exception_fp_ieee_div_zero 0
		.amdhsa_exception_fp_ieee_overflow 0
		.amdhsa_exception_fp_ieee_underflow 0
		.amdhsa_exception_fp_ieee_inexact 0
		.amdhsa_exception_int_div_zero 0
	.end_amdhsa_kernel
	.section	.text._ZN7rocprim17ROCPRIM_400000_NS6detail17trampoline_kernelINS0_14default_configENS1_22reduce_config_selectorIN6thrust23THRUST_200600_302600_NS5tupleIblNS6_9null_typeES8_S8_S8_S8_S8_S8_S8_EEEEZNS1_11reduce_implILb1ES3_NS6_12zip_iteratorINS7_INS6_11hip_rocprim26transform_input_iterator_tIbNSD_35transform_pair_of_input_iterators_tIbNS6_6detail15normal_iteratorINS6_10device_ptrIKxEEEESL_NS6_8equal_toIxEEEENSG_9not_fun_tINSD_8identityEEEEENSD_19counting_iterator_tIlEES8_S8_S8_S8_S8_S8_S8_S8_EEEEPS9_S9_NSD_9__find_if7functorIS9_EEEE10hipError_tPvRmT1_T2_T3_mT4_P12ihipStream_tbEUlT_E0_NS1_11comp_targetILNS1_3genE10ELNS1_11target_archE1201ELNS1_3gpuE5ELNS1_3repE0EEENS1_30default_config_static_selectorELNS0_4arch9wavefront6targetE1EEEvS14_,"axG",@progbits,_ZN7rocprim17ROCPRIM_400000_NS6detail17trampoline_kernelINS0_14default_configENS1_22reduce_config_selectorIN6thrust23THRUST_200600_302600_NS5tupleIblNS6_9null_typeES8_S8_S8_S8_S8_S8_S8_EEEEZNS1_11reduce_implILb1ES3_NS6_12zip_iteratorINS7_INS6_11hip_rocprim26transform_input_iterator_tIbNSD_35transform_pair_of_input_iterators_tIbNS6_6detail15normal_iteratorINS6_10device_ptrIKxEEEESL_NS6_8equal_toIxEEEENSG_9not_fun_tINSD_8identityEEEEENSD_19counting_iterator_tIlEES8_S8_S8_S8_S8_S8_S8_S8_EEEEPS9_S9_NSD_9__find_if7functorIS9_EEEE10hipError_tPvRmT1_T2_T3_mT4_P12ihipStream_tbEUlT_E0_NS1_11comp_targetILNS1_3genE10ELNS1_11target_archE1201ELNS1_3gpuE5ELNS1_3repE0EEENS1_30default_config_static_selectorELNS0_4arch9wavefront6targetE1EEEvS14_,comdat
.Lfunc_end524:
	.size	_ZN7rocprim17ROCPRIM_400000_NS6detail17trampoline_kernelINS0_14default_configENS1_22reduce_config_selectorIN6thrust23THRUST_200600_302600_NS5tupleIblNS6_9null_typeES8_S8_S8_S8_S8_S8_S8_EEEEZNS1_11reduce_implILb1ES3_NS6_12zip_iteratorINS7_INS6_11hip_rocprim26transform_input_iterator_tIbNSD_35transform_pair_of_input_iterators_tIbNS6_6detail15normal_iteratorINS6_10device_ptrIKxEEEESL_NS6_8equal_toIxEEEENSG_9not_fun_tINSD_8identityEEEEENSD_19counting_iterator_tIlEES8_S8_S8_S8_S8_S8_S8_S8_EEEEPS9_S9_NSD_9__find_if7functorIS9_EEEE10hipError_tPvRmT1_T2_T3_mT4_P12ihipStream_tbEUlT_E0_NS1_11comp_targetILNS1_3genE10ELNS1_11target_archE1201ELNS1_3gpuE5ELNS1_3repE0EEENS1_30default_config_static_selectorELNS0_4arch9wavefront6targetE1EEEvS14_, .Lfunc_end524-_ZN7rocprim17ROCPRIM_400000_NS6detail17trampoline_kernelINS0_14default_configENS1_22reduce_config_selectorIN6thrust23THRUST_200600_302600_NS5tupleIblNS6_9null_typeES8_S8_S8_S8_S8_S8_S8_EEEEZNS1_11reduce_implILb1ES3_NS6_12zip_iteratorINS7_INS6_11hip_rocprim26transform_input_iterator_tIbNSD_35transform_pair_of_input_iterators_tIbNS6_6detail15normal_iteratorINS6_10device_ptrIKxEEEESL_NS6_8equal_toIxEEEENSG_9not_fun_tINSD_8identityEEEEENSD_19counting_iterator_tIlEES8_S8_S8_S8_S8_S8_S8_S8_EEEEPS9_S9_NSD_9__find_if7functorIS9_EEEE10hipError_tPvRmT1_T2_T3_mT4_P12ihipStream_tbEUlT_E0_NS1_11comp_targetILNS1_3genE10ELNS1_11target_archE1201ELNS1_3gpuE5ELNS1_3repE0EEENS1_30default_config_static_selectorELNS0_4arch9wavefront6targetE1EEEvS14_
                                        ; -- End function
	.set _ZN7rocprim17ROCPRIM_400000_NS6detail17trampoline_kernelINS0_14default_configENS1_22reduce_config_selectorIN6thrust23THRUST_200600_302600_NS5tupleIblNS6_9null_typeES8_S8_S8_S8_S8_S8_S8_EEEEZNS1_11reduce_implILb1ES3_NS6_12zip_iteratorINS7_INS6_11hip_rocprim26transform_input_iterator_tIbNSD_35transform_pair_of_input_iterators_tIbNS6_6detail15normal_iteratorINS6_10device_ptrIKxEEEESL_NS6_8equal_toIxEEEENSG_9not_fun_tINSD_8identityEEEEENSD_19counting_iterator_tIlEES8_S8_S8_S8_S8_S8_S8_S8_EEEEPS9_S9_NSD_9__find_if7functorIS9_EEEE10hipError_tPvRmT1_T2_T3_mT4_P12ihipStream_tbEUlT_E0_NS1_11comp_targetILNS1_3genE10ELNS1_11target_archE1201ELNS1_3gpuE5ELNS1_3repE0EEENS1_30default_config_static_selectorELNS0_4arch9wavefront6targetE1EEEvS14_.num_vgpr, 0
	.set _ZN7rocprim17ROCPRIM_400000_NS6detail17trampoline_kernelINS0_14default_configENS1_22reduce_config_selectorIN6thrust23THRUST_200600_302600_NS5tupleIblNS6_9null_typeES8_S8_S8_S8_S8_S8_S8_EEEEZNS1_11reduce_implILb1ES3_NS6_12zip_iteratorINS7_INS6_11hip_rocprim26transform_input_iterator_tIbNSD_35transform_pair_of_input_iterators_tIbNS6_6detail15normal_iteratorINS6_10device_ptrIKxEEEESL_NS6_8equal_toIxEEEENSG_9not_fun_tINSD_8identityEEEEENSD_19counting_iterator_tIlEES8_S8_S8_S8_S8_S8_S8_S8_EEEEPS9_S9_NSD_9__find_if7functorIS9_EEEE10hipError_tPvRmT1_T2_T3_mT4_P12ihipStream_tbEUlT_E0_NS1_11comp_targetILNS1_3genE10ELNS1_11target_archE1201ELNS1_3gpuE5ELNS1_3repE0EEENS1_30default_config_static_selectorELNS0_4arch9wavefront6targetE1EEEvS14_.num_agpr, 0
	.set _ZN7rocprim17ROCPRIM_400000_NS6detail17trampoline_kernelINS0_14default_configENS1_22reduce_config_selectorIN6thrust23THRUST_200600_302600_NS5tupleIblNS6_9null_typeES8_S8_S8_S8_S8_S8_S8_EEEEZNS1_11reduce_implILb1ES3_NS6_12zip_iteratorINS7_INS6_11hip_rocprim26transform_input_iterator_tIbNSD_35transform_pair_of_input_iterators_tIbNS6_6detail15normal_iteratorINS6_10device_ptrIKxEEEESL_NS6_8equal_toIxEEEENSG_9not_fun_tINSD_8identityEEEEENSD_19counting_iterator_tIlEES8_S8_S8_S8_S8_S8_S8_S8_EEEEPS9_S9_NSD_9__find_if7functorIS9_EEEE10hipError_tPvRmT1_T2_T3_mT4_P12ihipStream_tbEUlT_E0_NS1_11comp_targetILNS1_3genE10ELNS1_11target_archE1201ELNS1_3gpuE5ELNS1_3repE0EEENS1_30default_config_static_selectorELNS0_4arch9wavefront6targetE1EEEvS14_.numbered_sgpr, 0
	.set _ZN7rocprim17ROCPRIM_400000_NS6detail17trampoline_kernelINS0_14default_configENS1_22reduce_config_selectorIN6thrust23THRUST_200600_302600_NS5tupleIblNS6_9null_typeES8_S8_S8_S8_S8_S8_S8_EEEEZNS1_11reduce_implILb1ES3_NS6_12zip_iteratorINS7_INS6_11hip_rocprim26transform_input_iterator_tIbNSD_35transform_pair_of_input_iterators_tIbNS6_6detail15normal_iteratorINS6_10device_ptrIKxEEEESL_NS6_8equal_toIxEEEENSG_9not_fun_tINSD_8identityEEEEENSD_19counting_iterator_tIlEES8_S8_S8_S8_S8_S8_S8_S8_EEEEPS9_S9_NSD_9__find_if7functorIS9_EEEE10hipError_tPvRmT1_T2_T3_mT4_P12ihipStream_tbEUlT_E0_NS1_11comp_targetILNS1_3genE10ELNS1_11target_archE1201ELNS1_3gpuE5ELNS1_3repE0EEENS1_30default_config_static_selectorELNS0_4arch9wavefront6targetE1EEEvS14_.num_named_barrier, 0
	.set _ZN7rocprim17ROCPRIM_400000_NS6detail17trampoline_kernelINS0_14default_configENS1_22reduce_config_selectorIN6thrust23THRUST_200600_302600_NS5tupleIblNS6_9null_typeES8_S8_S8_S8_S8_S8_S8_EEEEZNS1_11reduce_implILb1ES3_NS6_12zip_iteratorINS7_INS6_11hip_rocprim26transform_input_iterator_tIbNSD_35transform_pair_of_input_iterators_tIbNS6_6detail15normal_iteratorINS6_10device_ptrIKxEEEESL_NS6_8equal_toIxEEEENSG_9not_fun_tINSD_8identityEEEEENSD_19counting_iterator_tIlEES8_S8_S8_S8_S8_S8_S8_S8_EEEEPS9_S9_NSD_9__find_if7functorIS9_EEEE10hipError_tPvRmT1_T2_T3_mT4_P12ihipStream_tbEUlT_E0_NS1_11comp_targetILNS1_3genE10ELNS1_11target_archE1201ELNS1_3gpuE5ELNS1_3repE0EEENS1_30default_config_static_selectorELNS0_4arch9wavefront6targetE1EEEvS14_.private_seg_size, 0
	.set _ZN7rocprim17ROCPRIM_400000_NS6detail17trampoline_kernelINS0_14default_configENS1_22reduce_config_selectorIN6thrust23THRUST_200600_302600_NS5tupleIblNS6_9null_typeES8_S8_S8_S8_S8_S8_S8_EEEEZNS1_11reduce_implILb1ES3_NS6_12zip_iteratorINS7_INS6_11hip_rocprim26transform_input_iterator_tIbNSD_35transform_pair_of_input_iterators_tIbNS6_6detail15normal_iteratorINS6_10device_ptrIKxEEEESL_NS6_8equal_toIxEEEENSG_9not_fun_tINSD_8identityEEEEENSD_19counting_iterator_tIlEES8_S8_S8_S8_S8_S8_S8_S8_EEEEPS9_S9_NSD_9__find_if7functorIS9_EEEE10hipError_tPvRmT1_T2_T3_mT4_P12ihipStream_tbEUlT_E0_NS1_11comp_targetILNS1_3genE10ELNS1_11target_archE1201ELNS1_3gpuE5ELNS1_3repE0EEENS1_30default_config_static_selectorELNS0_4arch9wavefront6targetE1EEEvS14_.uses_vcc, 0
	.set _ZN7rocprim17ROCPRIM_400000_NS6detail17trampoline_kernelINS0_14default_configENS1_22reduce_config_selectorIN6thrust23THRUST_200600_302600_NS5tupleIblNS6_9null_typeES8_S8_S8_S8_S8_S8_S8_EEEEZNS1_11reduce_implILb1ES3_NS6_12zip_iteratorINS7_INS6_11hip_rocprim26transform_input_iterator_tIbNSD_35transform_pair_of_input_iterators_tIbNS6_6detail15normal_iteratorINS6_10device_ptrIKxEEEESL_NS6_8equal_toIxEEEENSG_9not_fun_tINSD_8identityEEEEENSD_19counting_iterator_tIlEES8_S8_S8_S8_S8_S8_S8_S8_EEEEPS9_S9_NSD_9__find_if7functorIS9_EEEE10hipError_tPvRmT1_T2_T3_mT4_P12ihipStream_tbEUlT_E0_NS1_11comp_targetILNS1_3genE10ELNS1_11target_archE1201ELNS1_3gpuE5ELNS1_3repE0EEENS1_30default_config_static_selectorELNS0_4arch9wavefront6targetE1EEEvS14_.uses_flat_scratch, 0
	.set _ZN7rocprim17ROCPRIM_400000_NS6detail17trampoline_kernelINS0_14default_configENS1_22reduce_config_selectorIN6thrust23THRUST_200600_302600_NS5tupleIblNS6_9null_typeES8_S8_S8_S8_S8_S8_S8_EEEEZNS1_11reduce_implILb1ES3_NS6_12zip_iteratorINS7_INS6_11hip_rocprim26transform_input_iterator_tIbNSD_35transform_pair_of_input_iterators_tIbNS6_6detail15normal_iteratorINS6_10device_ptrIKxEEEESL_NS6_8equal_toIxEEEENSG_9not_fun_tINSD_8identityEEEEENSD_19counting_iterator_tIlEES8_S8_S8_S8_S8_S8_S8_S8_EEEEPS9_S9_NSD_9__find_if7functorIS9_EEEE10hipError_tPvRmT1_T2_T3_mT4_P12ihipStream_tbEUlT_E0_NS1_11comp_targetILNS1_3genE10ELNS1_11target_archE1201ELNS1_3gpuE5ELNS1_3repE0EEENS1_30default_config_static_selectorELNS0_4arch9wavefront6targetE1EEEvS14_.has_dyn_sized_stack, 0
	.set _ZN7rocprim17ROCPRIM_400000_NS6detail17trampoline_kernelINS0_14default_configENS1_22reduce_config_selectorIN6thrust23THRUST_200600_302600_NS5tupleIblNS6_9null_typeES8_S8_S8_S8_S8_S8_S8_EEEEZNS1_11reduce_implILb1ES3_NS6_12zip_iteratorINS7_INS6_11hip_rocprim26transform_input_iterator_tIbNSD_35transform_pair_of_input_iterators_tIbNS6_6detail15normal_iteratorINS6_10device_ptrIKxEEEESL_NS6_8equal_toIxEEEENSG_9not_fun_tINSD_8identityEEEEENSD_19counting_iterator_tIlEES8_S8_S8_S8_S8_S8_S8_S8_EEEEPS9_S9_NSD_9__find_if7functorIS9_EEEE10hipError_tPvRmT1_T2_T3_mT4_P12ihipStream_tbEUlT_E0_NS1_11comp_targetILNS1_3genE10ELNS1_11target_archE1201ELNS1_3gpuE5ELNS1_3repE0EEENS1_30default_config_static_selectorELNS0_4arch9wavefront6targetE1EEEvS14_.has_recursion, 0
	.set _ZN7rocprim17ROCPRIM_400000_NS6detail17trampoline_kernelINS0_14default_configENS1_22reduce_config_selectorIN6thrust23THRUST_200600_302600_NS5tupleIblNS6_9null_typeES8_S8_S8_S8_S8_S8_S8_EEEEZNS1_11reduce_implILb1ES3_NS6_12zip_iteratorINS7_INS6_11hip_rocprim26transform_input_iterator_tIbNSD_35transform_pair_of_input_iterators_tIbNS6_6detail15normal_iteratorINS6_10device_ptrIKxEEEESL_NS6_8equal_toIxEEEENSG_9not_fun_tINSD_8identityEEEEENSD_19counting_iterator_tIlEES8_S8_S8_S8_S8_S8_S8_S8_EEEEPS9_S9_NSD_9__find_if7functorIS9_EEEE10hipError_tPvRmT1_T2_T3_mT4_P12ihipStream_tbEUlT_E0_NS1_11comp_targetILNS1_3genE10ELNS1_11target_archE1201ELNS1_3gpuE5ELNS1_3repE0EEENS1_30default_config_static_selectorELNS0_4arch9wavefront6targetE1EEEvS14_.has_indirect_call, 0
	.section	.AMDGPU.csdata,"",@progbits
; Kernel info:
; codeLenInByte = 0
; TotalNumSgprs: 4
; NumVgprs: 0
; ScratchSize: 0
; MemoryBound: 0
; FloatMode: 240
; IeeeMode: 1
; LDSByteSize: 0 bytes/workgroup (compile time only)
; SGPRBlocks: 0
; VGPRBlocks: 0
; NumSGPRsForWavesPerEU: 4
; NumVGPRsForWavesPerEU: 1
; Occupancy: 10
; WaveLimiterHint : 0
; COMPUTE_PGM_RSRC2:SCRATCH_EN: 0
; COMPUTE_PGM_RSRC2:USER_SGPR: 6
; COMPUTE_PGM_RSRC2:TRAP_HANDLER: 0
; COMPUTE_PGM_RSRC2:TGID_X_EN: 1
; COMPUTE_PGM_RSRC2:TGID_Y_EN: 0
; COMPUTE_PGM_RSRC2:TGID_Z_EN: 0
; COMPUTE_PGM_RSRC2:TIDIG_COMP_CNT: 0
	.section	.text._ZN7rocprim17ROCPRIM_400000_NS6detail17trampoline_kernelINS0_14default_configENS1_22reduce_config_selectorIN6thrust23THRUST_200600_302600_NS5tupleIblNS6_9null_typeES8_S8_S8_S8_S8_S8_S8_EEEEZNS1_11reduce_implILb1ES3_NS6_12zip_iteratorINS7_INS6_11hip_rocprim26transform_input_iterator_tIbNSD_35transform_pair_of_input_iterators_tIbNS6_6detail15normal_iteratorINS6_10device_ptrIKxEEEESL_NS6_8equal_toIxEEEENSG_9not_fun_tINSD_8identityEEEEENSD_19counting_iterator_tIlEES8_S8_S8_S8_S8_S8_S8_S8_EEEEPS9_S9_NSD_9__find_if7functorIS9_EEEE10hipError_tPvRmT1_T2_T3_mT4_P12ihipStream_tbEUlT_E0_NS1_11comp_targetILNS1_3genE10ELNS1_11target_archE1200ELNS1_3gpuE4ELNS1_3repE0EEENS1_30default_config_static_selectorELNS0_4arch9wavefront6targetE1EEEvS14_,"axG",@progbits,_ZN7rocprim17ROCPRIM_400000_NS6detail17trampoline_kernelINS0_14default_configENS1_22reduce_config_selectorIN6thrust23THRUST_200600_302600_NS5tupleIblNS6_9null_typeES8_S8_S8_S8_S8_S8_S8_EEEEZNS1_11reduce_implILb1ES3_NS6_12zip_iteratorINS7_INS6_11hip_rocprim26transform_input_iterator_tIbNSD_35transform_pair_of_input_iterators_tIbNS6_6detail15normal_iteratorINS6_10device_ptrIKxEEEESL_NS6_8equal_toIxEEEENSG_9not_fun_tINSD_8identityEEEEENSD_19counting_iterator_tIlEES8_S8_S8_S8_S8_S8_S8_S8_EEEEPS9_S9_NSD_9__find_if7functorIS9_EEEE10hipError_tPvRmT1_T2_T3_mT4_P12ihipStream_tbEUlT_E0_NS1_11comp_targetILNS1_3genE10ELNS1_11target_archE1200ELNS1_3gpuE4ELNS1_3repE0EEENS1_30default_config_static_selectorELNS0_4arch9wavefront6targetE1EEEvS14_,comdat
	.protected	_ZN7rocprim17ROCPRIM_400000_NS6detail17trampoline_kernelINS0_14default_configENS1_22reduce_config_selectorIN6thrust23THRUST_200600_302600_NS5tupleIblNS6_9null_typeES8_S8_S8_S8_S8_S8_S8_EEEEZNS1_11reduce_implILb1ES3_NS6_12zip_iteratorINS7_INS6_11hip_rocprim26transform_input_iterator_tIbNSD_35transform_pair_of_input_iterators_tIbNS6_6detail15normal_iteratorINS6_10device_ptrIKxEEEESL_NS6_8equal_toIxEEEENSG_9not_fun_tINSD_8identityEEEEENSD_19counting_iterator_tIlEES8_S8_S8_S8_S8_S8_S8_S8_EEEEPS9_S9_NSD_9__find_if7functorIS9_EEEE10hipError_tPvRmT1_T2_T3_mT4_P12ihipStream_tbEUlT_E0_NS1_11comp_targetILNS1_3genE10ELNS1_11target_archE1200ELNS1_3gpuE4ELNS1_3repE0EEENS1_30default_config_static_selectorELNS0_4arch9wavefront6targetE1EEEvS14_ ; -- Begin function _ZN7rocprim17ROCPRIM_400000_NS6detail17trampoline_kernelINS0_14default_configENS1_22reduce_config_selectorIN6thrust23THRUST_200600_302600_NS5tupleIblNS6_9null_typeES8_S8_S8_S8_S8_S8_S8_EEEEZNS1_11reduce_implILb1ES3_NS6_12zip_iteratorINS7_INS6_11hip_rocprim26transform_input_iterator_tIbNSD_35transform_pair_of_input_iterators_tIbNS6_6detail15normal_iteratorINS6_10device_ptrIKxEEEESL_NS6_8equal_toIxEEEENSG_9not_fun_tINSD_8identityEEEEENSD_19counting_iterator_tIlEES8_S8_S8_S8_S8_S8_S8_S8_EEEEPS9_S9_NSD_9__find_if7functorIS9_EEEE10hipError_tPvRmT1_T2_T3_mT4_P12ihipStream_tbEUlT_E0_NS1_11comp_targetILNS1_3genE10ELNS1_11target_archE1200ELNS1_3gpuE4ELNS1_3repE0EEENS1_30default_config_static_selectorELNS0_4arch9wavefront6targetE1EEEvS14_
	.globl	_ZN7rocprim17ROCPRIM_400000_NS6detail17trampoline_kernelINS0_14default_configENS1_22reduce_config_selectorIN6thrust23THRUST_200600_302600_NS5tupleIblNS6_9null_typeES8_S8_S8_S8_S8_S8_S8_EEEEZNS1_11reduce_implILb1ES3_NS6_12zip_iteratorINS7_INS6_11hip_rocprim26transform_input_iterator_tIbNSD_35transform_pair_of_input_iterators_tIbNS6_6detail15normal_iteratorINS6_10device_ptrIKxEEEESL_NS6_8equal_toIxEEEENSG_9not_fun_tINSD_8identityEEEEENSD_19counting_iterator_tIlEES8_S8_S8_S8_S8_S8_S8_S8_EEEEPS9_S9_NSD_9__find_if7functorIS9_EEEE10hipError_tPvRmT1_T2_T3_mT4_P12ihipStream_tbEUlT_E0_NS1_11comp_targetILNS1_3genE10ELNS1_11target_archE1200ELNS1_3gpuE4ELNS1_3repE0EEENS1_30default_config_static_selectorELNS0_4arch9wavefront6targetE1EEEvS14_
	.p2align	8
	.type	_ZN7rocprim17ROCPRIM_400000_NS6detail17trampoline_kernelINS0_14default_configENS1_22reduce_config_selectorIN6thrust23THRUST_200600_302600_NS5tupleIblNS6_9null_typeES8_S8_S8_S8_S8_S8_S8_EEEEZNS1_11reduce_implILb1ES3_NS6_12zip_iteratorINS7_INS6_11hip_rocprim26transform_input_iterator_tIbNSD_35transform_pair_of_input_iterators_tIbNS6_6detail15normal_iteratorINS6_10device_ptrIKxEEEESL_NS6_8equal_toIxEEEENSG_9not_fun_tINSD_8identityEEEEENSD_19counting_iterator_tIlEES8_S8_S8_S8_S8_S8_S8_S8_EEEEPS9_S9_NSD_9__find_if7functorIS9_EEEE10hipError_tPvRmT1_T2_T3_mT4_P12ihipStream_tbEUlT_E0_NS1_11comp_targetILNS1_3genE10ELNS1_11target_archE1200ELNS1_3gpuE4ELNS1_3repE0EEENS1_30default_config_static_selectorELNS0_4arch9wavefront6targetE1EEEvS14_,@function
_ZN7rocprim17ROCPRIM_400000_NS6detail17trampoline_kernelINS0_14default_configENS1_22reduce_config_selectorIN6thrust23THRUST_200600_302600_NS5tupleIblNS6_9null_typeES8_S8_S8_S8_S8_S8_S8_EEEEZNS1_11reduce_implILb1ES3_NS6_12zip_iteratorINS7_INS6_11hip_rocprim26transform_input_iterator_tIbNSD_35transform_pair_of_input_iterators_tIbNS6_6detail15normal_iteratorINS6_10device_ptrIKxEEEESL_NS6_8equal_toIxEEEENSG_9not_fun_tINSD_8identityEEEEENSD_19counting_iterator_tIlEES8_S8_S8_S8_S8_S8_S8_S8_EEEEPS9_S9_NSD_9__find_if7functorIS9_EEEE10hipError_tPvRmT1_T2_T3_mT4_P12ihipStream_tbEUlT_E0_NS1_11comp_targetILNS1_3genE10ELNS1_11target_archE1200ELNS1_3gpuE4ELNS1_3repE0EEENS1_30default_config_static_selectorELNS0_4arch9wavefront6targetE1EEEvS14_: ; @_ZN7rocprim17ROCPRIM_400000_NS6detail17trampoline_kernelINS0_14default_configENS1_22reduce_config_selectorIN6thrust23THRUST_200600_302600_NS5tupleIblNS6_9null_typeES8_S8_S8_S8_S8_S8_S8_EEEEZNS1_11reduce_implILb1ES3_NS6_12zip_iteratorINS7_INS6_11hip_rocprim26transform_input_iterator_tIbNSD_35transform_pair_of_input_iterators_tIbNS6_6detail15normal_iteratorINS6_10device_ptrIKxEEEESL_NS6_8equal_toIxEEEENSG_9not_fun_tINSD_8identityEEEEENSD_19counting_iterator_tIlEES8_S8_S8_S8_S8_S8_S8_S8_EEEEPS9_S9_NSD_9__find_if7functorIS9_EEEE10hipError_tPvRmT1_T2_T3_mT4_P12ihipStream_tbEUlT_E0_NS1_11comp_targetILNS1_3genE10ELNS1_11target_archE1200ELNS1_3gpuE4ELNS1_3repE0EEENS1_30default_config_static_selectorELNS0_4arch9wavefront6targetE1EEEvS14_
; %bb.0:
	.section	.rodata,"a",@progbits
	.p2align	6, 0x0
	.amdhsa_kernel _ZN7rocprim17ROCPRIM_400000_NS6detail17trampoline_kernelINS0_14default_configENS1_22reduce_config_selectorIN6thrust23THRUST_200600_302600_NS5tupleIblNS6_9null_typeES8_S8_S8_S8_S8_S8_S8_EEEEZNS1_11reduce_implILb1ES3_NS6_12zip_iteratorINS7_INS6_11hip_rocprim26transform_input_iterator_tIbNSD_35transform_pair_of_input_iterators_tIbNS6_6detail15normal_iteratorINS6_10device_ptrIKxEEEESL_NS6_8equal_toIxEEEENSG_9not_fun_tINSD_8identityEEEEENSD_19counting_iterator_tIlEES8_S8_S8_S8_S8_S8_S8_S8_EEEEPS9_S9_NSD_9__find_if7functorIS9_EEEE10hipError_tPvRmT1_T2_T3_mT4_P12ihipStream_tbEUlT_E0_NS1_11comp_targetILNS1_3genE10ELNS1_11target_archE1200ELNS1_3gpuE4ELNS1_3repE0EEENS1_30default_config_static_selectorELNS0_4arch9wavefront6targetE1EEEvS14_
		.amdhsa_group_segment_fixed_size 0
		.amdhsa_private_segment_fixed_size 0
		.amdhsa_kernarg_size 104
		.amdhsa_user_sgpr_count 6
		.amdhsa_user_sgpr_private_segment_buffer 1
		.amdhsa_user_sgpr_dispatch_ptr 0
		.amdhsa_user_sgpr_queue_ptr 0
		.amdhsa_user_sgpr_kernarg_segment_ptr 1
		.amdhsa_user_sgpr_dispatch_id 0
		.amdhsa_user_sgpr_flat_scratch_init 0
		.amdhsa_user_sgpr_private_segment_size 0
		.amdhsa_uses_dynamic_stack 0
		.amdhsa_system_sgpr_private_segment_wavefront_offset 0
		.amdhsa_system_sgpr_workgroup_id_x 1
		.amdhsa_system_sgpr_workgroup_id_y 0
		.amdhsa_system_sgpr_workgroup_id_z 0
		.amdhsa_system_sgpr_workgroup_info 0
		.amdhsa_system_vgpr_workitem_id 0
		.amdhsa_next_free_vgpr 1
		.amdhsa_next_free_sgpr 0
		.amdhsa_reserve_vcc 0
		.amdhsa_reserve_flat_scratch 0
		.amdhsa_float_round_mode_32 0
		.amdhsa_float_round_mode_16_64 0
		.amdhsa_float_denorm_mode_32 3
		.amdhsa_float_denorm_mode_16_64 3
		.amdhsa_dx10_clamp 1
		.amdhsa_ieee_mode 1
		.amdhsa_fp16_overflow 0
		.amdhsa_exception_fp_ieee_invalid_op 0
		.amdhsa_exception_fp_denorm_src 0
		.amdhsa_exception_fp_ieee_div_zero 0
		.amdhsa_exception_fp_ieee_overflow 0
		.amdhsa_exception_fp_ieee_underflow 0
		.amdhsa_exception_fp_ieee_inexact 0
		.amdhsa_exception_int_div_zero 0
	.end_amdhsa_kernel
	.section	.text._ZN7rocprim17ROCPRIM_400000_NS6detail17trampoline_kernelINS0_14default_configENS1_22reduce_config_selectorIN6thrust23THRUST_200600_302600_NS5tupleIblNS6_9null_typeES8_S8_S8_S8_S8_S8_S8_EEEEZNS1_11reduce_implILb1ES3_NS6_12zip_iteratorINS7_INS6_11hip_rocprim26transform_input_iterator_tIbNSD_35transform_pair_of_input_iterators_tIbNS6_6detail15normal_iteratorINS6_10device_ptrIKxEEEESL_NS6_8equal_toIxEEEENSG_9not_fun_tINSD_8identityEEEEENSD_19counting_iterator_tIlEES8_S8_S8_S8_S8_S8_S8_S8_EEEEPS9_S9_NSD_9__find_if7functorIS9_EEEE10hipError_tPvRmT1_T2_T3_mT4_P12ihipStream_tbEUlT_E0_NS1_11comp_targetILNS1_3genE10ELNS1_11target_archE1200ELNS1_3gpuE4ELNS1_3repE0EEENS1_30default_config_static_selectorELNS0_4arch9wavefront6targetE1EEEvS14_,"axG",@progbits,_ZN7rocprim17ROCPRIM_400000_NS6detail17trampoline_kernelINS0_14default_configENS1_22reduce_config_selectorIN6thrust23THRUST_200600_302600_NS5tupleIblNS6_9null_typeES8_S8_S8_S8_S8_S8_S8_EEEEZNS1_11reduce_implILb1ES3_NS6_12zip_iteratorINS7_INS6_11hip_rocprim26transform_input_iterator_tIbNSD_35transform_pair_of_input_iterators_tIbNS6_6detail15normal_iteratorINS6_10device_ptrIKxEEEESL_NS6_8equal_toIxEEEENSG_9not_fun_tINSD_8identityEEEEENSD_19counting_iterator_tIlEES8_S8_S8_S8_S8_S8_S8_S8_EEEEPS9_S9_NSD_9__find_if7functorIS9_EEEE10hipError_tPvRmT1_T2_T3_mT4_P12ihipStream_tbEUlT_E0_NS1_11comp_targetILNS1_3genE10ELNS1_11target_archE1200ELNS1_3gpuE4ELNS1_3repE0EEENS1_30default_config_static_selectorELNS0_4arch9wavefront6targetE1EEEvS14_,comdat
.Lfunc_end525:
	.size	_ZN7rocprim17ROCPRIM_400000_NS6detail17trampoline_kernelINS0_14default_configENS1_22reduce_config_selectorIN6thrust23THRUST_200600_302600_NS5tupleIblNS6_9null_typeES8_S8_S8_S8_S8_S8_S8_EEEEZNS1_11reduce_implILb1ES3_NS6_12zip_iteratorINS7_INS6_11hip_rocprim26transform_input_iterator_tIbNSD_35transform_pair_of_input_iterators_tIbNS6_6detail15normal_iteratorINS6_10device_ptrIKxEEEESL_NS6_8equal_toIxEEEENSG_9not_fun_tINSD_8identityEEEEENSD_19counting_iterator_tIlEES8_S8_S8_S8_S8_S8_S8_S8_EEEEPS9_S9_NSD_9__find_if7functorIS9_EEEE10hipError_tPvRmT1_T2_T3_mT4_P12ihipStream_tbEUlT_E0_NS1_11comp_targetILNS1_3genE10ELNS1_11target_archE1200ELNS1_3gpuE4ELNS1_3repE0EEENS1_30default_config_static_selectorELNS0_4arch9wavefront6targetE1EEEvS14_, .Lfunc_end525-_ZN7rocprim17ROCPRIM_400000_NS6detail17trampoline_kernelINS0_14default_configENS1_22reduce_config_selectorIN6thrust23THRUST_200600_302600_NS5tupleIblNS6_9null_typeES8_S8_S8_S8_S8_S8_S8_EEEEZNS1_11reduce_implILb1ES3_NS6_12zip_iteratorINS7_INS6_11hip_rocprim26transform_input_iterator_tIbNSD_35transform_pair_of_input_iterators_tIbNS6_6detail15normal_iteratorINS6_10device_ptrIKxEEEESL_NS6_8equal_toIxEEEENSG_9not_fun_tINSD_8identityEEEEENSD_19counting_iterator_tIlEES8_S8_S8_S8_S8_S8_S8_S8_EEEEPS9_S9_NSD_9__find_if7functorIS9_EEEE10hipError_tPvRmT1_T2_T3_mT4_P12ihipStream_tbEUlT_E0_NS1_11comp_targetILNS1_3genE10ELNS1_11target_archE1200ELNS1_3gpuE4ELNS1_3repE0EEENS1_30default_config_static_selectorELNS0_4arch9wavefront6targetE1EEEvS14_
                                        ; -- End function
	.set _ZN7rocprim17ROCPRIM_400000_NS6detail17trampoline_kernelINS0_14default_configENS1_22reduce_config_selectorIN6thrust23THRUST_200600_302600_NS5tupleIblNS6_9null_typeES8_S8_S8_S8_S8_S8_S8_EEEEZNS1_11reduce_implILb1ES3_NS6_12zip_iteratorINS7_INS6_11hip_rocprim26transform_input_iterator_tIbNSD_35transform_pair_of_input_iterators_tIbNS6_6detail15normal_iteratorINS6_10device_ptrIKxEEEESL_NS6_8equal_toIxEEEENSG_9not_fun_tINSD_8identityEEEEENSD_19counting_iterator_tIlEES8_S8_S8_S8_S8_S8_S8_S8_EEEEPS9_S9_NSD_9__find_if7functorIS9_EEEE10hipError_tPvRmT1_T2_T3_mT4_P12ihipStream_tbEUlT_E0_NS1_11comp_targetILNS1_3genE10ELNS1_11target_archE1200ELNS1_3gpuE4ELNS1_3repE0EEENS1_30default_config_static_selectorELNS0_4arch9wavefront6targetE1EEEvS14_.num_vgpr, 0
	.set _ZN7rocprim17ROCPRIM_400000_NS6detail17trampoline_kernelINS0_14default_configENS1_22reduce_config_selectorIN6thrust23THRUST_200600_302600_NS5tupleIblNS6_9null_typeES8_S8_S8_S8_S8_S8_S8_EEEEZNS1_11reduce_implILb1ES3_NS6_12zip_iteratorINS7_INS6_11hip_rocprim26transform_input_iterator_tIbNSD_35transform_pair_of_input_iterators_tIbNS6_6detail15normal_iteratorINS6_10device_ptrIKxEEEESL_NS6_8equal_toIxEEEENSG_9not_fun_tINSD_8identityEEEEENSD_19counting_iterator_tIlEES8_S8_S8_S8_S8_S8_S8_S8_EEEEPS9_S9_NSD_9__find_if7functorIS9_EEEE10hipError_tPvRmT1_T2_T3_mT4_P12ihipStream_tbEUlT_E0_NS1_11comp_targetILNS1_3genE10ELNS1_11target_archE1200ELNS1_3gpuE4ELNS1_3repE0EEENS1_30default_config_static_selectorELNS0_4arch9wavefront6targetE1EEEvS14_.num_agpr, 0
	.set _ZN7rocprim17ROCPRIM_400000_NS6detail17trampoline_kernelINS0_14default_configENS1_22reduce_config_selectorIN6thrust23THRUST_200600_302600_NS5tupleIblNS6_9null_typeES8_S8_S8_S8_S8_S8_S8_EEEEZNS1_11reduce_implILb1ES3_NS6_12zip_iteratorINS7_INS6_11hip_rocprim26transform_input_iterator_tIbNSD_35transform_pair_of_input_iterators_tIbNS6_6detail15normal_iteratorINS6_10device_ptrIKxEEEESL_NS6_8equal_toIxEEEENSG_9not_fun_tINSD_8identityEEEEENSD_19counting_iterator_tIlEES8_S8_S8_S8_S8_S8_S8_S8_EEEEPS9_S9_NSD_9__find_if7functorIS9_EEEE10hipError_tPvRmT1_T2_T3_mT4_P12ihipStream_tbEUlT_E0_NS1_11comp_targetILNS1_3genE10ELNS1_11target_archE1200ELNS1_3gpuE4ELNS1_3repE0EEENS1_30default_config_static_selectorELNS0_4arch9wavefront6targetE1EEEvS14_.numbered_sgpr, 0
	.set _ZN7rocprim17ROCPRIM_400000_NS6detail17trampoline_kernelINS0_14default_configENS1_22reduce_config_selectorIN6thrust23THRUST_200600_302600_NS5tupleIblNS6_9null_typeES8_S8_S8_S8_S8_S8_S8_EEEEZNS1_11reduce_implILb1ES3_NS6_12zip_iteratorINS7_INS6_11hip_rocprim26transform_input_iterator_tIbNSD_35transform_pair_of_input_iterators_tIbNS6_6detail15normal_iteratorINS6_10device_ptrIKxEEEESL_NS6_8equal_toIxEEEENSG_9not_fun_tINSD_8identityEEEEENSD_19counting_iterator_tIlEES8_S8_S8_S8_S8_S8_S8_S8_EEEEPS9_S9_NSD_9__find_if7functorIS9_EEEE10hipError_tPvRmT1_T2_T3_mT4_P12ihipStream_tbEUlT_E0_NS1_11comp_targetILNS1_3genE10ELNS1_11target_archE1200ELNS1_3gpuE4ELNS1_3repE0EEENS1_30default_config_static_selectorELNS0_4arch9wavefront6targetE1EEEvS14_.num_named_barrier, 0
	.set _ZN7rocprim17ROCPRIM_400000_NS6detail17trampoline_kernelINS0_14default_configENS1_22reduce_config_selectorIN6thrust23THRUST_200600_302600_NS5tupleIblNS6_9null_typeES8_S8_S8_S8_S8_S8_S8_EEEEZNS1_11reduce_implILb1ES3_NS6_12zip_iteratorINS7_INS6_11hip_rocprim26transform_input_iterator_tIbNSD_35transform_pair_of_input_iterators_tIbNS6_6detail15normal_iteratorINS6_10device_ptrIKxEEEESL_NS6_8equal_toIxEEEENSG_9not_fun_tINSD_8identityEEEEENSD_19counting_iterator_tIlEES8_S8_S8_S8_S8_S8_S8_S8_EEEEPS9_S9_NSD_9__find_if7functorIS9_EEEE10hipError_tPvRmT1_T2_T3_mT4_P12ihipStream_tbEUlT_E0_NS1_11comp_targetILNS1_3genE10ELNS1_11target_archE1200ELNS1_3gpuE4ELNS1_3repE0EEENS1_30default_config_static_selectorELNS0_4arch9wavefront6targetE1EEEvS14_.private_seg_size, 0
	.set _ZN7rocprim17ROCPRIM_400000_NS6detail17trampoline_kernelINS0_14default_configENS1_22reduce_config_selectorIN6thrust23THRUST_200600_302600_NS5tupleIblNS6_9null_typeES8_S8_S8_S8_S8_S8_S8_EEEEZNS1_11reduce_implILb1ES3_NS6_12zip_iteratorINS7_INS6_11hip_rocprim26transform_input_iterator_tIbNSD_35transform_pair_of_input_iterators_tIbNS6_6detail15normal_iteratorINS6_10device_ptrIKxEEEESL_NS6_8equal_toIxEEEENSG_9not_fun_tINSD_8identityEEEEENSD_19counting_iterator_tIlEES8_S8_S8_S8_S8_S8_S8_S8_EEEEPS9_S9_NSD_9__find_if7functorIS9_EEEE10hipError_tPvRmT1_T2_T3_mT4_P12ihipStream_tbEUlT_E0_NS1_11comp_targetILNS1_3genE10ELNS1_11target_archE1200ELNS1_3gpuE4ELNS1_3repE0EEENS1_30default_config_static_selectorELNS0_4arch9wavefront6targetE1EEEvS14_.uses_vcc, 0
	.set _ZN7rocprim17ROCPRIM_400000_NS6detail17trampoline_kernelINS0_14default_configENS1_22reduce_config_selectorIN6thrust23THRUST_200600_302600_NS5tupleIblNS6_9null_typeES8_S8_S8_S8_S8_S8_S8_EEEEZNS1_11reduce_implILb1ES3_NS6_12zip_iteratorINS7_INS6_11hip_rocprim26transform_input_iterator_tIbNSD_35transform_pair_of_input_iterators_tIbNS6_6detail15normal_iteratorINS6_10device_ptrIKxEEEESL_NS6_8equal_toIxEEEENSG_9not_fun_tINSD_8identityEEEEENSD_19counting_iterator_tIlEES8_S8_S8_S8_S8_S8_S8_S8_EEEEPS9_S9_NSD_9__find_if7functorIS9_EEEE10hipError_tPvRmT1_T2_T3_mT4_P12ihipStream_tbEUlT_E0_NS1_11comp_targetILNS1_3genE10ELNS1_11target_archE1200ELNS1_3gpuE4ELNS1_3repE0EEENS1_30default_config_static_selectorELNS0_4arch9wavefront6targetE1EEEvS14_.uses_flat_scratch, 0
	.set _ZN7rocprim17ROCPRIM_400000_NS6detail17trampoline_kernelINS0_14default_configENS1_22reduce_config_selectorIN6thrust23THRUST_200600_302600_NS5tupleIblNS6_9null_typeES8_S8_S8_S8_S8_S8_S8_EEEEZNS1_11reduce_implILb1ES3_NS6_12zip_iteratorINS7_INS6_11hip_rocprim26transform_input_iterator_tIbNSD_35transform_pair_of_input_iterators_tIbNS6_6detail15normal_iteratorINS6_10device_ptrIKxEEEESL_NS6_8equal_toIxEEEENSG_9not_fun_tINSD_8identityEEEEENSD_19counting_iterator_tIlEES8_S8_S8_S8_S8_S8_S8_S8_EEEEPS9_S9_NSD_9__find_if7functorIS9_EEEE10hipError_tPvRmT1_T2_T3_mT4_P12ihipStream_tbEUlT_E0_NS1_11comp_targetILNS1_3genE10ELNS1_11target_archE1200ELNS1_3gpuE4ELNS1_3repE0EEENS1_30default_config_static_selectorELNS0_4arch9wavefront6targetE1EEEvS14_.has_dyn_sized_stack, 0
	.set _ZN7rocprim17ROCPRIM_400000_NS6detail17trampoline_kernelINS0_14default_configENS1_22reduce_config_selectorIN6thrust23THRUST_200600_302600_NS5tupleIblNS6_9null_typeES8_S8_S8_S8_S8_S8_S8_EEEEZNS1_11reduce_implILb1ES3_NS6_12zip_iteratorINS7_INS6_11hip_rocprim26transform_input_iterator_tIbNSD_35transform_pair_of_input_iterators_tIbNS6_6detail15normal_iteratorINS6_10device_ptrIKxEEEESL_NS6_8equal_toIxEEEENSG_9not_fun_tINSD_8identityEEEEENSD_19counting_iterator_tIlEES8_S8_S8_S8_S8_S8_S8_S8_EEEEPS9_S9_NSD_9__find_if7functorIS9_EEEE10hipError_tPvRmT1_T2_T3_mT4_P12ihipStream_tbEUlT_E0_NS1_11comp_targetILNS1_3genE10ELNS1_11target_archE1200ELNS1_3gpuE4ELNS1_3repE0EEENS1_30default_config_static_selectorELNS0_4arch9wavefront6targetE1EEEvS14_.has_recursion, 0
	.set _ZN7rocprim17ROCPRIM_400000_NS6detail17trampoline_kernelINS0_14default_configENS1_22reduce_config_selectorIN6thrust23THRUST_200600_302600_NS5tupleIblNS6_9null_typeES8_S8_S8_S8_S8_S8_S8_EEEEZNS1_11reduce_implILb1ES3_NS6_12zip_iteratorINS7_INS6_11hip_rocprim26transform_input_iterator_tIbNSD_35transform_pair_of_input_iterators_tIbNS6_6detail15normal_iteratorINS6_10device_ptrIKxEEEESL_NS6_8equal_toIxEEEENSG_9not_fun_tINSD_8identityEEEEENSD_19counting_iterator_tIlEES8_S8_S8_S8_S8_S8_S8_S8_EEEEPS9_S9_NSD_9__find_if7functorIS9_EEEE10hipError_tPvRmT1_T2_T3_mT4_P12ihipStream_tbEUlT_E0_NS1_11comp_targetILNS1_3genE10ELNS1_11target_archE1200ELNS1_3gpuE4ELNS1_3repE0EEENS1_30default_config_static_selectorELNS0_4arch9wavefront6targetE1EEEvS14_.has_indirect_call, 0
	.section	.AMDGPU.csdata,"",@progbits
; Kernel info:
; codeLenInByte = 0
; TotalNumSgprs: 4
; NumVgprs: 0
; ScratchSize: 0
; MemoryBound: 0
; FloatMode: 240
; IeeeMode: 1
; LDSByteSize: 0 bytes/workgroup (compile time only)
; SGPRBlocks: 0
; VGPRBlocks: 0
; NumSGPRsForWavesPerEU: 4
; NumVGPRsForWavesPerEU: 1
; Occupancy: 10
; WaveLimiterHint : 0
; COMPUTE_PGM_RSRC2:SCRATCH_EN: 0
; COMPUTE_PGM_RSRC2:USER_SGPR: 6
; COMPUTE_PGM_RSRC2:TRAP_HANDLER: 0
; COMPUTE_PGM_RSRC2:TGID_X_EN: 1
; COMPUTE_PGM_RSRC2:TGID_Y_EN: 0
; COMPUTE_PGM_RSRC2:TGID_Z_EN: 0
; COMPUTE_PGM_RSRC2:TIDIG_COMP_CNT: 0
	.section	.text._ZN7rocprim17ROCPRIM_400000_NS6detail17trampoline_kernelINS0_14default_configENS1_22reduce_config_selectorIN6thrust23THRUST_200600_302600_NS5tupleIblNS6_9null_typeES8_S8_S8_S8_S8_S8_S8_EEEEZNS1_11reduce_implILb1ES3_NS6_12zip_iteratorINS7_INS6_11hip_rocprim26transform_input_iterator_tIbNSD_35transform_pair_of_input_iterators_tIbNS6_6detail15normal_iteratorINS6_10device_ptrIKxEEEESL_NS6_8equal_toIxEEEENSG_9not_fun_tINSD_8identityEEEEENSD_19counting_iterator_tIlEES8_S8_S8_S8_S8_S8_S8_S8_EEEEPS9_S9_NSD_9__find_if7functorIS9_EEEE10hipError_tPvRmT1_T2_T3_mT4_P12ihipStream_tbEUlT_E0_NS1_11comp_targetILNS1_3genE9ELNS1_11target_archE1100ELNS1_3gpuE3ELNS1_3repE0EEENS1_30default_config_static_selectorELNS0_4arch9wavefront6targetE1EEEvS14_,"axG",@progbits,_ZN7rocprim17ROCPRIM_400000_NS6detail17trampoline_kernelINS0_14default_configENS1_22reduce_config_selectorIN6thrust23THRUST_200600_302600_NS5tupleIblNS6_9null_typeES8_S8_S8_S8_S8_S8_S8_EEEEZNS1_11reduce_implILb1ES3_NS6_12zip_iteratorINS7_INS6_11hip_rocprim26transform_input_iterator_tIbNSD_35transform_pair_of_input_iterators_tIbNS6_6detail15normal_iteratorINS6_10device_ptrIKxEEEESL_NS6_8equal_toIxEEEENSG_9not_fun_tINSD_8identityEEEEENSD_19counting_iterator_tIlEES8_S8_S8_S8_S8_S8_S8_S8_EEEEPS9_S9_NSD_9__find_if7functorIS9_EEEE10hipError_tPvRmT1_T2_T3_mT4_P12ihipStream_tbEUlT_E0_NS1_11comp_targetILNS1_3genE9ELNS1_11target_archE1100ELNS1_3gpuE3ELNS1_3repE0EEENS1_30default_config_static_selectorELNS0_4arch9wavefront6targetE1EEEvS14_,comdat
	.protected	_ZN7rocprim17ROCPRIM_400000_NS6detail17trampoline_kernelINS0_14default_configENS1_22reduce_config_selectorIN6thrust23THRUST_200600_302600_NS5tupleIblNS6_9null_typeES8_S8_S8_S8_S8_S8_S8_EEEEZNS1_11reduce_implILb1ES3_NS6_12zip_iteratorINS7_INS6_11hip_rocprim26transform_input_iterator_tIbNSD_35transform_pair_of_input_iterators_tIbNS6_6detail15normal_iteratorINS6_10device_ptrIKxEEEESL_NS6_8equal_toIxEEEENSG_9not_fun_tINSD_8identityEEEEENSD_19counting_iterator_tIlEES8_S8_S8_S8_S8_S8_S8_S8_EEEEPS9_S9_NSD_9__find_if7functorIS9_EEEE10hipError_tPvRmT1_T2_T3_mT4_P12ihipStream_tbEUlT_E0_NS1_11comp_targetILNS1_3genE9ELNS1_11target_archE1100ELNS1_3gpuE3ELNS1_3repE0EEENS1_30default_config_static_selectorELNS0_4arch9wavefront6targetE1EEEvS14_ ; -- Begin function _ZN7rocprim17ROCPRIM_400000_NS6detail17trampoline_kernelINS0_14default_configENS1_22reduce_config_selectorIN6thrust23THRUST_200600_302600_NS5tupleIblNS6_9null_typeES8_S8_S8_S8_S8_S8_S8_EEEEZNS1_11reduce_implILb1ES3_NS6_12zip_iteratorINS7_INS6_11hip_rocprim26transform_input_iterator_tIbNSD_35transform_pair_of_input_iterators_tIbNS6_6detail15normal_iteratorINS6_10device_ptrIKxEEEESL_NS6_8equal_toIxEEEENSG_9not_fun_tINSD_8identityEEEEENSD_19counting_iterator_tIlEES8_S8_S8_S8_S8_S8_S8_S8_EEEEPS9_S9_NSD_9__find_if7functorIS9_EEEE10hipError_tPvRmT1_T2_T3_mT4_P12ihipStream_tbEUlT_E0_NS1_11comp_targetILNS1_3genE9ELNS1_11target_archE1100ELNS1_3gpuE3ELNS1_3repE0EEENS1_30default_config_static_selectorELNS0_4arch9wavefront6targetE1EEEvS14_
	.globl	_ZN7rocprim17ROCPRIM_400000_NS6detail17trampoline_kernelINS0_14default_configENS1_22reduce_config_selectorIN6thrust23THRUST_200600_302600_NS5tupleIblNS6_9null_typeES8_S8_S8_S8_S8_S8_S8_EEEEZNS1_11reduce_implILb1ES3_NS6_12zip_iteratorINS7_INS6_11hip_rocprim26transform_input_iterator_tIbNSD_35transform_pair_of_input_iterators_tIbNS6_6detail15normal_iteratorINS6_10device_ptrIKxEEEESL_NS6_8equal_toIxEEEENSG_9not_fun_tINSD_8identityEEEEENSD_19counting_iterator_tIlEES8_S8_S8_S8_S8_S8_S8_S8_EEEEPS9_S9_NSD_9__find_if7functorIS9_EEEE10hipError_tPvRmT1_T2_T3_mT4_P12ihipStream_tbEUlT_E0_NS1_11comp_targetILNS1_3genE9ELNS1_11target_archE1100ELNS1_3gpuE3ELNS1_3repE0EEENS1_30default_config_static_selectorELNS0_4arch9wavefront6targetE1EEEvS14_
	.p2align	8
	.type	_ZN7rocprim17ROCPRIM_400000_NS6detail17trampoline_kernelINS0_14default_configENS1_22reduce_config_selectorIN6thrust23THRUST_200600_302600_NS5tupleIblNS6_9null_typeES8_S8_S8_S8_S8_S8_S8_EEEEZNS1_11reduce_implILb1ES3_NS6_12zip_iteratorINS7_INS6_11hip_rocprim26transform_input_iterator_tIbNSD_35transform_pair_of_input_iterators_tIbNS6_6detail15normal_iteratorINS6_10device_ptrIKxEEEESL_NS6_8equal_toIxEEEENSG_9not_fun_tINSD_8identityEEEEENSD_19counting_iterator_tIlEES8_S8_S8_S8_S8_S8_S8_S8_EEEEPS9_S9_NSD_9__find_if7functorIS9_EEEE10hipError_tPvRmT1_T2_T3_mT4_P12ihipStream_tbEUlT_E0_NS1_11comp_targetILNS1_3genE9ELNS1_11target_archE1100ELNS1_3gpuE3ELNS1_3repE0EEENS1_30default_config_static_selectorELNS0_4arch9wavefront6targetE1EEEvS14_,@function
_ZN7rocprim17ROCPRIM_400000_NS6detail17trampoline_kernelINS0_14default_configENS1_22reduce_config_selectorIN6thrust23THRUST_200600_302600_NS5tupleIblNS6_9null_typeES8_S8_S8_S8_S8_S8_S8_EEEEZNS1_11reduce_implILb1ES3_NS6_12zip_iteratorINS7_INS6_11hip_rocprim26transform_input_iterator_tIbNSD_35transform_pair_of_input_iterators_tIbNS6_6detail15normal_iteratorINS6_10device_ptrIKxEEEESL_NS6_8equal_toIxEEEENSG_9not_fun_tINSD_8identityEEEEENSD_19counting_iterator_tIlEES8_S8_S8_S8_S8_S8_S8_S8_EEEEPS9_S9_NSD_9__find_if7functorIS9_EEEE10hipError_tPvRmT1_T2_T3_mT4_P12ihipStream_tbEUlT_E0_NS1_11comp_targetILNS1_3genE9ELNS1_11target_archE1100ELNS1_3gpuE3ELNS1_3repE0EEENS1_30default_config_static_selectorELNS0_4arch9wavefront6targetE1EEEvS14_: ; @_ZN7rocprim17ROCPRIM_400000_NS6detail17trampoline_kernelINS0_14default_configENS1_22reduce_config_selectorIN6thrust23THRUST_200600_302600_NS5tupleIblNS6_9null_typeES8_S8_S8_S8_S8_S8_S8_EEEEZNS1_11reduce_implILb1ES3_NS6_12zip_iteratorINS7_INS6_11hip_rocprim26transform_input_iterator_tIbNSD_35transform_pair_of_input_iterators_tIbNS6_6detail15normal_iteratorINS6_10device_ptrIKxEEEESL_NS6_8equal_toIxEEEENSG_9not_fun_tINSD_8identityEEEEENSD_19counting_iterator_tIlEES8_S8_S8_S8_S8_S8_S8_S8_EEEEPS9_S9_NSD_9__find_if7functorIS9_EEEE10hipError_tPvRmT1_T2_T3_mT4_P12ihipStream_tbEUlT_E0_NS1_11comp_targetILNS1_3genE9ELNS1_11target_archE1100ELNS1_3gpuE3ELNS1_3repE0EEENS1_30default_config_static_selectorELNS0_4arch9wavefront6targetE1EEEvS14_
; %bb.0:
	.section	.rodata,"a",@progbits
	.p2align	6, 0x0
	.amdhsa_kernel _ZN7rocprim17ROCPRIM_400000_NS6detail17trampoline_kernelINS0_14default_configENS1_22reduce_config_selectorIN6thrust23THRUST_200600_302600_NS5tupleIblNS6_9null_typeES8_S8_S8_S8_S8_S8_S8_EEEEZNS1_11reduce_implILb1ES3_NS6_12zip_iteratorINS7_INS6_11hip_rocprim26transform_input_iterator_tIbNSD_35transform_pair_of_input_iterators_tIbNS6_6detail15normal_iteratorINS6_10device_ptrIKxEEEESL_NS6_8equal_toIxEEEENSG_9not_fun_tINSD_8identityEEEEENSD_19counting_iterator_tIlEES8_S8_S8_S8_S8_S8_S8_S8_EEEEPS9_S9_NSD_9__find_if7functorIS9_EEEE10hipError_tPvRmT1_T2_T3_mT4_P12ihipStream_tbEUlT_E0_NS1_11comp_targetILNS1_3genE9ELNS1_11target_archE1100ELNS1_3gpuE3ELNS1_3repE0EEENS1_30default_config_static_selectorELNS0_4arch9wavefront6targetE1EEEvS14_
		.amdhsa_group_segment_fixed_size 0
		.amdhsa_private_segment_fixed_size 0
		.amdhsa_kernarg_size 104
		.amdhsa_user_sgpr_count 6
		.amdhsa_user_sgpr_private_segment_buffer 1
		.amdhsa_user_sgpr_dispatch_ptr 0
		.amdhsa_user_sgpr_queue_ptr 0
		.amdhsa_user_sgpr_kernarg_segment_ptr 1
		.amdhsa_user_sgpr_dispatch_id 0
		.amdhsa_user_sgpr_flat_scratch_init 0
		.amdhsa_user_sgpr_private_segment_size 0
		.amdhsa_uses_dynamic_stack 0
		.amdhsa_system_sgpr_private_segment_wavefront_offset 0
		.amdhsa_system_sgpr_workgroup_id_x 1
		.amdhsa_system_sgpr_workgroup_id_y 0
		.amdhsa_system_sgpr_workgroup_id_z 0
		.amdhsa_system_sgpr_workgroup_info 0
		.amdhsa_system_vgpr_workitem_id 0
		.amdhsa_next_free_vgpr 1
		.amdhsa_next_free_sgpr 0
		.amdhsa_reserve_vcc 0
		.amdhsa_reserve_flat_scratch 0
		.amdhsa_float_round_mode_32 0
		.amdhsa_float_round_mode_16_64 0
		.amdhsa_float_denorm_mode_32 3
		.amdhsa_float_denorm_mode_16_64 3
		.amdhsa_dx10_clamp 1
		.amdhsa_ieee_mode 1
		.amdhsa_fp16_overflow 0
		.amdhsa_exception_fp_ieee_invalid_op 0
		.amdhsa_exception_fp_denorm_src 0
		.amdhsa_exception_fp_ieee_div_zero 0
		.amdhsa_exception_fp_ieee_overflow 0
		.amdhsa_exception_fp_ieee_underflow 0
		.amdhsa_exception_fp_ieee_inexact 0
		.amdhsa_exception_int_div_zero 0
	.end_amdhsa_kernel
	.section	.text._ZN7rocprim17ROCPRIM_400000_NS6detail17trampoline_kernelINS0_14default_configENS1_22reduce_config_selectorIN6thrust23THRUST_200600_302600_NS5tupleIblNS6_9null_typeES8_S8_S8_S8_S8_S8_S8_EEEEZNS1_11reduce_implILb1ES3_NS6_12zip_iteratorINS7_INS6_11hip_rocprim26transform_input_iterator_tIbNSD_35transform_pair_of_input_iterators_tIbNS6_6detail15normal_iteratorINS6_10device_ptrIKxEEEESL_NS6_8equal_toIxEEEENSG_9not_fun_tINSD_8identityEEEEENSD_19counting_iterator_tIlEES8_S8_S8_S8_S8_S8_S8_S8_EEEEPS9_S9_NSD_9__find_if7functorIS9_EEEE10hipError_tPvRmT1_T2_T3_mT4_P12ihipStream_tbEUlT_E0_NS1_11comp_targetILNS1_3genE9ELNS1_11target_archE1100ELNS1_3gpuE3ELNS1_3repE0EEENS1_30default_config_static_selectorELNS0_4arch9wavefront6targetE1EEEvS14_,"axG",@progbits,_ZN7rocprim17ROCPRIM_400000_NS6detail17trampoline_kernelINS0_14default_configENS1_22reduce_config_selectorIN6thrust23THRUST_200600_302600_NS5tupleIblNS6_9null_typeES8_S8_S8_S8_S8_S8_S8_EEEEZNS1_11reduce_implILb1ES3_NS6_12zip_iteratorINS7_INS6_11hip_rocprim26transform_input_iterator_tIbNSD_35transform_pair_of_input_iterators_tIbNS6_6detail15normal_iteratorINS6_10device_ptrIKxEEEESL_NS6_8equal_toIxEEEENSG_9not_fun_tINSD_8identityEEEEENSD_19counting_iterator_tIlEES8_S8_S8_S8_S8_S8_S8_S8_EEEEPS9_S9_NSD_9__find_if7functorIS9_EEEE10hipError_tPvRmT1_T2_T3_mT4_P12ihipStream_tbEUlT_E0_NS1_11comp_targetILNS1_3genE9ELNS1_11target_archE1100ELNS1_3gpuE3ELNS1_3repE0EEENS1_30default_config_static_selectorELNS0_4arch9wavefront6targetE1EEEvS14_,comdat
.Lfunc_end526:
	.size	_ZN7rocprim17ROCPRIM_400000_NS6detail17trampoline_kernelINS0_14default_configENS1_22reduce_config_selectorIN6thrust23THRUST_200600_302600_NS5tupleIblNS6_9null_typeES8_S8_S8_S8_S8_S8_S8_EEEEZNS1_11reduce_implILb1ES3_NS6_12zip_iteratorINS7_INS6_11hip_rocprim26transform_input_iterator_tIbNSD_35transform_pair_of_input_iterators_tIbNS6_6detail15normal_iteratorINS6_10device_ptrIKxEEEESL_NS6_8equal_toIxEEEENSG_9not_fun_tINSD_8identityEEEEENSD_19counting_iterator_tIlEES8_S8_S8_S8_S8_S8_S8_S8_EEEEPS9_S9_NSD_9__find_if7functorIS9_EEEE10hipError_tPvRmT1_T2_T3_mT4_P12ihipStream_tbEUlT_E0_NS1_11comp_targetILNS1_3genE9ELNS1_11target_archE1100ELNS1_3gpuE3ELNS1_3repE0EEENS1_30default_config_static_selectorELNS0_4arch9wavefront6targetE1EEEvS14_, .Lfunc_end526-_ZN7rocprim17ROCPRIM_400000_NS6detail17trampoline_kernelINS0_14default_configENS1_22reduce_config_selectorIN6thrust23THRUST_200600_302600_NS5tupleIblNS6_9null_typeES8_S8_S8_S8_S8_S8_S8_EEEEZNS1_11reduce_implILb1ES3_NS6_12zip_iteratorINS7_INS6_11hip_rocprim26transform_input_iterator_tIbNSD_35transform_pair_of_input_iterators_tIbNS6_6detail15normal_iteratorINS6_10device_ptrIKxEEEESL_NS6_8equal_toIxEEEENSG_9not_fun_tINSD_8identityEEEEENSD_19counting_iterator_tIlEES8_S8_S8_S8_S8_S8_S8_S8_EEEEPS9_S9_NSD_9__find_if7functorIS9_EEEE10hipError_tPvRmT1_T2_T3_mT4_P12ihipStream_tbEUlT_E0_NS1_11comp_targetILNS1_3genE9ELNS1_11target_archE1100ELNS1_3gpuE3ELNS1_3repE0EEENS1_30default_config_static_selectorELNS0_4arch9wavefront6targetE1EEEvS14_
                                        ; -- End function
	.set _ZN7rocprim17ROCPRIM_400000_NS6detail17trampoline_kernelINS0_14default_configENS1_22reduce_config_selectorIN6thrust23THRUST_200600_302600_NS5tupleIblNS6_9null_typeES8_S8_S8_S8_S8_S8_S8_EEEEZNS1_11reduce_implILb1ES3_NS6_12zip_iteratorINS7_INS6_11hip_rocprim26transform_input_iterator_tIbNSD_35transform_pair_of_input_iterators_tIbNS6_6detail15normal_iteratorINS6_10device_ptrIKxEEEESL_NS6_8equal_toIxEEEENSG_9not_fun_tINSD_8identityEEEEENSD_19counting_iterator_tIlEES8_S8_S8_S8_S8_S8_S8_S8_EEEEPS9_S9_NSD_9__find_if7functorIS9_EEEE10hipError_tPvRmT1_T2_T3_mT4_P12ihipStream_tbEUlT_E0_NS1_11comp_targetILNS1_3genE9ELNS1_11target_archE1100ELNS1_3gpuE3ELNS1_3repE0EEENS1_30default_config_static_selectorELNS0_4arch9wavefront6targetE1EEEvS14_.num_vgpr, 0
	.set _ZN7rocprim17ROCPRIM_400000_NS6detail17trampoline_kernelINS0_14default_configENS1_22reduce_config_selectorIN6thrust23THRUST_200600_302600_NS5tupleIblNS6_9null_typeES8_S8_S8_S8_S8_S8_S8_EEEEZNS1_11reduce_implILb1ES3_NS6_12zip_iteratorINS7_INS6_11hip_rocprim26transform_input_iterator_tIbNSD_35transform_pair_of_input_iterators_tIbNS6_6detail15normal_iteratorINS6_10device_ptrIKxEEEESL_NS6_8equal_toIxEEEENSG_9not_fun_tINSD_8identityEEEEENSD_19counting_iterator_tIlEES8_S8_S8_S8_S8_S8_S8_S8_EEEEPS9_S9_NSD_9__find_if7functorIS9_EEEE10hipError_tPvRmT1_T2_T3_mT4_P12ihipStream_tbEUlT_E0_NS1_11comp_targetILNS1_3genE9ELNS1_11target_archE1100ELNS1_3gpuE3ELNS1_3repE0EEENS1_30default_config_static_selectorELNS0_4arch9wavefront6targetE1EEEvS14_.num_agpr, 0
	.set _ZN7rocprim17ROCPRIM_400000_NS6detail17trampoline_kernelINS0_14default_configENS1_22reduce_config_selectorIN6thrust23THRUST_200600_302600_NS5tupleIblNS6_9null_typeES8_S8_S8_S8_S8_S8_S8_EEEEZNS1_11reduce_implILb1ES3_NS6_12zip_iteratorINS7_INS6_11hip_rocprim26transform_input_iterator_tIbNSD_35transform_pair_of_input_iterators_tIbNS6_6detail15normal_iteratorINS6_10device_ptrIKxEEEESL_NS6_8equal_toIxEEEENSG_9not_fun_tINSD_8identityEEEEENSD_19counting_iterator_tIlEES8_S8_S8_S8_S8_S8_S8_S8_EEEEPS9_S9_NSD_9__find_if7functorIS9_EEEE10hipError_tPvRmT1_T2_T3_mT4_P12ihipStream_tbEUlT_E0_NS1_11comp_targetILNS1_3genE9ELNS1_11target_archE1100ELNS1_3gpuE3ELNS1_3repE0EEENS1_30default_config_static_selectorELNS0_4arch9wavefront6targetE1EEEvS14_.numbered_sgpr, 0
	.set _ZN7rocprim17ROCPRIM_400000_NS6detail17trampoline_kernelINS0_14default_configENS1_22reduce_config_selectorIN6thrust23THRUST_200600_302600_NS5tupleIblNS6_9null_typeES8_S8_S8_S8_S8_S8_S8_EEEEZNS1_11reduce_implILb1ES3_NS6_12zip_iteratorINS7_INS6_11hip_rocprim26transform_input_iterator_tIbNSD_35transform_pair_of_input_iterators_tIbNS6_6detail15normal_iteratorINS6_10device_ptrIKxEEEESL_NS6_8equal_toIxEEEENSG_9not_fun_tINSD_8identityEEEEENSD_19counting_iterator_tIlEES8_S8_S8_S8_S8_S8_S8_S8_EEEEPS9_S9_NSD_9__find_if7functorIS9_EEEE10hipError_tPvRmT1_T2_T3_mT4_P12ihipStream_tbEUlT_E0_NS1_11comp_targetILNS1_3genE9ELNS1_11target_archE1100ELNS1_3gpuE3ELNS1_3repE0EEENS1_30default_config_static_selectorELNS0_4arch9wavefront6targetE1EEEvS14_.num_named_barrier, 0
	.set _ZN7rocprim17ROCPRIM_400000_NS6detail17trampoline_kernelINS0_14default_configENS1_22reduce_config_selectorIN6thrust23THRUST_200600_302600_NS5tupleIblNS6_9null_typeES8_S8_S8_S8_S8_S8_S8_EEEEZNS1_11reduce_implILb1ES3_NS6_12zip_iteratorINS7_INS6_11hip_rocprim26transform_input_iterator_tIbNSD_35transform_pair_of_input_iterators_tIbNS6_6detail15normal_iteratorINS6_10device_ptrIKxEEEESL_NS6_8equal_toIxEEEENSG_9not_fun_tINSD_8identityEEEEENSD_19counting_iterator_tIlEES8_S8_S8_S8_S8_S8_S8_S8_EEEEPS9_S9_NSD_9__find_if7functorIS9_EEEE10hipError_tPvRmT1_T2_T3_mT4_P12ihipStream_tbEUlT_E0_NS1_11comp_targetILNS1_3genE9ELNS1_11target_archE1100ELNS1_3gpuE3ELNS1_3repE0EEENS1_30default_config_static_selectorELNS0_4arch9wavefront6targetE1EEEvS14_.private_seg_size, 0
	.set _ZN7rocprim17ROCPRIM_400000_NS6detail17trampoline_kernelINS0_14default_configENS1_22reduce_config_selectorIN6thrust23THRUST_200600_302600_NS5tupleIblNS6_9null_typeES8_S8_S8_S8_S8_S8_S8_EEEEZNS1_11reduce_implILb1ES3_NS6_12zip_iteratorINS7_INS6_11hip_rocprim26transform_input_iterator_tIbNSD_35transform_pair_of_input_iterators_tIbNS6_6detail15normal_iteratorINS6_10device_ptrIKxEEEESL_NS6_8equal_toIxEEEENSG_9not_fun_tINSD_8identityEEEEENSD_19counting_iterator_tIlEES8_S8_S8_S8_S8_S8_S8_S8_EEEEPS9_S9_NSD_9__find_if7functorIS9_EEEE10hipError_tPvRmT1_T2_T3_mT4_P12ihipStream_tbEUlT_E0_NS1_11comp_targetILNS1_3genE9ELNS1_11target_archE1100ELNS1_3gpuE3ELNS1_3repE0EEENS1_30default_config_static_selectorELNS0_4arch9wavefront6targetE1EEEvS14_.uses_vcc, 0
	.set _ZN7rocprim17ROCPRIM_400000_NS6detail17trampoline_kernelINS0_14default_configENS1_22reduce_config_selectorIN6thrust23THRUST_200600_302600_NS5tupleIblNS6_9null_typeES8_S8_S8_S8_S8_S8_S8_EEEEZNS1_11reduce_implILb1ES3_NS6_12zip_iteratorINS7_INS6_11hip_rocprim26transform_input_iterator_tIbNSD_35transform_pair_of_input_iterators_tIbNS6_6detail15normal_iteratorINS6_10device_ptrIKxEEEESL_NS6_8equal_toIxEEEENSG_9not_fun_tINSD_8identityEEEEENSD_19counting_iterator_tIlEES8_S8_S8_S8_S8_S8_S8_S8_EEEEPS9_S9_NSD_9__find_if7functorIS9_EEEE10hipError_tPvRmT1_T2_T3_mT4_P12ihipStream_tbEUlT_E0_NS1_11comp_targetILNS1_3genE9ELNS1_11target_archE1100ELNS1_3gpuE3ELNS1_3repE0EEENS1_30default_config_static_selectorELNS0_4arch9wavefront6targetE1EEEvS14_.uses_flat_scratch, 0
	.set _ZN7rocprim17ROCPRIM_400000_NS6detail17trampoline_kernelINS0_14default_configENS1_22reduce_config_selectorIN6thrust23THRUST_200600_302600_NS5tupleIblNS6_9null_typeES8_S8_S8_S8_S8_S8_S8_EEEEZNS1_11reduce_implILb1ES3_NS6_12zip_iteratorINS7_INS6_11hip_rocprim26transform_input_iterator_tIbNSD_35transform_pair_of_input_iterators_tIbNS6_6detail15normal_iteratorINS6_10device_ptrIKxEEEESL_NS6_8equal_toIxEEEENSG_9not_fun_tINSD_8identityEEEEENSD_19counting_iterator_tIlEES8_S8_S8_S8_S8_S8_S8_S8_EEEEPS9_S9_NSD_9__find_if7functorIS9_EEEE10hipError_tPvRmT1_T2_T3_mT4_P12ihipStream_tbEUlT_E0_NS1_11comp_targetILNS1_3genE9ELNS1_11target_archE1100ELNS1_3gpuE3ELNS1_3repE0EEENS1_30default_config_static_selectorELNS0_4arch9wavefront6targetE1EEEvS14_.has_dyn_sized_stack, 0
	.set _ZN7rocprim17ROCPRIM_400000_NS6detail17trampoline_kernelINS0_14default_configENS1_22reduce_config_selectorIN6thrust23THRUST_200600_302600_NS5tupleIblNS6_9null_typeES8_S8_S8_S8_S8_S8_S8_EEEEZNS1_11reduce_implILb1ES3_NS6_12zip_iteratorINS7_INS6_11hip_rocprim26transform_input_iterator_tIbNSD_35transform_pair_of_input_iterators_tIbNS6_6detail15normal_iteratorINS6_10device_ptrIKxEEEESL_NS6_8equal_toIxEEEENSG_9not_fun_tINSD_8identityEEEEENSD_19counting_iterator_tIlEES8_S8_S8_S8_S8_S8_S8_S8_EEEEPS9_S9_NSD_9__find_if7functorIS9_EEEE10hipError_tPvRmT1_T2_T3_mT4_P12ihipStream_tbEUlT_E0_NS1_11comp_targetILNS1_3genE9ELNS1_11target_archE1100ELNS1_3gpuE3ELNS1_3repE0EEENS1_30default_config_static_selectorELNS0_4arch9wavefront6targetE1EEEvS14_.has_recursion, 0
	.set _ZN7rocprim17ROCPRIM_400000_NS6detail17trampoline_kernelINS0_14default_configENS1_22reduce_config_selectorIN6thrust23THRUST_200600_302600_NS5tupleIblNS6_9null_typeES8_S8_S8_S8_S8_S8_S8_EEEEZNS1_11reduce_implILb1ES3_NS6_12zip_iteratorINS7_INS6_11hip_rocprim26transform_input_iterator_tIbNSD_35transform_pair_of_input_iterators_tIbNS6_6detail15normal_iteratorINS6_10device_ptrIKxEEEESL_NS6_8equal_toIxEEEENSG_9not_fun_tINSD_8identityEEEEENSD_19counting_iterator_tIlEES8_S8_S8_S8_S8_S8_S8_S8_EEEEPS9_S9_NSD_9__find_if7functorIS9_EEEE10hipError_tPvRmT1_T2_T3_mT4_P12ihipStream_tbEUlT_E0_NS1_11comp_targetILNS1_3genE9ELNS1_11target_archE1100ELNS1_3gpuE3ELNS1_3repE0EEENS1_30default_config_static_selectorELNS0_4arch9wavefront6targetE1EEEvS14_.has_indirect_call, 0
	.section	.AMDGPU.csdata,"",@progbits
; Kernel info:
; codeLenInByte = 0
; TotalNumSgprs: 4
; NumVgprs: 0
; ScratchSize: 0
; MemoryBound: 0
; FloatMode: 240
; IeeeMode: 1
; LDSByteSize: 0 bytes/workgroup (compile time only)
; SGPRBlocks: 0
; VGPRBlocks: 0
; NumSGPRsForWavesPerEU: 4
; NumVGPRsForWavesPerEU: 1
; Occupancy: 10
; WaveLimiterHint : 0
; COMPUTE_PGM_RSRC2:SCRATCH_EN: 0
; COMPUTE_PGM_RSRC2:USER_SGPR: 6
; COMPUTE_PGM_RSRC2:TRAP_HANDLER: 0
; COMPUTE_PGM_RSRC2:TGID_X_EN: 1
; COMPUTE_PGM_RSRC2:TGID_Y_EN: 0
; COMPUTE_PGM_RSRC2:TGID_Z_EN: 0
; COMPUTE_PGM_RSRC2:TIDIG_COMP_CNT: 0
	.section	.text._ZN7rocprim17ROCPRIM_400000_NS6detail17trampoline_kernelINS0_14default_configENS1_22reduce_config_selectorIN6thrust23THRUST_200600_302600_NS5tupleIblNS6_9null_typeES8_S8_S8_S8_S8_S8_S8_EEEEZNS1_11reduce_implILb1ES3_NS6_12zip_iteratorINS7_INS6_11hip_rocprim26transform_input_iterator_tIbNSD_35transform_pair_of_input_iterators_tIbNS6_6detail15normal_iteratorINS6_10device_ptrIKxEEEESL_NS6_8equal_toIxEEEENSG_9not_fun_tINSD_8identityEEEEENSD_19counting_iterator_tIlEES8_S8_S8_S8_S8_S8_S8_S8_EEEEPS9_S9_NSD_9__find_if7functorIS9_EEEE10hipError_tPvRmT1_T2_T3_mT4_P12ihipStream_tbEUlT_E0_NS1_11comp_targetILNS1_3genE8ELNS1_11target_archE1030ELNS1_3gpuE2ELNS1_3repE0EEENS1_30default_config_static_selectorELNS0_4arch9wavefront6targetE1EEEvS14_,"axG",@progbits,_ZN7rocprim17ROCPRIM_400000_NS6detail17trampoline_kernelINS0_14default_configENS1_22reduce_config_selectorIN6thrust23THRUST_200600_302600_NS5tupleIblNS6_9null_typeES8_S8_S8_S8_S8_S8_S8_EEEEZNS1_11reduce_implILb1ES3_NS6_12zip_iteratorINS7_INS6_11hip_rocprim26transform_input_iterator_tIbNSD_35transform_pair_of_input_iterators_tIbNS6_6detail15normal_iteratorINS6_10device_ptrIKxEEEESL_NS6_8equal_toIxEEEENSG_9not_fun_tINSD_8identityEEEEENSD_19counting_iterator_tIlEES8_S8_S8_S8_S8_S8_S8_S8_EEEEPS9_S9_NSD_9__find_if7functorIS9_EEEE10hipError_tPvRmT1_T2_T3_mT4_P12ihipStream_tbEUlT_E0_NS1_11comp_targetILNS1_3genE8ELNS1_11target_archE1030ELNS1_3gpuE2ELNS1_3repE0EEENS1_30default_config_static_selectorELNS0_4arch9wavefront6targetE1EEEvS14_,comdat
	.protected	_ZN7rocprim17ROCPRIM_400000_NS6detail17trampoline_kernelINS0_14default_configENS1_22reduce_config_selectorIN6thrust23THRUST_200600_302600_NS5tupleIblNS6_9null_typeES8_S8_S8_S8_S8_S8_S8_EEEEZNS1_11reduce_implILb1ES3_NS6_12zip_iteratorINS7_INS6_11hip_rocprim26transform_input_iterator_tIbNSD_35transform_pair_of_input_iterators_tIbNS6_6detail15normal_iteratorINS6_10device_ptrIKxEEEESL_NS6_8equal_toIxEEEENSG_9not_fun_tINSD_8identityEEEEENSD_19counting_iterator_tIlEES8_S8_S8_S8_S8_S8_S8_S8_EEEEPS9_S9_NSD_9__find_if7functorIS9_EEEE10hipError_tPvRmT1_T2_T3_mT4_P12ihipStream_tbEUlT_E0_NS1_11comp_targetILNS1_3genE8ELNS1_11target_archE1030ELNS1_3gpuE2ELNS1_3repE0EEENS1_30default_config_static_selectorELNS0_4arch9wavefront6targetE1EEEvS14_ ; -- Begin function _ZN7rocprim17ROCPRIM_400000_NS6detail17trampoline_kernelINS0_14default_configENS1_22reduce_config_selectorIN6thrust23THRUST_200600_302600_NS5tupleIblNS6_9null_typeES8_S8_S8_S8_S8_S8_S8_EEEEZNS1_11reduce_implILb1ES3_NS6_12zip_iteratorINS7_INS6_11hip_rocprim26transform_input_iterator_tIbNSD_35transform_pair_of_input_iterators_tIbNS6_6detail15normal_iteratorINS6_10device_ptrIKxEEEESL_NS6_8equal_toIxEEEENSG_9not_fun_tINSD_8identityEEEEENSD_19counting_iterator_tIlEES8_S8_S8_S8_S8_S8_S8_S8_EEEEPS9_S9_NSD_9__find_if7functorIS9_EEEE10hipError_tPvRmT1_T2_T3_mT4_P12ihipStream_tbEUlT_E0_NS1_11comp_targetILNS1_3genE8ELNS1_11target_archE1030ELNS1_3gpuE2ELNS1_3repE0EEENS1_30default_config_static_selectorELNS0_4arch9wavefront6targetE1EEEvS14_
	.globl	_ZN7rocprim17ROCPRIM_400000_NS6detail17trampoline_kernelINS0_14default_configENS1_22reduce_config_selectorIN6thrust23THRUST_200600_302600_NS5tupleIblNS6_9null_typeES8_S8_S8_S8_S8_S8_S8_EEEEZNS1_11reduce_implILb1ES3_NS6_12zip_iteratorINS7_INS6_11hip_rocprim26transform_input_iterator_tIbNSD_35transform_pair_of_input_iterators_tIbNS6_6detail15normal_iteratorINS6_10device_ptrIKxEEEESL_NS6_8equal_toIxEEEENSG_9not_fun_tINSD_8identityEEEEENSD_19counting_iterator_tIlEES8_S8_S8_S8_S8_S8_S8_S8_EEEEPS9_S9_NSD_9__find_if7functorIS9_EEEE10hipError_tPvRmT1_T2_T3_mT4_P12ihipStream_tbEUlT_E0_NS1_11comp_targetILNS1_3genE8ELNS1_11target_archE1030ELNS1_3gpuE2ELNS1_3repE0EEENS1_30default_config_static_selectorELNS0_4arch9wavefront6targetE1EEEvS14_
	.p2align	8
	.type	_ZN7rocprim17ROCPRIM_400000_NS6detail17trampoline_kernelINS0_14default_configENS1_22reduce_config_selectorIN6thrust23THRUST_200600_302600_NS5tupleIblNS6_9null_typeES8_S8_S8_S8_S8_S8_S8_EEEEZNS1_11reduce_implILb1ES3_NS6_12zip_iteratorINS7_INS6_11hip_rocprim26transform_input_iterator_tIbNSD_35transform_pair_of_input_iterators_tIbNS6_6detail15normal_iteratorINS6_10device_ptrIKxEEEESL_NS6_8equal_toIxEEEENSG_9not_fun_tINSD_8identityEEEEENSD_19counting_iterator_tIlEES8_S8_S8_S8_S8_S8_S8_S8_EEEEPS9_S9_NSD_9__find_if7functorIS9_EEEE10hipError_tPvRmT1_T2_T3_mT4_P12ihipStream_tbEUlT_E0_NS1_11comp_targetILNS1_3genE8ELNS1_11target_archE1030ELNS1_3gpuE2ELNS1_3repE0EEENS1_30default_config_static_selectorELNS0_4arch9wavefront6targetE1EEEvS14_,@function
_ZN7rocprim17ROCPRIM_400000_NS6detail17trampoline_kernelINS0_14default_configENS1_22reduce_config_selectorIN6thrust23THRUST_200600_302600_NS5tupleIblNS6_9null_typeES8_S8_S8_S8_S8_S8_S8_EEEEZNS1_11reduce_implILb1ES3_NS6_12zip_iteratorINS7_INS6_11hip_rocprim26transform_input_iterator_tIbNSD_35transform_pair_of_input_iterators_tIbNS6_6detail15normal_iteratorINS6_10device_ptrIKxEEEESL_NS6_8equal_toIxEEEENSG_9not_fun_tINSD_8identityEEEEENSD_19counting_iterator_tIlEES8_S8_S8_S8_S8_S8_S8_S8_EEEEPS9_S9_NSD_9__find_if7functorIS9_EEEE10hipError_tPvRmT1_T2_T3_mT4_P12ihipStream_tbEUlT_E0_NS1_11comp_targetILNS1_3genE8ELNS1_11target_archE1030ELNS1_3gpuE2ELNS1_3repE0EEENS1_30default_config_static_selectorELNS0_4arch9wavefront6targetE1EEEvS14_: ; @_ZN7rocprim17ROCPRIM_400000_NS6detail17trampoline_kernelINS0_14default_configENS1_22reduce_config_selectorIN6thrust23THRUST_200600_302600_NS5tupleIblNS6_9null_typeES8_S8_S8_S8_S8_S8_S8_EEEEZNS1_11reduce_implILb1ES3_NS6_12zip_iteratorINS7_INS6_11hip_rocprim26transform_input_iterator_tIbNSD_35transform_pair_of_input_iterators_tIbNS6_6detail15normal_iteratorINS6_10device_ptrIKxEEEESL_NS6_8equal_toIxEEEENSG_9not_fun_tINSD_8identityEEEEENSD_19counting_iterator_tIlEES8_S8_S8_S8_S8_S8_S8_S8_EEEEPS9_S9_NSD_9__find_if7functorIS9_EEEE10hipError_tPvRmT1_T2_T3_mT4_P12ihipStream_tbEUlT_E0_NS1_11comp_targetILNS1_3genE8ELNS1_11target_archE1030ELNS1_3gpuE2ELNS1_3repE0EEENS1_30default_config_static_selectorELNS0_4arch9wavefront6targetE1EEEvS14_
; %bb.0:
	.section	.rodata,"a",@progbits
	.p2align	6, 0x0
	.amdhsa_kernel _ZN7rocprim17ROCPRIM_400000_NS6detail17trampoline_kernelINS0_14default_configENS1_22reduce_config_selectorIN6thrust23THRUST_200600_302600_NS5tupleIblNS6_9null_typeES8_S8_S8_S8_S8_S8_S8_EEEEZNS1_11reduce_implILb1ES3_NS6_12zip_iteratorINS7_INS6_11hip_rocprim26transform_input_iterator_tIbNSD_35transform_pair_of_input_iterators_tIbNS6_6detail15normal_iteratorINS6_10device_ptrIKxEEEESL_NS6_8equal_toIxEEEENSG_9not_fun_tINSD_8identityEEEEENSD_19counting_iterator_tIlEES8_S8_S8_S8_S8_S8_S8_S8_EEEEPS9_S9_NSD_9__find_if7functorIS9_EEEE10hipError_tPvRmT1_T2_T3_mT4_P12ihipStream_tbEUlT_E0_NS1_11comp_targetILNS1_3genE8ELNS1_11target_archE1030ELNS1_3gpuE2ELNS1_3repE0EEENS1_30default_config_static_selectorELNS0_4arch9wavefront6targetE1EEEvS14_
		.amdhsa_group_segment_fixed_size 0
		.amdhsa_private_segment_fixed_size 0
		.amdhsa_kernarg_size 104
		.amdhsa_user_sgpr_count 6
		.amdhsa_user_sgpr_private_segment_buffer 1
		.amdhsa_user_sgpr_dispatch_ptr 0
		.amdhsa_user_sgpr_queue_ptr 0
		.amdhsa_user_sgpr_kernarg_segment_ptr 1
		.amdhsa_user_sgpr_dispatch_id 0
		.amdhsa_user_sgpr_flat_scratch_init 0
		.amdhsa_user_sgpr_private_segment_size 0
		.amdhsa_uses_dynamic_stack 0
		.amdhsa_system_sgpr_private_segment_wavefront_offset 0
		.amdhsa_system_sgpr_workgroup_id_x 1
		.amdhsa_system_sgpr_workgroup_id_y 0
		.amdhsa_system_sgpr_workgroup_id_z 0
		.amdhsa_system_sgpr_workgroup_info 0
		.amdhsa_system_vgpr_workitem_id 0
		.amdhsa_next_free_vgpr 1
		.amdhsa_next_free_sgpr 0
		.amdhsa_reserve_vcc 0
		.amdhsa_reserve_flat_scratch 0
		.amdhsa_float_round_mode_32 0
		.amdhsa_float_round_mode_16_64 0
		.amdhsa_float_denorm_mode_32 3
		.amdhsa_float_denorm_mode_16_64 3
		.amdhsa_dx10_clamp 1
		.amdhsa_ieee_mode 1
		.amdhsa_fp16_overflow 0
		.amdhsa_exception_fp_ieee_invalid_op 0
		.amdhsa_exception_fp_denorm_src 0
		.amdhsa_exception_fp_ieee_div_zero 0
		.amdhsa_exception_fp_ieee_overflow 0
		.amdhsa_exception_fp_ieee_underflow 0
		.amdhsa_exception_fp_ieee_inexact 0
		.amdhsa_exception_int_div_zero 0
	.end_amdhsa_kernel
	.section	.text._ZN7rocprim17ROCPRIM_400000_NS6detail17trampoline_kernelINS0_14default_configENS1_22reduce_config_selectorIN6thrust23THRUST_200600_302600_NS5tupleIblNS6_9null_typeES8_S8_S8_S8_S8_S8_S8_EEEEZNS1_11reduce_implILb1ES3_NS6_12zip_iteratorINS7_INS6_11hip_rocprim26transform_input_iterator_tIbNSD_35transform_pair_of_input_iterators_tIbNS6_6detail15normal_iteratorINS6_10device_ptrIKxEEEESL_NS6_8equal_toIxEEEENSG_9not_fun_tINSD_8identityEEEEENSD_19counting_iterator_tIlEES8_S8_S8_S8_S8_S8_S8_S8_EEEEPS9_S9_NSD_9__find_if7functorIS9_EEEE10hipError_tPvRmT1_T2_T3_mT4_P12ihipStream_tbEUlT_E0_NS1_11comp_targetILNS1_3genE8ELNS1_11target_archE1030ELNS1_3gpuE2ELNS1_3repE0EEENS1_30default_config_static_selectorELNS0_4arch9wavefront6targetE1EEEvS14_,"axG",@progbits,_ZN7rocprim17ROCPRIM_400000_NS6detail17trampoline_kernelINS0_14default_configENS1_22reduce_config_selectorIN6thrust23THRUST_200600_302600_NS5tupleIblNS6_9null_typeES8_S8_S8_S8_S8_S8_S8_EEEEZNS1_11reduce_implILb1ES3_NS6_12zip_iteratorINS7_INS6_11hip_rocprim26transform_input_iterator_tIbNSD_35transform_pair_of_input_iterators_tIbNS6_6detail15normal_iteratorINS6_10device_ptrIKxEEEESL_NS6_8equal_toIxEEEENSG_9not_fun_tINSD_8identityEEEEENSD_19counting_iterator_tIlEES8_S8_S8_S8_S8_S8_S8_S8_EEEEPS9_S9_NSD_9__find_if7functorIS9_EEEE10hipError_tPvRmT1_T2_T3_mT4_P12ihipStream_tbEUlT_E0_NS1_11comp_targetILNS1_3genE8ELNS1_11target_archE1030ELNS1_3gpuE2ELNS1_3repE0EEENS1_30default_config_static_selectorELNS0_4arch9wavefront6targetE1EEEvS14_,comdat
.Lfunc_end527:
	.size	_ZN7rocprim17ROCPRIM_400000_NS6detail17trampoline_kernelINS0_14default_configENS1_22reduce_config_selectorIN6thrust23THRUST_200600_302600_NS5tupleIblNS6_9null_typeES8_S8_S8_S8_S8_S8_S8_EEEEZNS1_11reduce_implILb1ES3_NS6_12zip_iteratorINS7_INS6_11hip_rocprim26transform_input_iterator_tIbNSD_35transform_pair_of_input_iterators_tIbNS6_6detail15normal_iteratorINS6_10device_ptrIKxEEEESL_NS6_8equal_toIxEEEENSG_9not_fun_tINSD_8identityEEEEENSD_19counting_iterator_tIlEES8_S8_S8_S8_S8_S8_S8_S8_EEEEPS9_S9_NSD_9__find_if7functorIS9_EEEE10hipError_tPvRmT1_T2_T3_mT4_P12ihipStream_tbEUlT_E0_NS1_11comp_targetILNS1_3genE8ELNS1_11target_archE1030ELNS1_3gpuE2ELNS1_3repE0EEENS1_30default_config_static_selectorELNS0_4arch9wavefront6targetE1EEEvS14_, .Lfunc_end527-_ZN7rocprim17ROCPRIM_400000_NS6detail17trampoline_kernelINS0_14default_configENS1_22reduce_config_selectorIN6thrust23THRUST_200600_302600_NS5tupleIblNS6_9null_typeES8_S8_S8_S8_S8_S8_S8_EEEEZNS1_11reduce_implILb1ES3_NS6_12zip_iteratorINS7_INS6_11hip_rocprim26transform_input_iterator_tIbNSD_35transform_pair_of_input_iterators_tIbNS6_6detail15normal_iteratorINS6_10device_ptrIKxEEEESL_NS6_8equal_toIxEEEENSG_9not_fun_tINSD_8identityEEEEENSD_19counting_iterator_tIlEES8_S8_S8_S8_S8_S8_S8_S8_EEEEPS9_S9_NSD_9__find_if7functorIS9_EEEE10hipError_tPvRmT1_T2_T3_mT4_P12ihipStream_tbEUlT_E0_NS1_11comp_targetILNS1_3genE8ELNS1_11target_archE1030ELNS1_3gpuE2ELNS1_3repE0EEENS1_30default_config_static_selectorELNS0_4arch9wavefront6targetE1EEEvS14_
                                        ; -- End function
	.set _ZN7rocprim17ROCPRIM_400000_NS6detail17trampoline_kernelINS0_14default_configENS1_22reduce_config_selectorIN6thrust23THRUST_200600_302600_NS5tupleIblNS6_9null_typeES8_S8_S8_S8_S8_S8_S8_EEEEZNS1_11reduce_implILb1ES3_NS6_12zip_iteratorINS7_INS6_11hip_rocprim26transform_input_iterator_tIbNSD_35transform_pair_of_input_iterators_tIbNS6_6detail15normal_iteratorINS6_10device_ptrIKxEEEESL_NS6_8equal_toIxEEEENSG_9not_fun_tINSD_8identityEEEEENSD_19counting_iterator_tIlEES8_S8_S8_S8_S8_S8_S8_S8_EEEEPS9_S9_NSD_9__find_if7functorIS9_EEEE10hipError_tPvRmT1_T2_T3_mT4_P12ihipStream_tbEUlT_E0_NS1_11comp_targetILNS1_3genE8ELNS1_11target_archE1030ELNS1_3gpuE2ELNS1_3repE0EEENS1_30default_config_static_selectorELNS0_4arch9wavefront6targetE1EEEvS14_.num_vgpr, 0
	.set _ZN7rocprim17ROCPRIM_400000_NS6detail17trampoline_kernelINS0_14default_configENS1_22reduce_config_selectorIN6thrust23THRUST_200600_302600_NS5tupleIblNS6_9null_typeES8_S8_S8_S8_S8_S8_S8_EEEEZNS1_11reduce_implILb1ES3_NS6_12zip_iteratorINS7_INS6_11hip_rocprim26transform_input_iterator_tIbNSD_35transform_pair_of_input_iterators_tIbNS6_6detail15normal_iteratorINS6_10device_ptrIKxEEEESL_NS6_8equal_toIxEEEENSG_9not_fun_tINSD_8identityEEEEENSD_19counting_iterator_tIlEES8_S8_S8_S8_S8_S8_S8_S8_EEEEPS9_S9_NSD_9__find_if7functorIS9_EEEE10hipError_tPvRmT1_T2_T3_mT4_P12ihipStream_tbEUlT_E0_NS1_11comp_targetILNS1_3genE8ELNS1_11target_archE1030ELNS1_3gpuE2ELNS1_3repE0EEENS1_30default_config_static_selectorELNS0_4arch9wavefront6targetE1EEEvS14_.num_agpr, 0
	.set _ZN7rocprim17ROCPRIM_400000_NS6detail17trampoline_kernelINS0_14default_configENS1_22reduce_config_selectorIN6thrust23THRUST_200600_302600_NS5tupleIblNS6_9null_typeES8_S8_S8_S8_S8_S8_S8_EEEEZNS1_11reduce_implILb1ES3_NS6_12zip_iteratorINS7_INS6_11hip_rocprim26transform_input_iterator_tIbNSD_35transform_pair_of_input_iterators_tIbNS6_6detail15normal_iteratorINS6_10device_ptrIKxEEEESL_NS6_8equal_toIxEEEENSG_9not_fun_tINSD_8identityEEEEENSD_19counting_iterator_tIlEES8_S8_S8_S8_S8_S8_S8_S8_EEEEPS9_S9_NSD_9__find_if7functorIS9_EEEE10hipError_tPvRmT1_T2_T3_mT4_P12ihipStream_tbEUlT_E0_NS1_11comp_targetILNS1_3genE8ELNS1_11target_archE1030ELNS1_3gpuE2ELNS1_3repE0EEENS1_30default_config_static_selectorELNS0_4arch9wavefront6targetE1EEEvS14_.numbered_sgpr, 0
	.set _ZN7rocprim17ROCPRIM_400000_NS6detail17trampoline_kernelINS0_14default_configENS1_22reduce_config_selectorIN6thrust23THRUST_200600_302600_NS5tupleIblNS6_9null_typeES8_S8_S8_S8_S8_S8_S8_EEEEZNS1_11reduce_implILb1ES3_NS6_12zip_iteratorINS7_INS6_11hip_rocprim26transform_input_iterator_tIbNSD_35transform_pair_of_input_iterators_tIbNS6_6detail15normal_iteratorINS6_10device_ptrIKxEEEESL_NS6_8equal_toIxEEEENSG_9not_fun_tINSD_8identityEEEEENSD_19counting_iterator_tIlEES8_S8_S8_S8_S8_S8_S8_S8_EEEEPS9_S9_NSD_9__find_if7functorIS9_EEEE10hipError_tPvRmT1_T2_T3_mT4_P12ihipStream_tbEUlT_E0_NS1_11comp_targetILNS1_3genE8ELNS1_11target_archE1030ELNS1_3gpuE2ELNS1_3repE0EEENS1_30default_config_static_selectorELNS0_4arch9wavefront6targetE1EEEvS14_.num_named_barrier, 0
	.set _ZN7rocprim17ROCPRIM_400000_NS6detail17trampoline_kernelINS0_14default_configENS1_22reduce_config_selectorIN6thrust23THRUST_200600_302600_NS5tupleIblNS6_9null_typeES8_S8_S8_S8_S8_S8_S8_EEEEZNS1_11reduce_implILb1ES3_NS6_12zip_iteratorINS7_INS6_11hip_rocprim26transform_input_iterator_tIbNSD_35transform_pair_of_input_iterators_tIbNS6_6detail15normal_iteratorINS6_10device_ptrIKxEEEESL_NS6_8equal_toIxEEEENSG_9not_fun_tINSD_8identityEEEEENSD_19counting_iterator_tIlEES8_S8_S8_S8_S8_S8_S8_S8_EEEEPS9_S9_NSD_9__find_if7functorIS9_EEEE10hipError_tPvRmT1_T2_T3_mT4_P12ihipStream_tbEUlT_E0_NS1_11comp_targetILNS1_3genE8ELNS1_11target_archE1030ELNS1_3gpuE2ELNS1_3repE0EEENS1_30default_config_static_selectorELNS0_4arch9wavefront6targetE1EEEvS14_.private_seg_size, 0
	.set _ZN7rocprim17ROCPRIM_400000_NS6detail17trampoline_kernelINS0_14default_configENS1_22reduce_config_selectorIN6thrust23THRUST_200600_302600_NS5tupleIblNS6_9null_typeES8_S8_S8_S8_S8_S8_S8_EEEEZNS1_11reduce_implILb1ES3_NS6_12zip_iteratorINS7_INS6_11hip_rocprim26transform_input_iterator_tIbNSD_35transform_pair_of_input_iterators_tIbNS6_6detail15normal_iteratorINS6_10device_ptrIKxEEEESL_NS6_8equal_toIxEEEENSG_9not_fun_tINSD_8identityEEEEENSD_19counting_iterator_tIlEES8_S8_S8_S8_S8_S8_S8_S8_EEEEPS9_S9_NSD_9__find_if7functorIS9_EEEE10hipError_tPvRmT1_T2_T3_mT4_P12ihipStream_tbEUlT_E0_NS1_11comp_targetILNS1_3genE8ELNS1_11target_archE1030ELNS1_3gpuE2ELNS1_3repE0EEENS1_30default_config_static_selectorELNS0_4arch9wavefront6targetE1EEEvS14_.uses_vcc, 0
	.set _ZN7rocprim17ROCPRIM_400000_NS6detail17trampoline_kernelINS0_14default_configENS1_22reduce_config_selectorIN6thrust23THRUST_200600_302600_NS5tupleIblNS6_9null_typeES8_S8_S8_S8_S8_S8_S8_EEEEZNS1_11reduce_implILb1ES3_NS6_12zip_iteratorINS7_INS6_11hip_rocprim26transform_input_iterator_tIbNSD_35transform_pair_of_input_iterators_tIbNS6_6detail15normal_iteratorINS6_10device_ptrIKxEEEESL_NS6_8equal_toIxEEEENSG_9not_fun_tINSD_8identityEEEEENSD_19counting_iterator_tIlEES8_S8_S8_S8_S8_S8_S8_S8_EEEEPS9_S9_NSD_9__find_if7functorIS9_EEEE10hipError_tPvRmT1_T2_T3_mT4_P12ihipStream_tbEUlT_E0_NS1_11comp_targetILNS1_3genE8ELNS1_11target_archE1030ELNS1_3gpuE2ELNS1_3repE0EEENS1_30default_config_static_selectorELNS0_4arch9wavefront6targetE1EEEvS14_.uses_flat_scratch, 0
	.set _ZN7rocprim17ROCPRIM_400000_NS6detail17trampoline_kernelINS0_14default_configENS1_22reduce_config_selectorIN6thrust23THRUST_200600_302600_NS5tupleIblNS6_9null_typeES8_S8_S8_S8_S8_S8_S8_EEEEZNS1_11reduce_implILb1ES3_NS6_12zip_iteratorINS7_INS6_11hip_rocprim26transform_input_iterator_tIbNSD_35transform_pair_of_input_iterators_tIbNS6_6detail15normal_iteratorINS6_10device_ptrIKxEEEESL_NS6_8equal_toIxEEEENSG_9not_fun_tINSD_8identityEEEEENSD_19counting_iterator_tIlEES8_S8_S8_S8_S8_S8_S8_S8_EEEEPS9_S9_NSD_9__find_if7functorIS9_EEEE10hipError_tPvRmT1_T2_T3_mT4_P12ihipStream_tbEUlT_E0_NS1_11comp_targetILNS1_3genE8ELNS1_11target_archE1030ELNS1_3gpuE2ELNS1_3repE0EEENS1_30default_config_static_selectorELNS0_4arch9wavefront6targetE1EEEvS14_.has_dyn_sized_stack, 0
	.set _ZN7rocprim17ROCPRIM_400000_NS6detail17trampoline_kernelINS0_14default_configENS1_22reduce_config_selectorIN6thrust23THRUST_200600_302600_NS5tupleIblNS6_9null_typeES8_S8_S8_S8_S8_S8_S8_EEEEZNS1_11reduce_implILb1ES3_NS6_12zip_iteratorINS7_INS6_11hip_rocprim26transform_input_iterator_tIbNSD_35transform_pair_of_input_iterators_tIbNS6_6detail15normal_iteratorINS6_10device_ptrIKxEEEESL_NS6_8equal_toIxEEEENSG_9not_fun_tINSD_8identityEEEEENSD_19counting_iterator_tIlEES8_S8_S8_S8_S8_S8_S8_S8_EEEEPS9_S9_NSD_9__find_if7functorIS9_EEEE10hipError_tPvRmT1_T2_T3_mT4_P12ihipStream_tbEUlT_E0_NS1_11comp_targetILNS1_3genE8ELNS1_11target_archE1030ELNS1_3gpuE2ELNS1_3repE0EEENS1_30default_config_static_selectorELNS0_4arch9wavefront6targetE1EEEvS14_.has_recursion, 0
	.set _ZN7rocprim17ROCPRIM_400000_NS6detail17trampoline_kernelINS0_14default_configENS1_22reduce_config_selectorIN6thrust23THRUST_200600_302600_NS5tupleIblNS6_9null_typeES8_S8_S8_S8_S8_S8_S8_EEEEZNS1_11reduce_implILb1ES3_NS6_12zip_iteratorINS7_INS6_11hip_rocprim26transform_input_iterator_tIbNSD_35transform_pair_of_input_iterators_tIbNS6_6detail15normal_iteratorINS6_10device_ptrIKxEEEESL_NS6_8equal_toIxEEEENSG_9not_fun_tINSD_8identityEEEEENSD_19counting_iterator_tIlEES8_S8_S8_S8_S8_S8_S8_S8_EEEEPS9_S9_NSD_9__find_if7functorIS9_EEEE10hipError_tPvRmT1_T2_T3_mT4_P12ihipStream_tbEUlT_E0_NS1_11comp_targetILNS1_3genE8ELNS1_11target_archE1030ELNS1_3gpuE2ELNS1_3repE0EEENS1_30default_config_static_selectorELNS0_4arch9wavefront6targetE1EEEvS14_.has_indirect_call, 0
	.section	.AMDGPU.csdata,"",@progbits
; Kernel info:
; codeLenInByte = 0
; TotalNumSgprs: 4
; NumVgprs: 0
; ScratchSize: 0
; MemoryBound: 0
; FloatMode: 240
; IeeeMode: 1
; LDSByteSize: 0 bytes/workgroup (compile time only)
; SGPRBlocks: 0
; VGPRBlocks: 0
; NumSGPRsForWavesPerEU: 4
; NumVGPRsForWavesPerEU: 1
; Occupancy: 10
; WaveLimiterHint : 0
; COMPUTE_PGM_RSRC2:SCRATCH_EN: 0
; COMPUTE_PGM_RSRC2:USER_SGPR: 6
; COMPUTE_PGM_RSRC2:TRAP_HANDLER: 0
; COMPUTE_PGM_RSRC2:TGID_X_EN: 1
; COMPUTE_PGM_RSRC2:TGID_Y_EN: 0
; COMPUTE_PGM_RSRC2:TGID_Z_EN: 0
; COMPUTE_PGM_RSRC2:TIDIG_COMP_CNT: 0
	.section	.text._ZN7rocprim17ROCPRIM_400000_NS6detail17trampoline_kernelINS0_14default_configENS1_22reduce_config_selectorIN6thrust23THRUST_200600_302600_NS5tupleIblNS6_9null_typeES8_S8_S8_S8_S8_S8_S8_EEEEZNS1_11reduce_implILb1ES3_NS6_12zip_iteratorINS7_INS6_11hip_rocprim26transform_input_iterator_tIbNSD_35transform_pair_of_input_iterators_tIbNS6_6detail15normal_iteratorINS6_10device_ptrIKxEEEESL_NS6_8equal_toIxEEEENSG_9not_fun_tINSD_8identityEEEEENSD_19counting_iterator_tIlEES8_S8_S8_S8_S8_S8_S8_S8_EEEEPS9_S9_NSD_9__find_if7functorIS9_EEEE10hipError_tPvRmT1_T2_T3_mT4_P12ihipStream_tbEUlT_E1_NS1_11comp_targetILNS1_3genE0ELNS1_11target_archE4294967295ELNS1_3gpuE0ELNS1_3repE0EEENS1_30default_config_static_selectorELNS0_4arch9wavefront6targetE1EEEvS14_,"axG",@progbits,_ZN7rocprim17ROCPRIM_400000_NS6detail17trampoline_kernelINS0_14default_configENS1_22reduce_config_selectorIN6thrust23THRUST_200600_302600_NS5tupleIblNS6_9null_typeES8_S8_S8_S8_S8_S8_S8_EEEEZNS1_11reduce_implILb1ES3_NS6_12zip_iteratorINS7_INS6_11hip_rocprim26transform_input_iterator_tIbNSD_35transform_pair_of_input_iterators_tIbNS6_6detail15normal_iteratorINS6_10device_ptrIKxEEEESL_NS6_8equal_toIxEEEENSG_9not_fun_tINSD_8identityEEEEENSD_19counting_iterator_tIlEES8_S8_S8_S8_S8_S8_S8_S8_EEEEPS9_S9_NSD_9__find_if7functorIS9_EEEE10hipError_tPvRmT1_T2_T3_mT4_P12ihipStream_tbEUlT_E1_NS1_11comp_targetILNS1_3genE0ELNS1_11target_archE4294967295ELNS1_3gpuE0ELNS1_3repE0EEENS1_30default_config_static_selectorELNS0_4arch9wavefront6targetE1EEEvS14_,comdat
	.protected	_ZN7rocprim17ROCPRIM_400000_NS6detail17trampoline_kernelINS0_14default_configENS1_22reduce_config_selectorIN6thrust23THRUST_200600_302600_NS5tupleIblNS6_9null_typeES8_S8_S8_S8_S8_S8_S8_EEEEZNS1_11reduce_implILb1ES3_NS6_12zip_iteratorINS7_INS6_11hip_rocprim26transform_input_iterator_tIbNSD_35transform_pair_of_input_iterators_tIbNS6_6detail15normal_iteratorINS6_10device_ptrIKxEEEESL_NS6_8equal_toIxEEEENSG_9not_fun_tINSD_8identityEEEEENSD_19counting_iterator_tIlEES8_S8_S8_S8_S8_S8_S8_S8_EEEEPS9_S9_NSD_9__find_if7functorIS9_EEEE10hipError_tPvRmT1_T2_T3_mT4_P12ihipStream_tbEUlT_E1_NS1_11comp_targetILNS1_3genE0ELNS1_11target_archE4294967295ELNS1_3gpuE0ELNS1_3repE0EEENS1_30default_config_static_selectorELNS0_4arch9wavefront6targetE1EEEvS14_ ; -- Begin function _ZN7rocprim17ROCPRIM_400000_NS6detail17trampoline_kernelINS0_14default_configENS1_22reduce_config_selectorIN6thrust23THRUST_200600_302600_NS5tupleIblNS6_9null_typeES8_S8_S8_S8_S8_S8_S8_EEEEZNS1_11reduce_implILb1ES3_NS6_12zip_iteratorINS7_INS6_11hip_rocprim26transform_input_iterator_tIbNSD_35transform_pair_of_input_iterators_tIbNS6_6detail15normal_iteratorINS6_10device_ptrIKxEEEESL_NS6_8equal_toIxEEEENSG_9not_fun_tINSD_8identityEEEEENSD_19counting_iterator_tIlEES8_S8_S8_S8_S8_S8_S8_S8_EEEEPS9_S9_NSD_9__find_if7functorIS9_EEEE10hipError_tPvRmT1_T2_T3_mT4_P12ihipStream_tbEUlT_E1_NS1_11comp_targetILNS1_3genE0ELNS1_11target_archE4294967295ELNS1_3gpuE0ELNS1_3repE0EEENS1_30default_config_static_selectorELNS0_4arch9wavefront6targetE1EEEvS14_
	.globl	_ZN7rocprim17ROCPRIM_400000_NS6detail17trampoline_kernelINS0_14default_configENS1_22reduce_config_selectorIN6thrust23THRUST_200600_302600_NS5tupleIblNS6_9null_typeES8_S8_S8_S8_S8_S8_S8_EEEEZNS1_11reduce_implILb1ES3_NS6_12zip_iteratorINS7_INS6_11hip_rocprim26transform_input_iterator_tIbNSD_35transform_pair_of_input_iterators_tIbNS6_6detail15normal_iteratorINS6_10device_ptrIKxEEEESL_NS6_8equal_toIxEEEENSG_9not_fun_tINSD_8identityEEEEENSD_19counting_iterator_tIlEES8_S8_S8_S8_S8_S8_S8_S8_EEEEPS9_S9_NSD_9__find_if7functorIS9_EEEE10hipError_tPvRmT1_T2_T3_mT4_P12ihipStream_tbEUlT_E1_NS1_11comp_targetILNS1_3genE0ELNS1_11target_archE4294967295ELNS1_3gpuE0ELNS1_3repE0EEENS1_30default_config_static_selectorELNS0_4arch9wavefront6targetE1EEEvS14_
	.p2align	8
	.type	_ZN7rocprim17ROCPRIM_400000_NS6detail17trampoline_kernelINS0_14default_configENS1_22reduce_config_selectorIN6thrust23THRUST_200600_302600_NS5tupleIblNS6_9null_typeES8_S8_S8_S8_S8_S8_S8_EEEEZNS1_11reduce_implILb1ES3_NS6_12zip_iteratorINS7_INS6_11hip_rocprim26transform_input_iterator_tIbNSD_35transform_pair_of_input_iterators_tIbNS6_6detail15normal_iteratorINS6_10device_ptrIKxEEEESL_NS6_8equal_toIxEEEENSG_9not_fun_tINSD_8identityEEEEENSD_19counting_iterator_tIlEES8_S8_S8_S8_S8_S8_S8_S8_EEEEPS9_S9_NSD_9__find_if7functorIS9_EEEE10hipError_tPvRmT1_T2_T3_mT4_P12ihipStream_tbEUlT_E1_NS1_11comp_targetILNS1_3genE0ELNS1_11target_archE4294967295ELNS1_3gpuE0ELNS1_3repE0EEENS1_30default_config_static_selectorELNS0_4arch9wavefront6targetE1EEEvS14_,@function
_ZN7rocprim17ROCPRIM_400000_NS6detail17trampoline_kernelINS0_14default_configENS1_22reduce_config_selectorIN6thrust23THRUST_200600_302600_NS5tupleIblNS6_9null_typeES8_S8_S8_S8_S8_S8_S8_EEEEZNS1_11reduce_implILb1ES3_NS6_12zip_iteratorINS7_INS6_11hip_rocprim26transform_input_iterator_tIbNSD_35transform_pair_of_input_iterators_tIbNS6_6detail15normal_iteratorINS6_10device_ptrIKxEEEESL_NS6_8equal_toIxEEEENSG_9not_fun_tINSD_8identityEEEEENSD_19counting_iterator_tIlEES8_S8_S8_S8_S8_S8_S8_S8_EEEEPS9_S9_NSD_9__find_if7functorIS9_EEEE10hipError_tPvRmT1_T2_T3_mT4_P12ihipStream_tbEUlT_E1_NS1_11comp_targetILNS1_3genE0ELNS1_11target_archE4294967295ELNS1_3gpuE0ELNS1_3repE0EEENS1_30default_config_static_selectorELNS0_4arch9wavefront6targetE1EEEvS14_: ; @_ZN7rocprim17ROCPRIM_400000_NS6detail17trampoline_kernelINS0_14default_configENS1_22reduce_config_selectorIN6thrust23THRUST_200600_302600_NS5tupleIblNS6_9null_typeES8_S8_S8_S8_S8_S8_S8_EEEEZNS1_11reduce_implILb1ES3_NS6_12zip_iteratorINS7_INS6_11hip_rocprim26transform_input_iterator_tIbNSD_35transform_pair_of_input_iterators_tIbNS6_6detail15normal_iteratorINS6_10device_ptrIKxEEEESL_NS6_8equal_toIxEEEENSG_9not_fun_tINSD_8identityEEEEENSD_19counting_iterator_tIlEES8_S8_S8_S8_S8_S8_S8_S8_EEEEPS9_S9_NSD_9__find_if7functorIS9_EEEE10hipError_tPvRmT1_T2_T3_mT4_P12ihipStream_tbEUlT_E1_NS1_11comp_targetILNS1_3genE0ELNS1_11target_archE4294967295ELNS1_3gpuE0ELNS1_3repE0EEENS1_30default_config_static_selectorELNS0_4arch9wavefront6targetE1EEEvS14_
; %bb.0:
	.section	.rodata,"a",@progbits
	.p2align	6, 0x0
	.amdhsa_kernel _ZN7rocprim17ROCPRIM_400000_NS6detail17trampoline_kernelINS0_14default_configENS1_22reduce_config_selectorIN6thrust23THRUST_200600_302600_NS5tupleIblNS6_9null_typeES8_S8_S8_S8_S8_S8_S8_EEEEZNS1_11reduce_implILb1ES3_NS6_12zip_iteratorINS7_INS6_11hip_rocprim26transform_input_iterator_tIbNSD_35transform_pair_of_input_iterators_tIbNS6_6detail15normal_iteratorINS6_10device_ptrIKxEEEESL_NS6_8equal_toIxEEEENSG_9not_fun_tINSD_8identityEEEEENSD_19counting_iterator_tIlEES8_S8_S8_S8_S8_S8_S8_S8_EEEEPS9_S9_NSD_9__find_if7functorIS9_EEEE10hipError_tPvRmT1_T2_T3_mT4_P12ihipStream_tbEUlT_E1_NS1_11comp_targetILNS1_3genE0ELNS1_11target_archE4294967295ELNS1_3gpuE0ELNS1_3repE0EEENS1_30default_config_static_selectorELNS0_4arch9wavefront6targetE1EEEvS14_
		.amdhsa_group_segment_fixed_size 0
		.amdhsa_private_segment_fixed_size 0
		.amdhsa_kernarg_size 88
		.amdhsa_user_sgpr_count 6
		.amdhsa_user_sgpr_private_segment_buffer 1
		.amdhsa_user_sgpr_dispatch_ptr 0
		.amdhsa_user_sgpr_queue_ptr 0
		.amdhsa_user_sgpr_kernarg_segment_ptr 1
		.amdhsa_user_sgpr_dispatch_id 0
		.amdhsa_user_sgpr_flat_scratch_init 0
		.amdhsa_user_sgpr_private_segment_size 0
		.amdhsa_uses_dynamic_stack 0
		.amdhsa_system_sgpr_private_segment_wavefront_offset 0
		.amdhsa_system_sgpr_workgroup_id_x 1
		.amdhsa_system_sgpr_workgroup_id_y 0
		.amdhsa_system_sgpr_workgroup_id_z 0
		.amdhsa_system_sgpr_workgroup_info 0
		.amdhsa_system_vgpr_workitem_id 0
		.amdhsa_next_free_vgpr 1
		.amdhsa_next_free_sgpr 0
		.amdhsa_reserve_vcc 0
		.amdhsa_reserve_flat_scratch 0
		.amdhsa_float_round_mode_32 0
		.amdhsa_float_round_mode_16_64 0
		.amdhsa_float_denorm_mode_32 3
		.amdhsa_float_denorm_mode_16_64 3
		.amdhsa_dx10_clamp 1
		.amdhsa_ieee_mode 1
		.amdhsa_fp16_overflow 0
		.amdhsa_exception_fp_ieee_invalid_op 0
		.amdhsa_exception_fp_denorm_src 0
		.amdhsa_exception_fp_ieee_div_zero 0
		.amdhsa_exception_fp_ieee_overflow 0
		.amdhsa_exception_fp_ieee_underflow 0
		.amdhsa_exception_fp_ieee_inexact 0
		.amdhsa_exception_int_div_zero 0
	.end_amdhsa_kernel
	.section	.text._ZN7rocprim17ROCPRIM_400000_NS6detail17trampoline_kernelINS0_14default_configENS1_22reduce_config_selectorIN6thrust23THRUST_200600_302600_NS5tupleIblNS6_9null_typeES8_S8_S8_S8_S8_S8_S8_EEEEZNS1_11reduce_implILb1ES3_NS6_12zip_iteratorINS7_INS6_11hip_rocprim26transform_input_iterator_tIbNSD_35transform_pair_of_input_iterators_tIbNS6_6detail15normal_iteratorINS6_10device_ptrIKxEEEESL_NS6_8equal_toIxEEEENSG_9not_fun_tINSD_8identityEEEEENSD_19counting_iterator_tIlEES8_S8_S8_S8_S8_S8_S8_S8_EEEEPS9_S9_NSD_9__find_if7functorIS9_EEEE10hipError_tPvRmT1_T2_T3_mT4_P12ihipStream_tbEUlT_E1_NS1_11comp_targetILNS1_3genE0ELNS1_11target_archE4294967295ELNS1_3gpuE0ELNS1_3repE0EEENS1_30default_config_static_selectorELNS0_4arch9wavefront6targetE1EEEvS14_,"axG",@progbits,_ZN7rocprim17ROCPRIM_400000_NS6detail17trampoline_kernelINS0_14default_configENS1_22reduce_config_selectorIN6thrust23THRUST_200600_302600_NS5tupleIblNS6_9null_typeES8_S8_S8_S8_S8_S8_S8_EEEEZNS1_11reduce_implILb1ES3_NS6_12zip_iteratorINS7_INS6_11hip_rocprim26transform_input_iterator_tIbNSD_35transform_pair_of_input_iterators_tIbNS6_6detail15normal_iteratorINS6_10device_ptrIKxEEEESL_NS6_8equal_toIxEEEENSG_9not_fun_tINSD_8identityEEEEENSD_19counting_iterator_tIlEES8_S8_S8_S8_S8_S8_S8_S8_EEEEPS9_S9_NSD_9__find_if7functorIS9_EEEE10hipError_tPvRmT1_T2_T3_mT4_P12ihipStream_tbEUlT_E1_NS1_11comp_targetILNS1_3genE0ELNS1_11target_archE4294967295ELNS1_3gpuE0ELNS1_3repE0EEENS1_30default_config_static_selectorELNS0_4arch9wavefront6targetE1EEEvS14_,comdat
.Lfunc_end528:
	.size	_ZN7rocprim17ROCPRIM_400000_NS6detail17trampoline_kernelINS0_14default_configENS1_22reduce_config_selectorIN6thrust23THRUST_200600_302600_NS5tupleIblNS6_9null_typeES8_S8_S8_S8_S8_S8_S8_EEEEZNS1_11reduce_implILb1ES3_NS6_12zip_iteratorINS7_INS6_11hip_rocprim26transform_input_iterator_tIbNSD_35transform_pair_of_input_iterators_tIbNS6_6detail15normal_iteratorINS6_10device_ptrIKxEEEESL_NS6_8equal_toIxEEEENSG_9not_fun_tINSD_8identityEEEEENSD_19counting_iterator_tIlEES8_S8_S8_S8_S8_S8_S8_S8_EEEEPS9_S9_NSD_9__find_if7functorIS9_EEEE10hipError_tPvRmT1_T2_T3_mT4_P12ihipStream_tbEUlT_E1_NS1_11comp_targetILNS1_3genE0ELNS1_11target_archE4294967295ELNS1_3gpuE0ELNS1_3repE0EEENS1_30default_config_static_selectorELNS0_4arch9wavefront6targetE1EEEvS14_, .Lfunc_end528-_ZN7rocprim17ROCPRIM_400000_NS6detail17trampoline_kernelINS0_14default_configENS1_22reduce_config_selectorIN6thrust23THRUST_200600_302600_NS5tupleIblNS6_9null_typeES8_S8_S8_S8_S8_S8_S8_EEEEZNS1_11reduce_implILb1ES3_NS6_12zip_iteratorINS7_INS6_11hip_rocprim26transform_input_iterator_tIbNSD_35transform_pair_of_input_iterators_tIbNS6_6detail15normal_iteratorINS6_10device_ptrIKxEEEESL_NS6_8equal_toIxEEEENSG_9not_fun_tINSD_8identityEEEEENSD_19counting_iterator_tIlEES8_S8_S8_S8_S8_S8_S8_S8_EEEEPS9_S9_NSD_9__find_if7functorIS9_EEEE10hipError_tPvRmT1_T2_T3_mT4_P12ihipStream_tbEUlT_E1_NS1_11comp_targetILNS1_3genE0ELNS1_11target_archE4294967295ELNS1_3gpuE0ELNS1_3repE0EEENS1_30default_config_static_selectorELNS0_4arch9wavefront6targetE1EEEvS14_
                                        ; -- End function
	.set _ZN7rocprim17ROCPRIM_400000_NS6detail17trampoline_kernelINS0_14default_configENS1_22reduce_config_selectorIN6thrust23THRUST_200600_302600_NS5tupleIblNS6_9null_typeES8_S8_S8_S8_S8_S8_S8_EEEEZNS1_11reduce_implILb1ES3_NS6_12zip_iteratorINS7_INS6_11hip_rocprim26transform_input_iterator_tIbNSD_35transform_pair_of_input_iterators_tIbNS6_6detail15normal_iteratorINS6_10device_ptrIKxEEEESL_NS6_8equal_toIxEEEENSG_9not_fun_tINSD_8identityEEEEENSD_19counting_iterator_tIlEES8_S8_S8_S8_S8_S8_S8_S8_EEEEPS9_S9_NSD_9__find_if7functorIS9_EEEE10hipError_tPvRmT1_T2_T3_mT4_P12ihipStream_tbEUlT_E1_NS1_11comp_targetILNS1_3genE0ELNS1_11target_archE4294967295ELNS1_3gpuE0ELNS1_3repE0EEENS1_30default_config_static_selectorELNS0_4arch9wavefront6targetE1EEEvS14_.num_vgpr, 0
	.set _ZN7rocprim17ROCPRIM_400000_NS6detail17trampoline_kernelINS0_14default_configENS1_22reduce_config_selectorIN6thrust23THRUST_200600_302600_NS5tupleIblNS6_9null_typeES8_S8_S8_S8_S8_S8_S8_EEEEZNS1_11reduce_implILb1ES3_NS6_12zip_iteratorINS7_INS6_11hip_rocprim26transform_input_iterator_tIbNSD_35transform_pair_of_input_iterators_tIbNS6_6detail15normal_iteratorINS6_10device_ptrIKxEEEESL_NS6_8equal_toIxEEEENSG_9not_fun_tINSD_8identityEEEEENSD_19counting_iterator_tIlEES8_S8_S8_S8_S8_S8_S8_S8_EEEEPS9_S9_NSD_9__find_if7functorIS9_EEEE10hipError_tPvRmT1_T2_T3_mT4_P12ihipStream_tbEUlT_E1_NS1_11comp_targetILNS1_3genE0ELNS1_11target_archE4294967295ELNS1_3gpuE0ELNS1_3repE0EEENS1_30default_config_static_selectorELNS0_4arch9wavefront6targetE1EEEvS14_.num_agpr, 0
	.set _ZN7rocprim17ROCPRIM_400000_NS6detail17trampoline_kernelINS0_14default_configENS1_22reduce_config_selectorIN6thrust23THRUST_200600_302600_NS5tupleIblNS6_9null_typeES8_S8_S8_S8_S8_S8_S8_EEEEZNS1_11reduce_implILb1ES3_NS6_12zip_iteratorINS7_INS6_11hip_rocprim26transform_input_iterator_tIbNSD_35transform_pair_of_input_iterators_tIbNS6_6detail15normal_iteratorINS6_10device_ptrIKxEEEESL_NS6_8equal_toIxEEEENSG_9not_fun_tINSD_8identityEEEEENSD_19counting_iterator_tIlEES8_S8_S8_S8_S8_S8_S8_S8_EEEEPS9_S9_NSD_9__find_if7functorIS9_EEEE10hipError_tPvRmT1_T2_T3_mT4_P12ihipStream_tbEUlT_E1_NS1_11comp_targetILNS1_3genE0ELNS1_11target_archE4294967295ELNS1_3gpuE0ELNS1_3repE0EEENS1_30default_config_static_selectorELNS0_4arch9wavefront6targetE1EEEvS14_.numbered_sgpr, 0
	.set _ZN7rocprim17ROCPRIM_400000_NS6detail17trampoline_kernelINS0_14default_configENS1_22reduce_config_selectorIN6thrust23THRUST_200600_302600_NS5tupleIblNS6_9null_typeES8_S8_S8_S8_S8_S8_S8_EEEEZNS1_11reduce_implILb1ES3_NS6_12zip_iteratorINS7_INS6_11hip_rocprim26transform_input_iterator_tIbNSD_35transform_pair_of_input_iterators_tIbNS6_6detail15normal_iteratorINS6_10device_ptrIKxEEEESL_NS6_8equal_toIxEEEENSG_9not_fun_tINSD_8identityEEEEENSD_19counting_iterator_tIlEES8_S8_S8_S8_S8_S8_S8_S8_EEEEPS9_S9_NSD_9__find_if7functorIS9_EEEE10hipError_tPvRmT1_T2_T3_mT4_P12ihipStream_tbEUlT_E1_NS1_11comp_targetILNS1_3genE0ELNS1_11target_archE4294967295ELNS1_3gpuE0ELNS1_3repE0EEENS1_30default_config_static_selectorELNS0_4arch9wavefront6targetE1EEEvS14_.num_named_barrier, 0
	.set _ZN7rocprim17ROCPRIM_400000_NS6detail17trampoline_kernelINS0_14default_configENS1_22reduce_config_selectorIN6thrust23THRUST_200600_302600_NS5tupleIblNS6_9null_typeES8_S8_S8_S8_S8_S8_S8_EEEEZNS1_11reduce_implILb1ES3_NS6_12zip_iteratorINS7_INS6_11hip_rocprim26transform_input_iterator_tIbNSD_35transform_pair_of_input_iterators_tIbNS6_6detail15normal_iteratorINS6_10device_ptrIKxEEEESL_NS6_8equal_toIxEEEENSG_9not_fun_tINSD_8identityEEEEENSD_19counting_iterator_tIlEES8_S8_S8_S8_S8_S8_S8_S8_EEEEPS9_S9_NSD_9__find_if7functorIS9_EEEE10hipError_tPvRmT1_T2_T3_mT4_P12ihipStream_tbEUlT_E1_NS1_11comp_targetILNS1_3genE0ELNS1_11target_archE4294967295ELNS1_3gpuE0ELNS1_3repE0EEENS1_30default_config_static_selectorELNS0_4arch9wavefront6targetE1EEEvS14_.private_seg_size, 0
	.set _ZN7rocprim17ROCPRIM_400000_NS6detail17trampoline_kernelINS0_14default_configENS1_22reduce_config_selectorIN6thrust23THRUST_200600_302600_NS5tupleIblNS6_9null_typeES8_S8_S8_S8_S8_S8_S8_EEEEZNS1_11reduce_implILb1ES3_NS6_12zip_iteratorINS7_INS6_11hip_rocprim26transform_input_iterator_tIbNSD_35transform_pair_of_input_iterators_tIbNS6_6detail15normal_iteratorINS6_10device_ptrIKxEEEESL_NS6_8equal_toIxEEEENSG_9not_fun_tINSD_8identityEEEEENSD_19counting_iterator_tIlEES8_S8_S8_S8_S8_S8_S8_S8_EEEEPS9_S9_NSD_9__find_if7functorIS9_EEEE10hipError_tPvRmT1_T2_T3_mT4_P12ihipStream_tbEUlT_E1_NS1_11comp_targetILNS1_3genE0ELNS1_11target_archE4294967295ELNS1_3gpuE0ELNS1_3repE0EEENS1_30default_config_static_selectorELNS0_4arch9wavefront6targetE1EEEvS14_.uses_vcc, 0
	.set _ZN7rocprim17ROCPRIM_400000_NS6detail17trampoline_kernelINS0_14default_configENS1_22reduce_config_selectorIN6thrust23THRUST_200600_302600_NS5tupleIblNS6_9null_typeES8_S8_S8_S8_S8_S8_S8_EEEEZNS1_11reduce_implILb1ES3_NS6_12zip_iteratorINS7_INS6_11hip_rocprim26transform_input_iterator_tIbNSD_35transform_pair_of_input_iterators_tIbNS6_6detail15normal_iteratorINS6_10device_ptrIKxEEEESL_NS6_8equal_toIxEEEENSG_9not_fun_tINSD_8identityEEEEENSD_19counting_iterator_tIlEES8_S8_S8_S8_S8_S8_S8_S8_EEEEPS9_S9_NSD_9__find_if7functorIS9_EEEE10hipError_tPvRmT1_T2_T3_mT4_P12ihipStream_tbEUlT_E1_NS1_11comp_targetILNS1_3genE0ELNS1_11target_archE4294967295ELNS1_3gpuE0ELNS1_3repE0EEENS1_30default_config_static_selectorELNS0_4arch9wavefront6targetE1EEEvS14_.uses_flat_scratch, 0
	.set _ZN7rocprim17ROCPRIM_400000_NS6detail17trampoline_kernelINS0_14default_configENS1_22reduce_config_selectorIN6thrust23THRUST_200600_302600_NS5tupleIblNS6_9null_typeES8_S8_S8_S8_S8_S8_S8_EEEEZNS1_11reduce_implILb1ES3_NS6_12zip_iteratorINS7_INS6_11hip_rocprim26transform_input_iterator_tIbNSD_35transform_pair_of_input_iterators_tIbNS6_6detail15normal_iteratorINS6_10device_ptrIKxEEEESL_NS6_8equal_toIxEEEENSG_9not_fun_tINSD_8identityEEEEENSD_19counting_iterator_tIlEES8_S8_S8_S8_S8_S8_S8_S8_EEEEPS9_S9_NSD_9__find_if7functorIS9_EEEE10hipError_tPvRmT1_T2_T3_mT4_P12ihipStream_tbEUlT_E1_NS1_11comp_targetILNS1_3genE0ELNS1_11target_archE4294967295ELNS1_3gpuE0ELNS1_3repE0EEENS1_30default_config_static_selectorELNS0_4arch9wavefront6targetE1EEEvS14_.has_dyn_sized_stack, 0
	.set _ZN7rocprim17ROCPRIM_400000_NS6detail17trampoline_kernelINS0_14default_configENS1_22reduce_config_selectorIN6thrust23THRUST_200600_302600_NS5tupleIblNS6_9null_typeES8_S8_S8_S8_S8_S8_S8_EEEEZNS1_11reduce_implILb1ES3_NS6_12zip_iteratorINS7_INS6_11hip_rocprim26transform_input_iterator_tIbNSD_35transform_pair_of_input_iterators_tIbNS6_6detail15normal_iteratorINS6_10device_ptrIKxEEEESL_NS6_8equal_toIxEEEENSG_9not_fun_tINSD_8identityEEEEENSD_19counting_iterator_tIlEES8_S8_S8_S8_S8_S8_S8_S8_EEEEPS9_S9_NSD_9__find_if7functorIS9_EEEE10hipError_tPvRmT1_T2_T3_mT4_P12ihipStream_tbEUlT_E1_NS1_11comp_targetILNS1_3genE0ELNS1_11target_archE4294967295ELNS1_3gpuE0ELNS1_3repE0EEENS1_30default_config_static_selectorELNS0_4arch9wavefront6targetE1EEEvS14_.has_recursion, 0
	.set _ZN7rocprim17ROCPRIM_400000_NS6detail17trampoline_kernelINS0_14default_configENS1_22reduce_config_selectorIN6thrust23THRUST_200600_302600_NS5tupleIblNS6_9null_typeES8_S8_S8_S8_S8_S8_S8_EEEEZNS1_11reduce_implILb1ES3_NS6_12zip_iteratorINS7_INS6_11hip_rocprim26transform_input_iterator_tIbNSD_35transform_pair_of_input_iterators_tIbNS6_6detail15normal_iteratorINS6_10device_ptrIKxEEEESL_NS6_8equal_toIxEEEENSG_9not_fun_tINSD_8identityEEEEENSD_19counting_iterator_tIlEES8_S8_S8_S8_S8_S8_S8_S8_EEEEPS9_S9_NSD_9__find_if7functorIS9_EEEE10hipError_tPvRmT1_T2_T3_mT4_P12ihipStream_tbEUlT_E1_NS1_11comp_targetILNS1_3genE0ELNS1_11target_archE4294967295ELNS1_3gpuE0ELNS1_3repE0EEENS1_30default_config_static_selectorELNS0_4arch9wavefront6targetE1EEEvS14_.has_indirect_call, 0
	.section	.AMDGPU.csdata,"",@progbits
; Kernel info:
; codeLenInByte = 0
; TotalNumSgprs: 4
; NumVgprs: 0
; ScratchSize: 0
; MemoryBound: 0
; FloatMode: 240
; IeeeMode: 1
; LDSByteSize: 0 bytes/workgroup (compile time only)
; SGPRBlocks: 0
; VGPRBlocks: 0
; NumSGPRsForWavesPerEU: 4
; NumVGPRsForWavesPerEU: 1
; Occupancy: 10
; WaveLimiterHint : 0
; COMPUTE_PGM_RSRC2:SCRATCH_EN: 0
; COMPUTE_PGM_RSRC2:USER_SGPR: 6
; COMPUTE_PGM_RSRC2:TRAP_HANDLER: 0
; COMPUTE_PGM_RSRC2:TGID_X_EN: 1
; COMPUTE_PGM_RSRC2:TGID_Y_EN: 0
; COMPUTE_PGM_RSRC2:TGID_Z_EN: 0
; COMPUTE_PGM_RSRC2:TIDIG_COMP_CNT: 0
	.section	.text._ZN7rocprim17ROCPRIM_400000_NS6detail17trampoline_kernelINS0_14default_configENS1_22reduce_config_selectorIN6thrust23THRUST_200600_302600_NS5tupleIblNS6_9null_typeES8_S8_S8_S8_S8_S8_S8_EEEEZNS1_11reduce_implILb1ES3_NS6_12zip_iteratorINS7_INS6_11hip_rocprim26transform_input_iterator_tIbNSD_35transform_pair_of_input_iterators_tIbNS6_6detail15normal_iteratorINS6_10device_ptrIKxEEEESL_NS6_8equal_toIxEEEENSG_9not_fun_tINSD_8identityEEEEENSD_19counting_iterator_tIlEES8_S8_S8_S8_S8_S8_S8_S8_EEEEPS9_S9_NSD_9__find_if7functorIS9_EEEE10hipError_tPvRmT1_T2_T3_mT4_P12ihipStream_tbEUlT_E1_NS1_11comp_targetILNS1_3genE5ELNS1_11target_archE942ELNS1_3gpuE9ELNS1_3repE0EEENS1_30default_config_static_selectorELNS0_4arch9wavefront6targetE1EEEvS14_,"axG",@progbits,_ZN7rocprim17ROCPRIM_400000_NS6detail17trampoline_kernelINS0_14default_configENS1_22reduce_config_selectorIN6thrust23THRUST_200600_302600_NS5tupleIblNS6_9null_typeES8_S8_S8_S8_S8_S8_S8_EEEEZNS1_11reduce_implILb1ES3_NS6_12zip_iteratorINS7_INS6_11hip_rocprim26transform_input_iterator_tIbNSD_35transform_pair_of_input_iterators_tIbNS6_6detail15normal_iteratorINS6_10device_ptrIKxEEEESL_NS6_8equal_toIxEEEENSG_9not_fun_tINSD_8identityEEEEENSD_19counting_iterator_tIlEES8_S8_S8_S8_S8_S8_S8_S8_EEEEPS9_S9_NSD_9__find_if7functorIS9_EEEE10hipError_tPvRmT1_T2_T3_mT4_P12ihipStream_tbEUlT_E1_NS1_11comp_targetILNS1_3genE5ELNS1_11target_archE942ELNS1_3gpuE9ELNS1_3repE0EEENS1_30default_config_static_selectorELNS0_4arch9wavefront6targetE1EEEvS14_,comdat
	.protected	_ZN7rocprim17ROCPRIM_400000_NS6detail17trampoline_kernelINS0_14default_configENS1_22reduce_config_selectorIN6thrust23THRUST_200600_302600_NS5tupleIblNS6_9null_typeES8_S8_S8_S8_S8_S8_S8_EEEEZNS1_11reduce_implILb1ES3_NS6_12zip_iteratorINS7_INS6_11hip_rocprim26transform_input_iterator_tIbNSD_35transform_pair_of_input_iterators_tIbNS6_6detail15normal_iteratorINS6_10device_ptrIKxEEEESL_NS6_8equal_toIxEEEENSG_9not_fun_tINSD_8identityEEEEENSD_19counting_iterator_tIlEES8_S8_S8_S8_S8_S8_S8_S8_EEEEPS9_S9_NSD_9__find_if7functorIS9_EEEE10hipError_tPvRmT1_T2_T3_mT4_P12ihipStream_tbEUlT_E1_NS1_11comp_targetILNS1_3genE5ELNS1_11target_archE942ELNS1_3gpuE9ELNS1_3repE0EEENS1_30default_config_static_selectorELNS0_4arch9wavefront6targetE1EEEvS14_ ; -- Begin function _ZN7rocprim17ROCPRIM_400000_NS6detail17trampoline_kernelINS0_14default_configENS1_22reduce_config_selectorIN6thrust23THRUST_200600_302600_NS5tupleIblNS6_9null_typeES8_S8_S8_S8_S8_S8_S8_EEEEZNS1_11reduce_implILb1ES3_NS6_12zip_iteratorINS7_INS6_11hip_rocprim26transform_input_iterator_tIbNSD_35transform_pair_of_input_iterators_tIbNS6_6detail15normal_iteratorINS6_10device_ptrIKxEEEESL_NS6_8equal_toIxEEEENSG_9not_fun_tINSD_8identityEEEEENSD_19counting_iterator_tIlEES8_S8_S8_S8_S8_S8_S8_S8_EEEEPS9_S9_NSD_9__find_if7functorIS9_EEEE10hipError_tPvRmT1_T2_T3_mT4_P12ihipStream_tbEUlT_E1_NS1_11comp_targetILNS1_3genE5ELNS1_11target_archE942ELNS1_3gpuE9ELNS1_3repE0EEENS1_30default_config_static_selectorELNS0_4arch9wavefront6targetE1EEEvS14_
	.globl	_ZN7rocprim17ROCPRIM_400000_NS6detail17trampoline_kernelINS0_14default_configENS1_22reduce_config_selectorIN6thrust23THRUST_200600_302600_NS5tupleIblNS6_9null_typeES8_S8_S8_S8_S8_S8_S8_EEEEZNS1_11reduce_implILb1ES3_NS6_12zip_iteratorINS7_INS6_11hip_rocprim26transform_input_iterator_tIbNSD_35transform_pair_of_input_iterators_tIbNS6_6detail15normal_iteratorINS6_10device_ptrIKxEEEESL_NS6_8equal_toIxEEEENSG_9not_fun_tINSD_8identityEEEEENSD_19counting_iterator_tIlEES8_S8_S8_S8_S8_S8_S8_S8_EEEEPS9_S9_NSD_9__find_if7functorIS9_EEEE10hipError_tPvRmT1_T2_T3_mT4_P12ihipStream_tbEUlT_E1_NS1_11comp_targetILNS1_3genE5ELNS1_11target_archE942ELNS1_3gpuE9ELNS1_3repE0EEENS1_30default_config_static_selectorELNS0_4arch9wavefront6targetE1EEEvS14_
	.p2align	8
	.type	_ZN7rocprim17ROCPRIM_400000_NS6detail17trampoline_kernelINS0_14default_configENS1_22reduce_config_selectorIN6thrust23THRUST_200600_302600_NS5tupleIblNS6_9null_typeES8_S8_S8_S8_S8_S8_S8_EEEEZNS1_11reduce_implILb1ES3_NS6_12zip_iteratorINS7_INS6_11hip_rocprim26transform_input_iterator_tIbNSD_35transform_pair_of_input_iterators_tIbNS6_6detail15normal_iteratorINS6_10device_ptrIKxEEEESL_NS6_8equal_toIxEEEENSG_9not_fun_tINSD_8identityEEEEENSD_19counting_iterator_tIlEES8_S8_S8_S8_S8_S8_S8_S8_EEEEPS9_S9_NSD_9__find_if7functorIS9_EEEE10hipError_tPvRmT1_T2_T3_mT4_P12ihipStream_tbEUlT_E1_NS1_11comp_targetILNS1_3genE5ELNS1_11target_archE942ELNS1_3gpuE9ELNS1_3repE0EEENS1_30default_config_static_selectorELNS0_4arch9wavefront6targetE1EEEvS14_,@function
_ZN7rocprim17ROCPRIM_400000_NS6detail17trampoline_kernelINS0_14default_configENS1_22reduce_config_selectorIN6thrust23THRUST_200600_302600_NS5tupleIblNS6_9null_typeES8_S8_S8_S8_S8_S8_S8_EEEEZNS1_11reduce_implILb1ES3_NS6_12zip_iteratorINS7_INS6_11hip_rocprim26transform_input_iterator_tIbNSD_35transform_pair_of_input_iterators_tIbNS6_6detail15normal_iteratorINS6_10device_ptrIKxEEEESL_NS6_8equal_toIxEEEENSG_9not_fun_tINSD_8identityEEEEENSD_19counting_iterator_tIlEES8_S8_S8_S8_S8_S8_S8_S8_EEEEPS9_S9_NSD_9__find_if7functorIS9_EEEE10hipError_tPvRmT1_T2_T3_mT4_P12ihipStream_tbEUlT_E1_NS1_11comp_targetILNS1_3genE5ELNS1_11target_archE942ELNS1_3gpuE9ELNS1_3repE0EEENS1_30default_config_static_selectorELNS0_4arch9wavefront6targetE1EEEvS14_: ; @_ZN7rocprim17ROCPRIM_400000_NS6detail17trampoline_kernelINS0_14default_configENS1_22reduce_config_selectorIN6thrust23THRUST_200600_302600_NS5tupleIblNS6_9null_typeES8_S8_S8_S8_S8_S8_S8_EEEEZNS1_11reduce_implILb1ES3_NS6_12zip_iteratorINS7_INS6_11hip_rocprim26transform_input_iterator_tIbNSD_35transform_pair_of_input_iterators_tIbNS6_6detail15normal_iteratorINS6_10device_ptrIKxEEEESL_NS6_8equal_toIxEEEENSG_9not_fun_tINSD_8identityEEEEENSD_19counting_iterator_tIlEES8_S8_S8_S8_S8_S8_S8_S8_EEEEPS9_S9_NSD_9__find_if7functorIS9_EEEE10hipError_tPvRmT1_T2_T3_mT4_P12ihipStream_tbEUlT_E1_NS1_11comp_targetILNS1_3genE5ELNS1_11target_archE942ELNS1_3gpuE9ELNS1_3repE0EEENS1_30default_config_static_selectorELNS0_4arch9wavefront6targetE1EEEvS14_
; %bb.0:
	.section	.rodata,"a",@progbits
	.p2align	6, 0x0
	.amdhsa_kernel _ZN7rocprim17ROCPRIM_400000_NS6detail17trampoline_kernelINS0_14default_configENS1_22reduce_config_selectorIN6thrust23THRUST_200600_302600_NS5tupleIblNS6_9null_typeES8_S8_S8_S8_S8_S8_S8_EEEEZNS1_11reduce_implILb1ES3_NS6_12zip_iteratorINS7_INS6_11hip_rocprim26transform_input_iterator_tIbNSD_35transform_pair_of_input_iterators_tIbNS6_6detail15normal_iteratorINS6_10device_ptrIKxEEEESL_NS6_8equal_toIxEEEENSG_9not_fun_tINSD_8identityEEEEENSD_19counting_iterator_tIlEES8_S8_S8_S8_S8_S8_S8_S8_EEEEPS9_S9_NSD_9__find_if7functorIS9_EEEE10hipError_tPvRmT1_T2_T3_mT4_P12ihipStream_tbEUlT_E1_NS1_11comp_targetILNS1_3genE5ELNS1_11target_archE942ELNS1_3gpuE9ELNS1_3repE0EEENS1_30default_config_static_selectorELNS0_4arch9wavefront6targetE1EEEvS14_
		.amdhsa_group_segment_fixed_size 0
		.amdhsa_private_segment_fixed_size 0
		.amdhsa_kernarg_size 88
		.amdhsa_user_sgpr_count 6
		.amdhsa_user_sgpr_private_segment_buffer 1
		.amdhsa_user_sgpr_dispatch_ptr 0
		.amdhsa_user_sgpr_queue_ptr 0
		.amdhsa_user_sgpr_kernarg_segment_ptr 1
		.amdhsa_user_sgpr_dispatch_id 0
		.amdhsa_user_sgpr_flat_scratch_init 0
		.amdhsa_user_sgpr_private_segment_size 0
		.amdhsa_uses_dynamic_stack 0
		.amdhsa_system_sgpr_private_segment_wavefront_offset 0
		.amdhsa_system_sgpr_workgroup_id_x 1
		.amdhsa_system_sgpr_workgroup_id_y 0
		.amdhsa_system_sgpr_workgroup_id_z 0
		.amdhsa_system_sgpr_workgroup_info 0
		.amdhsa_system_vgpr_workitem_id 0
		.amdhsa_next_free_vgpr 1
		.amdhsa_next_free_sgpr 0
		.amdhsa_reserve_vcc 0
		.amdhsa_reserve_flat_scratch 0
		.amdhsa_float_round_mode_32 0
		.amdhsa_float_round_mode_16_64 0
		.amdhsa_float_denorm_mode_32 3
		.amdhsa_float_denorm_mode_16_64 3
		.amdhsa_dx10_clamp 1
		.amdhsa_ieee_mode 1
		.amdhsa_fp16_overflow 0
		.amdhsa_exception_fp_ieee_invalid_op 0
		.amdhsa_exception_fp_denorm_src 0
		.amdhsa_exception_fp_ieee_div_zero 0
		.amdhsa_exception_fp_ieee_overflow 0
		.amdhsa_exception_fp_ieee_underflow 0
		.amdhsa_exception_fp_ieee_inexact 0
		.amdhsa_exception_int_div_zero 0
	.end_amdhsa_kernel
	.section	.text._ZN7rocprim17ROCPRIM_400000_NS6detail17trampoline_kernelINS0_14default_configENS1_22reduce_config_selectorIN6thrust23THRUST_200600_302600_NS5tupleIblNS6_9null_typeES8_S8_S8_S8_S8_S8_S8_EEEEZNS1_11reduce_implILb1ES3_NS6_12zip_iteratorINS7_INS6_11hip_rocprim26transform_input_iterator_tIbNSD_35transform_pair_of_input_iterators_tIbNS6_6detail15normal_iteratorINS6_10device_ptrIKxEEEESL_NS6_8equal_toIxEEEENSG_9not_fun_tINSD_8identityEEEEENSD_19counting_iterator_tIlEES8_S8_S8_S8_S8_S8_S8_S8_EEEEPS9_S9_NSD_9__find_if7functorIS9_EEEE10hipError_tPvRmT1_T2_T3_mT4_P12ihipStream_tbEUlT_E1_NS1_11comp_targetILNS1_3genE5ELNS1_11target_archE942ELNS1_3gpuE9ELNS1_3repE0EEENS1_30default_config_static_selectorELNS0_4arch9wavefront6targetE1EEEvS14_,"axG",@progbits,_ZN7rocprim17ROCPRIM_400000_NS6detail17trampoline_kernelINS0_14default_configENS1_22reduce_config_selectorIN6thrust23THRUST_200600_302600_NS5tupleIblNS6_9null_typeES8_S8_S8_S8_S8_S8_S8_EEEEZNS1_11reduce_implILb1ES3_NS6_12zip_iteratorINS7_INS6_11hip_rocprim26transform_input_iterator_tIbNSD_35transform_pair_of_input_iterators_tIbNS6_6detail15normal_iteratorINS6_10device_ptrIKxEEEESL_NS6_8equal_toIxEEEENSG_9not_fun_tINSD_8identityEEEEENSD_19counting_iterator_tIlEES8_S8_S8_S8_S8_S8_S8_S8_EEEEPS9_S9_NSD_9__find_if7functorIS9_EEEE10hipError_tPvRmT1_T2_T3_mT4_P12ihipStream_tbEUlT_E1_NS1_11comp_targetILNS1_3genE5ELNS1_11target_archE942ELNS1_3gpuE9ELNS1_3repE0EEENS1_30default_config_static_selectorELNS0_4arch9wavefront6targetE1EEEvS14_,comdat
.Lfunc_end529:
	.size	_ZN7rocprim17ROCPRIM_400000_NS6detail17trampoline_kernelINS0_14default_configENS1_22reduce_config_selectorIN6thrust23THRUST_200600_302600_NS5tupleIblNS6_9null_typeES8_S8_S8_S8_S8_S8_S8_EEEEZNS1_11reduce_implILb1ES3_NS6_12zip_iteratorINS7_INS6_11hip_rocprim26transform_input_iterator_tIbNSD_35transform_pair_of_input_iterators_tIbNS6_6detail15normal_iteratorINS6_10device_ptrIKxEEEESL_NS6_8equal_toIxEEEENSG_9not_fun_tINSD_8identityEEEEENSD_19counting_iterator_tIlEES8_S8_S8_S8_S8_S8_S8_S8_EEEEPS9_S9_NSD_9__find_if7functorIS9_EEEE10hipError_tPvRmT1_T2_T3_mT4_P12ihipStream_tbEUlT_E1_NS1_11comp_targetILNS1_3genE5ELNS1_11target_archE942ELNS1_3gpuE9ELNS1_3repE0EEENS1_30default_config_static_selectorELNS0_4arch9wavefront6targetE1EEEvS14_, .Lfunc_end529-_ZN7rocprim17ROCPRIM_400000_NS6detail17trampoline_kernelINS0_14default_configENS1_22reduce_config_selectorIN6thrust23THRUST_200600_302600_NS5tupleIblNS6_9null_typeES8_S8_S8_S8_S8_S8_S8_EEEEZNS1_11reduce_implILb1ES3_NS6_12zip_iteratorINS7_INS6_11hip_rocprim26transform_input_iterator_tIbNSD_35transform_pair_of_input_iterators_tIbNS6_6detail15normal_iteratorINS6_10device_ptrIKxEEEESL_NS6_8equal_toIxEEEENSG_9not_fun_tINSD_8identityEEEEENSD_19counting_iterator_tIlEES8_S8_S8_S8_S8_S8_S8_S8_EEEEPS9_S9_NSD_9__find_if7functorIS9_EEEE10hipError_tPvRmT1_T2_T3_mT4_P12ihipStream_tbEUlT_E1_NS1_11comp_targetILNS1_3genE5ELNS1_11target_archE942ELNS1_3gpuE9ELNS1_3repE0EEENS1_30default_config_static_selectorELNS0_4arch9wavefront6targetE1EEEvS14_
                                        ; -- End function
	.set _ZN7rocprim17ROCPRIM_400000_NS6detail17trampoline_kernelINS0_14default_configENS1_22reduce_config_selectorIN6thrust23THRUST_200600_302600_NS5tupleIblNS6_9null_typeES8_S8_S8_S8_S8_S8_S8_EEEEZNS1_11reduce_implILb1ES3_NS6_12zip_iteratorINS7_INS6_11hip_rocprim26transform_input_iterator_tIbNSD_35transform_pair_of_input_iterators_tIbNS6_6detail15normal_iteratorINS6_10device_ptrIKxEEEESL_NS6_8equal_toIxEEEENSG_9not_fun_tINSD_8identityEEEEENSD_19counting_iterator_tIlEES8_S8_S8_S8_S8_S8_S8_S8_EEEEPS9_S9_NSD_9__find_if7functorIS9_EEEE10hipError_tPvRmT1_T2_T3_mT4_P12ihipStream_tbEUlT_E1_NS1_11comp_targetILNS1_3genE5ELNS1_11target_archE942ELNS1_3gpuE9ELNS1_3repE0EEENS1_30default_config_static_selectorELNS0_4arch9wavefront6targetE1EEEvS14_.num_vgpr, 0
	.set _ZN7rocprim17ROCPRIM_400000_NS6detail17trampoline_kernelINS0_14default_configENS1_22reduce_config_selectorIN6thrust23THRUST_200600_302600_NS5tupleIblNS6_9null_typeES8_S8_S8_S8_S8_S8_S8_EEEEZNS1_11reduce_implILb1ES3_NS6_12zip_iteratorINS7_INS6_11hip_rocprim26transform_input_iterator_tIbNSD_35transform_pair_of_input_iterators_tIbNS6_6detail15normal_iteratorINS6_10device_ptrIKxEEEESL_NS6_8equal_toIxEEEENSG_9not_fun_tINSD_8identityEEEEENSD_19counting_iterator_tIlEES8_S8_S8_S8_S8_S8_S8_S8_EEEEPS9_S9_NSD_9__find_if7functorIS9_EEEE10hipError_tPvRmT1_T2_T3_mT4_P12ihipStream_tbEUlT_E1_NS1_11comp_targetILNS1_3genE5ELNS1_11target_archE942ELNS1_3gpuE9ELNS1_3repE0EEENS1_30default_config_static_selectorELNS0_4arch9wavefront6targetE1EEEvS14_.num_agpr, 0
	.set _ZN7rocprim17ROCPRIM_400000_NS6detail17trampoline_kernelINS0_14default_configENS1_22reduce_config_selectorIN6thrust23THRUST_200600_302600_NS5tupleIblNS6_9null_typeES8_S8_S8_S8_S8_S8_S8_EEEEZNS1_11reduce_implILb1ES3_NS6_12zip_iteratorINS7_INS6_11hip_rocprim26transform_input_iterator_tIbNSD_35transform_pair_of_input_iterators_tIbNS6_6detail15normal_iteratorINS6_10device_ptrIKxEEEESL_NS6_8equal_toIxEEEENSG_9not_fun_tINSD_8identityEEEEENSD_19counting_iterator_tIlEES8_S8_S8_S8_S8_S8_S8_S8_EEEEPS9_S9_NSD_9__find_if7functorIS9_EEEE10hipError_tPvRmT1_T2_T3_mT4_P12ihipStream_tbEUlT_E1_NS1_11comp_targetILNS1_3genE5ELNS1_11target_archE942ELNS1_3gpuE9ELNS1_3repE0EEENS1_30default_config_static_selectorELNS0_4arch9wavefront6targetE1EEEvS14_.numbered_sgpr, 0
	.set _ZN7rocprim17ROCPRIM_400000_NS6detail17trampoline_kernelINS0_14default_configENS1_22reduce_config_selectorIN6thrust23THRUST_200600_302600_NS5tupleIblNS6_9null_typeES8_S8_S8_S8_S8_S8_S8_EEEEZNS1_11reduce_implILb1ES3_NS6_12zip_iteratorINS7_INS6_11hip_rocprim26transform_input_iterator_tIbNSD_35transform_pair_of_input_iterators_tIbNS6_6detail15normal_iteratorINS6_10device_ptrIKxEEEESL_NS6_8equal_toIxEEEENSG_9not_fun_tINSD_8identityEEEEENSD_19counting_iterator_tIlEES8_S8_S8_S8_S8_S8_S8_S8_EEEEPS9_S9_NSD_9__find_if7functorIS9_EEEE10hipError_tPvRmT1_T2_T3_mT4_P12ihipStream_tbEUlT_E1_NS1_11comp_targetILNS1_3genE5ELNS1_11target_archE942ELNS1_3gpuE9ELNS1_3repE0EEENS1_30default_config_static_selectorELNS0_4arch9wavefront6targetE1EEEvS14_.num_named_barrier, 0
	.set _ZN7rocprim17ROCPRIM_400000_NS6detail17trampoline_kernelINS0_14default_configENS1_22reduce_config_selectorIN6thrust23THRUST_200600_302600_NS5tupleIblNS6_9null_typeES8_S8_S8_S8_S8_S8_S8_EEEEZNS1_11reduce_implILb1ES3_NS6_12zip_iteratorINS7_INS6_11hip_rocprim26transform_input_iterator_tIbNSD_35transform_pair_of_input_iterators_tIbNS6_6detail15normal_iteratorINS6_10device_ptrIKxEEEESL_NS6_8equal_toIxEEEENSG_9not_fun_tINSD_8identityEEEEENSD_19counting_iterator_tIlEES8_S8_S8_S8_S8_S8_S8_S8_EEEEPS9_S9_NSD_9__find_if7functorIS9_EEEE10hipError_tPvRmT1_T2_T3_mT4_P12ihipStream_tbEUlT_E1_NS1_11comp_targetILNS1_3genE5ELNS1_11target_archE942ELNS1_3gpuE9ELNS1_3repE0EEENS1_30default_config_static_selectorELNS0_4arch9wavefront6targetE1EEEvS14_.private_seg_size, 0
	.set _ZN7rocprim17ROCPRIM_400000_NS6detail17trampoline_kernelINS0_14default_configENS1_22reduce_config_selectorIN6thrust23THRUST_200600_302600_NS5tupleIblNS6_9null_typeES8_S8_S8_S8_S8_S8_S8_EEEEZNS1_11reduce_implILb1ES3_NS6_12zip_iteratorINS7_INS6_11hip_rocprim26transform_input_iterator_tIbNSD_35transform_pair_of_input_iterators_tIbNS6_6detail15normal_iteratorINS6_10device_ptrIKxEEEESL_NS6_8equal_toIxEEEENSG_9not_fun_tINSD_8identityEEEEENSD_19counting_iterator_tIlEES8_S8_S8_S8_S8_S8_S8_S8_EEEEPS9_S9_NSD_9__find_if7functorIS9_EEEE10hipError_tPvRmT1_T2_T3_mT4_P12ihipStream_tbEUlT_E1_NS1_11comp_targetILNS1_3genE5ELNS1_11target_archE942ELNS1_3gpuE9ELNS1_3repE0EEENS1_30default_config_static_selectorELNS0_4arch9wavefront6targetE1EEEvS14_.uses_vcc, 0
	.set _ZN7rocprim17ROCPRIM_400000_NS6detail17trampoline_kernelINS0_14default_configENS1_22reduce_config_selectorIN6thrust23THRUST_200600_302600_NS5tupleIblNS6_9null_typeES8_S8_S8_S8_S8_S8_S8_EEEEZNS1_11reduce_implILb1ES3_NS6_12zip_iteratorINS7_INS6_11hip_rocprim26transform_input_iterator_tIbNSD_35transform_pair_of_input_iterators_tIbNS6_6detail15normal_iteratorINS6_10device_ptrIKxEEEESL_NS6_8equal_toIxEEEENSG_9not_fun_tINSD_8identityEEEEENSD_19counting_iterator_tIlEES8_S8_S8_S8_S8_S8_S8_S8_EEEEPS9_S9_NSD_9__find_if7functorIS9_EEEE10hipError_tPvRmT1_T2_T3_mT4_P12ihipStream_tbEUlT_E1_NS1_11comp_targetILNS1_3genE5ELNS1_11target_archE942ELNS1_3gpuE9ELNS1_3repE0EEENS1_30default_config_static_selectorELNS0_4arch9wavefront6targetE1EEEvS14_.uses_flat_scratch, 0
	.set _ZN7rocprim17ROCPRIM_400000_NS6detail17trampoline_kernelINS0_14default_configENS1_22reduce_config_selectorIN6thrust23THRUST_200600_302600_NS5tupleIblNS6_9null_typeES8_S8_S8_S8_S8_S8_S8_EEEEZNS1_11reduce_implILb1ES3_NS6_12zip_iteratorINS7_INS6_11hip_rocprim26transform_input_iterator_tIbNSD_35transform_pair_of_input_iterators_tIbNS6_6detail15normal_iteratorINS6_10device_ptrIKxEEEESL_NS6_8equal_toIxEEEENSG_9not_fun_tINSD_8identityEEEEENSD_19counting_iterator_tIlEES8_S8_S8_S8_S8_S8_S8_S8_EEEEPS9_S9_NSD_9__find_if7functorIS9_EEEE10hipError_tPvRmT1_T2_T3_mT4_P12ihipStream_tbEUlT_E1_NS1_11comp_targetILNS1_3genE5ELNS1_11target_archE942ELNS1_3gpuE9ELNS1_3repE0EEENS1_30default_config_static_selectorELNS0_4arch9wavefront6targetE1EEEvS14_.has_dyn_sized_stack, 0
	.set _ZN7rocprim17ROCPRIM_400000_NS6detail17trampoline_kernelINS0_14default_configENS1_22reduce_config_selectorIN6thrust23THRUST_200600_302600_NS5tupleIblNS6_9null_typeES8_S8_S8_S8_S8_S8_S8_EEEEZNS1_11reduce_implILb1ES3_NS6_12zip_iteratorINS7_INS6_11hip_rocprim26transform_input_iterator_tIbNSD_35transform_pair_of_input_iterators_tIbNS6_6detail15normal_iteratorINS6_10device_ptrIKxEEEESL_NS6_8equal_toIxEEEENSG_9not_fun_tINSD_8identityEEEEENSD_19counting_iterator_tIlEES8_S8_S8_S8_S8_S8_S8_S8_EEEEPS9_S9_NSD_9__find_if7functorIS9_EEEE10hipError_tPvRmT1_T2_T3_mT4_P12ihipStream_tbEUlT_E1_NS1_11comp_targetILNS1_3genE5ELNS1_11target_archE942ELNS1_3gpuE9ELNS1_3repE0EEENS1_30default_config_static_selectorELNS0_4arch9wavefront6targetE1EEEvS14_.has_recursion, 0
	.set _ZN7rocprim17ROCPRIM_400000_NS6detail17trampoline_kernelINS0_14default_configENS1_22reduce_config_selectorIN6thrust23THRUST_200600_302600_NS5tupleIblNS6_9null_typeES8_S8_S8_S8_S8_S8_S8_EEEEZNS1_11reduce_implILb1ES3_NS6_12zip_iteratorINS7_INS6_11hip_rocprim26transform_input_iterator_tIbNSD_35transform_pair_of_input_iterators_tIbNS6_6detail15normal_iteratorINS6_10device_ptrIKxEEEESL_NS6_8equal_toIxEEEENSG_9not_fun_tINSD_8identityEEEEENSD_19counting_iterator_tIlEES8_S8_S8_S8_S8_S8_S8_S8_EEEEPS9_S9_NSD_9__find_if7functorIS9_EEEE10hipError_tPvRmT1_T2_T3_mT4_P12ihipStream_tbEUlT_E1_NS1_11comp_targetILNS1_3genE5ELNS1_11target_archE942ELNS1_3gpuE9ELNS1_3repE0EEENS1_30default_config_static_selectorELNS0_4arch9wavefront6targetE1EEEvS14_.has_indirect_call, 0
	.section	.AMDGPU.csdata,"",@progbits
; Kernel info:
; codeLenInByte = 0
; TotalNumSgprs: 4
; NumVgprs: 0
; ScratchSize: 0
; MemoryBound: 0
; FloatMode: 240
; IeeeMode: 1
; LDSByteSize: 0 bytes/workgroup (compile time only)
; SGPRBlocks: 0
; VGPRBlocks: 0
; NumSGPRsForWavesPerEU: 4
; NumVGPRsForWavesPerEU: 1
; Occupancy: 10
; WaveLimiterHint : 0
; COMPUTE_PGM_RSRC2:SCRATCH_EN: 0
; COMPUTE_PGM_RSRC2:USER_SGPR: 6
; COMPUTE_PGM_RSRC2:TRAP_HANDLER: 0
; COMPUTE_PGM_RSRC2:TGID_X_EN: 1
; COMPUTE_PGM_RSRC2:TGID_Y_EN: 0
; COMPUTE_PGM_RSRC2:TGID_Z_EN: 0
; COMPUTE_PGM_RSRC2:TIDIG_COMP_CNT: 0
	.section	.text._ZN7rocprim17ROCPRIM_400000_NS6detail17trampoline_kernelINS0_14default_configENS1_22reduce_config_selectorIN6thrust23THRUST_200600_302600_NS5tupleIblNS6_9null_typeES8_S8_S8_S8_S8_S8_S8_EEEEZNS1_11reduce_implILb1ES3_NS6_12zip_iteratorINS7_INS6_11hip_rocprim26transform_input_iterator_tIbNSD_35transform_pair_of_input_iterators_tIbNS6_6detail15normal_iteratorINS6_10device_ptrIKxEEEESL_NS6_8equal_toIxEEEENSG_9not_fun_tINSD_8identityEEEEENSD_19counting_iterator_tIlEES8_S8_S8_S8_S8_S8_S8_S8_EEEEPS9_S9_NSD_9__find_if7functorIS9_EEEE10hipError_tPvRmT1_T2_T3_mT4_P12ihipStream_tbEUlT_E1_NS1_11comp_targetILNS1_3genE4ELNS1_11target_archE910ELNS1_3gpuE8ELNS1_3repE0EEENS1_30default_config_static_selectorELNS0_4arch9wavefront6targetE1EEEvS14_,"axG",@progbits,_ZN7rocprim17ROCPRIM_400000_NS6detail17trampoline_kernelINS0_14default_configENS1_22reduce_config_selectorIN6thrust23THRUST_200600_302600_NS5tupleIblNS6_9null_typeES8_S8_S8_S8_S8_S8_S8_EEEEZNS1_11reduce_implILb1ES3_NS6_12zip_iteratorINS7_INS6_11hip_rocprim26transform_input_iterator_tIbNSD_35transform_pair_of_input_iterators_tIbNS6_6detail15normal_iteratorINS6_10device_ptrIKxEEEESL_NS6_8equal_toIxEEEENSG_9not_fun_tINSD_8identityEEEEENSD_19counting_iterator_tIlEES8_S8_S8_S8_S8_S8_S8_S8_EEEEPS9_S9_NSD_9__find_if7functorIS9_EEEE10hipError_tPvRmT1_T2_T3_mT4_P12ihipStream_tbEUlT_E1_NS1_11comp_targetILNS1_3genE4ELNS1_11target_archE910ELNS1_3gpuE8ELNS1_3repE0EEENS1_30default_config_static_selectorELNS0_4arch9wavefront6targetE1EEEvS14_,comdat
	.protected	_ZN7rocprim17ROCPRIM_400000_NS6detail17trampoline_kernelINS0_14default_configENS1_22reduce_config_selectorIN6thrust23THRUST_200600_302600_NS5tupleIblNS6_9null_typeES8_S8_S8_S8_S8_S8_S8_EEEEZNS1_11reduce_implILb1ES3_NS6_12zip_iteratorINS7_INS6_11hip_rocprim26transform_input_iterator_tIbNSD_35transform_pair_of_input_iterators_tIbNS6_6detail15normal_iteratorINS6_10device_ptrIKxEEEESL_NS6_8equal_toIxEEEENSG_9not_fun_tINSD_8identityEEEEENSD_19counting_iterator_tIlEES8_S8_S8_S8_S8_S8_S8_S8_EEEEPS9_S9_NSD_9__find_if7functorIS9_EEEE10hipError_tPvRmT1_T2_T3_mT4_P12ihipStream_tbEUlT_E1_NS1_11comp_targetILNS1_3genE4ELNS1_11target_archE910ELNS1_3gpuE8ELNS1_3repE0EEENS1_30default_config_static_selectorELNS0_4arch9wavefront6targetE1EEEvS14_ ; -- Begin function _ZN7rocprim17ROCPRIM_400000_NS6detail17trampoline_kernelINS0_14default_configENS1_22reduce_config_selectorIN6thrust23THRUST_200600_302600_NS5tupleIblNS6_9null_typeES8_S8_S8_S8_S8_S8_S8_EEEEZNS1_11reduce_implILb1ES3_NS6_12zip_iteratorINS7_INS6_11hip_rocprim26transform_input_iterator_tIbNSD_35transform_pair_of_input_iterators_tIbNS6_6detail15normal_iteratorINS6_10device_ptrIKxEEEESL_NS6_8equal_toIxEEEENSG_9not_fun_tINSD_8identityEEEEENSD_19counting_iterator_tIlEES8_S8_S8_S8_S8_S8_S8_S8_EEEEPS9_S9_NSD_9__find_if7functorIS9_EEEE10hipError_tPvRmT1_T2_T3_mT4_P12ihipStream_tbEUlT_E1_NS1_11comp_targetILNS1_3genE4ELNS1_11target_archE910ELNS1_3gpuE8ELNS1_3repE0EEENS1_30default_config_static_selectorELNS0_4arch9wavefront6targetE1EEEvS14_
	.globl	_ZN7rocprim17ROCPRIM_400000_NS6detail17trampoline_kernelINS0_14default_configENS1_22reduce_config_selectorIN6thrust23THRUST_200600_302600_NS5tupleIblNS6_9null_typeES8_S8_S8_S8_S8_S8_S8_EEEEZNS1_11reduce_implILb1ES3_NS6_12zip_iteratorINS7_INS6_11hip_rocprim26transform_input_iterator_tIbNSD_35transform_pair_of_input_iterators_tIbNS6_6detail15normal_iteratorINS6_10device_ptrIKxEEEESL_NS6_8equal_toIxEEEENSG_9not_fun_tINSD_8identityEEEEENSD_19counting_iterator_tIlEES8_S8_S8_S8_S8_S8_S8_S8_EEEEPS9_S9_NSD_9__find_if7functorIS9_EEEE10hipError_tPvRmT1_T2_T3_mT4_P12ihipStream_tbEUlT_E1_NS1_11comp_targetILNS1_3genE4ELNS1_11target_archE910ELNS1_3gpuE8ELNS1_3repE0EEENS1_30default_config_static_selectorELNS0_4arch9wavefront6targetE1EEEvS14_
	.p2align	8
	.type	_ZN7rocprim17ROCPRIM_400000_NS6detail17trampoline_kernelINS0_14default_configENS1_22reduce_config_selectorIN6thrust23THRUST_200600_302600_NS5tupleIblNS6_9null_typeES8_S8_S8_S8_S8_S8_S8_EEEEZNS1_11reduce_implILb1ES3_NS6_12zip_iteratorINS7_INS6_11hip_rocprim26transform_input_iterator_tIbNSD_35transform_pair_of_input_iterators_tIbNS6_6detail15normal_iteratorINS6_10device_ptrIKxEEEESL_NS6_8equal_toIxEEEENSG_9not_fun_tINSD_8identityEEEEENSD_19counting_iterator_tIlEES8_S8_S8_S8_S8_S8_S8_S8_EEEEPS9_S9_NSD_9__find_if7functorIS9_EEEE10hipError_tPvRmT1_T2_T3_mT4_P12ihipStream_tbEUlT_E1_NS1_11comp_targetILNS1_3genE4ELNS1_11target_archE910ELNS1_3gpuE8ELNS1_3repE0EEENS1_30default_config_static_selectorELNS0_4arch9wavefront6targetE1EEEvS14_,@function
_ZN7rocprim17ROCPRIM_400000_NS6detail17trampoline_kernelINS0_14default_configENS1_22reduce_config_selectorIN6thrust23THRUST_200600_302600_NS5tupleIblNS6_9null_typeES8_S8_S8_S8_S8_S8_S8_EEEEZNS1_11reduce_implILb1ES3_NS6_12zip_iteratorINS7_INS6_11hip_rocprim26transform_input_iterator_tIbNSD_35transform_pair_of_input_iterators_tIbNS6_6detail15normal_iteratorINS6_10device_ptrIKxEEEESL_NS6_8equal_toIxEEEENSG_9not_fun_tINSD_8identityEEEEENSD_19counting_iterator_tIlEES8_S8_S8_S8_S8_S8_S8_S8_EEEEPS9_S9_NSD_9__find_if7functorIS9_EEEE10hipError_tPvRmT1_T2_T3_mT4_P12ihipStream_tbEUlT_E1_NS1_11comp_targetILNS1_3genE4ELNS1_11target_archE910ELNS1_3gpuE8ELNS1_3repE0EEENS1_30default_config_static_selectorELNS0_4arch9wavefront6targetE1EEEvS14_: ; @_ZN7rocprim17ROCPRIM_400000_NS6detail17trampoline_kernelINS0_14default_configENS1_22reduce_config_selectorIN6thrust23THRUST_200600_302600_NS5tupleIblNS6_9null_typeES8_S8_S8_S8_S8_S8_S8_EEEEZNS1_11reduce_implILb1ES3_NS6_12zip_iteratorINS7_INS6_11hip_rocprim26transform_input_iterator_tIbNSD_35transform_pair_of_input_iterators_tIbNS6_6detail15normal_iteratorINS6_10device_ptrIKxEEEESL_NS6_8equal_toIxEEEENSG_9not_fun_tINSD_8identityEEEEENSD_19counting_iterator_tIlEES8_S8_S8_S8_S8_S8_S8_S8_EEEEPS9_S9_NSD_9__find_if7functorIS9_EEEE10hipError_tPvRmT1_T2_T3_mT4_P12ihipStream_tbEUlT_E1_NS1_11comp_targetILNS1_3genE4ELNS1_11target_archE910ELNS1_3gpuE8ELNS1_3repE0EEENS1_30default_config_static_selectorELNS0_4arch9wavefront6targetE1EEEvS14_
; %bb.0:
	.section	.rodata,"a",@progbits
	.p2align	6, 0x0
	.amdhsa_kernel _ZN7rocprim17ROCPRIM_400000_NS6detail17trampoline_kernelINS0_14default_configENS1_22reduce_config_selectorIN6thrust23THRUST_200600_302600_NS5tupleIblNS6_9null_typeES8_S8_S8_S8_S8_S8_S8_EEEEZNS1_11reduce_implILb1ES3_NS6_12zip_iteratorINS7_INS6_11hip_rocprim26transform_input_iterator_tIbNSD_35transform_pair_of_input_iterators_tIbNS6_6detail15normal_iteratorINS6_10device_ptrIKxEEEESL_NS6_8equal_toIxEEEENSG_9not_fun_tINSD_8identityEEEEENSD_19counting_iterator_tIlEES8_S8_S8_S8_S8_S8_S8_S8_EEEEPS9_S9_NSD_9__find_if7functorIS9_EEEE10hipError_tPvRmT1_T2_T3_mT4_P12ihipStream_tbEUlT_E1_NS1_11comp_targetILNS1_3genE4ELNS1_11target_archE910ELNS1_3gpuE8ELNS1_3repE0EEENS1_30default_config_static_selectorELNS0_4arch9wavefront6targetE1EEEvS14_
		.amdhsa_group_segment_fixed_size 0
		.amdhsa_private_segment_fixed_size 0
		.amdhsa_kernarg_size 88
		.amdhsa_user_sgpr_count 6
		.amdhsa_user_sgpr_private_segment_buffer 1
		.amdhsa_user_sgpr_dispatch_ptr 0
		.amdhsa_user_sgpr_queue_ptr 0
		.amdhsa_user_sgpr_kernarg_segment_ptr 1
		.amdhsa_user_sgpr_dispatch_id 0
		.amdhsa_user_sgpr_flat_scratch_init 0
		.amdhsa_user_sgpr_private_segment_size 0
		.amdhsa_uses_dynamic_stack 0
		.amdhsa_system_sgpr_private_segment_wavefront_offset 0
		.amdhsa_system_sgpr_workgroup_id_x 1
		.amdhsa_system_sgpr_workgroup_id_y 0
		.amdhsa_system_sgpr_workgroup_id_z 0
		.amdhsa_system_sgpr_workgroup_info 0
		.amdhsa_system_vgpr_workitem_id 0
		.amdhsa_next_free_vgpr 1
		.amdhsa_next_free_sgpr 0
		.amdhsa_reserve_vcc 0
		.amdhsa_reserve_flat_scratch 0
		.amdhsa_float_round_mode_32 0
		.amdhsa_float_round_mode_16_64 0
		.amdhsa_float_denorm_mode_32 3
		.amdhsa_float_denorm_mode_16_64 3
		.amdhsa_dx10_clamp 1
		.amdhsa_ieee_mode 1
		.amdhsa_fp16_overflow 0
		.amdhsa_exception_fp_ieee_invalid_op 0
		.amdhsa_exception_fp_denorm_src 0
		.amdhsa_exception_fp_ieee_div_zero 0
		.amdhsa_exception_fp_ieee_overflow 0
		.amdhsa_exception_fp_ieee_underflow 0
		.amdhsa_exception_fp_ieee_inexact 0
		.amdhsa_exception_int_div_zero 0
	.end_amdhsa_kernel
	.section	.text._ZN7rocprim17ROCPRIM_400000_NS6detail17trampoline_kernelINS0_14default_configENS1_22reduce_config_selectorIN6thrust23THRUST_200600_302600_NS5tupleIblNS6_9null_typeES8_S8_S8_S8_S8_S8_S8_EEEEZNS1_11reduce_implILb1ES3_NS6_12zip_iteratorINS7_INS6_11hip_rocprim26transform_input_iterator_tIbNSD_35transform_pair_of_input_iterators_tIbNS6_6detail15normal_iteratorINS6_10device_ptrIKxEEEESL_NS6_8equal_toIxEEEENSG_9not_fun_tINSD_8identityEEEEENSD_19counting_iterator_tIlEES8_S8_S8_S8_S8_S8_S8_S8_EEEEPS9_S9_NSD_9__find_if7functorIS9_EEEE10hipError_tPvRmT1_T2_T3_mT4_P12ihipStream_tbEUlT_E1_NS1_11comp_targetILNS1_3genE4ELNS1_11target_archE910ELNS1_3gpuE8ELNS1_3repE0EEENS1_30default_config_static_selectorELNS0_4arch9wavefront6targetE1EEEvS14_,"axG",@progbits,_ZN7rocprim17ROCPRIM_400000_NS6detail17trampoline_kernelINS0_14default_configENS1_22reduce_config_selectorIN6thrust23THRUST_200600_302600_NS5tupleIblNS6_9null_typeES8_S8_S8_S8_S8_S8_S8_EEEEZNS1_11reduce_implILb1ES3_NS6_12zip_iteratorINS7_INS6_11hip_rocprim26transform_input_iterator_tIbNSD_35transform_pair_of_input_iterators_tIbNS6_6detail15normal_iteratorINS6_10device_ptrIKxEEEESL_NS6_8equal_toIxEEEENSG_9not_fun_tINSD_8identityEEEEENSD_19counting_iterator_tIlEES8_S8_S8_S8_S8_S8_S8_S8_EEEEPS9_S9_NSD_9__find_if7functorIS9_EEEE10hipError_tPvRmT1_T2_T3_mT4_P12ihipStream_tbEUlT_E1_NS1_11comp_targetILNS1_3genE4ELNS1_11target_archE910ELNS1_3gpuE8ELNS1_3repE0EEENS1_30default_config_static_selectorELNS0_4arch9wavefront6targetE1EEEvS14_,comdat
.Lfunc_end530:
	.size	_ZN7rocprim17ROCPRIM_400000_NS6detail17trampoline_kernelINS0_14default_configENS1_22reduce_config_selectorIN6thrust23THRUST_200600_302600_NS5tupleIblNS6_9null_typeES8_S8_S8_S8_S8_S8_S8_EEEEZNS1_11reduce_implILb1ES3_NS6_12zip_iteratorINS7_INS6_11hip_rocprim26transform_input_iterator_tIbNSD_35transform_pair_of_input_iterators_tIbNS6_6detail15normal_iteratorINS6_10device_ptrIKxEEEESL_NS6_8equal_toIxEEEENSG_9not_fun_tINSD_8identityEEEEENSD_19counting_iterator_tIlEES8_S8_S8_S8_S8_S8_S8_S8_EEEEPS9_S9_NSD_9__find_if7functorIS9_EEEE10hipError_tPvRmT1_T2_T3_mT4_P12ihipStream_tbEUlT_E1_NS1_11comp_targetILNS1_3genE4ELNS1_11target_archE910ELNS1_3gpuE8ELNS1_3repE0EEENS1_30default_config_static_selectorELNS0_4arch9wavefront6targetE1EEEvS14_, .Lfunc_end530-_ZN7rocprim17ROCPRIM_400000_NS6detail17trampoline_kernelINS0_14default_configENS1_22reduce_config_selectorIN6thrust23THRUST_200600_302600_NS5tupleIblNS6_9null_typeES8_S8_S8_S8_S8_S8_S8_EEEEZNS1_11reduce_implILb1ES3_NS6_12zip_iteratorINS7_INS6_11hip_rocprim26transform_input_iterator_tIbNSD_35transform_pair_of_input_iterators_tIbNS6_6detail15normal_iteratorINS6_10device_ptrIKxEEEESL_NS6_8equal_toIxEEEENSG_9not_fun_tINSD_8identityEEEEENSD_19counting_iterator_tIlEES8_S8_S8_S8_S8_S8_S8_S8_EEEEPS9_S9_NSD_9__find_if7functorIS9_EEEE10hipError_tPvRmT1_T2_T3_mT4_P12ihipStream_tbEUlT_E1_NS1_11comp_targetILNS1_3genE4ELNS1_11target_archE910ELNS1_3gpuE8ELNS1_3repE0EEENS1_30default_config_static_selectorELNS0_4arch9wavefront6targetE1EEEvS14_
                                        ; -- End function
	.set _ZN7rocprim17ROCPRIM_400000_NS6detail17trampoline_kernelINS0_14default_configENS1_22reduce_config_selectorIN6thrust23THRUST_200600_302600_NS5tupleIblNS6_9null_typeES8_S8_S8_S8_S8_S8_S8_EEEEZNS1_11reduce_implILb1ES3_NS6_12zip_iteratorINS7_INS6_11hip_rocprim26transform_input_iterator_tIbNSD_35transform_pair_of_input_iterators_tIbNS6_6detail15normal_iteratorINS6_10device_ptrIKxEEEESL_NS6_8equal_toIxEEEENSG_9not_fun_tINSD_8identityEEEEENSD_19counting_iterator_tIlEES8_S8_S8_S8_S8_S8_S8_S8_EEEEPS9_S9_NSD_9__find_if7functorIS9_EEEE10hipError_tPvRmT1_T2_T3_mT4_P12ihipStream_tbEUlT_E1_NS1_11comp_targetILNS1_3genE4ELNS1_11target_archE910ELNS1_3gpuE8ELNS1_3repE0EEENS1_30default_config_static_selectorELNS0_4arch9wavefront6targetE1EEEvS14_.num_vgpr, 0
	.set _ZN7rocprim17ROCPRIM_400000_NS6detail17trampoline_kernelINS0_14default_configENS1_22reduce_config_selectorIN6thrust23THRUST_200600_302600_NS5tupleIblNS6_9null_typeES8_S8_S8_S8_S8_S8_S8_EEEEZNS1_11reduce_implILb1ES3_NS6_12zip_iteratorINS7_INS6_11hip_rocprim26transform_input_iterator_tIbNSD_35transform_pair_of_input_iterators_tIbNS6_6detail15normal_iteratorINS6_10device_ptrIKxEEEESL_NS6_8equal_toIxEEEENSG_9not_fun_tINSD_8identityEEEEENSD_19counting_iterator_tIlEES8_S8_S8_S8_S8_S8_S8_S8_EEEEPS9_S9_NSD_9__find_if7functorIS9_EEEE10hipError_tPvRmT1_T2_T3_mT4_P12ihipStream_tbEUlT_E1_NS1_11comp_targetILNS1_3genE4ELNS1_11target_archE910ELNS1_3gpuE8ELNS1_3repE0EEENS1_30default_config_static_selectorELNS0_4arch9wavefront6targetE1EEEvS14_.num_agpr, 0
	.set _ZN7rocprim17ROCPRIM_400000_NS6detail17trampoline_kernelINS0_14default_configENS1_22reduce_config_selectorIN6thrust23THRUST_200600_302600_NS5tupleIblNS6_9null_typeES8_S8_S8_S8_S8_S8_S8_EEEEZNS1_11reduce_implILb1ES3_NS6_12zip_iteratorINS7_INS6_11hip_rocprim26transform_input_iterator_tIbNSD_35transform_pair_of_input_iterators_tIbNS6_6detail15normal_iteratorINS6_10device_ptrIKxEEEESL_NS6_8equal_toIxEEEENSG_9not_fun_tINSD_8identityEEEEENSD_19counting_iterator_tIlEES8_S8_S8_S8_S8_S8_S8_S8_EEEEPS9_S9_NSD_9__find_if7functorIS9_EEEE10hipError_tPvRmT1_T2_T3_mT4_P12ihipStream_tbEUlT_E1_NS1_11comp_targetILNS1_3genE4ELNS1_11target_archE910ELNS1_3gpuE8ELNS1_3repE0EEENS1_30default_config_static_selectorELNS0_4arch9wavefront6targetE1EEEvS14_.numbered_sgpr, 0
	.set _ZN7rocprim17ROCPRIM_400000_NS6detail17trampoline_kernelINS0_14default_configENS1_22reduce_config_selectorIN6thrust23THRUST_200600_302600_NS5tupleIblNS6_9null_typeES8_S8_S8_S8_S8_S8_S8_EEEEZNS1_11reduce_implILb1ES3_NS6_12zip_iteratorINS7_INS6_11hip_rocprim26transform_input_iterator_tIbNSD_35transform_pair_of_input_iterators_tIbNS6_6detail15normal_iteratorINS6_10device_ptrIKxEEEESL_NS6_8equal_toIxEEEENSG_9not_fun_tINSD_8identityEEEEENSD_19counting_iterator_tIlEES8_S8_S8_S8_S8_S8_S8_S8_EEEEPS9_S9_NSD_9__find_if7functorIS9_EEEE10hipError_tPvRmT1_T2_T3_mT4_P12ihipStream_tbEUlT_E1_NS1_11comp_targetILNS1_3genE4ELNS1_11target_archE910ELNS1_3gpuE8ELNS1_3repE0EEENS1_30default_config_static_selectorELNS0_4arch9wavefront6targetE1EEEvS14_.num_named_barrier, 0
	.set _ZN7rocprim17ROCPRIM_400000_NS6detail17trampoline_kernelINS0_14default_configENS1_22reduce_config_selectorIN6thrust23THRUST_200600_302600_NS5tupleIblNS6_9null_typeES8_S8_S8_S8_S8_S8_S8_EEEEZNS1_11reduce_implILb1ES3_NS6_12zip_iteratorINS7_INS6_11hip_rocprim26transform_input_iterator_tIbNSD_35transform_pair_of_input_iterators_tIbNS6_6detail15normal_iteratorINS6_10device_ptrIKxEEEESL_NS6_8equal_toIxEEEENSG_9not_fun_tINSD_8identityEEEEENSD_19counting_iterator_tIlEES8_S8_S8_S8_S8_S8_S8_S8_EEEEPS9_S9_NSD_9__find_if7functorIS9_EEEE10hipError_tPvRmT1_T2_T3_mT4_P12ihipStream_tbEUlT_E1_NS1_11comp_targetILNS1_3genE4ELNS1_11target_archE910ELNS1_3gpuE8ELNS1_3repE0EEENS1_30default_config_static_selectorELNS0_4arch9wavefront6targetE1EEEvS14_.private_seg_size, 0
	.set _ZN7rocprim17ROCPRIM_400000_NS6detail17trampoline_kernelINS0_14default_configENS1_22reduce_config_selectorIN6thrust23THRUST_200600_302600_NS5tupleIblNS6_9null_typeES8_S8_S8_S8_S8_S8_S8_EEEEZNS1_11reduce_implILb1ES3_NS6_12zip_iteratorINS7_INS6_11hip_rocprim26transform_input_iterator_tIbNSD_35transform_pair_of_input_iterators_tIbNS6_6detail15normal_iteratorINS6_10device_ptrIKxEEEESL_NS6_8equal_toIxEEEENSG_9not_fun_tINSD_8identityEEEEENSD_19counting_iterator_tIlEES8_S8_S8_S8_S8_S8_S8_S8_EEEEPS9_S9_NSD_9__find_if7functorIS9_EEEE10hipError_tPvRmT1_T2_T3_mT4_P12ihipStream_tbEUlT_E1_NS1_11comp_targetILNS1_3genE4ELNS1_11target_archE910ELNS1_3gpuE8ELNS1_3repE0EEENS1_30default_config_static_selectorELNS0_4arch9wavefront6targetE1EEEvS14_.uses_vcc, 0
	.set _ZN7rocprim17ROCPRIM_400000_NS6detail17trampoline_kernelINS0_14default_configENS1_22reduce_config_selectorIN6thrust23THRUST_200600_302600_NS5tupleIblNS6_9null_typeES8_S8_S8_S8_S8_S8_S8_EEEEZNS1_11reduce_implILb1ES3_NS6_12zip_iteratorINS7_INS6_11hip_rocprim26transform_input_iterator_tIbNSD_35transform_pair_of_input_iterators_tIbNS6_6detail15normal_iteratorINS6_10device_ptrIKxEEEESL_NS6_8equal_toIxEEEENSG_9not_fun_tINSD_8identityEEEEENSD_19counting_iterator_tIlEES8_S8_S8_S8_S8_S8_S8_S8_EEEEPS9_S9_NSD_9__find_if7functorIS9_EEEE10hipError_tPvRmT1_T2_T3_mT4_P12ihipStream_tbEUlT_E1_NS1_11comp_targetILNS1_3genE4ELNS1_11target_archE910ELNS1_3gpuE8ELNS1_3repE0EEENS1_30default_config_static_selectorELNS0_4arch9wavefront6targetE1EEEvS14_.uses_flat_scratch, 0
	.set _ZN7rocprim17ROCPRIM_400000_NS6detail17trampoline_kernelINS0_14default_configENS1_22reduce_config_selectorIN6thrust23THRUST_200600_302600_NS5tupleIblNS6_9null_typeES8_S8_S8_S8_S8_S8_S8_EEEEZNS1_11reduce_implILb1ES3_NS6_12zip_iteratorINS7_INS6_11hip_rocprim26transform_input_iterator_tIbNSD_35transform_pair_of_input_iterators_tIbNS6_6detail15normal_iteratorINS6_10device_ptrIKxEEEESL_NS6_8equal_toIxEEEENSG_9not_fun_tINSD_8identityEEEEENSD_19counting_iterator_tIlEES8_S8_S8_S8_S8_S8_S8_S8_EEEEPS9_S9_NSD_9__find_if7functorIS9_EEEE10hipError_tPvRmT1_T2_T3_mT4_P12ihipStream_tbEUlT_E1_NS1_11comp_targetILNS1_3genE4ELNS1_11target_archE910ELNS1_3gpuE8ELNS1_3repE0EEENS1_30default_config_static_selectorELNS0_4arch9wavefront6targetE1EEEvS14_.has_dyn_sized_stack, 0
	.set _ZN7rocprim17ROCPRIM_400000_NS6detail17trampoline_kernelINS0_14default_configENS1_22reduce_config_selectorIN6thrust23THRUST_200600_302600_NS5tupleIblNS6_9null_typeES8_S8_S8_S8_S8_S8_S8_EEEEZNS1_11reduce_implILb1ES3_NS6_12zip_iteratorINS7_INS6_11hip_rocprim26transform_input_iterator_tIbNSD_35transform_pair_of_input_iterators_tIbNS6_6detail15normal_iteratorINS6_10device_ptrIKxEEEESL_NS6_8equal_toIxEEEENSG_9not_fun_tINSD_8identityEEEEENSD_19counting_iterator_tIlEES8_S8_S8_S8_S8_S8_S8_S8_EEEEPS9_S9_NSD_9__find_if7functorIS9_EEEE10hipError_tPvRmT1_T2_T3_mT4_P12ihipStream_tbEUlT_E1_NS1_11comp_targetILNS1_3genE4ELNS1_11target_archE910ELNS1_3gpuE8ELNS1_3repE0EEENS1_30default_config_static_selectorELNS0_4arch9wavefront6targetE1EEEvS14_.has_recursion, 0
	.set _ZN7rocprim17ROCPRIM_400000_NS6detail17trampoline_kernelINS0_14default_configENS1_22reduce_config_selectorIN6thrust23THRUST_200600_302600_NS5tupleIblNS6_9null_typeES8_S8_S8_S8_S8_S8_S8_EEEEZNS1_11reduce_implILb1ES3_NS6_12zip_iteratorINS7_INS6_11hip_rocprim26transform_input_iterator_tIbNSD_35transform_pair_of_input_iterators_tIbNS6_6detail15normal_iteratorINS6_10device_ptrIKxEEEESL_NS6_8equal_toIxEEEENSG_9not_fun_tINSD_8identityEEEEENSD_19counting_iterator_tIlEES8_S8_S8_S8_S8_S8_S8_S8_EEEEPS9_S9_NSD_9__find_if7functorIS9_EEEE10hipError_tPvRmT1_T2_T3_mT4_P12ihipStream_tbEUlT_E1_NS1_11comp_targetILNS1_3genE4ELNS1_11target_archE910ELNS1_3gpuE8ELNS1_3repE0EEENS1_30default_config_static_selectorELNS0_4arch9wavefront6targetE1EEEvS14_.has_indirect_call, 0
	.section	.AMDGPU.csdata,"",@progbits
; Kernel info:
; codeLenInByte = 0
; TotalNumSgprs: 4
; NumVgprs: 0
; ScratchSize: 0
; MemoryBound: 0
; FloatMode: 240
; IeeeMode: 1
; LDSByteSize: 0 bytes/workgroup (compile time only)
; SGPRBlocks: 0
; VGPRBlocks: 0
; NumSGPRsForWavesPerEU: 4
; NumVGPRsForWavesPerEU: 1
; Occupancy: 10
; WaveLimiterHint : 0
; COMPUTE_PGM_RSRC2:SCRATCH_EN: 0
; COMPUTE_PGM_RSRC2:USER_SGPR: 6
; COMPUTE_PGM_RSRC2:TRAP_HANDLER: 0
; COMPUTE_PGM_RSRC2:TGID_X_EN: 1
; COMPUTE_PGM_RSRC2:TGID_Y_EN: 0
; COMPUTE_PGM_RSRC2:TGID_Z_EN: 0
; COMPUTE_PGM_RSRC2:TIDIG_COMP_CNT: 0
	.section	.text._ZN7rocprim17ROCPRIM_400000_NS6detail17trampoline_kernelINS0_14default_configENS1_22reduce_config_selectorIN6thrust23THRUST_200600_302600_NS5tupleIblNS6_9null_typeES8_S8_S8_S8_S8_S8_S8_EEEEZNS1_11reduce_implILb1ES3_NS6_12zip_iteratorINS7_INS6_11hip_rocprim26transform_input_iterator_tIbNSD_35transform_pair_of_input_iterators_tIbNS6_6detail15normal_iteratorINS6_10device_ptrIKxEEEESL_NS6_8equal_toIxEEEENSG_9not_fun_tINSD_8identityEEEEENSD_19counting_iterator_tIlEES8_S8_S8_S8_S8_S8_S8_S8_EEEEPS9_S9_NSD_9__find_if7functorIS9_EEEE10hipError_tPvRmT1_T2_T3_mT4_P12ihipStream_tbEUlT_E1_NS1_11comp_targetILNS1_3genE3ELNS1_11target_archE908ELNS1_3gpuE7ELNS1_3repE0EEENS1_30default_config_static_selectorELNS0_4arch9wavefront6targetE1EEEvS14_,"axG",@progbits,_ZN7rocprim17ROCPRIM_400000_NS6detail17trampoline_kernelINS0_14default_configENS1_22reduce_config_selectorIN6thrust23THRUST_200600_302600_NS5tupleIblNS6_9null_typeES8_S8_S8_S8_S8_S8_S8_EEEEZNS1_11reduce_implILb1ES3_NS6_12zip_iteratorINS7_INS6_11hip_rocprim26transform_input_iterator_tIbNSD_35transform_pair_of_input_iterators_tIbNS6_6detail15normal_iteratorINS6_10device_ptrIKxEEEESL_NS6_8equal_toIxEEEENSG_9not_fun_tINSD_8identityEEEEENSD_19counting_iterator_tIlEES8_S8_S8_S8_S8_S8_S8_S8_EEEEPS9_S9_NSD_9__find_if7functorIS9_EEEE10hipError_tPvRmT1_T2_T3_mT4_P12ihipStream_tbEUlT_E1_NS1_11comp_targetILNS1_3genE3ELNS1_11target_archE908ELNS1_3gpuE7ELNS1_3repE0EEENS1_30default_config_static_selectorELNS0_4arch9wavefront6targetE1EEEvS14_,comdat
	.protected	_ZN7rocprim17ROCPRIM_400000_NS6detail17trampoline_kernelINS0_14default_configENS1_22reduce_config_selectorIN6thrust23THRUST_200600_302600_NS5tupleIblNS6_9null_typeES8_S8_S8_S8_S8_S8_S8_EEEEZNS1_11reduce_implILb1ES3_NS6_12zip_iteratorINS7_INS6_11hip_rocprim26transform_input_iterator_tIbNSD_35transform_pair_of_input_iterators_tIbNS6_6detail15normal_iteratorINS6_10device_ptrIKxEEEESL_NS6_8equal_toIxEEEENSG_9not_fun_tINSD_8identityEEEEENSD_19counting_iterator_tIlEES8_S8_S8_S8_S8_S8_S8_S8_EEEEPS9_S9_NSD_9__find_if7functorIS9_EEEE10hipError_tPvRmT1_T2_T3_mT4_P12ihipStream_tbEUlT_E1_NS1_11comp_targetILNS1_3genE3ELNS1_11target_archE908ELNS1_3gpuE7ELNS1_3repE0EEENS1_30default_config_static_selectorELNS0_4arch9wavefront6targetE1EEEvS14_ ; -- Begin function _ZN7rocprim17ROCPRIM_400000_NS6detail17trampoline_kernelINS0_14default_configENS1_22reduce_config_selectorIN6thrust23THRUST_200600_302600_NS5tupleIblNS6_9null_typeES8_S8_S8_S8_S8_S8_S8_EEEEZNS1_11reduce_implILb1ES3_NS6_12zip_iteratorINS7_INS6_11hip_rocprim26transform_input_iterator_tIbNSD_35transform_pair_of_input_iterators_tIbNS6_6detail15normal_iteratorINS6_10device_ptrIKxEEEESL_NS6_8equal_toIxEEEENSG_9not_fun_tINSD_8identityEEEEENSD_19counting_iterator_tIlEES8_S8_S8_S8_S8_S8_S8_S8_EEEEPS9_S9_NSD_9__find_if7functorIS9_EEEE10hipError_tPvRmT1_T2_T3_mT4_P12ihipStream_tbEUlT_E1_NS1_11comp_targetILNS1_3genE3ELNS1_11target_archE908ELNS1_3gpuE7ELNS1_3repE0EEENS1_30default_config_static_selectorELNS0_4arch9wavefront6targetE1EEEvS14_
	.globl	_ZN7rocprim17ROCPRIM_400000_NS6detail17trampoline_kernelINS0_14default_configENS1_22reduce_config_selectorIN6thrust23THRUST_200600_302600_NS5tupleIblNS6_9null_typeES8_S8_S8_S8_S8_S8_S8_EEEEZNS1_11reduce_implILb1ES3_NS6_12zip_iteratorINS7_INS6_11hip_rocprim26transform_input_iterator_tIbNSD_35transform_pair_of_input_iterators_tIbNS6_6detail15normal_iteratorINS6_10device_ptrIKxEEEESL_NS6_8equal_toIxEEEENSG_9not_fun_tINSD_8identityEEEEENSD_19counting_iterator_tIlEES8_S8_S8_S8_S8_S8_S8_S8_EEEEPS9_S9_NSD_9__find_if7functorIS9_EEEE10hipError_tPvRmT1_T2_T3_mT4_P12ihipStream_tbEUlT_E1_NS1_11comp_targetILNS1_3genE3ELNS1_11target_archE908ELNS1_3gpuE7ELNS1_3repE0EEENS1_30default_config_static_selectorELNS0_4arch9wavefront6targetE1EEEvS14_
	.p2align	8
	.type	_ZN7rocprim17ROCPRIM_400000_NS6detail17trampoline_kernelINS0_14default_configENS1_22reduce_config_selectorIN6thrust23THRUST_200600_302600_NS5tupleIblNS6_9null_typeES8_S8_S8_S8_S8_S8_S8_EEEEZNS1_11reduce_implILb1ES3_NS6_12zip_iteratorINS7_INS6_11hip_rocprim26transform_input_iterator_tIbNSD_35transform_pair_of_input_iterators_tIbNS6_6detail15normal_iteratorINS6_10device_ptrIKxEEEESL_NS6_8equal_toIxEEEENSG_9not_fun_tINSD_8identityEEEEENSD_19counting_iterator_tIlEES8_S8_S8_S8_S8_S8_S8_S8_EEEEPS9_S9_NSD_9__find_if7functorIS9_EEEE10hipError_tPvRmT1_T2_T3_mT4_P12ihipStream_tbEUlT_E1_NS1_11comp_targetILNS1_3genE3ELNS1_11target_archE908ELNS1_3gpuE7ELNS1_3repE0EEENS1_30default_config_static_selectorELNS0_4arch9wavefront6targetE1EEEvS14_,@function
_ZN7rocprim17ROCPRIM_400000_NS6detail17trampoline_kernelINS0_14default_configENS1_22reduce_config_selectorIN6thrust23THRUST_200600_302600_NS5tupleIblNS6_9null_typeES8_S8_S8_S8_S8_S8_S8_EEEEZNS1_11reduce_implILb1ES3_NS6_12zip_iteratorINS7_INS6_11hip_rocprim26transform_input_iterator_tIbNSD_35transform_pair_of_input_iterators_tIbNS6_6detail15normal_iteratorINS6_10device_ptrIKxEEEESL_NS6_8equal_toIxEEEENSG_9not_fun_tINSD_8identityEEEEENSD_19counting_iterator_tIlEES8_S8_S8_S8_S8_S8_S8_S8_EEEEPS9_S9_NSD_9__find_if7functorIS9_EEEE10hipError_tPvRmT1_T2_T3_mT4_P12ihipStream_tbEUlT_E1_NS1_11comp_targetILNS1_3genE3ELNS1_11target_archE908ELNS1_3gpuE7ELNS1_3repE0EEENS1_30default_config_static_selectorELNS0_4arch9wavefront6targetE1EEEvS14_: ; @_ZN7rocprim17ROCPRIM_400000_NS6detail17trampoline_kernelINS0_14default_configENS1_22reduce_config_selectorIN6thrust23THRUST_200600_302600_NS5tupleIblNS6_9null_typeES8_S8_S8_S8_S8_S8_S8_EEEEZNS1_11reduce_implILb1ES3_NS6_12zip_iteratorINS7_INS6_11hip_rocprim26transform_input_iterator_tIbNSD_35transform_pair_of_input_iterators_tIbNS6_6detail15normal_iteratorINS6_10device_ptrIKxEEEESL_NS6_8equal_toIxEEEENSG_9not_fun_tINSD_8identityEEEEENSD_19counting_iterator_tIlEES8_S8_S8_S8_S8_S8_S8_S8_EEEEPS9_S9_NSD_9__find_if7functorIS9_EEEE10hipError_tPvRmT1_T2_T3_mT4_P12ihipStream_tbEUlT_E1_NS1_11comp_targetILNS1_3genE3ELNS1_11target_archE908ELNS1_3gpuE7ELNS1_3repE0EEENS1_30default_config_static_selectorELNS0_4arch9wavefront6targetE1EEEvS14_
; %bb.0:
	.section	.rodata,"a",@progbits
	.p2align	6, 0x0
	.amdhsa_kernel _ZN7rocprim17ROCPRIM_400000_NS6detail17trampoline_kernelINS0_14default_configENS1_22reduce_config_selectorIN6thrust23THRUST_200600_302600_NS5tupleIblNS6_9null_typeES8_S8_S8_S8_S8_S8_S8_EEEEZNS1_11reduce_implILb1ES3_NS6_12zip_iteratorINS7_INS6_11hip_rocprim26transform_input_iterator_tIbNSD_35transform_pair_of_input_iterators_tIbNS6_6detail15normal_iteratorINS6_10device_ptrIKxEEEESL_NS6_8equal_toIxEEEENSG_9not_fun_tINSD_8identityEEEEENSD_19counting_iterator_tIlEES8_S8_S8_S8_S8_S8_S8_S8_EEEEPS9_S9_NSD_9__find_if7functorIS9_EEEE10hipError_tPvRmT1_T2_T3_mT4_P12ihipStream_tbEUlT_E1_NS1_11comp_targetILNS1_3genE3ELNS1_11target_archE908ELNS1_3gpuE7ELNS1_3repE0EEENS1_30default_config_static_selectorELNS0_4arch9wavefront6targetE1EEEvS14_
		.amdhsa_group_segment_fixed_size 0
		.amdhsa_private_segment_fixed_size 0
		.amdhsa_kernarg_size 88
		.amdhsa_user_sgpr_count 6
		.amdhsa_user_sgpr_private_segment_buffer 1
		.amdhsa_user_sgpr_dispatch_ptr 0
		.amdhsa_user_sgpr_queue_ptr 0
		.amdhsa_user_sgpr_kernarg_segment_ptr 1
		.amdhsa_user_sgpr_dispatch_id 0
		.amdhsa_user_sgpr_flat_scratch_init 0
		.amdhsa_user_sgpr_private_segment_size 0
		.amdhsa_uses_dynamic_stack 0
		.amdhsa_system_sgpr_private_segment_wavefront_offset 0
		.amdhsa_system_sgpr_workgroup_id_x 1
		.amdhsa_system_sgpr_workgroup_id_y 0
		.amdhsa_system_sgpr_workgroup_id_z 0
		.amdhsa_system_sgpr_workgroup_info 0
		.amdhsa_system_vgpr_workitem_id 0
		.amdhsa_next_free_vgpr 1
		.amdhsa_next_free_sgpr 0
		.amdhsa_reserve_vcc 0
		.amdhsa_reserve_flat_scratch 0
		.amdhsa_float_round_mode_32 0
		.amdhsa_float_round_mode_16_64 0
		.amdhsa_float_denorm_mode_32 3
		.amdhsa_float_denorm_mode_16_64 3
		.amdhsa_dx10_clamp 1
		.amdhsa_ieee_mode 1
		.amdhsa_fp16_overflow 0
		.amdhsa_exception_fp_ieee_invalid_op 0
		.amdhsa_exception_fp_denorm_src 0
		.amdhsa_exception_fp_ieee_div_zero 0
		.amdhsa_exception_fp_ieee_overflow 0
		.amdhsa_exception_fp_ieee_underflow 0
		.amdhsa_exception_fp_ieee_inexact 0
		.amdhsa_exception_int_div_zero 0
	.end_amdhsa_kernel
	.section	.text._ZN7rocprim17ROCPRIM_400000_NS6detail17trampoline_kernelINS0_14default_configENS1_22reduce_config_selectorIN6thrust23THRUST_200600_302600_NS5tupleIblNS6_9null_typeES8_S8_S8_S8_S8_S8_S8_EEEEZNS1_11reduce_implILb1ES3_NS6_12zip_iteratorINS7_INS6_11hip_rocprim26transform_input_iterator_tIbNSD_35transform_pair_of_input_iterators_tIbNS6_6detail15normal_iteratorINS6_10device_ptrIKxEEEESL_NS6_8equal_toIxEEEENSG_9not_fun_tINSD_8identityEEEEENSD_19counting_iterator_tIlEES8_S8_S8_S8_S8_S8_S8_S8_EEEEPS9_S9_NSD_9__find_if7functorIS9_EEEE10hipError_tPvRmT1_T2_T3_mT4_P12ihipStream_tbEUlT_E1_NS1_11comp_targetILNS1_3genE3ELNS1_11target_archE908ELNS1_3gpuE7ELNS1_3repE0EEENS1_30default_config_static_selectorELNS0_4arch9wavefront6targetE1EEEvS14_,"axG",@progbits,_ZN7rocprim17ROCPRIM_400000_NS6detail17trampoline_kernelINS0_14default_configENS1_22reduce_config_selectorIN6thrust23THRUST_200600_302600_NS5tupleIblNS6_9null_typeES8_S8_S8_S8_S8_S8_S8_EEEEZNS1_11reduce_implILb1ES3_NS6_12zip_iteratorINS7_INS6_11hip_rocprim26transform_input_iterator_tIbNSD_35transform_pair_of_input_iterators_tIbNS6_6detail15normal_iteratorINS6_10device_ptrIKxEEEESL_NS6_8equal_toIxEEEENSG_9not_fun_tINSD_8identityEEEEENSD_19counting_iterator_tIlEES8_S8_S8_S8_S8_S8_S8_S8_EEEEPS9_S9_NSD_9__find_if7functorIS9_EEEE10hipError_tPvRmT1_T2_T3_mT4_P12ihipStream_tbEUlT_E1_NS1_11comp_targetILNS1_3genE3ELNS1_11target_archE908ELNS1_3gpuE7ELNS1_3repE0EEENS1_30default_config_static_selectorELNS0_4arch9wavefront6targetE1EEEvS14_,comdat
.Lfunc_end531:
	.size	_ZN7rocprim17ROCPRIM_400000_NS6detail17trampoline_kernelINS0_14default_configENS1_22reduce_config_selectorIN6thrust23THRUST_200600_302600_NS5tupleIblNS6_9null_typeES8_S8_S8_S8_S8_S8_S8_EEEEZNS1_11reduce_implILb1ES3_NS6_12zip_iteratorINS7_INS6_11hip_rocprim26transform_input_iterator_tIbNSD_35transform_pair_of_input_iterators_tIbNS6_6detail15normal_iteratorINS6_10device_ptrIKxEEEESL_NS6_8equal_toIxEEEENSG_9not_fun_tINSD_8identityEEEEENSD_19counting_iterator_tIlEES8_S8_S8_S8_S8_S8_S8_S8_EEEEPS9_S9_NSD_9__find_if7functorIS9_EEEE10hipError_tPvRmT1_T2_T3_mT4_P12ihipStream_tbEUlT_E1_NS1_11comp_targetILNS1_3genE3ELNS1_11target_archE908ELNS1_3gpuE7ELNS1_3repE0EEENS1_30default_config_static_selectorELNS0_4arch9wavefront6targetE1EEEvS14_, .Lfunc_end531-_ZN7rocprim17ROCPRIM_400000_NS6detail17trampoline_kernelINS0_14default_configENS1_22reduce_config_selectorIN6thrust23THRUST_200600_302600_NS5tupleIblNS6_9null_typeES8_S8_S8_S8_S8_S8_S8_EEEEZNS1_11reduce_implILb1ES3_NS6_12zip_iteratorINS7_INS6_11hip_rocprim26transform_input_iterator_tIbNSD_35transform_pair_of_input_iterators_tIbNS6_6detail15normal_iteratorINS6_10device_ptrIKxEEEESL_NS6_8equal_toIxEEEENSG_9not_fun_tINSD_8identityEEEEENSD_19counting_iterator_tIlEES8_S8_S8_S8_S8_S8_S8_S8_EEEEPS9_S9_NSD_9__find_if7functorIS9_EEEE10hipError_tPvRmT1_T2_T3_mT4_P12ihipStream_tbEUlT_E1_NS1_11comp_targetILNS1_3genE3ELNS1_11target_archE908ELNS1_3gpuE7ELNS1_3repE0EEENS1_30default_config_static_selectorELNS0_4arch9wavefront6targetE1EEEvS14_
                                        ; -- End function
	.set _ZN7rocprim17ROCPRIM_400000_NS6detail17trampoline_kernelINS0_14default_configENS1_22reduce_config_selectorIN6thrust23THRUST_200600_302600_NS5tupleIblNS6_9null_typeES8_S8_S8_S8_S8_S8_S8_EEEEZNS1_11reduce_implILb1ES3_NS6_12zip_iteratorINS7_INS6_11hip_rocprim26transform_input_iterator_tIbNSD_35transform_pair_of_input_iterators_tIbNS6_6detail15normal_iteratorINS6_10device_ptrIKxEEEESL_NS6_8equal_toIxEEEENSG_9not_fun_tINSD_8identityEEEEENSD_19counting_iterator_tIlEES8_S8_S8_S8_S8_S8_S8_S8_EEEEPS9_S9_NSD_9__find_if7functorIS9_EEEE10hipError_tPvRmT1_T2_T3_mT4_P12ihipStream_tbEUlT_E1_NS1_11comp_targetILNS1_3genE3ELNS1_11target_archE908ELNS1_3gpuE7ELNS1_3repE0EEENS1_30default_config_static_selectorELNS0_4arch9wavefront6targetE1EEEvS14_.num_vgpr, 0
	.set _ZN7rocprim17ROCPRIM_400000_NS6detail17trampoline_kernelINS0_14default_configENS1_22reduce_config_selectorIN6thrust23THRUST_200600_302600_NS5tupleIblNS6_9null_typeES8_S8_S8_S8_S8_S8_S8_EEEEZNS1_11reduce_implILb1ES3_NS6_12zip_iteratorINS7_INS6_11hip_rocprim26transform_input_iterator_tIbNSD_35transform_pair_of_input_iterators_tIbNS6_6detail15normal_iteratorINS6_10device_ptrIKxEEEESL_NS6_8equal_toIxEEEENSG_9not_fun_tINSD_8identityEEEEENSD_19counting_iterator_tIlEES8_S8_S8_S8_S8_S8_S8_S8_EEEEPS9_S9_NSD_9__find_if7functorIS9_EEEE10hipError_tPvRmT1_T2_T3_mT4_P12ihipStream_tbEUlT_E1_NS1_11comp_targetILNS1_3genE3ELNS1_11target_archE908ELNS1_3gpuE7ELNS1_3repE0EEENS1_30default_config_static_selectorELNS0_4arch9wavefront6targetE1EEEvS14_.num_agpr, 0
	.set _ZN7rocprim17ROCPRIM_400000_NS6detail17trampoline_kernelINS0_14default_configENS1_22reduce_config_selectorIN6thrust23THRUST_200600_302600_NS5tupleIblNS6_9null_typeES8_S8_S8_S8_S8_S8_S8_EEEEZNS1_11reduce_implILb1ES3_NS6_12zip_iteratorINS7_INS6_11hip_rocprim26transform_input_iterator_tIbNSD_35transform_pair_of_input_iterators_tIbNS6_6detail15normal_iteratorINS6_10device_ptrIKxEEEESL_NS6_8equal_toIxEEEENSG_9not_fun_tINSD_8identityEEEEENSD_19counting_iterator_tIlEES8_S8_S8_S8_S8_S8_S8_S8_EEEEPS9_S9_NSD_9__find_if7functorIS9_EEEE10hipError_tPvRmT1_T2_T3_mT4_P12ihipStream_tbEUlT_E1_NS1_11comp_targetILNS1_3genE3ELNS1_11target_archE908ELNS1_3gpuE7ELNS1_3repE0EEENS1_30default_config_static_selectorELNS0_4arch9wavefront6targetE1EEEvS14_.numbered_sgpr, 0
	.set _ZN7rocprim17ROCPRIM_400000_NS6detail17trampoline_kernelINS0_14default_configENS1_22reduce_config_selectorIN6thrust23THRUST_200600_302600_NS5tupleIblNS6_9null_typeES8_S8_S8_S8_S8_S8_S8_EEEEZNS1_11reduce_implILb1ES3_NS6_12zip_iteratorINS7_INS6_11hip_rocprim26transform_input_iterator_tIbNSD_35transform_pair_of_input_iterators_tIbNS6_6detail15normal_iteratorINS6_10device_ptrIKxEEEESL_NS6_8equal_toIxEEEENSG_9not_fun_tINSD_8identityEEEEENSD_19counting_iterator_tIlEES8_S8_S8_S8_S8_S8_S8_S8_EEEEPS9_S9_NSD_9__find_if7functorIS9_EEEE10hipError_tPvRmT1_T2_T3_mT4_P12ihipStream_tbEUlT_E1_NS1_11comp_targetILNS1_3genE3ELNS1_11target_archE908ELNS1_3gpuE7ELNS1_3repE0EEENS1_30default_config_static_selectorELNS0_4arch9wavefront6targetE1EEEvS14_.num_named_barrier, 0
	.set _ZN7rocprim17ROCPRIM_400000_NS6detail17trampoline_kernelINS0_14default_configENS1_22reduce_config_selectorIN6thrust23THRUST_200600_302600_NS5tupleIblNS6_9null_typeES8_S8_S8_S8_S8_S8_S8_EEEEZNS1_11reduce_implILb1ES3_NS6_12zip_iteratorINS7_INS6_11hip_rocprim26transform_input_iterator_tIbNSD_35transform_pair_of_input_iterators_tIbNS6_6detail15normal_iteratorINS6_10device_ptrIKxEEEESL_NS6_8equal_toIxEEEENSG_9not_fun_tINSD_8identityEEEEENSD_19counting_iterator_tIlEES8_S8_S8_S8_S8_S8_S8_S8_EEEEPS9_S9_NSD_9__find_if7functorIS9_EEEE10hipError_tPvRmT1_T2_T3_mT4_P12ihipStream_tbEUlT_E1_NS1_11comp_targetILNS1_3genE3ELNS1_11target_archE908ELNS1_3gpuE7ELNS1_3repE0EEENS1_30default_config_static_selectorELNS0_4arch9wavefront6targetE1EEEvS14_.private_seg_size, 0
	.set _ZN7rocprim17ROCPRIM_400000_NS6detail17trampoline_kernelINS0_14default_configENS1_22reduce_config_selectorIN6thrust23THRUST_200600_302600_NS5tupleIblNS6_9null_typeES8_S8_S8_S8_S8_S8_S8_EEEEZNS1_11reduce_implILb1ES3_NS6_12zip_iteratorINS7_INS6_11hip_rocprim26transform_input_iterator_tIbNSD_35transform_pair_of_input_iterators_tIbNS6_6detail15normal_iteratorINS6_10device_ptrIKxEEEESL_NS6_8equal_toIxEEEENSG_9not_fun_tINSD_8identityEEEEENSD_19counting_iterator_tIlEES8_S8_S8_S8_S8_S8_S8_S8_EEEEPS9_S9_NSD_9__find_if7functorIS9_EEEE10hipError_tPvRmT1_T2_T3_mT4_P12ihipStream_tbEUlT_E1_NS1_11comp_targetILNS1_3genE3ELNS1_11target_archE908ELNS1_3gpuE7ELNS1_3repE0EEENS1_30default_config_static_selectorELNS0_4arch9wavefront6targetE1EEEvS14_.uses_vcc, 0
	.set _ZN7rocprim17ROCPRIM_400000_NS6detail17trampoline_kernelINS0_14default_configENS1_22reduce_config_selectorIN6thrust23THRUST_200600_302600_NS5tupleIblNS6_9null_typeES8_S8_S8_S8_S8_S8_S8_EEEEZNS1_11reduce_implILb1ES3_NS6_12zip_iteratorINS7_INS6_11hip_rocprim26transform_input_iterator_tIbNSD_35transform_pair_of_input_iterators_tIbNS6_6detail15normal_iteratorINS6_10device_ptrIKxEEEESL_NS6_8equal_toIxEEEENSG_9not_fun_tINSD_8identityEEEEENSD_19counting_iterator_tIlEES8_S8_S8_S8_S8_S8_S8_S8_EEEEPS9_S9_NSD_9__find_if7functorIS9_EEEE10hipError_tPvRmT1_T2_T3_mT4_P12ihipStream_tbEUlT_E1_NS1_11comp_targetILNS1_3genE3ELNS1_11target_archE908ELNS1_3gpuE7ELNS1_3repE0EEENS1_30default_config_static_selectorELNS0_4arch9wavefront6targetE1EEEvS14_.uses_flat_scratch, 0
	.set _ZN7rocprim17ROCPRIM_400000_NS6detail17trampoline_kernelINS0_14default_configENS1_22reduce_config_selectorIN6thrust23THRUST_200600_302600_NS5tupleIblNS6_9null_typeES8_S8_S8_S8_S8_S8_S8_EEEEZNS1_11reduce_implILb1ES3_NS6_12zip_iteratorINS7_INS6_11hip_rocprim26transform_input_iterator_tIbNSD_35transform_pair_of_input_iterators_tIbNS6_6detail15normal_iteratorINS6_10device_ptrIKxEEEESL_NS6_8equal_toIxEEEENSG_9not_fun_tINSD_8identityEEEEENSD_19counting_iterator_tIlEES8_S8_S8_S8_S8_S8_S8_S8_EEEEPS9_S9_NSD_9__find_if7functorIS9_EEEE10hipError_tPvRmT1_T2_T3_mT4_P12ihipStream_tbEUlT_E1_NS1_11comp_targetILNS1_3genE3ELNS1_11target_archE908ELNS1_3gpuE7ELNS1_3repE0EEENS1_30default_config_static_selectorELNS0_4arch9wavefront6targetE1EEEvS14_.has_dyn_sized_stack, 0
	.set _ZN7rocprim17ROCPRIM_400000_NS6detail17trampoline_kernelINS0_14default_configENS1_22reduce_config_selectorIN6thrust23THRUST_200600_302600_NS5tupleIblNS6_9null_typeES8_S8_S8_S8_S8_S8_S8_EEEEZNS1_11reduce_implILb1ES3_NS6_12zip_iteratorINS7_INS6_11hip_rocprim26transform_input_iterator_tIbNSD_35transform_pair_of_input_iterators_tIbNS6_6detail15normal_iteratorINS6_10device_ptrIKxEEEESL_NS6_8equal_toIxEEEENSG_9not_fun_tINSD_8identityEEEEENSD_19counting_iterator_tIlEES8_S8_S8_S8_S8_S8_S8_S8_EEEEPS9_S9_NSD_9__find_if7functorIS9_EEEE10hipError_tPvRmT1_T2_T3_mT4_P12ihipStream_tbEUlT_E1_NS1_11comp_targetILNS1_3genE3ELNS1_11target_archE908ELNS1_3gpuE7ELNS1_3repE0EEENS1_30default_config_static_selectorELNS0_4arch9wavefront6targetE1EEEvS14_.has_recursion, 0
	.set _ZN7rocprim17ROCPRIM_400000_NS6detail17trampoline_kernelINS0_14default_configENS1_22reduce_config_selectorIN6thrust23THRUST_200600_302600_NS5tupleIblNS6_9null_typeES8_S8_S8_S8_S8_S8_S8_EEEEZNS1_11reduce_implILb1ES3_NS6_12zip_iteratorINS7_INS6_11hip_rocprim26transform_input_iterator_tIbNSD_35transform_pair_of_input_iterators_tIbNS6_6detail15normal_iteratorINS6_10device_ptrIKxEEEESL_NS6_8equal_toIxEEEENSG_9not_fun_tINSD_8identityEEEEENSD_19counting_iterator_tIlEES8_S8_S8_S8_S8_S8_S8_S8_EEEEPS9_S9_NSD_9__find_if7functorIS9_EEEE10hipError_tPvRmT1_T2_T3_mT4_P12ihipStream_tbEUlT_E1_NS1_11comp_targetILNS1_3genE3ELNS1_11target_archE908ELNS1_3gpuE7ELNS1_3repE0EEENS1_30default_config_static_selectorELNS0_4arch9wavefront6targetE1EEEvS14_.has_indirect_call, 0
	.section	.AMDGPU.csdata,"",@progbits
; Kernel info:
; codeLenInByte = 0
; TotalNumSgprs: 4
; NumVgprs: 0
; ScratchSize: 0
; MemoryBound: 0
; FloatMode: 240
; IeeeMode: 1
; LDSByteSize: 0 bytes/workgroup (compile time only)
; SGPRBlocks: 0
; VGPRBlocks: 0
; NumSGPRsForWavesPerEU: 4
; NumVGPRsForWavesPerEU: 1
; Occupancy: 10
; WaveLimiterHint : 0
; COMPUTE_PGM_RSRC2:SCRATCH_EN: 0
; COMPUTE_PGM_RSRC2:USER_SGPR: 6
; COMPUTE_PGM_RSRC2:TRAP_HANDLER: 0
; COMPUTE_PGM_RSRC2:TGID_X_EN: 1
; COMPUTE_PGM_RSRC2:TGID_Y_EN: 0
; COMPUTE_PGM_RSRC2:TGID_Z_EN: 0
; COMPUTE_PGM_RSRC2:TIDIG_COMP_CNT: 0
	.section	.text._ZN7rocprim17ROCPRIM_400000_NS6detail17trampoline_kernelINS0_14default_configENS1_22reduce_config_selectorIN6thrust23THRUST_200600_302600_NS5tupleIblNS6_9null_typeES8_S8_S8_S8_S8_S8_S8_EEEEZNS1_11reduce_implILb1ES3_NS6_12zip_iteratorINS7_INS6_11hip_rocprim26transform_input_iterator_tIbNSD_35transform_pair_of_input_iterators_tIbNS6_6detail15normal_iteratorINS6_10device_ptrIKxEEEESL_NS6_8equal_toIxEEEENSG_9not_fun_tINSD_8identityEEEEENSD_19counting_iterator_tIlEES8_S8_S8_S8_S8_S8_S8_S8_EEEEPS9_S9_NSD_9__find_if7functorIS9_EEEE10hipError_tPvRmT1_T2_T3_mT4_P12ihipStream_tbEUlT_E1_NS1_11comp_targetILNS1_3genE2ELNS1_11target_archE906ELNS1_3gpuE6ELNS1_3repE0EEENS1_30default_config_static_selectorELNS0_4arch9wavefront6targetE1EEEvS14_,"axG",@progbits,_ZN7rocprim17ROCPRIM_400000_NS6detail17trampoline_kernelINS0_14default_configENS1_22reduce_config_selectorIN6thrust23THRUST_200600_302600_NS5tupleIblNS6_9null_typeES8_S8_S8_S8_S8_S8_S8_EEEEZNS1_11reduce_implILb1ES3_NS6_12zip_iteratorINS7_INS6_11hip_rocprim26transform_input_iterator_tIbNSD_35transform_pair_of_input_iterators_tIbNS6_6detail15normal_iteratorINS6_10device_ptrIKxEEEESL_NS6_8equal_toIxEEEENSG_9not_fun_tINSD_8identityEEEEENSD_19counting_iterator_tIlEES8_S8_S8_S8_S8_S8_S8_S8_EEEEPS9_S9_NSD_9__find_if7functorIS9_EEEE10hipError_tPvRmT1_T2_T3_mT4_P12ihipStream_tbEUlT_E1_NS1_11comp_targetILNS1_3genE2ELNS1_11target_archE906ELNS1_3gpuE6ELNS1_3repE0EEENS1_30default_config_static_selectorELNS0_4arch9wavefront6targetE1EEEvS14_,comdat
	.protected	_ZN7rocprim17ROCPRIM_400000_NS6detail17trampoline_kernelINS0_14default_configENS1_22reduce_config_selectorIN6thrust23THRUST_200600_302600_NS5tupleIblNS6_9null_typeES8_S8_S8_S8_S8_S8_S8_EEEEZNS1_11reduce_implILb1ES3_NS6_12zip_iteratorINS7_INS6_11hip_rocprim26transform_input_iterator_tIbNSD_35transform_pair_of_input_iterators_tIbNS6_6detail15normal_iteratorINS6_10device_ptrIKxEEEESL_NS6_8equal_toIxEEEENSG_9not_fun_tINSD_8identityEEEEENSD_19counting_iterator_tIlEES8_S8_S8_S8_S8_S8_S8_S8_EEEEPS9_S9_NSD_9__find_if7functorIS9_EEEE10hipError_tPvRmT1_T2_T3_mT4_P12ihipStream_tbEUlT_E1_NS1_11comp_targetILNS1_3genE2ELNS1_11target_archE906ELNS1_3gpuE6ELNS1_3repE0EEENS1_30default_config_static_selectorELNS0_4arch9wavefront6targetE1EEEvS14_ ; -- Begin function _ZN7rocprim17ROCPRIM_400000_NS6detail17trampoline_kernelINS0_14default_configENS1_22reduce_config_selectorIN6thrust23THRUST_200600_302600_NS5tupleIblNS6_9null_typeES8_S8_S8_S8_S8_S8_S8_EEEEZNS1_11reduce_implILb1ES3_NS6_12zip_iteratorINS7_INS6_11hip_rocprim26transform_input_iterator_tIbNSD_35transform_pair_of_input_iterators_tIbNS6_6detail15normal_iteratorINS6_10device_ptrIKxEEEESL_NS6_8equal_toIxEEEENSG_9not_fun_tINSD_8identityEEEEENSD_19counting_iterator_tIlEES8_S8_S8_S8_S8_S8_S8_S8_EEEEPS9_S9_NSD_9__find_if7functorIS9_EEEE10hipError_tPvRmT1_T2_T3_mT4_P12ihipStream_tbEUlT_E1_NS1_11comp_targetILNS1_3genE2ELNS1_11target_archE906ELNS1_3gpuE6ELNS1_3repE0EEENS1_30default_config_static_selectorELNS0_4arch9wavefront6targetE1EEEvS14_
	.globl	_ZN7rocprim17ROCPRIM_400000_NS6detail17trampoline_kernelINS0_14default_configENS1_22reduce_config_selectorIN6thrust23THRUST_200600_302600_NS5tupleIblNS6_9null_typeES8_S8_S8_S8_S8_S8_S8_EEEEZNS1_11reduce_implILb1ES3_NS6_12zip_iteratorINS7_INS6_11hip_rocprim26transform_input_iterator_tIbNSD_35transform_pair_of_input_iterators_tIbNS6_6detail15normal_iteratorINS6_10device_ptrIKxEEEESL_NS6_8equal_toIxEEEENSG_9not_fun_tINSD_8identityEEEEENSD_19counting_iterator_tIlEES8_S8_S8_S8_S8_S8_S8_S8_EEEEPS9_S9_NSD_9__find_if7functorIS9_EEEE10hipError_tPvRmT1_T2_T3_mT4_P12ihipStream_tbEUlT_E1_NS1_11comp_targetILNS1_3genE2ELNS1_11target_archE906ELNS1_3gpuE6ELNS1_3repE0EEENS1_30default_config_static_selectorELNS0_4arch9wavefront6targetE1EEEvS14_
	.p2align	8
	.type	_ZN7rocprim17ROCPRIM_400000_NS6detail17trampoline_kernelINS0_14default_configENS1_22reduce_config_selectorIN6thrust23THRUST_200600_302600_NS5tupleIblNS6_9null_typeES8_S8_S8_S8_S8_S8_S8_EEEEZNS1_11reduce_implILb1ES3_NS6_12zip_iteratorINS7_INS6_11hip_rocprim26transform_input_iterator_tIbNSD_35transform_pair_of_input_iterators_tIbNS6_6detail15normal_iteratorINS6_10device_ptrIKxEEEESL_NS6_8equal_toIxEEEENSG_9not_fun_tINSD_8identityEEEEENSD_19counting_iterator_tIlEES8_S8_S8_S8_S8_S8_S8_S8_EEEEPS9_S9_NSD_9__find_if7functorIS9_EEEE10hipError_tPvRmT1_T2_T3_mT4_P12ihipStream_tbEUlT_E1_NS1_11comp_targetILNS1_3genE2ELNS1_11target_archE906ELNS1_3gpuE6ELNS1_3repE0EEENS1_30default_config_static_selectorELNS0_4arch9wavefront6targetE1EEEvS14_,@function
_ZN7rocprim17ROCPRIM_400000_NS6detail17trampoline_kernelINS0_14default_configENS1_22reduce_config_selectorIN6thrust23THRUST_200600_302600_NS5tupleIblNS6_9null_typeES8_S8_S8_S8_S8_S8_S8_EEEEZNS1_11reduce_implILb1ES3_NS6_12zip_iteratorINS7_INS6_11hip_rocprim26transform_input_iterator_tIbNSD_35transform_pair_of_input_iterators_tIbNS6_6detail15normal_iteratorINS6_10device_ptrIKxEEEESL_NS6_8equal_toIxEEEENSG_9not_fun_tINSD_8identityEEEEENSD_19counting_iterator_tIlEES8_S8_S8_S8_S8_S8_S8_S8_EEEEPS9_S9_NSD_9__find_if7functorIS9_EEEE10hipError_tPvRmT1_T2_T3_mT4_P12ihipStream_tbEUlT_E1_NS1_11comp_targetILNS1_3genE2ELNS1_11target_archE906ELNS1_3gpuE6ELNS1_3repE0EEENS1_30default_config_static_selectorELNS0_4arch9wavefront6targetE1EEEvS14_: ; @_ZN7rocprim17ROCPRIM_400000_NS6detail17trampoline_kernelINS0_14default_configENS1_22reduce_config_selectorIN6thrust23THRUST_200600_302600_NS5tupleIblNS6_9null_typeES8_S8_S8_S8_S8_S8_S8_EEEEZNS1_11reduce_implILb1ES3_NS6_12zip_iteratorINS7_INS6_11hip_rocprim26transform_input_iterator_tIbNSD_35transform_pair_of_input_iterators_tIbNS6_6detail15normal_iteratorINS6_10device_ptrIKxEEEESL_NS6_8equal_toIxEEEENSG_9not_fun_tINSD_8identityEEEEENSD_19counting_iterator_tIlEES8_S8_S8_S8_S8_S8_S8_S8_EEEEPS9_S9_NSD_9__find_if7functorIS9_EEEE10hipError_tPvRmT1_T2_T3_mT4_P12ihipStream_tbEUlT_E1_NS1_11comp_targetILNS1_3genE2ELNS1_11target_archE906ELNS1_3gpuE6ELNS1_3repE0EEENS1_30default_config_static_selectorELNS0_4arch9wavefront6targetE1EEEvS14_
; %bb.0:
	s_load_dword s38, s[4:5], 0x4
	s_load_dwordx4 s[24:27], s[4:5], 0x8
	s_load_dwordx4 s[20:23], s[4:5], 0x28
	s_load_dword s33, s[4:5], 0x40
	s_load_dwordx2 s[18:19], s[4:5], 0x48
	s_waitcnt lgkmcnt(0)
	s_cmp_lt_i32 s38, 4
	s_cbranch_scc1 .LBB532_13
; %bb.1:
	s_cmp_gt_i32 s38, 7
	s_cbranch_scc0 .LBB532_14
; %bb.2:
	s_cmp_eq_u32 s38, 8
	s_mov_b64 s[28:29], 0
	s_cbranch_scc0 .LBB532_15
; %bb.3:
	s_mov_b32 s7, 0
	s_lshl_b32 s16, s6, 10
	s_mov_b32 s17, s7
	s_lshr_b64 s[0:1], s[22:23], 10
	s_lshl_b64 s[2:3], s[16:17], 3
	s_add_u32 s30, s24, s2
	s_addc_u32 s31, s25, s3
	s_add_u32 s34, s26, s2
	s_addc_u32 s35, s27, s3
	;; [unrolled: 2-line block ×3, first 2 shown]
	s_cmp_lg_u64 s[0:1], s[6:7]
	s_cbranch_scc0 .LBB532_28
; %bb.4:
	v_lshlrev_b32_e32 v17, 3, v0
	global_load_dwordx2 v[1:2], v17, s[34:35] offset:1024
	global_load_dwordx2 v[3:4], v17, s[30:31] offset:1024
	;; [unrolled: 1-line block ×4, first 2 shown]
	global_load_dwordx2 v[9:10], v17, s[30:31]
	global_load_dwordx2 v[11:12], v17, s[34:35] offset:2048
	global_load_dwordx2 v[13:14], v17, s[34:35] offset:3072
	global_load_dwordx2 v[15:16], v17, s[34:35]
	v_mov_b32_e32 v18, s31
	v_add_co_u32_e32 v20, vcc, s30, v17
	v_addc_co_u32_e32 v18, vcc, 0, v18, vcc
	v_mov_b32_e32 v19, s35
	v_add_co_u32_e32 v21, vcc, s34, v17
	s_movk_i32 s0, 0x1000
	v_addc_co_u32_e32 v22, vcc, 0, v19, vcc
	v_add_co_u32_e32 v17, vcc, s0, v20
	v_addc_co_u32_e32 v18, vcc, 0, v18, vcc
	v_add_co_u32_e32 v19, vcc, s0, v21
	v_addc_co_u32_e32 v20, vcc, 0, v22, vcc
	v_mov_b32_e32 v25, 0x100
	v_mov_b32_e32 v26, 0x80
	s_waitcnt vmcnt(6)
	v_cmp_ne_u64_e32 vcc, v[3:4], v[1:2]
	global_load_dwordx2 v[1:2], v[19:20], off
	global_load_dwordx2 v[21:22], v[19:20], off offset:2048
	global_load_dwordx2 v[23:24], v[19:20], off offset:3072
	v_cndmask_b32_e32 v4, v25, v26, vcc
	v_mov_b32_e32 v3, s41
	s_waitcnt vmcnt(5)
	v_cmp_ne_u64_e64 s[2:3], v[5:6], v[11:12]
	s_waitcnt vmcnt(4)
	v_cmp_ne_u64_e64 s[8:9], v[7:8], v[13:14]
	;; [unrolled: 2-line block ×3, first 2 shown]
	global_load_dwordx2 v[9:10], v[17:18], off
	global_load_dwordx2 v[15:16], v[17:18], off offset:2048
	global_load_dwordx2 v[25:26], v[17:18], off offset:3072
	;; [unrolled: 1-line block ×4, first 2 shown]
	v_add_co_u32_e64 v8, s[10:11], s40, v0
	v_mov_b32_e32 v17, 0x200
	v_mov_b32_e32 v5, 0x180
	v_addc_co_u32_e64 v13, s[10:11], 0, v3, s[10:11]
	v_cndmask_b32_e64 v4, v4, 0, s[0:1]
	s_or_b64 s[0:1], s[0:1], vcc
	v_cndmask_b32_e64 v5, v17, v5, s[8:9]
	s_or_b64 s[0:1], s[0:1], s[2:3]
	v_mov_b32_e32 v6, 0x300
	v_mov_b32_e32 v11, 0x280
	;; [unrolled: 1-line block ×3, first 2 shown]
	v_mbcnt_lo_u32_b32 v7, -1, 0
	v_mbcnt_hi_u32_b32 v3, -1, v7
	s_waitcnt vmcnt(4)
	v_cmp_ne_u64_e64 s[10:11], v[9:10], v[1:2]
	v_cndmask_b32_e64 v2, v5, v4, s[0:1]
	s_or_b64 s[0:1], s[0:1], s[8:9]
	s_waitcnt vmcnt(3)
	v_cmp_ne_u64_e64 s[12:13], v[15:16], v[21:22]
	s_waitcnt vmcnt(0)
	v_cmp_ne_u64_e32 vcc, v[27:28], v[29:30]
	s_or_b64 s[0:1], s[0:1], s[10:11]
	v_cndmask_b32_e32 v1, v6, v11, vcc
	v_cndmask_b32_e64 v1, v1, v2, s[0:1]
	s_or_b64 s[0:1], s[0:1], vcc
	s_or_b64 vcc, s[0:1], s[12:13]
	v_cndmask_b32_e32 v1, v12, v1, vcc
	v_cmp_ne_u64_e64 s[14:15], v[25:26], v[23:24]
	v_add_co_u32_e64 v1, s[0:1], v8, v1
	v_addc_co_u32_e64 v2, s[0:1], 0, v13, s[0:1]
	s_or_b64 s[0:1], vcc, s[14:15]
	v_mov_b32_dpp v4, v1 quad_perm:[1,0,3,2] row_mask:0xf bank_mask:0xf bound_ctrl:1
	v_mov_b32_dpp v5, v2 quad_perm:[1,0,3,2] row_mask:0xf bank_mask:0xf bound_ctrl:1
	v_cndmask_b32_e64 v6, 0, 1, s[0:1]
	v_cmp_lt_i64_e32 vcc, v[1:2], v[4:5]
	s_and_b64 vcc, s[0:1], vcc
	v_mov_b32_dpp v7, v6 quad_perm:[1,0,3,2] row_mask:0xf bank_mask:0xf bound_ctrl:1
	v_and_b32_e32 v7, 1, v7
	v_cndmask_b32_e32 v4, v4, v1, vcc
	v_cndmask_b32_e32 v5, v5, v2, vcc
	v_cmp_eq_u32_e32 vcc, 1, v7
	v_cndmask_b32_e32 v2, v2, v5, vcc
	v_cndmask_b32_e32 v1, v1, v4, vcc
	v_cndmask_b32_e64 v6, v6, 1, vcc
	v_mov_b32_dpp v5, v2 quad_perm:[2,3,0,1] row_mask:0xf bank_mask:0xf bound_ctrl:1
	v_mov_b32_dpp v4, v1 quad_perm:[2,3,0,1] row_mask:0xf bank_mask:0xf bound_ctrl:1
	v_and_b32_e32 v8, 1, v6
	v_cmp_lt_i64_e64 s[0:1], v[1:2], v[4:5]
	v_mov_b32_dpp v7, v6 quad_perm:[2,3,0,1] row_mask:0xf bank_mask:0xf bound_ctrl:1
	v_cmp_eq_u32_e32 vcc, 1, v8
	v_and_b32_e32 v7, 1, v7
	s_and_b64 vcc, vcc, s[0:1]
	v_cmp_eq_u32_e64 s[2:3], 1, v7
	v_cndmask_b32_e32 v4, v4, v1, vcc
	v_cndmask_b32_e32 v5, v5, v2, vcc
	v_cndmask_b32_e64 v2, v2, v5, s[2:3]
	v_cndmask_b32_e64 v1, v1, v4, s[2:3]
	;; [unrolled: 1-line block ×3, first 2 shown]
	v_mov_b32_dpp v5, v2 row_ror:4 row_mask:0xf bank_mask:0xf bound_ctrl:1
	v_mov_b32_dpp v4, v1 row_ror:4 row_mask:0xf bank_mask:0xf bound_ctrl:1
	v_and_b32_e32 v8, 1, v6
	v_cmp_lt_i64_e64 s[0:1], v[1:2], v[4:5]
	v_mov_b32_dpp v7, v6 row_ror:4 row_mask:0xf bank_mask:0xf bound_ctrl:1
	v_cmp_eq_u32_e32 vcc, 1, v8
	v_and_b32_e32 v7, 1, v7
	s_and_b64 vcc, vcc, s[0:1]
	v_cmp_eq_u32_e64 s[2:3], 1, v7
	v_cndmask_b32_e32 v4, v4, v1, vcc
	v_cndmask_b32_e32 v5, v5, v2, vcc
	v_cndmask_b32_e64 v2, v2, v5, s[2:3]
	v_cndmask_b32_e64 v1, v1, v4, s[2:3]
	v_cndmask_b32_e64 v6, v6, 1, s[2:3]
	v_mov_b32_dpp v5, v2 row_ror:8 row_mask:0xf bank_mask:0xf bound_ctrl:1
	v_mov_b32_dpp v4, v1 row_ror:8 row_mask:0xf bank_mask:0xf bound_ctrl:1
	v_and_b32_e32 v8, 1, v6
	v_cmp_lt_i64_e64 s[0:1], v[1:2], v[4:5]
	v_mov_b32_dpp v7, v6 row_ror:8 row_mask:0xf bank_mask:0xf bound_ctrl:1
	v_cmp_eq_u32_e32 vcc, 1, v8
	v_and_b32_e32 v7, 1, v7
	s_and_b64 vcc, vcc, s[0:1]
	v_cmp_eq_u32_e64 s[2:3], 1, v7
	v_cndmask_b32_e32 v4, v4, v1, vcc
	v_cndmask_b32_e32 v5, v5, v2, vcc
	v_cndmask_b32_e64 v2, v2, v5, s[2:3]
	v_cndmask_b32_e64 v1, v1, v4, s[2:3]
	;; [unrolled: 1-line block ×3, first 2 shown]
	v_mov_b32_dpp v5, v2 row_bcast:15 row_mask:0xf bank_mask:0xf bound_ctrl:1
	v_mov_b32_dpp v4, v1 row_bcast:15 row_mask:0xf bank_mask:0xf bound_ctrl:1
	v_and_b32_e32 v8, 1, v6
	v_cmp_lt_i64_e64 s[0:1], v[1:2], v[4:5]
	v_mov_b32_dpp v7, v6 row_bcast:15 row_mask:0xf bank_mask:0xf bound_ctrl:1
	v_cmp_eq_u32_e32 vcc, 1, v8
	v_and_b32_e32 v7, 1, v7
	s_and_b64 vcc, vcc, s[0:1]
	v_cmp_eq_u32_e64 s[2:3], 1, v7
	v_cndmask_b32_e32 v4, v4, v1, vcc
	v_cndmask_b32_e32 v5, v5, v2, vcc
	v_cndmask_b32_e64 v2, v2, v5, s[2:3]
	v_cndmask_b32_e64 v1, v1, v4, s[2:3]
	;; [unrolled: 1-line block ×3, first 2 shown]
	v_mov_b32_dpp v5, v2 row_bcast:31 row_mask:0xf bank_mask:0xf bound_ctrl:1
	v_mov_b32_dpp v4, v1 row_bcast:31 row_mask:0xf bank_mask:0xf bound_ctrl:1
	v_and_b32_e32 v8, 1, v6
	v_cmp_lt_i64_e64 s[0:1], v[1:2], v[4:5]
	v_mov_b32_dpp v7, v6 row_bcast:31 row_mask:0xf bank_mask:0xf bound_ctrl:1
	v_cmp_eq_u32_e32 vcc, 1, v8
	v_and_b32_e32 v7, 1, v7
	s_and_b64 vcc, vcc, s[0:1]
	v_cmp_eq_u32_e64 s[2:3], 1, v7
	v_cndmask_b32_e32 v5, v5, v2, vcc
	v_cndmask_b32_e32 v4, v4, v1, vcc
	v_cndmask_b32_e64 v2, v2, v5, s[2:3]
	v_lshlrev_b32_e32 v5, 2, v3
	v_cndmask_b32_e64 v6, v6, 1, s[2:3]
	v_cndmask_b32_e64 v1, v1, v4, s[2:3]
	v_or_b32_e32 v4, 0xfc, v5
	ds_bpermute_b32 v17, v4, v6
	ds_bpermute_b32 v1, v4, v1
	;; [unrolled: 1-line block ×3, first 2 shown]
	v_cmp_eq_u32_e32 vcc, 0, v3
	s_and_saveexec_b64 s[0:1], vcc
	s_cbranch_execz .LBB532_6
; %bb.5:
	v_lshrrev_b32_e32 v4, 2, v0
	v_and_b32_e32 v4, 16, v4
	s_waitcnt lgkmcnt(2)
	ds_write_b8 v4, v17 offset:96
	s_waitcnt lgkmcnt(1)
	ds_write_b64 v4, v[1:2] offset:104
.LBB532_6:
	s_or_b64 exec, exec, s[0:1]
	v_cmp_gt_u32_e32 vcc, 64, v0
	s_waitcnt lgkmcnt(0)
	s_barrier
	s_and_saveexec_b64 s[0:1], vcc
	s_cbranch_execz .LBB532_12
; %bb.7:
	v_and_b32_e32 v1, 1, v3
	v_lshlrev_b32_e32 v1, 4, v1
	ds_read_u8 v7, v1 offset:96
	ds_read_b64 v[3:4], v1 offset:104
	v_or_b32_e32 v2, 4, v5
	s_waitcnt lgkmcnt(1)
	v_and_b32_e32 v1, 0xff, v7
	ds_bpermute_b32 v8, v2, v1
	s_waitcnt lgkmcnt(1)
	ds_bpermute_b32 v5, v2, v3
	ds_bpermute_b32 v6, v2, v4
	s_waitcnt lgkmcnt(2)
	v_and_b32_e32 v1, v7, v8
	v_and_b32_e32 v1, 1, v1
	v_cmp_eq_u32_e32 vcc, 1, v1
                                        ; implicit-def: $vgpr1_vgpr2
	s_and_saveexec_b64 s[2:3], vcc
	s_xor_b64 s[2:3], exec, s[2:3]
	s_cbranch_execz .LBB532_9
; %bb.8:
	s_waitcnt lgkmcnt(0)
	v_cmp_lt_i64_e32 vcc, v[5:6], v[3:4]
                                        ; implicit-def: $vgpr7
                                        ; implicit-def: $vgpr8
	v_cndmask_b32_e32 v2, v4, v6, vcc
	v_cndmask_b32_e32 v1, v3, v5, vcc
                                        ; implicit-def: $vgpr5_vgpr6
                                        ; implicit-def: $vgpr3_vgpr4
.LBB532_9:
	s_or_saveexec_b64 s[2:3], s[2:3]
	v_mov_b32_e32 v17, 1
	s_xor_b64 exec, exec, s[2:3]
	s_cbranch_execz .LBB532_11
; %bb.10:
	v_and_b32_e32 v1, 1, v7
	v_cmp_eq_u32_e32 vcc, 1, v1
	s_waitcnt lgkmcnt(0)
	v_cndmask_b32_e32 v2, v6, v4, vcc
	v_cndmask_b32_e32 v1, v5, v3, vcc
	v_cndmask_b32_e64 v17, v8, 1, vcc
.LBB532_11:
	s_or_b64 exec, exec, s[2:3]
.LBB532_12:
	s_or_b64 exec, exec, s[0:1]
	s_branch .LBB532_145
.LBB532_13:
	s_mov_b64 s[14:15], 0
                                        ; implicit-def: $vgpr3_vgpr4
                                        ; implicit-def: $vgpr5
                                        ; implicit-def: $vgpr1_vgpr2
	s_cbranch_execnz .LBB532_219
	s_branch .LBB532_306
.LBB532_14:
	s_mov_b64 s[28:29], -1
.LBB532_15:
	s_mov_b64 s[14:15], 0
                                        ; implicit-def: $vgpr3_vgpr4
                                        ; implicit-def: $vgpr5
                                        ; implicit-def: $vgpr1_vgpr2
	s_and_b64 vcc, exec, s[28:29]
	s_cbranch_vccz .LBB532_150
.LBB532_16:
	s_cmp_eq_u32 s38, 4
	s_cbranch_scc0 .LBB532_27
; %bb.17:
	s_mov_b32 s7, 0
	s_lshl_b32 s30, s6, 9
	s_mov_b32 s31, s7
	s_lshr_b64 s[0:1], s[22:23], 9
	s_lshl_b64 s[2:3], s[30:31], 3
	s_add_u32 s16, s24, s2
	s_addc_u32 s17, s25, s3
	s_add_u32 s28, s26, s2
	s_addc_u32 s29, s27, s3
	;; [unrolled: 2-line block ×3, first 2 shown]
	s_cmp_lg_u64 s[0:1], s[6:7]
	s_cbranch_scc0 .LBB532_51
; %bb.18:
	s_waitcnt lgkmcnt(2)
	v_lshlrev_b32_e32 v3, 3, v0
	global_load_dwordx2 v[1:2], v3, s[28:29] offset:2048
	s_waitcnt lgkmcnt(0)
	global_load_dwordx2 v[6:7], v3, s[28:29] offset:3072
	global_load_dwordx2 v[8:9], v3, s[28:29] offset:1024
	;; [unrolled: 1-line block ×5, first 2 shown]
	global_load_dwordx2 v[16:17], v3, s[16:17]
	global_load_dwordx2 v[18:19], v3, s[28:29]
	v_mov_b32_e32 v3, s34
	v_add_co_u32_e32 v22, vcc, s31, v0
	v_addc_co_u32_e32 v23, vcc, 0, v3, vcc
	v_mov_b32_e32 v4, 0x100
	v_mov_b32_e32 v20, 0x80
	;; [unrolled: 1-line block ×3, first 2 shown]
	v_mbcnt_lo_u32_b32 v5, -1, 0
	v_mbcnt_hi_u32_b32 v3, -1, v5
	v_lshlrev_b32_e32 v5, 2, v3
	v_or_b32_e32 v24, 0xfc, v5
	s_waitcnt vmcnt(4)
	v_cmp_ne_u64_e32 vcc, v[10:11], v[1:2]
	s_waitcnt vmcnt(3)
	v_cmp_ne_u64_e64 s[0:1], v[12:13], v[6:7]
	s_waitcnt vmcnt(2)
	v_cmp_ne_u64_e64 s[2:3], v[14:15], v[8:9]
	;; [unrolled: 2-line block ×3, first 2 shown]
	v_cndmask_b32_e64 v1, v4, v20, s[2:3]
	s_or_b64 s[2:3], s[8:9], s[2:3]
	v_cndmask_b32_e64 v1, v1, 0, s[8:9]
	s_or_b64 vcc, s[2:3], vcc
	v_cndmask_b32_e32 v1, v21, v1, vcc
	v_add_co_u32_e64 v1, s[2:3], v22, v1
	v_addc_co_u32_e64 v2, s[2:3], 0, v23, s[2:3]
	s_or_b64 s[0:1], vcc, s[0:1]
	v_mov_b32_dpp v6, v1 quad_perm:[1,0,3,2] row_mask:0xf bank_mask:0xf bound_ctrl:1
	v_mov_b32_dpp v7, v2 quad_perm:[1,0,3,2] row_mask:0xf bank_mask:0xf bound_ctrl:1
	v_cndmask_b32_e64 v4, 0, 1, s[0:1]
	v_cmp_lt_i64_e32 vcc, v[1:2], v[6:7]
	s_and_b64 vcc, s[0:1], vcc
	v_mov_b32_dpp v8, v4 quad_perm:[1,0,3,2] row_mask:0xf bank_mask:0xf bound_ctrl:1
	v_and_b32_e32 v8, 1, v8
	v_cndmask_b32_e32 v6, v6, v1, vcc
	v_cndmask_b32_e32 v7, v7, v2, vcc
	v_cmp_eq_u32_e32 vcc, 1, v8
	v_cndmask_b32_e32 v2, v2, v7, vcc
	v_cndmask_b32_e32 v1, v1, v6, vcc
	v_cndmask_b32_e64 v4, v4, 1, vcc
	v_mov_b32_dpp v7, v2 quad_perm:[2,3,0,1] row_mask:0xf bank_mask:0xf bound_ctrl:1
	v_mov_b32_dpp v6, v1 quad_perm:[2,3,0,1] row_mask:0xf bank_mask:0xf bound_ctrl:1
	v_and_b32_e32 v9, 1, v4
	v_cmp_lt_i64_e64 s[0:1], v[1:2], v[6:7]
	v_mov_b32_dpp v8, v4 quad_perm:[2,3,0,1] row_mask:0xf bank_mask:0xf bound_ctrl:1
	v_cmp_eq_u32_e32 vcc, 1, v9
	v_and_b32_e32 v8, 1, v8
	s_and_b64 vcc, vcc, s[0:1]
	v_cmp_eq_u32_e64 s[2:3], 1, v8
	v_cndmask_b32_e32 v6, v6, v1, vcc
	v_cndmask_b32_e32 v7, v7, v2, vcc
	v_cndmask_b32_e64 v1, v1, v6, s[2:3]
	v_cndmask_b32_e64 v2, v2, v7, s[2:3]
	;; [unrolled: 1-line block ×3, first 2 shown]
	v_mov_b32_dpp v6, v1 row_ror:4 row_mask:0xf bank_mask:0xf bound_ctrl:1
	v_mov_b32_dpp v7, v2 row_ror:4 row_mask:0xf bank_mask:0xf bound_ctrl:1
	v_and_b32_e32 v9, 1, v4
	v_cmp_lt_i64_e64 s[2:3], v[1:2], v[6:7]
	v_mov_b32_dpp v8, v4 row_ror:4 row_mask:0xf bank_mask:0xf bound_ctrl:1
	v_cmp_eq_u32_e32 vcc, 1, v9
	v_and_b32_e32 v8, 1, v8
	s_and_b64 vcc, vcc, s[2:3]
	v_cmp_eq_u32_e64 s[0:1], 1, v8
	v_cndmask_b32_e32 v6, v6, v1, vcc
	v_cndmask_b32_e32 v7, v7, v2, vcc
	v_cndmask_b32_e64 v1, v1, v6, s[0:1]
	v_cndmask_b32_e64 v2, v2, v7, s[0:1]
	;; [unrolled: 1-line block ×3, first 2 shown]
	v_mov_b32_dpp v6, v1 row_ror:8 row_mask:0xf bank_mask:0xf bound_ctrl:1
	v_mov_b32_dpp v7, v2 row_ror:8 row_mask:0xf bank_mask:0xf bound_ctrl:1
	v_and_b32_e32 v9, 1, v4
	v_cmp_lt_i64_e64 s[2:3], v[1:2], v[6:7]
	v_mov_b32_dpp v8, v4 row_ror:8 row_mask:0xf bank_mask:0xf bound_ctrl:1
	v_cmp_eq_u32_e64 s[8:9], 1, v9
	v_and_b32_e32 v8, 1, v8
	s_and_b64 s[2:3], s[8:9], s[2:3]
	v_cmp_eq_u32_e64 s[10:11], 1, v8
	v_cndmask_b32_e64 v6, v6, v1, s[2:3]
	v_cndmask_b32_e64 v7, v7, v2, s[2:3]
	;; [unrolled: 1-line block ×5, first 2 shown]
	v_mov_b32_dpp v6, v1 row_bcast:15 row_mask:0xf bank_mask:0xf bound_ctrl:1
	v_mov_b32_dpp v7, v2 row_bcast:15 row_mask:0xf bank_mask:0xf bound_ctrl:1
	v_and_b32_e32 v9, 1, v4
	v_cmp_lt_i64_e64 s[2:3], v[1:2], v[6:7]
	v_mov_b32_dpp v8, v4 row_bcast:15 row_mask:0xf bank_mask:0xf bound_ctrl:1
	v_cmp_eq_u32_e32 vcc, 1, v9
	v_and_b32_e32 v8, 1, v8
	s_and_b64 vcc, vcc, s[2:3]
	v_cmp_eq_u32_e64 s[0:1], 1, v8
	v_cndmask_b32_e32 v6, v6, v1, vcc
	v_cndmask_b32_e32 v7, v7, v2, vcc
	v_cndmask_b32_e64 v4, v4, 1, s[0:1]
	v_cndmask_b32_e64 v1, v1, v6, s[0:1]
	v_cndmask_b32_e64 v2, v2, v7, s[0:1]
	v_mov_b32_dpp v8, v4 row_bcast:31 row_mask:0xf bank_mask:0xf bound_ctrl:1
	v_mov_b32_dpp v6, v1 row_bcast:31 row_mask:0xf bank_mask:0xf bound_ctrl:1
	;; [unrolled: 1-line block ×3, first 2 shown]
	v_and_b32_e32 v9, 1, v4
	v_and_b32_e32 v8, 1, v8
	v_cmp_lt_i64_e32 vcc, v[1:2], v[6:7]
	v_cmp_eq_u32_e64 s[12:13], 1, v9
	v_cmp_eq_u32_e64 s[8:9], 1, v8
	v_cndmask_b32_e64 v4, v4, 1, s[8:9]
	s_and_b64 vcc, s[12:13], vcc
	ds_bpermute_b32 v9, v24, v4
	v_cndmask_b32_e32 v4, v6, v1, vcc
	v_cndmask_b32_e32 v6, v7, v2, vcc
	v_cndmask_b32_e64 v1, v1, v4, s[8:9]
	v_cndmask_b32_e64 v2, v2, v6, s[8:9]
	ds_bpermute_b32 v1, v24, v1
	ds_bpermute_b32 v2, v24, v2
	v_cmp_eq_u32_e32 vcc, 0, v3
	s_and_saveexec_b64 s[0:1], vcc
	s_cbranch_execz .LBB532_20
; %bb.19:
	v_lshrrev_b32_e32 v4, 2, v0
	v_and_b32_e32 v4, 16, v4
	s_waitcnt lgkmcnt(2)
	ds_write_b8 v4, v9 offset:64
	s_waitcnt lgkmcnt(1)
	ds_write_b64 v4, v[1:2] offset:72
.LBB532_20:
	s_or_b64 exec, exec, s[0:1]
	v_cmp_gt_u32_e32 vcc, 64, v0
	s_waitcnt lgkmcnt(0)
	s_barrier
	s_and_saveexec_b64 s[0:1], vcc
	s_cbranch_execz .LBB532_26
; %bb.21:
	v_and_b32_e32 v1, 1, v3
	v_lshlrev_b32_e32 v1, 4, v1
	ds_read_u8 v7, v1 offset:64
	ds_read_b64 v[3:4], v1 offset:72
	v_or_b32_e32 v2, 4, v5
	s_waitcnt lgkmcnt(1)
	v_and_b32_e32 v1, 0xff, v7
	ds_bpermute_b32 v8, v2, v1
	s_waitcnt lgkmcnt(1)
	ds_bpermute_b32 v5, v2, v3
	ds_bpermute_b32 v6, v2, v4
	s_waitcnt lgkmcnt(2)
	v_and_b32_e32 v1, v7, v8
	v_and_b32_e32 v1, 1, v1
	v_cmp_eq_u32_e32 vcc, 1, v1
                                        ; implicit-def: $vgpr1_vgpr2
	s_and_saveexec_b64 s[2:3], vcc
	s_xor_b64 s[2:3], exec, s[2:3]
	s_cbranch_execz .LBB532_23
; %bb.22:
	s_waitcnt lgkmcnt(0)
	v_cmp_lt_i64_e32 vcc, v[5:6], v[3:4]
                                        ; implicit-def: $vgpr7
                                        ; implicit-def: $vgpr8
	v_cndmask_b32_e32 v2, v4, v6, vcc
	v_cndmask_b32_e32 v1, v3, v5, vcc
                                        ; implicit-def: $vgpr5_vgpr6
                                        ; implicit-def: $vgpr3_vgpr4
.LBB532_23:
	s_or_saveexec_b64 s[2:3], s[2:3]
	v_mov_b32_e32 v9, 1
	s_xor_b64 exec, exec, s[2:3]
	s_cbranch_execz .LBB532_25
; %bb.24:
	v_and_b32_e32 v1, 1, v7
	v_cmp_eq_u32_e32 vcc, 1, v1
	s_waitcnt lgkmcnt(0)
	v_cndmask_b32_e32 v2, v6, v4, vcc
	v_cndmask_b32_e32 v1, v5, v3, vcc
	v_cndmask_b32_e64 v9, v8, 1, vcc
.LBB532_25:
	s_or_b64 exec, exec, s[2:3]
.LBB532_26:
	s_or_b64 exec, exec, s[0:1]
	s_branch .LBB532_214
.LBB532_27:
                                        ; implicit-def: $vgpr3_vgpr4
                                        ; implicit-def: $vgpr5
                                        ; implicit-def: $vgpr1_vgpr2
	s_branch .LBB532_306
.LBB532_28:
                                        ; implicit-def: $vgpr1_vgpr2
                                        ; implicit-def: $vgpr17
	s_cbranch_execz .LBB532_145
; %bb.29:
	s_sub_i32 s39, s22, s16
	v_mov_b32_e32 v15, 0
	v_mov_b32_e32 v1, 0
	v_cmp_gt_u32_e32 vcc, s39, v0
	v_mov_b32_e32 v24, 0
	v_mov_b32_e32 v16, 0
	;; [unrolled: 1-line block ×4, first 2 shown]
	s_and_saveexec_b64 s[0:1], vcc
	s_cbranch_execz .LBB532_31
; %bb.30:
	v_lshlrev_b32_e32 v1, 3, v0
	global_load_dwordx2 v[3:4], v1, s[30:31]
	s_waitcnt lgkmcnt(0)
	global_load_dwordx2 v[5:6], v1, s[34:35]
	v_mov_b32_e32 v2, s41
	v_add_co_u32_e32 v1, vcc, s40, v0
	v_addc_co_u32_e32 v2, vcc, 0, v2, vcc
	s_waitcnt vmcnt(0)
	v_cmp_ne_u64_e32 vcc, v[3:4], v[5:6]
	v_cndmask_b32_e64 v17, 0, 1, vcc
.LBB532_31:
	s_or_b64 exec, exec, s[0:1]
	v_or_b32_e32 v3, 0x80, v0
	v_cmp_gt_u32_e64 s[14:15], s39, v3
	s_and_saveexec_b64 s[0:1], s[14:15]
	s_cbranch_execz .LBB532_33
; %bb.32:
	v_lshlrev_b32_e32 v8, 3, v0
	s_waitcnt lgkmcnt(1)
	global_load_dwordx2 v[4:5], v8, s[30:31] offset:1024
	s_waitcnt lgkmcnt(0)
	global_load_dwordx2 v[6:7], v8, s[34:35] offset:1024
	v_mov_b32_e32 v8, s41
	v_add_co_u32_e32 v15, vcc, s40, v3
	v_addc_co_u32_e32 v16, vcc, 0, v8, vcc
	s_waitcnt vmcnt(0)
	v_cmp_ne_u64_e32 vcc, v[4:5], v[6:7]
	v_cndmask_b32_e64 v24, 0, 1, vcc
.LBB532_33:
	s_or_b64 exec, exec, s[0:1]
	v_or_b32_e32 v3, 0x100, v0
	v_mov_b32_e32 v11, 0
	v_mov_b32_e32 v13, 0
	v_cmp_gt_u32_e64 s[12:13], s39, v3
	v_mov_b32_e32 v22, 0
	v_mov_b32_e32 v12, 0
	;; [unrolled: 1-line block ×4, first 2 shown]
	s_and_saveexec_b64 s[0:1], s[12:13]
	s_cbranch_execz .LBB532_35
; %bb.34:
	v_lshlrev_b32_e32 v8, 3, v0
	s_waitcnt lgkmcnt(1)
	global_load_dwordx2 v[4:5], v8, s[30:31] offset:2048
	s_waitcnt lgkmcnt(0)
	global_load_dwordx2 v[6:7], v8, s[34:35] offset:2048
	v_mov_b32_e32 v8, s41
	v_add_co_u32_e32 v13, vcc, s40, v3
	v_addc_co_u32_e32 v14, vcc, 0, v8, vcc
	s_waitcnt vmcnt(0)
	v_cmp_ne_u64_e32 vcc, v[4:5], v[6:7]
	v_cndmask_b32_e64 v23, 0, 1, vcc
.LBB532_35:
	s_or_b64 exec, exec, s[0:1]
	v_or_b32_e32 v3, 0x180, v0
	v_cmp_gt_u32_e64 s[10:11], s39, v3
	s_and_saveexec_b64 s[0:1], s[10:11]
	s_cbranch_execz .LBB532_37
; %bb.36:
	v_lshlrev_b32_e32 v8, 3, v0
	s_waitcnt lgkmcnt(1)
	global_load_dwordx2 v[4:5], v8, s[30:31] offset:3072
	s_waitcnt lgkmcnt(0)
	global_load_dwordx2 v[6:7], v8, s[34:35] offset:3072
	v_mov_b32_e32 v8, s41
	v_add_co_u32_e32 v11, vcc, s40, v3
	v_addc_co_u32_e32 v12, vcc, 0, v8, vcc
	s_waitcnt vmcnt(0)
	v_cmp_ne_u64_e32 vcc, v[4:5], v[6:7]
	v_cndmask_b32_e64 v22, 0, 1, vcc
.LBB532_37:
	s_or_b64 exec, exec, s[0:1]
	v_or_b32_e32 v3, 0x200, v0
	v_mov_b32_e32 v7, 0
	v_mov_b32_e32 v9, 0
	v_cmp_gt_u32_e64 s[8:9], s39, v3
	v_mov_b32_e32 v20, 0
	v_mov_b32_e32 v8, 0
	;; [unrolled: 1-line block ×4, first 2 shown]
	s_and_saveexec_b64 s[0:1], s[8:9]
	s_cbranch_execz .LBB532_39
; %bb.38:
	s_waitcnt lgkmcnt(0)
	v_lshlrev_b32_e32 v6, 3, v3
	global_load_dwordx2 v[4:5], v6, s[30:31]
	global_load_dwordx2 v[18:19], v6, s[34:35]
	v_mov_b32_e32 v6, s41
	v_add_co_u32_e32 v9, vcc, s40, v3
	v_addc_co_u32_e32 v10, vcc, 0, v6, vcc
	s_waitcnt vmcnt(0)
	v_cmp_ne_u64_e32 vcc, v[4:5], v[18:19]
	v_cndmask_b32_e64 v21, 0, 1, vcc
.LBB532_39:
	s_or_b64 exec, exec, s[0:1]
	v_or_b32_e32 v3, 0x280, v0
	v_cmp_gt_u32_e64 s[2:3], s39, v3
	s_and_saveexec_b64 s[0:1], s[2:3]
	s_cbranch_execz .LBB532_41
; %bb.40:
	s_waitcnt lgkmcnt(0)
	v_lshlrev_b32_e32 v6, 3, v3
	global_load_dwordx2 v[4:5], v6, s[30:31]
	global_load_dwordx2 v[18:19], v6, s[34:35]
	v_mov_b32_e32 v6, s41
	v_add_co_u32_e32 v7, vcc, s40, v3
	v_addc_co_u32_e32 v8, vcc, 0, v6, vcc
	s_waitcnt vmcnt(0)
	v_cmp_ne_u64_e32 vcc, v[4:5], v[18:19]
	v_cndmask_b32_e64 v20, 0, 1, vcc
.LBB532_41:
	s_or_b64 exec, exec, s[0:1]
	v_or_b32_e32 v25, 0x300, v0
	v_mov_b32_e32 v3, 0
	s_waitcnt lgkmcnt(0)
	v_mov_b32_e32 v5, 0
	v_cmp_gt_u32_e64 s[0:1], s39, v25
	v_mov_b32_e32 v4, 0
	v_mov_b32_e32 v18, 0
	;; [unrolled: 1-line block ×4, first 2 shown]
	s_and_saveexec_b64 s[36:37], s[0:1]
	s_cbranch_execz .LBB532_43
; %bb.42:
	v_lshlrev_b32_e32 v5, 3, v25
	global_load_dwordx2 v[26:27], v5, s[30:31]
	global_load_dwordx2 v[28:29], v5, s[34:35]
	v_mov_b32_e32 v6, s41
	v_add_co_u32_e32 v5, vcc, s40, v25
	v_addc_co_u32_e32 v6, vcc, 0, v6, vcc
	s_waitcnt vmcnt(0)
	v_cmp_ne_u64_e64 s[16:17], v[26:27], v[28:29]
	v_cndmask_b32_e64 v19, 0, 1, s[16:17]
.LBB532_43:
	s_or_b64 exec, exec, s[36:37]
	v_or_b32_e32 v25, 0x380, v0
	v_cmp_gt_u32_e32 vcc, s39, v25
	s_and_saveexec_b64 s[36:37], vcc
	s_cbranch_execnz .LBB532_62
; %bb.44:
	s_or_b64 exec, exec, s[36:37]
	s_and_saveexec_b64 s[30:31], s[14:15]
	s_cbranch_execnz .LBB532_63
.LBB532_45:
	s_or_b64 exec, exec, s[30:31]
	s_and_saveexec_b64 s[16:17], s[12:13]
	s_cbranch_execnz .LBB532_68
.LBB532_46:
	s_or_b64 exec, exec, s[16:17]
	s_and_saveexec_b64 s[14:15], s[10:11]
	s_cbranch_execnz .LBB532_73
.LBB532_47:
	s_or_b64 exec, exec, s[14:15]
	s_and_saveexec_b64 s[12:13], s[8:9]
	s_cbranch_execnz .LBB532_78
.LBB532_48:
	s_or_b64 exec, exec, s[12:13]
	s_and_saveexec_b64 s[10:11], s[2:3]
	s_cbranch_execnz .LBB532_83
.LBB532_49:
	s_or_b64 exec, exec, s[10:11]
	s_and_saveexec_b64 s[8:9], s[0:1]
	s_cbranch_execnz .LBB532_88
.LBB532_50:
	s_or_b64 exec, exec, s[8:9]
	s_and_saveexec_b64 s[2:3], vcc
	s_cbranch_execnz .LBB532_93
	s_branch .LBB532_98
.LBB532_51:
                                        ; implicit-def: $vgpr1_vgpr2
                                        ; implicit-def: $vgpr9
	s_cbranch_execz .LBB532_214
; %bb.52:
	s_sub_i32 s12, s22, s30
	s_waitcnt lgkmcnt(1)
	v_mov_b32_e32 v7, 0
	v_mov_b32_e32 v1, 0
	v_cmp_gt_u32_e32 vcc, s12, v0
	v_mov_b32_e32 v12, 0
	v_mov_b32_e32 v8, 0
	;; [unrolled: 1-line block ×4, first 2 shown]
	s_and_saveexec_b64 s[0:1], vcc
	s_cbranch_execz .LBB532_54
; %bb.53:
	v_lshlrev_b32_e32 v1, 3, v0
	s_waitcnt lgkmcnt(0)
	global_load_dwordx2 v[3:4], v1, s[16:17]
	global_load_dwordx2 v[5:6], v1, s[28:29]
	v_mov_b32_e32 v2, s34
	v_add_co_u32_e32 v1, vcc, s31, v0
	v_addc_co_u32_e32 v2, vcc, 0, v2, vcc
	s_waitcnt vmcnt(0)
	v_cmp_ne_u64_e32 vcc, v[3:4], v[5:6]
	v_cndmask_b32_e64 v9, 0, 1, vcc
.LBB532_54:
	s_or_b64 exec, exec, s[0:1]
	v_or_b32_e32 v3, 0x80, v0
	v_cmp_gt_u32_e64 s[2:3], s12, v3
	s_and_saveexec_b64 s[0:1], s[2:3]
	s_cbranch_execz .LBB532_56
; %bb.55:
	s_waitcnt lgkmcnt(0)
	v_lshlrev_b32_e32 v6, 3, v0
	global_load_dwordx2 v[4:5], v6, s[16:17] offset:1024
	global_load_dwordx2 v[10:11], v6, s[28:29] offset:1024
	v_mov_b32_e32 v6, s34
	v_add_co_u32_e32 v7, vcc, s31, v3
	v_addc_co_u32_e32 v8, vcc, 0, v6, vcc
	s_waitcnt vmcnt(0)
	v_cmp_ne_u64_e32 vcc, v[4:5], v[10:11]
	v_cndmask_b32_e64 v12, 0, 1, vcc
.LBB532_56:
	s_or_b64 exec, exec, s[0:1]
	v_or_b32_e32 v13, 0x100, v0
	s_waitcnt lgkmcnt(0)
	v_mov_b32_e32 v3, 0
	v_mov_b32_e32 v5, 0
	v_cmp_gt_u32_e64 s[0:1], s12, v13
	v_mov_b32_e32 v10, 0
	v_mov_b32_e32 v4, 0
	;; [unrolled: 1-line block ×4, first 2 shown]
	s_and_saveexec_b64 s[8:9], s[0:1]
	s_cbranch_execz .LBB532_58
; %bb.57:
	v_lshlrev_b32_e32 v5, 3, v0
	global_load_dwordx2 v[14:15], v5, s[16:17] offset:2048
	global_load_dwordx2 v[16:17], v5, s[28:29] offset:2048
	v_mov_b32_e32 v6, s34
	v_add_co_u32_e32 v5, vcc, s31, v13
	v_addc_co_u32_e32 v6, vcc, 0, v6, vcc
	s_waitcnt vmcnt(0)
	v_cmp_ne_u64_e32 vcc, v[14:15], v[16:17]
	v_cndmask_b32_e64 v11, 0, 1, vcc
.LBB532_58:
	s_or_b64 exec, exec, s[8:9]
	v_or_b32_e32 v13, 0x180, v0
	v_cmp_gt_u32_e32 vcc, s12, v13
	s_and_saveexec_b64 s[10:11], vcc
	s_cbranch_execnz .LBB532_151
; %bb.59:
	s_or_b64 exec, exec, s[10:11]
	s_and_saveexec_b64 s[10:11], s[2:3]
	s_cbranch_execnz .LBB532_152
.LBB532_60:
	s_or_b64 exec, exec, s[10:11]
	s_and_saveexec_b64 s[8:9], s[0:1]
	s_cbranch_execnz .LBB532_157
.LBB532_61:
	s_or_b64 exec, exec, s[8:9]
	s_and_saveexec_b64 s[2:3], vcc
	s_cbranch_execnz .LBB532_162
	s_branch .LBB532_167
.LBB532_62:
	v_lshlrev_b32_e32 v3, 3, v25
	global_load_dwordx2 v[26:27], v3, s[30:31]
	global_load_dwordx2 v[28:29], v3, s[34:35]
	v_mov_b32_e32 v4, s41
	v_add_co_u32_e64 v3, s[16:17], s40, v25
	v_addc_co_u32_e64 v4, s[16:17], 0, v4, s[16:17]
	s_waitcnt vmcnt(0)
	v_cmp_ne_u64_e64 s[16:17], v[26:27], v[28:29]
	v_cndmask_b32_e64 v18, 0, 1, s[16:17]
	s_or_b64 exec, exec, s[36:37]
	s_and_saveexec_b64 s[30:31], s[14:15]
	s_cbranch_execz .LBB532_45
.LBB532_63:
	v_and_b32_e32 v17, 1, v17
	v_cmp_eq_u32_e64 s[14:15], 1, v17
	v_and_b32_e32 v17, 1, v24
	v_cmp_eq_u32_e64 s[16:17], 1, v17
	s_and_b64 s[16:17], s[14:15], s[16:17]
	s_xor_b64 s[16:17], s[16:17], -1
                                        ; implicit-def: $vgpr17
	s_and_saveexec_b64 s[34:35], s[16:17]
	s_xor_b64 s[16:17], exec, s[34:35]
; %bb.64:
	v_and_b32_e32 v17, 0xffff, v24
	v_cndmask_b32_e64 v17, v17, 1, s[14:15]
	v_cndmask_b32_e64 v2, v16, v2, s[14:15]
	;; [unrolled: 1-line block ×3, first 2 shown]
                                        ; implicit-def: $vgpr15_vgpr16
; %bb.65:
	s_andn2_saveexec_b64 s[16:17], s[16:17]
; %bb.66:
	v_cmp_lt_i64_e64 s[14:15], v[15:16], v[1:2]
	v_mov_b32_e32 v17, 1
	v_cndmask_b32_e64 v2, v2, v16, s[14:15]
	v_cndmask_b32_e64 v1, v1, v15, s[14:15]
; %bb.67:
	s_or_b64 exec, exec, s[16:17]
	s_or_b64 exec, exec, s[30:31]
	s_and_saveexec_b64 s[16:17], s[12:13]
	s_cbranch_execz .LBB532_46
.LBB532_68:
	v_and_b32_e32 v15, 1, v17
	v_cmp_eq_u32_e64 s[12:13], 1, v15
	v_and_b32_e32 v15, 1, v23
	v_cmp_eq_u32_e64 s[14:15], 1, v15
	s_and_b64 s[14:15], s[12:13], s[14:15]
	s_xor_b64 s[14:15], s[14:15], -1
                                        ; implicit-def: $vgpr17
	s_and_saveexec_b64 s[30:31], s[14:15]
	s_xor_b64 s[14:15], exec, s[30:31]
; %bb.69:
	v_and_b32_e32 v15, 0xffff, v23
	v_cndmask_b32_e64 v17, v15, 1, s[12:13]
	v_cndmask_b32_e64 v2, v14, v2, s[12:13]
	;; [unrolled: 1-line block ×3, first 2 shown]
                                        ; implicit-def: $vgpr13_vgpr14
; %bb.70:
	s_andn2_saveexec_b64 s[14:15], s[14:15]
; %bb.71:
	v_cmp_lt_i64_e64 s[12:13], v[13:14], v[1:2]
	v_mov_b32_e32 v17, 1
	v_cndmask_b32_e64 v2, v2, v14, s[12:13]
	v_cndmask_b32_e64 v1, v1, v13, s[12:13]
; %bb.72:
	s_or_b64 exec, exec, s[14:15]
	s_or_b64 exec, exec, s[16:17]
	s_and_saveexec_b64 s[14:15], s[10:11]
	s_cbranch_execz .LBB532_47
.LBB532_73:
	v_and_b32_e32 v13, 1, v17
	v_cmp_eq_u32_e64 s[10:11], 1, v13
	v_and_b32_e32 v13, 1, v22
	v_cmp_eq_u32_e64 s[12:13], 1, v13
	s_and_b64 s[12:13], s[10:11], s[12:13]
	s_xor_b64 s[12:13], s[12:13], -1
                                        ; implicit-def: $vgpr17
	s_and_saveexec_b64 s[16:17], s[12:13]
	s_xor_b64 s[12:13], exec, s[16:17]
; %bb.74:
	v_and_b32_e32 v13, 0xffff, v22
	v_cndmask_b32_e64 v17, v13, 1, s[10:11]
	v_cndmask_b32_e64 v2, v12, v2, s[10:11]
	;; [unrolled: 1-line block ×3, first 2 shown]
                                        ; implicit-def: $vgpr11_vgpr12
; %bb.75:
	s_andn2_saveexec_b64 s[12:13], s[12:13]
; %bb.76:
	v_cmp_lt_i64_e64 s[10:11], v[11:12], v[1:2]
	v_mov_b32_e32 v17, 1
	v_cndmask_b32_e64 v2, v2, v12, s[10:11]
	v_cndmask_b32_e64 v1, v1, v11, s[10:11]
; %bb.77:
	s_or_b64 exec, exec, s[12:13]
	s_or_b64 exec, exec, s[14:15]
	s_and_saveexec_b64 s[12:13], s[8:9]
	s_cbranch_execz .LBB532_48
.LBB532_78:
	v_and_b32_e32 v11, 1, v17
	v_cmp_eq_u32_e64 s[8:9], 1, v11
	v_and_b32_e32 v11, 1, v21
	v_cmp_eq_u32_e64 s[10:11], 1, v11
	s_and_b64 s[10:11], s[8:9], s[10:11]
	s_xor_b64 s[10:11], s[10:11], -1
                                        ; implicit-def: $vgpr17
	s_and_saveexec_b64 s[14:15], s[10:11]
	s_xor_b64 s[10:11], exec, s[14:15]
; %bb.79:
	v_and_b32_e32 v11, 0xffff, v21
	v_cndmask_b32_e64 v17, v11, 1, s[8:9]
	v_cndmask_b32_e64 v2, v10, v2, s[8:9]
	v_cndmask_b32_e64 v1, v9, v1, s[8:9]
                                        ; implicit-def: $vgpr9_vgpr10
; %bb.80:
	s_andn2_saveexec_b64 s[10:11], s[10:11]
; %bb.81:
	v_cmp_lt_i64_e64 s[8:9], v[9:10], v[1:2]
	v_mov_b32_e32 v17, 1
	v_cndmask_b32_e64 v2, v2, v10, s[8:9]
	v_cndmask_b32_e64 v1, v1, v9, s[8:9]
; %bb.82:
	s_or_b64 exec, exec, s[10:11]
	s_or_b64 exec, exec, s[12:13]
	s_and_saveexec_b64 s[10:11], s[2:3]
	s_cbranch_execz .LBB532_49
.LBB532_83:
	v_and_b32_e32 v9, 1, v17
	v_cmp_eq_u32_e64 s[2:3], 1, v9
	v_and_b32_e32 v9, 1, v20
	v_cmp_eq_u32_e64 s[8:9], 1, v9
	s_and_b64 s[8:9], s[2:3], s[8:9]
	s_xor_b64 s[8:9], s[8:9], -1
                                        ; implicit-def: $vgpr17
	s_and_saveexec_b64 s[12:13], s[8:9]
	s_xor_b64 s[8:9], exec, s[12:13]
; %bb.84:
	v_and_b32_e32 v9, 0xffff, v20
	v_cndmask_b32_e64 v17, v9, 1, s[2:3]
	v_cndmask_b32_e64 v2, v8, v2, s[2:3]
	v_cndmask_b32_e64 v1, v7, v1, s[2:3]
                                        ; implicit-def: $vgpr7_vgpr8
; %bb.85:
	s_andn2_saveexec_b64 s[8:9], s[8:9]
; %bb.86:
	v_cmp_lt_i64_e64 s[2:3], v[7:8], v[1:2]
	v_mov_b32_e32 v17, 1
	v_cndmask_b32_e64 v2, v2, v8, s[2:3]
	v_cndmask_b32_e64 v1, v1, v7, s[2:3]
; %bb.87:
	s_or_b64 exec, exec, s[8:9]
	s_or_b64 exec, exec, s[10:11]
	s_and_saveexec_b64 s[8:9], s[0:1]
	s_cbranch_execz .LBB532_50
.LBB532_88:
	v_and_b32_e32 v7, 1, v17
	v_cmp_eq_u32_e64 s[0:1], 1, v7
	v_and_b32_e32 v7, 1, v19
	v_cmp_eq_u32_e64 s[2:3], 1, v7
	s_and_b64 s[2:3], s[0:1], s[2:3]
	s_xor_b64 s[2:3], s[2:3], -1
                                        ; implicit-def: $vgpr17
	s_and_saveexec_b64 s[10:11], s[2:3]
	s_xor_b64 s[2:3], exec, s[10:11]
; %bb.89:
	v_and_b32_e32 v7, 0xffff, v19
	v_cndmask_b32_e64 v17, v7, 1, s[0:1]
	v_cndmask_b32_e64 v2, v6, v2, s[0:1]
	;; [unrolled: 1-line block ×3, first 2 shown]
                                        ; implicit-def: $vgpr5_vgpr6
; %bb.90:
	s_andn2_saveexec_b64 s[2:3], s[2:3]
; %bb.91:
	v_cmp_lt_i64_e64 s[0:1], v[5:6], v[1:2]
	v_mov_b32_e32 v17, 1
	v_cndmask_b32_e64 v2, v2, v6, s[0:1]
	v_cndmask_b32_e64 v1, v1, v5, s[0:1]
; %bb.92:
	s_or_b64 exec, exec, s[2:3]
	s_or_b64 exec, exec, s[8:9]
	s_and_saveexec_b64 s[2:3], vcc
	s_cbranch_execz .LBB532_98
.LBB532_93:
	v_and_b32_e32 v5, 1, v17
	v_cmp_eq_u32_e32 vcc, 1, v5
	v_and_b32_e32 v5, 1, v18
	v_cmp_eq_u32_e64 s[0:1], 1, v5
	s_and_b64 s[0:1], vcc, s[0:1]
	s_xor_b64 s[0:1], s[0:1], -1
                                        ; implicit-def: $vgpr17
	s_and_saveexec_b64 s[8:9], s[0:1]
	s_xor_b64 s[0:1], exec, s[8:9]
; %bb.94:
	v_and_b32_e32 v5, 0xffff, v18
	v_cndmask_b32_e64 v17, v5, 1, vcc
	v_cndmask_b32_e32 v2, v4, v2, vcc
	v_cndmask_b32_e32 v1, v3, v1, vcc
                                        ; implicit-def: $vgpr3_vgpr4
; %bb.95:
	s_andn2_saveexec_b64 s[0:1], s[0:1]
; %bb.96:
	v_cmp_lt_i64_e32 vcc, v[3:4], v[1:2]
	v_mov_b32_e32 v17, 1
	v_cndmask_b32_e32 v2, v2, v4, vcc
	v_cndmask_b32_e32 v1, v1, v3, vcc
; %bb.97:
	s_or_b64 exec, exec, s[0:1]
.LBB532_98:
	s_or_b64 exec, exec, s[2:3]
	v_mbcnt_lo_u32_b32 v3, -1, 0
	v_mbcnt_hi_u32_b32 v5, -1, v3
	v_and_b32_e32 v6, 63, v5
	v_cmp_ne_u32_e32 vcc, 63, v6
	v_addc_co_u32_e32 v3, vcc, 0, v5, vcc
	v_lshlrev_b32_e32 v4, 2, v3
	ds_bpermute_b32 v8, v4, v17
	ds_bpermute_b32 v3, v4, v1
	;; [unrolled: 1-line block ×3, first 2 shown]
	s_min_u32 s8, s39, 0x80
	v_and_b32_e32 v7, 64, v0
	v_sub_u32_e64 v7, s8, v7 clamp
	v_add_u32_e32 v9, 1, v6
	v_cmp_lt_u32_e32 vcc, v9, v7
	s_and_saveexec_b64 s[0:1], vcc
	s_xor_b64 s[0:1], exec, s[0:1]
	s_cbranch_execz .LBB532_104
; %bb.99:
	s_waitcnt lgkmcnt(2)
	v_and_b32_e32 v9, v8, v17
	v_cmp_ne_u32_e32 vcc, 0, v9
	s_and_saveexec_b64 s[2:3], vcc
	s_xor_b64 s[2:3], exec, s[2:3]
	s_cbranch_execz .LBB532_101
; %bb.100:
	s_waitcnt lgkmcnt(0)
	v_cmp_lt_i64_e32 vcc, v[3:4], v[1:2]
                                        ; implicit-def: $vgpr17
                                        ; implicit-def: $vgpr8
	v_cndmask_b32_e32 v2, v2, v4, vcc
	v_cndmask_b32_e32 v1, v1, v3, vcc
                                        ; implicit-def: $vgpr3_vgpr4
.LBB532_101:
	s_or_saveexec_b64 s[2:3], s[2:3]
	v_mov_b32_e32 v9, 1
	s_xor_b64 exec, exec, s[2:3]
	s_cbranch_execz .LBB532_103
; %bb.102:
	v_and_b32_e32 v9, 1, v17
	v_cmp_eq_u32_e32 vcc, 1, v9
	s_waitcnt lgkmcnt(1)
	v_cndmask_b32_e32 v1, v3, v1, vcc
	v_and_b32_e32 v3, 0xff, v8
	s_waitcnt lgkmcnt(0)
	v_cndmask_b32_e32 v2, v4, v2, vcc
	v_cndmask_b32_e64 v9, v3, 1, vcc
.LBB532_103:
	s_or_b64 exec, exec, s[2:3]
	v_mov_b32_e32 v17, v9
.LBB532_104:
	s_or_b64 exec, exec, s[0:1]
	v_cmp_gt_u32_e32 vcc, 62, v6
	s_waitcnt lgkmcnt(1)
	v_cndmask_b32_e64 v3, 0, 2, vcc
	s_waitcnt lgkmcnt(0)
	v_add_lshl_u32 v4, v3, v5, 2
	ds_bpermute_b32 v8, v4, v17
	ds_bpermute_b32 v3, v4, v1
	ds_bpermute_b32 v4, v4, v2
	v_add_u32_e32 v9, 2, v6
	v_cmp_lt_u32_e32 vcc, v9, v7
	s_and_saveexec_b64 s[0:1], vcc
	s_cbranch_execz .LBB532_110
; %bb.105:
	s_waitcnt lgkmcnt(2)
	v_and_b32_e32 v9, v17, v8
	v_and_b32_e32 v9, 1, v9
	v_cmp_eq_u32_e32 vcc, 1, v9
	s_and_saveexec_b64 s[2:3], vcc
	s_xor_b64 s[2:3], exec, s[2:3]
	s_cbranch_execz .LBB532_107
; %bb.106:
	s_waitcnt lgkmcnt(0)
	v_cmp_lt_i64_e32 vcc, v[3:4], v[1:2]
                                        ; implicit-def: $vgpr17
                                        ; implicit-def: $vgpr8
	v_cndmask_b32_e32 v2, v2, v4, vcc
	v_cndmask_b32_e32 v1, v1, v3, vcc
                                        ; implicit-def: $vgpr3_vgpr4
.LBB532_107:
	s_or_saveexec_b64 s[2:3], s[2:3]
	v_mov_b32_e32 v9, 1
	s_xor_b64 exec, exec, s[2:3]
	s_cbranch_execz .LBB532_109
; %bb.108:
	v_and_b32_e32 v9, 1, v17
	v_cmp_eq_u32_e32 vcc, 1, v9
	s_waitcnt lgkmcnt(1)
	v_cndmask_b32_e32 v1, v3, v1, vcc
	v_and_b32_e32 v3, 0xff, v8
	s_waitcnt lgkmcnt(0)
	v_cndmask_b32_e32 v2, v4, v2, vcc
	v_cndmask_b32_e64 v9, v3, 1, vcc
.LBB532_109:
	s_or_b64 exec, exec, s[2:3]
	v_mov_b32_e32 v17, v9
.LBB532_110:
	s_or_b64 exec, exec, s[0:1]
	v_cmp_gt_u32_e32 vcc, 60, v6
	s_waitcnt lgkmcnt(1)
	v_cndmask_b32_e64 v3, 0, 4, vcc
	s_waitcnt lgkmcnt(0)
	v_add_lshl_u32 v4, v3, v5, 2
	ds_bpermute_b32 v8, v4, v17
	ds_bpermute_b32 v3, v4, v1
	ds_bpermute_b32 v4, v4, v2
	v_add_u32_e32 v9, 4, v6
	v_cmp_lt_u32_e32 vcc, v9, v7
	s_and_saveexec_b64 s[0:1], vcc
	s_cbranch_execz .LBB532_116
; %bb.111:
	s_waitcnt lgkmcnt(2)
	v_and_b32_e32 v9, v17, v8
	v_and_b32_e32 v9, 1, v9
	v_cmp_eq_u32_e32 vcc, 1, v9
	s_and_saveexec_b64 s[2:3], vcc
	s_xor_b64 s[2:3], exec, s[2:3]
	s_cbranch_execz .LBB532_113
; %bb.112:
	s_waitcnt lgkmcnt(0)
	v_cmp_lt_i64_e32 vcc, v[3:4], v[1:2]
                                        ; implicit-def: $vgpr17
                                        ; implicit-def: $vgpr8
	v_cndmask_b32_e32 v2, v2, v4, vcc
	v_cndmask_b32_e32 v1, v1, v3, vcc
                                        ; implicit-def: $vgpr3_vgpr4
.LBB532_113:
	s_or_saveexec_b64 s[2:3], s[2:3]
	v_mov_b32_e32 v9, 1
	s_xor_b64 exec, exec, s[2:3]
	s_cbranch_execz .LBB532_115
; %bb.114:
	v_and_b32_e32 v9, 1, v17
	v_cmp_eq_u32_e32 vcc, 1, v9
	s_waitcnt lgkmcnt(1)
	v_cndmask_b32_e32 v1, v3, v1, vcc
	v_and_b32_e32 v3, 0xff, v8
	s_waitcnt lgkmcnt(0)
	v_cndmask_b32_e32 v2, v4, v2, vcc
	v_cndmask_b32_e64 v9, v3, 1, vcc
.LBB532_115:
	s_or_b64 exec, exec, s[2:3]
	v_mov_b32_e32 v17, v9
.LBB532_116:
	;; [unrolled: 47-line block ×4, first 2 shown]
	s_or_b64 exec, exec, s[0:1]
	s_waitcnt lgkmcnt(2)
	v_lshlrev_b32_e32 v8, 2, v5
	s_waitcnt lgkmcnt(0)
	v_or_b32_e32 v4, 0x80, v8
	ds_bpermute_b32 v9, v4, v17
	ds_bpermute_b32 v3, v4, v1
	;; [unrolled: 1-line block ×3, first 2 shown]
	v_add_u32_e32 v6, 32, v6
	v_cmp_lt_u32_e32 vcc, v6, v7
	v_mov_b32_e32 v6, v17
	s_and_saveexec_b64 s[0:1], vcc
	s_cbranch_execz .LBB532_134
; %bb.129:
	s_waitcnt lgkmcnt(2)
	v_and_b32_e32 v6, v17, v9
	v_and_b32_e32 v6, 1, v6
	v_cmp_eq_u32_e32 vcc, 1, v6
	s_and_saveexec_b64 s[2:3], vcc
	s_xor_b64 s[2:3], exec, s[2:3]
	s_cbranch_execz .LBB532_131
; %bb.130:
	s_waitcnt lgkmcnt(0)
	v_cmp_lt_i64_e32 vcc, v[3:4], v[1:2]
                                        ; implicit-def: $vgpr17
                                        ; implicit-def: $vgpr9
	v_cndmask_b32_e32 v2, v2, v4, vcc
	v_cndmask_b32_e32 v1, v1, v3, vcc
                                        ; implicit-def: $vgpr3_vgpr4
.LBB532_131:
	s_or_saveexec_b64 s[2:3], s[2:3]
	v_mov_b32_e32 v6, 1
	s_xor_b64 exec, exec, s[2:3]
	s_cbranch_execz .LBB532_133
; %bb.132:
	v_and_b32_e32 v6, 1, v17
	v_cmp_eq_u32_e32 vcc, 1, v6
	v_cndmask_b32_e64 v6, v9, 1, vcc
	s_waitcnt lgkmcnt(0)
	v_cndmask_b32_e32 v2, v4, v2, vcc
	v_cndmask_b32_e32 v1, v3, v1, vcc
.LBB532_133:
	s_or_b64 exec, exec, s[2:3]
	v_and_b32_e32 v17, 0xff, v6
.LBB532_134:
	s_or_b64 exec, exec, s[0:1]
	v_cmp_eq_u32_e32 vcc, 0, v5
	s_and_saveexec_b64 s[0:1], vcc
	s_cbranch_execz .LBB532_136
; %bb.135:
	s_waitcnt lgkmcnt(1)
	v_lshrrev_b32_e32 v3, 2, v0
	v_and_b32_e32 v3, 16, v3
	ds_write_b8 v3, v6 offset:128
	ds_write_b64 v3, v[1:2] offset:136
.LBB532_136:
	s_or_b64 exec, exec, s[0:1]
	v_cmp_gt_u32_e32 vcc, 2, v0
	s_waitcnt lgkmcnt(0)
	s_barrier
	s_and_saveexec_b64 s[0:1], vcc
	s_cbranch_execz .LBB532_144
; %bb.137:
	v_lshlrev_b32_e32 v1, 4, v5
	ds_read_u8 v6, v1 offset:128
	ds_read_b64 v[1:2], v1 offset:136
	v_or_b32_e32 v4, 4, v8
	s_add_i32 s8, s8, 63
	v_and_b32_e32 v5, 1, v5
	s_waitcnt lgkmcnt(1)
	v_and_b32_e32 v17, 0xff, v6
	s_waitcnt lgkmcnt(0)
	ds_bpermute_b32 v3, v4, v1
	ds_bpermute_b32 v7, v4, v17
	ds_bpermute_b32 v4, v4, v2
	s_lshr_b32 s2, s8, 6
	v_add_u32_e32 v5, 1, v5
	v_cmp_gt_u32_e32 vcc, s2, v5
	s_and_saveexec_b64 s[2:3], vcc
	s_cbranch_execz .LBB532_143
; %bb.138:
	s_waitcnt lgkmcnt(1)
	v_and_b32_e32 v5, v17, v7
	v_and_b32_e32 v5, 1, v5
	v_cmp_eq_u32_e32 vcc, 1, v5
	s_and_saveexec_b64 s[8:9], vcc
	s_xor_b64 s[8:9], exec, s[8:9]
	s_cbranch_execz .LBB532_140
; %bb.139:
	s_waitcnt lgkmcnt(0)
	v_cmp_lt_i64_e32 vcc, v[3:4], v[1:2]
                                        ; implicit-def: $vgpr6
                                        ; implicit-def: $vgpr7
	v_cndmask_b32_e32 v2, v2, v4, vcc
	v_cndmask_b32_e32 v1, v1, v3, vcc
                                        ; implicit-def: $vgpr3_vgpr4
.LBB532_140:
	s_or_saveexec_b64 s[8:9], s[8:9]
	v_mov_b32_e32 v17, 1
	s_xor_b64 exec, exec, s[8:9]
	s_cbranch_execz .LBB532_142
; %bb.141:
	v_and_b32_e32 v5, 1, v6
	v_cmp_eq_u32_e32 vcc, 1, v5
	s_waitcnt lgkmcnt(0)
	v_cndmask_b32_e32 v2, v4, v2, vcc
	v_cndmask_b32_e32 v1, v3, v1, vcc
	v_cndmask_b32_e64 v17, v7, 1, vcc
.LBB532_142:
	s_or_b64 exec, exec, s[8:9]
.LBB532_143:
	s_or_b64 exec, exec, s[2:3]
.LBB532_144:
	s_or_b64 exec, exec, s[0:1]
.LBB532_145:
	v_cmp_eq_u32_e32 vcc, 0, v0
	s_mov_b64 s[14:15], 0
                                        ; implicit-def: $vgpr3_vgpr4
                                        ; implicit-def: $vgpr5
	s_and_saveexec_b64 s[0:1], vcc
	s_xor_b64 s[8:9], exec, s[0:1]
	s_cbranch_execz .LBB532_149
; %bb.146:
	s_waitcnt lgkmcnt(0)
	v_mov_b32_e32 v3, s18
	s_cmp_eq_u64 s[22:23], 0
	v_mov_b32_e32 v4, s19
	v_mov_b32_e32 v5, s33
	s_cbranch_scc1 .LBB532_148
; %bb.147:
	v_and_b32_e32 v3, 1, v17
	v_cmp_gt_i64_e64 s[0:1], s[18:19], v[1:2]
	s_bitcmp1_b32 s33, 0
	v_cmp_eq_u32_e32 vcc, 1, v3
	s_cselect_b64 s[2:3], -1, 0
	v_mov_b32_e32 v3, s18
	s_and_b64 vcc, vcc, s[0:1]
	v_mov_b32_e32 v4, s19
	v_cndmask_b32_e32 v3, v3, v1, vcc
	v_cndmask_b32_e32 v4, v4, v2, vcc
	v_cndmask_b32_e64 v5, v17, 1, s[2:3]
	v_cndmask_b32_e64 v4, v2, v4, s[2:3]
	;; [unrolled: 1-line block ×3, first 2 shown]
.LBB532_148:
	s_mov_b64 s[14:15], exec
.LBB532_149:
	s_or_b64 exec, exec, s[8:9]
	v_mov_b32_e32 v1, s6
	v_mov_b32_e32 v2, s7
	s_and_b64 vcc, exec, s[28:29]
	s_cbranch_vccnz .LBB532_16
.LBB532_150:
	s_branch .LBB532_306
.LBB532_151:
	v_lshlrev_b32_e32 v3, 3, v0
	global_load_dwordx2 v[14:15], v3, s[16:17] offset:3072
	global_load_dwordx2 v[16:17], v3, s[28:29] offset:3072
	v_mov_b32_e32 v4, s34
	v_add_co_u32_e64 v3, s[8:9], s31, v13
	v_addc_co_u32_e64 v4, s[8:9], 0, v4, s[8:9]
	s_waitcnt vmcnt(0)
	v_cmp_ne_u64_e64 s[8:9], v[14:15], v[16:17]
	v_cndmask_b32_e64 v10, 0, 1, s[8:9]
	s_or_b64 exec, exec, s[10:11]
	s_and_saveexec_b64 s[10:11], s[2:3]
	s_cbranch_execz .LBB532_60
.LBB532_152:
	v_and_b32_e32 v9, 1, v9
	v_cmp_eq_u32_e64 s[2:3], 1, v9
	v_and_b32_e32 v9, 1, v12
	v_cmp_eq_u32_e64 s[8:9], 1, v9
	s_and_b64 s[8:9], s[2:3], s[8:9]
	s_xor_b64 s[8:9], s[8:9], -1
                                        ; implicit-def: $vgpr9
	s_and_saveexec_b64 s[16:17], s[8:9]
	s_xor_b64 s[8:9], exec, s[16:17]
; %bb.153:
	v_and_b32_e32 v9, 0xffff, v12
	v_cndmask_b32_e64 v9, v9, 1, s[2:3]
	v_cndmask_b32_e64 v2, v8, v2, s[2:3]
	;; [unrolled: 1-line block ×3, first 2 shown]
                                        ; implicit-def: $vgpr7_vgpr8
; %bb.154:
	s_andn2_saveexec_b64 s[8:9], s[8:9]
; %bb.155:
	v_cmp_lt_i64_e64 s[2:3], v[7:8], v[1:2]
	v_mov_b32_e32 v9, 1
	v_cndmask_b32_e64 v2, v2, v8, s[2:3]
	v_cndmask_b32_e64 v1, v1, v7, s[2:3]
; %bb.156:
	s_or_b64 exec, exec, s[8:9]
	s_or_b64 exec, exec, s[10:11]
	s_and_saveexec_b64 s[8:9], s[0:1]
	s_cbranch_execz .LBB532_61
.LBB532_157:
	v_and_b32_e32 v7, 1, v9
	v_cmp_eq_u32_e64 s[0:1], 1, v7
	v_and_b32_e32 v7, 1, v11
	v_cmp_eq_u32_e64 s[2:3], 1, v7
	s_and_b64 s[2:3], s[0:1], s[2:3]
	s_xor_b64 s[2:3], s[2:3], -1
                                        ; implicit-def: $vgpr9
	s_and_saveexec_b64 s[10:11], s[2:3]
	s_xor_b64 s[2:3], exec, s[10:11]
; %bb.158:
	v_and_b32_e32 v7, 0xffff, v11
	v_cndmask_b32_e64 v9, v7, 1, s[0:1]
	v_cndmask_b32_e64 v2, v6, v2, s[0:1]
	;; [unrolled: 1-line block ×3, first 2 shown]
                                        ; implicit-def: $vgpr5_vgpr6
; %bb.159:
	s_andn2_saveexec_b64 s[2:3], s[2:3]
; %bb.160:
	v_cmp_lt_i64_e64 s[0:1], v[5:6], v[1:2]
	v_mov_b32_e32 v9, 1
	v_cndmask_b32_e64 v2, v2, v6, s[0:1]
	v_cndmask_b32_e64 v1, v1, v5, s[0:1]
; %bb.161:
	s_or_b64 exec, exec, s[2:3]
	s_or_b64 exec, exec, s[8:9]
	s_and_saveexec_b64 s[2:3], vcc
	s_cbranch_execz .LBB532_167
.LBB532_162:
	v_and_b32_e32 v5, 1, v9
	v_cmp_eq_u32_e32 vcc, 1, v5
	v_and_b32_e32 v5, 1, v10
	v_cmp_eq_u32_e64 s[0:1], 1, v5
	s_and_b64 s[0:1], vcc, s[0:1]
	s_xor_b64 s[0:1], s[0:1], -1
                                        ; implicit-def: $vgpr9
	s_and_saveexec_b64 s[8:9], s[0:1]
	s_xor_b64 s[0:1], exec, s[8:9]
; %bb.163:
	v_and_b32_e32 v5, 0xffff, v10
	v_cndmask_b32_e64 v9, v5, 1, vcc
	v_cndmask_b32_e32 v2, v4, v2, vcc
	v_cndmask_b32_e32 v1, v3, v1, vcc
                                        ; implicit-def: $vgpr3_vgpr4
; %bb.164:
	s_andn2_saveexec_b64 s[0:1], s[0:1]
; %bb.165:
	v_cmp_lt_i64_e32 vcc, v[3:4], v[1:2]
	v_mov_b32_e32 v9, 1
	v_cndmask_b32_e32 v2, v2, v4, vcc
	v_cndmask_b32_e32 v1, v1, v3, vcc
; %bb.166:
	s_or_b64 exec, exec, s[0:1]
.LBB532_167:
	s_or_b64 exec, exec, s[2:3]
	v_mbcnt_lo_u32_b32 v3, -1, 0
	v_mbcnt_hi_u32_b32 v5, -1, v3
	v_and_b32_e32 v6, 63, v5
	v_cmp_ne_u32_e32 vcc, 63, v6
	v_addc_co_u32_e32 v3, vcc, 0, v5, vcc
	v_lshlrev_b32_e32 v4, 2, v3
	ds_bpermute_b32 v8, v4, v9
	ds_bpermute_b32 v3, v4, v1
	;; [unrolled: 1-line block ×3, first 2 shown]
	s_min_u32 s8, s12, 0x80
	v_and_b32_e32 v7, 64, v0
	v_sub_u32_e64 v7, s8, v7 clamp
	v_add_u32_e32 v10, 1, v6
	v_cmp_lt_u32_e32 vcc, v10, v7
	s_and_saveexec_b64 s[0:1], vcc
	s_xor_b64 s[0:1], exec, s[0:1]
	s_cbranch_execz .LBB532_173
; %bb.168:
	s_waitcnt lgkmcnt(2)
	v_and_b32_e32 v10, v8, v9
	v_cmp_ne_u32_e32 vcc, 0, v10
	s_and_saveexec_b64 s[2:3], vcc
	s_xor_b64 s[2:3], exec, s[2:3]
	s_cbranch_execz .LBB532_170
; %bb.169:
	s_waitcnt lgkmcnt(0)
	v_cmp_lt_i64_e32 vcc, v[3:4], v[1:2]
                                        ; implicit-def: $vgpr9
                                        ; implicit-def: $vgpr8
	v_cndmask_b32_e32 v2, v2, v4, vcc
	v_cndmask_b32_e32 v1, v1, v3, vcc
                                        ; implicit-def: $vgpr3_vgpr4
.LBB532_170:
	s_or_saveexec_b64 s[2:3], s[2:3]
	v_mov_b32_e32 v10, 1
	s_xor_b64 exec, exec, s[2:3]
	s_cbranch_execz .LBB532_172
; %bb.171:
	v_and_b32_e32 v9, 1, v9
	v_cmp_eq_u32_e32 vcc, 1, v9
	s_waitcnt lgkmcnt(1)
	v_cndmask_b32_e32 v1, v3, v1, vcc
	v_and_b32_e32 v3, 0xff, v8
	s_waitcnt lgkmcnt(0)
	v_cndmask_b32_e32 v2, v4, v2, vcc
	v_cndmask_b32_e64 v10, v3, 1, vcc
.LBB532_172:
	s_or_b64 exec, exec, s[2:3]
	v_mov_b32_e32 v9, v10
.LBB532_173:
	s_or_b64 exec, exec, s[0:1]
	v_cmp_gt_u32_e32 vcc, 62, v6
	s_waitcnt lgkmcnt(1)
	v_cndmask_b32_e64 v3, 0, 2, vcc
	s_waitcnt lgkmcnt(0)
	v_add_lshl_u32 v4, v3, v5, 2
	ds_bpermute_b32 v8, v4, v9
	ds_bpermute_b32 v3, v4, v1
	ds_bpermute_b32 v4, v4, v2
	v_add_u32_e32 v10, 2, v6
	v_cmp_lt_u32_e32 vcc, v10, v7
	s_and_saveexec_b64 s[0:1], vcc
	s_cbranch_execz .LBB532_179
; %bb.174:
	s_waitcnt lgkmcnt(2)
	v_and_b32_e32 v10, v9, v8
	v_and_b32_e32 v10, 1, v10
	v_cmp_eq_u32_e32 vcc, 1, v10
	s_and_saveexec_b64 s[2:3], vcc
	s_xor_b64 s[2:3], exec, s[2:3]
	s_cbranch_execz .LBB532_176
; %bb.175:
	s_waitcnt lgkmcnt(0)
	v_cmp_lt_i64_e32 vcc, v[3:4], v[1:2]
                                        ; implicit-def: $vgpr9
                                        ; implicit-def: $vgpr8
	v_cndmask_b32_e32 v2, v2, v4, vcc
	v_cndmask_b32_e32 v1, v1, v3, vcc
                                        ; implicit-def: $vgpr3_vgpr4
.LBB532_176:
	s_or_saveexec_b64 s[2:3], s[2:3]
	v_mov_b32_e32 v10, 1
	s_xor_b64 exec, exec, s[2:3]
	s_cbranch_execz .LBB532_178
; %bb.177:
	v_and_b32_e32 v9, 1, v9
	v_cmp_eq_u32_e32 vcc, 1, v9
	s_waitcnt lgkmcnt(1)
	v_cndmask_b32_e32 v1, v3, v1, vcc
	v_and_b32_e32 v3, 0xff, v8
	s_waitcnt lgkmcnt(0)
	v_cndmask_b32_e32 v2, v4, v2, vcc
	v_cndmask_b32_e64 v10, v3, 1, vcc
.LBB532_178:
	s_or_b64 exec, exec, s[2:3]
	v_mov_b32_e32 v9, v10
.LBB532_179:
	s_or_b64 exec, exec, s[0:1]
	v_cmp_gt_u32_e32 vcc, 60, v6
	s_waitcnt lgkmcnt(1)
	v_cndmask_b32_e64 v3, 0, 4, vcc
	s_waitcnt lgkmcnt(0)
	v_add_lshl_u32 v4, v3, v5, 2
	ds_bpermute_b32 v8, v4, v9
	ds_bpermute_b32 v3, v4, v1
	ds_bpermute_b32 v4, v4, v2
	v_add_u32_e32 v10, 4, v6
	v_cmp_lt_u32_e32 vcc, v10, v7
	s_and_saveexec_b64 s[0:1], vcc
	s_cbranch_execz .LBB532_185
; %bb.180:
	s_waitcnt lgkmcnt(2)
	v_and_b32_e32 v10, v9, v8
	v_and_b32_e32 v10, 1, v10
	v_cmp_eq_u32_e32 vcc, 1, v10
	s_and_saveexec_b64 s[2:3], vcc
	s_xor_b64 s[2:3], exec, s[2:3]
	s_cbranch_execz .LBB532_182
; %bb.181:
	s_waitcnt lgkmcnt(0)
	v_cmp_lt_i64_e32 vcc, v[3:4], v[1:2]
                                        ; implicit-def: $vgpr9
                                        ; implicit-def: $vgpr8
	v_cndmask_b32_e32 v2, v2, v4, vcc
	v_cndmask_b32_e32 v1, v1, v3, vcc
                                        ; implicit-def: $vgpr3_vgpr4
.LBB532_182:
	s_or_saveexec_b64 s[2:3], s[2:3]
	v_mov_b32_e32 v10, 1
	s_xor_b64 exec, exec, s[2:3]
	s_cbranch_execz .LBB532_184
; %bb.183:
	v_and_b32_e32 v9, 1, v9
	v_cmp_eq_u32_e32 vcc, 1, v9
	s_waitcnt lgkmcnt(1)
	v_cndmask_b32_e32 v1, v3, v1, vcc
	v_and_b32_e32 v3, 0xff, v8
	s_waitcnt lgkmcnt(0)
	v_cndmask_b32_e32 v2, v4, v2, vcc
	v_cndmask_b32_e64 v10, v3, 1, vcc
.LBB532_184:
	s_or_b64 exec, exec, s[2:3]
	v_mov_b32_e32 v9, v10
.LBB532_185:
	;; [unrolled: 47-line block ×4, first 2 shown]
	s_or_b64 exec, exec, s[0:1]
	s_waitcnt lgkmcnt(2)
	v_lshlrev_b32_e32 v8, 2, v5
	s_waitcnt lgkmcnt(0)
	v_or_b32_e32 v4, 0x80, v8
	ds_bpermute_b32 v10, v4, v9
	ds_bpermute_b32 v3, v4, v1
	;; [unrolled: 1-line block ×3, first 2 shown]
	v_add_u32_e32 v6, 32, v6
	v_cmp_lt_u32_e32 vcc, v6, v7
	v_mov_b32_e32 v6, v9
	s_and_saveexec_b64 s[0:1], vcc
	s_cbranch_execz .LBB532_203
; %bb.198:
	s_waitcnt lgkmcnt(2)
	v_and_b32_e32 v6, v9, v10
	v_and_b32_e32 v6, 1, v6
	v_cmp_eq_u32_e32 vcc, 1, v6
	s_and_saveexec_b64 s[2:3], vcc
	s_xor_b64 s[2:3], exec, s[2:3]
	s_cbranch_execz .LBB532_200
; %bb.199:
	s_waitcnt lgkmcnt(0)
	v_cmp_lt_i64_e32 vcc, v[3:4], v[1:2]
                                        ; implicit-def: $vgpr9
                                        ; implicit-def: $vgpr10
	v_cndmask_b32_e32 v2, v2, v4, vcc
	v_cndmask_b32_e32 v1, v1, v3, vcc
                                        ; implicit-def: $vgpr3_vgpr4
.LBB532_200:
	s_or_saveexec_b64 s[2:3], s[2:3]
	v_mov_b32_e32 v6, 1
	s_xor_b64 exec, exec, s[2:3]
	s_cbranch_execz .LBB532_202
; %bb.201:
	v_and_b32_e32 v6, 1, v9
	v_cmp_eq_u32_e32 vcc, 1, v6
	v_cndmask_b32_e64 v6, v10, 1, vcc
	s_waitcnt lgkmcnt(0)
	v_cndmask_b32_e32 v2, v4, v2, vcc
	v_cndmask_b32_e32 v1, v3, v1, vcc
.LBB532_202:
	s_or_b64 exec, exec, s[2:3]
	v_and_b32_e32 v9, 0xff, v6
.LBB532_203:
	s_or_b64 exec, exec, s[0:1]
	v_cmp_eq_u32_e32 vcc, 0, v5
	s_and_saveexec_b64 s[0:1], vcc
	s_cbranch_execz .LBB532_205
; %bb.204:
	s_waitcnt lgkmcnt(1)
	v_lshrrev_b32_e32 v3, 2, v0
	v_and_b32_e32 v3, 16, v3
	ds_write_b8 v3, v6 offset:128
	ds_write_b64 v3, v[1:2] offset:136
.LBB532_205:
	s_or_b64 exec, exec, s[0:1]
	v_cmp_gt_u32_e32 vcc, 2, v0
	s_waitcnt lgkmcnt(0)
	s_barrier
	s_and_saveexec_b64 s[0:1], vcc
	s_cbranch_execz .LBB532_213
; %bb.206:
	v_lshlrev_b32_e32 v1, 4, v5
	ds_read_u8 v6, v1 offset:128
	ds_read_b64 v[1:2], v1 offset:136
	v_or_b32_e32 v4, 4, v8
	s_add_i32 s8, s8, 63
	v_and_b32_e32 v5, 1, v5
	s_waitcnt lgkmcnt(1)
	v_and_b32_e32 v9, 0xff, v6
	s_waitcnt lgkmcnt(0)
	ds_bpermute_b32 v3, v4, v1
	ds_bpermute_b32 v7, v4, v9
	;; [unrolled: 1-line block ×3, first 2 shown]
	s_lshr_b32 s2, s8, 6
	v_add_u32_e32 v5, 1, v5
	v_cmp_gt_u32_e32 vcc, s2, v5
	s_and_saveexec_b64 s[2:3], vcc
	s_cbranch_execz .LBB532_212
; %bb.207:
	s_waitcnt lgkmcnt(1)
	v_and_b32_e32 v5, v9, v7
	v_and_b32_e32 v5, 1, v5
	v_cmp_eq_u32_e32 vcc, 1, v5
	s_and_saveexec_b64 s[8:9], vcc
	s_xor_b64 s[8:9], exec, s[8:9]
	s_cbranch_execz .LBB532_209
; %bb.208:
	s_waitcnt lgkmcnt(0)
	v_cmp_lt_i64_e32 vcc, v[3:4], v[1:2]
                                        ; implicit-def: $vgpr6
                                        ; implicit-def: $vgpr7
	v_cndmask_b32_e32 v2, v2, v4, vcc
	v_cndmask_b32_e32 v1, v1, v3, vcc
                                        ; implicit-def: $vgpr3_vgpr4
.LBB532_209:
	s_or_saveexec_b64 s[8:9], s[8:9]
	v_mov_b32_e32 v9, 1
	s_xor_b64 exec, exec, s[8:9]
	s_cbranch_execz .LBB532_211
; %bb.210:
	v_and_b32_e32 v5, 1, v6
	v_cmp_eq_u32_e32 vcc, 1, v5
	s_waitcnt lgkmcnt(0)
	v_cndmask_b32_e32 v2, v4, v2, vcc
	v_cndmask_b32_e32 v1, v3, v1, vcc
	v_cndmask_b32_e64 v9, v7, 1, vcc
.LBB532_211:
	s_or_b64 exec, exec, s[8:9]
.LBB532_212:
	s_or_b64 exec, exec, s[2:3]
.LBB532_213:
	s_or_b64 exec, exec, s[0:1]
.LBB532_214:
	v_cmp_eq_u32_e32 vcc, 0, v0
                                        ; implicit-def: $vgpr3_vgpr4
                                        ; implicit-def: $vgpr5
	s_and_saveexec_b64 s[0:1], vcc
	s_xor_b64 s[8:9], exec, s[0:1]
	s_cbranch_execz .LBB532_218
; %bb.215:
	s_waitcnt lgkmcnt(0)
	v_mov_b32_e32 v3, s18
	s_cmp_eq_u64 s[22:23], 0
	v_mov_b32_e32 v4, s19
	v_mov_b32_e32 v5, s33
	s_cbranch_scc1 .LBB532_217
; %bb.216:
	v_and_b32_e32 v3, 1, v9
	v_cmp_gt_i64_e64 s[0:1], s[18:19], v[1:2]
	s_bitcmp1_b32 s33, 0
	v_cmp_eq_u32_e32 vcc, 1, v3
	s_cselect_b64 s[2:3], -1, 0
	v_mov_b32_e32 v3, s18
	s_and_b64 vcc, vcc, s[0:1]
	v_mov_b32_e32 v4, s19
	v_cndmask_b32_e32 v3, v3, v1, vcc
	v_cndmask_b32_e32 v4, v4, v2, vcc
	v_cndmask_b32_e64 v5, v9, 1, s[2:3]
	v_cndmask_b32_e64 v4, v2, v4, s[2:3]
	;; [unrolled: 1-line block ×3, first 2 shown]
.LBB532_217:
	s_or_b64 s[14:15], s[14:15], exec
.LBB532_218:
	s_or_b64 exec, exec, s[8:9]
	v_mov_b32_e32 v1, s6
	v_mov_b32_e32 v2, s7
	s_branch .LBB532_306
.LBB532_219:
	s_cmp_gt_i32 s38, 1
	s_cbranch_scc0 .LBB532_231
; %bb.220:
	s_cmp_eq_u32 s38, 2
	s_cbranch_scc0 .LBB532_232
; %bb.221:
	s_mov_b32 s7, 0
	s_lshl_b32 s30, s6, 8
	s_mov_b32 s31, s7
	s_lshr_b64 s[0:1], s[22:23], 8
	s_lshl_b64 s[2:3], s[30:31], 3
	s_add_u32 s16, s24, s2
	s_addc_u32 s17, s25, s3
	s_add_u32 s28, s26, s2
	s_addc_u32 s29, s27, s3
	;; [unrolled: 2-line block ×3, first 2 shown]
	s_cmp_lg_u64 s[0:1], s[6:7]
	s_cbranch_scc0 .LBB532_233
; %bb.222:
	s_waitcnt lgkmcnt(2)
	v_lshlrev_b32_e32 v3, 3, v0
	global_load_dwordx2 v[1:2], v3, s[28:29]
	s_waitcnt lgkmcnt(0)
	global_load_dwordx2 v[6:7], v3, s[28:29] offset:1024
	global_load_dwordx2 v[8:9], v3, s[16:17] offset:1024
	global_load_dwordx2 v[10:11], v3, s[16:17]
	v_mov_b32_e32 v3, s34
	v_add_co_u32_e32 v12, vcc, s31, v0
	v_addc_co_u32_e32 v13, vcc, 0, v3, vcc
	v_mbcnt_lo_u32_b32 v4, -1, 0
	v_add_co_u32_e32 v14, vcc, 0x80, v12
	v_mbcnt_hi_u32_b32 v3, -1, v4
	v_addc_co_u32_e32 v4, vcc, 0, v13, vcc
	v_lshlrev_b32_e32 v5, 2, v3
	v_or_b32_e32 v15, 0xfc, v5
	s_waitcnt vmcnt(1)
	v_cmp_ne_u64_e32 vcc, v[8:9], v[6:7]
	s_waitcnt vmcnt(0)
	v_cmp_ne_u64_e64 s[0:1], v[10:11], v[1:2]
	v_cndmask_b32_e64 v2, v4, v13, s[0:1]
	v_cndmask_b32_e64 v1, v14, v12, s[0:1]
	s_nop 0
	v_mov_b32_dpp v7, v2 quad_perm:[1,0,3,2] row_mask:0xf bank_mask:0xf bound_ctrl:1
	s_or_b64 s[0:1], s[0:1], vcc
	v_mov_b32_dpp v6, v1 quad_perm:[1,0,3,2] row_mask:0xf bank_mask:0xf bound_ctrl:1
	v_cndmask_b32_e64 v4, 0, 1, s[0:1]
	v_cmp_lt_i64_e32 vcc, v[1:2], v[6:7]
	s_and_b64 vcc, s[0:1], vcc
	v_mov_b32_dpp v8, v4 quad_perm:[1,0,3,2] row_mask:0xf bank_mask:0xf bound_ctrl:1
	v_and_b32_e32 v8, 1, v8
	v_cndmask_b32_e32 v6, v6, v1, vcc
	v_cndmask_b32_e32 v7, v7, v2, vcc
	v_cmp_eq_u32_e32 vcc, 1, v8
	v_cndmask_b32_e32 v2, v2, v7, vcc
	v_cndmask_b32_e32 v1, v1, v6, vcc
	v_cndmask_b32_e64 v4, v4, 1, vcc
	v_mov_b32_dpp v7, v2 quad_perm:[2,3,0,1] row_mask:0xf bank_mask:0xf bound_ctrl:1
	v_mov_b32_dpp v6, v1 quad_perm:[2,3,0,1] row_mask:0xf bank_mask:0xf bound_ctrl:1
	v_and_b32_e32 v9, 1, v4
	v_cmp_lt_i64_e64 s[0:1], v[1:2], v[6:7]
	v_mov_b32_dpp v8, v4 quad_perm:[2,3,0,1] row_mask:0xf bank_mask:0xf bound_ctrl:1
	v_cmp_eq_u32_e32 vcc, 1, v9
	v_and_b32_e32 v8, 1, v8
	s_and_b64 vcc, vcc, s[0:1]
	v_cmp_eq_u32_e64 s[2:3], 1, v8
	v_cndmask_b32_e32 v6, v6, v1, vcc
	v_cndmask_b32_e32 v7, v7, v2, vcc
	v_cndmask_b32_e64 v1, v1, v6, s[2:3]
	v_cndmask_b32_e64 v2, v2, v7, s[2:3]
	;; [unrolled: 1-line block ×3, first 2 shown]
	v_mov_b32_dpp v6, v1 row_ror:4 row_mask:0xf bank_mask:0xf bound_ctrl:1
	v_mov_b32_dpp v7, v2 row_ror:4 row_mask:0xf bank_mask:0xf bound_ctrl:1
	v_and_b32_e32 v9, 1, v4
	v_cmp_lt_i64_e64 s[2:3], v[1:2], v[6:7]
	v_mov_b32_dpp v8, v4 row_ror:4 row_mask:0xf bank_mask:0xf bound_ctrl:1
	v_cmp_eq_u32_e32 vcc, 1, v9
	v_and_b32_e32 v8, 1, v8
	s_and_b64 vcc, vcc, s[2:3]
	v_cmp_eq_u32_e64 s[0:1], 1, v8
	v_cndmask_b32_e32 v6, v6, v1, vcc
	v_cndmask_b32_e32 v7, v7, v2, vcc
	v_cndmask_b32_e64 v1, v1, v6, s[0:1]
	v_cndmask_b32_e64 v2, v2, v7, s[0:1]
	;; [unrolled: 1-line block ×3, first 2 shown]
	v_mov_b32_dpp v6, v1 row_ror:8 row_mask:0xf bank_mask:0xf bound_ctrl:1
	v_mov_b32_dpp v7, v2 row_ror:8 row_mask:0xf bank_mask:0xf bound_ctrl:1
	v_and_b32_e32 v9, 1, v4
	v_cmp_lt_i64_e64 s[2:3], v[1:2], v[6:7]
	v_mov_b32_dpp v8, v4 row_ror:8 row_mask:0xf bank_mask:0xf bound_ctrl:1
	v_cmp_eq_u32_e64 s[8:9], 1, v9
	v_and_b32_e32 v8, 1, v8
	s_and_b64 s[2:3], s[8:9], s[2:3]
	v_cmp_eq_u32_e64 s[10:11], 1, v8
	v_cndmask_b32_e64 v6, v6, v1, s[2:3]
	v_cndmask_b32_e64 v7, v7, v2, s[2:3]
	;; [unrolled: 1-line block ×5, first 2 shown]
	v_mov_b32_dpp v8, v4 row_bcast:15 row_mask:0xf bank_mask:0xf bound_ctrl:1
	v_mov_b32_dpp v6, v1 row_bcast:15 row_mask:0xf bank_mask:0xf bound_ctrl:1
	;; [unrolled: 1-line block ×3, first 2 shown]
	v_and_b32_e32 v9, 1, v4
	v_and_b32_e32 v8, 1, v8
	v_cmp_lt_i64_e64 s[2:3], v[1:2], v[6:7]
	v_cmp_eq_u32_e32 vcc, 1, v9
	v_cmp_eq_u32_e64 s[0:1], 1, v8
	v_cndmask_b32_e64 v4, v4, 1, s[0:1]
	s_and_b64 vcc, vcc, s[2:3]
	v_cndmask_b32_e32 v6, v6, v1, vcc
	v_mov_b32_dpp v8, v4 row_bcast:31 row_mask:0xf bank_mask:0xf bound_ctrl:1
	v_cndmask_b32_e32 v7, v7, v2, vcc
	v_and_b32_e32 v9, 1, v4
	v_and_b32_e32 v8, 1, v8
	v_cndmask_b32_e64 v1, v1, v6, s[0:1]
	v_cndmask_b32_e64 v2, v2, v7, s[0:1]
	v_cmp_eq_u32_e64 s[12:13], 1, v9
	v_cmp_eq_u32_e64 s[8:9], 1, v8
	v_mov_b32_dpp v8, v1 row_bcast:31 row_mask:0xf bank_mask:0xf bound_ctrl:1
	v_mov_b32_dpp v9, v2 row_bcast:31 row_mask:0xf bank_mask:0xf bound_ctrl:1
	v_cmp_lt_i64_e32 vcc, v[1:2], v[8:9]
	v_cndmask_b32_e64 v4, v4, 1, s[8:9]
	s_and_b64 vcc, s[12:13], vcc
	ds_bpermute_b32 v7, v15, v4
	v_cndmask_b32_e32 v4, v8, v1, vcc
	v_cndmask_b32_e32 v6, v9, v2, vcc
	v_cndmask_b32_e64 v1, v1, v4, s[8:9]
	v_cndmask_b32_e64 v2, v2, v6, s[8:9]
	ds_bpermute_b32 v1, v15, v1
	ds_bpermute_b32 v2, v15, v2
	v_cmp_eq_u32_e32 vcc, 0, v3
	s_and_saveexec_b64 s[0:1], vcc
	s_cbranch_execz .LBB532_224
; %bb.223:
	v_lshrrev_b32_e32 v4, 2, v0
	v_and_b32_e32 v4, 16, v4
	s_waitcnt lgkmcnt(2)
	ds_write_b8 v4, v7 offset:32
	s_waitcnt lgkmcnt(1)
	ds_write_b64 v4, v[1:2] offset:40
.LBB532_224:
	s_or_b64 exec, exec, s[0:1]
	v_cmp_gt_u32_e32 vcc, 64, v0
	s_waitcnt lgkmcnt(0)
	s_barrier
	s_and_saveexec_b64 s[0:1], vcc
	s_cbranch_execz .LBB532_230
; %bb.225:
	v_and_b32_e32 v1, 1, v3
	v_lshlrev_b32_e32 v1, 4, v1
	ds_read_u8 v8, v1 offset:32
	ds_read_b64 v[3:4], v1 offset:40
	v_or_b32_e32 v2, 4, v5
	s_waitcnt lgkmcnt(1)
	v_and_b32_e32 v1, 0xff, v8
	ds_bpermute_b32 v9, v2, v1
	s_waitcnt lgkmcnt(1)
	ds_bpermute_b32 v5, v2, v3
	ds_bpermute_b32 v6, v2, v4
	s_waitcnt lgkmcnt(2)
	v_and_b32_e32 v1, v8, v9
	v_and_b32_e32 v1, 1, v1
	v_cmp_eq_u32_e32 vcc, 1, v1
                                        ; implicit-def: $vgpr1_vgpr2
	s_and_saveexec_b64 s[2:3], vcc
	s_xor_b64 s[2:3], exec, s[2:3]
	s_cbranch_execz .LBB532_227
; %bb.226:
	s_waitcnt lgkmcnt(0)
	v_cmp_lt_i64_e32 vcc, v[5:6], v[3:4]
                                        ; implicit-def: $vgpr8
                                        ; implicit-def: $vgpr9
	v_cndmask_b32_e32 v2, v4, v6, vcc
	v_cndmask_b32_e32 v1, v3, v5, vcc
                                        ; implicit-def: $vgpr5_vgpr6
                                        ; implicit-def: $vgpr3_vgpr4
.LBB532_227:
	s_or_saveexec_b64 s[2:3], s[2:3]
	v_mov_b32_e32 v7, 1
	s_xor_b64 exec, exec, s[2:3]
	s_cbranch_execz .LBB532_229
; %bb.228:
	v_and_b32_e32 v1, 1, v8
	v_cmp_eq_u32_e32 vcc, 1, v1
	s_waitcnt lgkmcnt(0)
	v_cndmask_b32_e32 v2, v6, v4, vcc
	v_cndmask_b32_e32 v1, v5, v3, vcc
	v_cndmask_b32_e64 v7, v9, 1, vcc
.LBB532_229:
	s_or_b64 exec, exec, s[2:3]
.LBB532_230:
	s_or_b64 exec, exec, s[0:1]
	s_branch .LBB532_285
.LBB532_231:
                                        ; implicit-def: $vgpr3_vgpr4
                                        ; implicit-def: $vgpr5
                                        ; implicit-def: $vgpr1_vgpr2
	s_cbranch_execnz .LBB532_290
	s_branch .LBB532_306
.LBB532_232:
                                        ; implicit-def: $vgpr3_vgpr4
                                        ; implicit-def: $vgpr5
                                        ; implicit-def: $vgpr1_vgpr2
	s_branch .LBB532_306
.LBB532_233:
                                        ; implicit-def: $vgpr1_vgpr2
                                        ; implicit-def: $vgpr7
	s_cbranch_execz .LBB532_285
; %bb.234:
	s_sub_i32 s10, s22, s30
	s_waitcnt lgkmcnt(0)
	v_mov_b32_e32 v3, 0
	v_mov_b32_e32 v1, 0
	v_cmp_gt_u32_e32 vcc, s10, v0
	v_mov_b32_e32 v6, 0
	v_mov_b32_e32 v4, 0
	;; [unrolled: 1-line block ×4, first 2 shown]
	s_and_saveexec_b64 s[0:1], vcc
	s_cbranch_execz .LBB532_236
; %bb.235:
	v_lshlrev_b32_e32 v1, 3, v0
	global_load_dwordx2 v[7:8], v1, s[16:17]
	global_load_dwordx2 v[9:10], v1, s[28:29]
	v_mov_b32_e32 v2, s34
	v_add_co_u32_e32 v1, vcc, s31, v0
	v_addc_co_u32_e32 v2, vcc, 0, v2, vcc
	s_waitcnt vmcnt(0)
	v_cmp_ne_u64_e32 vcc, v[7:8], v[9:10]
	v_cndmask_b32_e64 v5, 0, 1, vcc
.LBB532_236:
	s_or_b64 exec, exec, s[0:1]
	v_or_b32_e32 v7, 0x80, v0
	v_cmp_gt_u32_e32 vcc, s10, v7
	s_and_saveexec_b64 s[2:3], vcc
	s_cbranch_execz .LBB532_238
; %bb.237:
	v_lshlrev_b32_e32 v3, 3, v0
	global_load_dwordx2 v[8:9], v3, s[16:17] offset:1024
	global_load_dwordx2 v[10:11], v3, s[28:29] offset:1024
	v_mov_b32_e32 v4, s34
	v_add_co_u32_e64 v3, s[0:1], s31, v7
	v_addc_co_u32_e64 v4, s[0:1], 0, v4, s[0:1]
	s_waitcnt vmcnt(0)
	v_cmp_ne_u64_e64 s[0:1], v[8:9], v[10:11]
	v_cndmask_b32_e64 v6, 0, 1, s[0:1]
.LBB532_238:
	s_or_b64 exec, exec, s[2:3]
	v_and_b32_e32 v8, 0xffff, v6
	v_and_b32_e32 v6, 1, v6
	v_cmp_lt_i64_e64 s[2:3], v[3:4], v[1:2]
	v_and_b32_e32 v7, 0xffff, v5
	v_cmp_eq_u32_e64 s[0:1], 1, v6
	v_and_b32_e32 v5, 1, v5
	v_cmp_eq_u32_e64 s[8:9], 1, v5
	s_and_b64 s[0:1], s[0:1], s[2:3]
	v_cndmask_b32_e64 v5, v8, 1, s[8:9]
	v_cndmask_b32_e64 v8, v1, v3, s[0:1]
	;; [unrolled: 1-line block ×3, first 2 shown]
	v_cndmask_b32_e32 v1, v1, v3, vcc
	v_mbcnt_lo_u32_b32 v3, -1, 0
	v_cndmask_b32_e64 v6, v2, v4, s[0:1]
	v_cndmask_b32_e32 v7, v7, v5, vcc
	v_mbcnt_hi_u32_b32 v5, -1, v3
	v_cndmask_b32_e64 v4, v4, v6, s[8:9]
	v_and_b32_e32 v6, 63, v5
	v_cndmask_b32_e32 v2, v2, v4, vcc
	v_cmp_ne_u32_e32 vcc, 63, v6
	v_addc_co_u32_e32 v3, vcc, 0, v5, vcc
	v_lshlrev_b32_e32 v4, 2, v3
	ds_bpermute_b32 v9, v4, v7
	ds_bpermute_b32 v3, v4, v1
	;; [unrolled: 1-line block ×3, first 2 shown]
	s_min_u32 s8, s10, 0x80
	v_and_b32_e32 v8, 64, v0
	v_sub_u32_e64 v8, s8, v8 clamp
	v_add_u32_e32 v10, 1, v6
	v_cmp_lt_u32_e32 vcc, v10, v8
	s_and_saveexec_b64 s[0:1], vcc
	s_cbranch_execz .LBB532_244
; %bb.239:
	s_waitcnt lgkmcnt(2)
	v_and_b32_e32 v10, v9, v7
	v_cmp_ne_u32_e32 vcc, 0, v10
	s_and_saveexec_b64 s[2:3], vcc
	s_xor_b64 s[2:3], exec, s[2:3]
	s_cbranch_execz .LBB532_241
; %bb.240:
	s_waitcnt lgkmcnt(0)
	v_cmp_lt_i64_e32 vcc, v[3:4], v[1:2]
                                        ; implicit-def: $vgpr7
                                        ; implicit-def: $vgpr9
	v_cndmask_b32_e32 v2, v2, v4, vcc
	v_cndmask_b32_e32 v1, v1, v3, vcc
                                        ; implicit-def: $vgpr3_vgpr4
.LBB532_241:
	s_or_saveexec_b64 s[2:3], s[2:3]
	v_mov_b32_e32 v10, 1
	s_xor_b64 exec, exec, s[2:3]
	s_cbranch_execz .LBB532_243
; %bb.242:
	v_and_b32_e32 v7, 1, v7
	v_cmp_eq_u32_e32 vcc, 1, v7
	s_waitcnt lgkmcnt(1)
	v_cndmask_b32_e32 v1, v3, v1, vcc
	v_and_b32_e32 v3, 0xff, v9
	s_waitcnt lgkmcnt(0)
	v_cndmask_b32_e32 v2, v4, v2, vcc
	v_cndmask_b32_e64 v10, v3, 1, vcc
.LBB532_243:
	s_or_b64 exec, exec, s[2:3]
	v_mov_b32_e32 v7, v10
.LBB532_244:
	s_or_b64 exec, exec, s[0:1]
	v_cmp_gt_u32_e32 vcc, 62, v6
	s_waitcnt lgkmcnt(1)
	v_cndmask_b32_e64 v3, 0, 2, vcc
	s_waitcnt lgkmcnt(0)
	v_add_lshl_u32 v4, v3, v5, 2
	ds_bpermute_b32 v9, v4, v7
	ds_bpermute_b32 v3, v4, v1
	ds_bpermute_b32 v4, v4, v2
	v_add_u32_e32 v10, 2, v6
	v_cmp_lt_u32_e32 vcc, v10, v8
	s_and_saveexec_b64 s[0:1], vcc
	s_cbranch_execz .LBB532_250
; %bb.245:
	s_waitcnt lgkmcnt(2)
	v_and_b32_e32 v10, v7, v9
	v_and_b32_e32 v10, 1, v10
	v_cmp_eq_u32_e32 vcc, 1, v10
	s_and_saveexec_b64 s[2:3], vcc
	s_xor_b64 s[2:3], exec, s[2:3]
	s_cbranch_execz .LBB532_247
; %bb.246:
	s_waitcnt lgkmcnt(0)
	v_cmp_lt_i64_e32 vcc, v[3:4], v[1:2]
                                        ; implicit-def: $vgpr7
                                        ; implicit-def: $vgpr9
	v_cndmask_b32_e32 v2, v2, v4, vcc
	v_cndmask_b32_e32 v1, v1, v3, vcc
                                        ; implicit-def: $vgpr3_vgpr4
.LBB532_247:
	s_or_saveexec_b64 s[2:3], s[2:3]
	v_mov_b32_e32 v10, 1
	s_xor_b64 exec, exec, s[2:3]
	s_cbranch_execz .LBB532_249
; %bb.248:
	v_and_b32_e32 v7, 1, v7
	v_cmp_eq_u32_e32 vcc, 1, v7
	s_waitcnt lgkmcnt(1)
	v_cndmask_b32_e32 v1, v3, v1, vcc
	v_and_b32_e32 v3, 0xff, v9
	s_waitcnt lgkmcnt(0)
	v_cndmask_b32_e32 v2, v4, v2, vcc
	v_cndmask_b32_e64 v10, v3, 1, vcc
.LBB532_249:
	s_or_b64 exec, exec, s[2:3]
	v_mov_b32_e32 v7, v10
.LBB532_250:
	s_or_b64 exec, exec, s[0:1]
	v_cmp_gt_u32_e32 vcc, 60, v6
	s_waitcnt lgkmcnt(1)
	v_cndmask_b32_e64 v3, 0, 4, vcc
	s_waitcnt lgkmcnt(0)
	v_add_lshl_u32 v4, v3, v5, 2
	ds_bpermute_b32 v9, v4, v7
	ds_bpermute_b32 v3, v4, v1
	ds_bpermute_b32 v4, v4, v2
	v_add_u32_e32 v10, 4, v6
	v_cmp_lt_u32_e32 vcc, v10, v8
	s_and_saveexec_b64 s[0:1], vcc
	s_cbranch_execz .LBB532_256
; %bb.251:
	s_waitcnt lgkmcnt(2)
	v_and_b32_e32 v10, v7, v9
	v_and_b32_e32 v10, 1, v10
	v_cmp_eq_u32_e32 vcc, 1, v10
	s_and_saveexec_b64 s[2:3], vcc
	s_xor_b64 s[2:3], exec, s[2:3]
	s_cbranch_execz .LBB532_253
; %bb.252:
	s_waitcnt lgkmcnt(0)
	v_cmp_lt_i64_e32 vcc, v[3:4], v[1:2]
                                        ; implicit-def: $vgpr7
                                        ; implicit-def: $vgpr9
	v_cndmask_b32_e32 v2, v2, v4, vcc
	v_cndmask_b32_e32 v1, v1, v3, vcc
                                        ; implicit-def: $vgpr3_vgpr4
.LBB532_253:
	s_or_saveexec_b64 s[2:3], s[2:3]
	v_mov_b32_e32 v10, 1
	s_xor_b64 exec, exec, s[2:3]
	s_cbranch_execz .LBB532_255
; %bb.254:
	v_and_b32_e32 v7, 1, v7
	v_cmp_eq_u32_e32 vcc, 1, v7
	s_waitcnt lgkmcnt(1)
	v_cndmask_b32_e32 v1, v3, v1, vcc
	v_and_b32_e32 v3, 0xff, v9
	s_waitcnt lgkmcnt(0)
	v_cndmask_b32_e32 v2, v4, v2, vcc
	v_cndmask_b32_e64 v10, v3, 1, vcc
.LBB532_255:
	s_or_b64 exec, exec, s[2:3]
	v_mov_b32_e32 v7, v10
.LBB532_256:
	;; [unrolled: 47-line block ×4, first 2 shown]
	s_or_b64 exec, exec, s[0:1]
	s_waitcnt lgkmcnt(2)
	v_lshlrev_b32_e32 v9, 2, v5
	s_waitcnt lgkmcnt(0)
	v_or_b32_e32 v4, 0x80, v9
	ds_bpermute_b32 v10, v4, v7
	ds_bpermute_b32 v3, v4, v1
	;; [unrolled: 1-line block ×3, first 2 shown]
	v_add_u32_e32 v6, 32, v6
	v_cmp_lt_u32_e32 vcc, v6, v8
	v_mov_b32_e32 v6, v7
	s_and_saveexec_b64 s[0:1], vcc
	s_cbranch_execz .LBB532_274
; %bb.269:
	s_waitcnt lgkmcnt(2)
	v_and_b32_e32 v6, v7, v10
	v_and_b32_e32 v6, 1, v6
	v_cmp_eq_u32_e32 vcc, 1, v6
	s_and_saveexec_b64 s[2:3], vcc
	s_xor_b64 s[2:3], exec, s[2:3]
	s_cbranch_execz .LBB532_271
; %bb.270:
	s_waitcnt lgkmcnt(0)
	v_cmp_lt_i64_e32 vcc, v[3:4], v[1:2]
                                        ; implicit-def: $vgpr7
                                        ; implicit-def: $vgpr10
	v_cndmask_b32_e32 v2, v2, v4, vcc
	v_cndmask_b32_e32 v1, v1, v3, vcc
                                        ; implicit-def: $vgpr3_vgpr4
.LBB532_271:
	s_or_saveexec_b64 s[2:3], s[2:3]
	v_mov_b32_e32 v6, 1
	s_xor_b64 exec, exec, s[2:3]
	s_cbranch_execz .LBB532_273
; %bb.272:
	v_and_b32_e32 v6, 1, v7
	v_cmp_eq_u32_e32 vcc, 1, v6
	v_cndmask_b32_e64 v6, v10, 1, vcc
	s_waitcnt lgkmcnt(0)
	v_cndmask_b32_e32 v2, v4, v2, vcc
	v_cndmask_b32_e32 v1, v3, v1, vcc
.LBB532_273:
	s_or_b64 exec, exec, s[2:3]
	v_and_b32_e32 v7, 0xff, v6
.LBB532_274:
	s_or_b64 exec, exec, s[0:1]
	v_cmp_eq_u32_e32 vcc, 0, v5
	s_and_saveexec_b64 s[0:1], vcc
	s_cbranch_execz .LBB532_276
; %bb.275:
	s_waitcnt lgkmcnt(1)
	v_lshrrev_b32_e32 v3, 2, v0
	v_and_b32_e32 v3, 16, v3
	ds_write_b8 v3, v6 offset:128
	ds_write_b64 v3, v[1:2] offset:136
.LBB532_276:
	s_or_b64 exec, exec, s[0:1]
	v_cmp_gt_u32_e32 vcc, 2, v0
	s_waitcnt lgkmcnt(0)
	s_barrier
	s_and_saveexec_b64 s[0:1], vcc
	s_cbranch_execz .LBB532_284
; %bb.277:
	v_lshlrev_b32_e32 v1, 4, v5
	ds_read_u8 v6, v1 offset:128
	ds_read_b64 v[1:2], v1 offset:136
	v_or_b32_e32 v4, 4, v9
	s_add_i32 s8, s8, 63
	v_and_b32_e32 v5, 1, v5
	s_waitcnt lgkmcnt(1)
	v_and_b32_e32 v7, 0xff, v6
	s_waitcnt lgkmcnt(0)
	ds_bpermute_b32 v3, v4, v1
	ds_bpermute_b32 v8, v4, v7
	;; [unrolled: 1-line block ×3, first 2 shown]
	s_lshr_b32 s2, s8, 6
	v_add_u32_e32 v5, 1, v5
	v_cmp_gt_u32_e32 vcc, s2, v5
	s_and_saveexec_b64 s[2:3], vcc
	s_cbranch_execz .LBB532_283
; %bb.278:
	s_waitcnt lgkmcnt(1)
	v_and_b32_e32 v5, v7, v8
	v_and_b32_e32 v5, 1, v5
	v_cmp_eq_u32_e32 vcc, 1, v5
	s_and_saveexec_b64 s[8:9], vcc
	s_xor_b64 s[8:9], exec, s[8:9]
	s_cbranch_execz .LBB532_280
; %bb.279:
	s_waitcnt lgkmcnt(0)
	v_cmp_lt_i64_e32 vcc, v[3:4], v[1:2]
                                        ; implicit-def: $vgpr6
                                        ; implicit-def: $vgpr8
	v_cndmask_b32_e32 v2, v2, v4, vcc
	v_cndmask_b32_e32 v1, v1, v3, vcc
                                        ; implicit-def: $vgpr3_vgpr4
.LBB532_280:
	s_or_saveexec_b64 s[8:9], s[8:9]
	v_mov_b32_e32 v7, 1
	s_xor_b64 exec, exec, s[8:9]
	s_cbranch_execz .LBB532_282
; %bb.281:
	v_and_b32_e32 v5, 1, v6
	v_cmp_eq_u32_e32 vcc, 1, v5
	s_waitcnt lgkmcnt(0)
	v_cndmask_b32_e32 v2, v4, v2, vcc
	v_cndmask_b32_e32 v1, v3, v1, vcc
	v_cndmask_b32_e64 v7, v8, 1, vcc
.LBB532_282:
	s_or_b64 exec, exec, s[8:9]
.LBB532_283:
	s_or_b64 exec, exec, s[2:3]
.LBB532_284:
	s_or_b64 exec, exec, s[0:1]
.LBB532_285:
	v_cmp_eq_u32_e32 vcc, 0, v0
                                        ; implicit-def: $vgpr3_vgpr4
                                        ; implicit-def: $vgpr5
	s_and_saveexec_b64 s[0:1], vcc
	s_xor_b64 s[8:9], exec, s[0:1]
	s_cbranch_execz .LBB532_289
; %bb.286:
	s_waitcnt lgkmcnt(0)
	v_mov_b32_e32 v3, s18
	s_cmp_eq_u64 s[22:23], 0
	v_mov_b32_e32 v4, s19
	v_mov_b32_e32 v5, s33
	s_cbranch_scc1 .LBB532_288
; %bb.287:
	v_and_b32_e32 v3, 1, v7
	v_cmp_gt_i64_e64 s[0:1], s[18:19], v[1:2]
	s_bitcmp1_b32 s33, 0
	v_cmp_eq_u32_e32 vcc, 1, v3
	s_cselect_b64 s[2:3], -1, 0
	v_mov_b32_e32 v3, s18
	s_and_b64 vcc, vcc, s[0:1]
	v_mov_b32_e32 v4, s19
	v_cndmask_b32_e32 v3, v3, v1, vcc
	v_cndmask_b32_e32 v4, v4, v2, vcc
	v_cndmask_b32_e64 v5, v7, 1, s[2:3]
	v_cndmask_b32_e64 v4, v2, v4, s[2:3]
	;; [unrolled: 1-line block ×3, first 2 shown]
.LBB532_288:
	s_or_b64 s[14:15], s[14:15], exec
.LBB532_289:
	s_or_b64 exec, exec, s[8:9]
	v_mov_b32_e32 v1, s6
	v_mov_b32_e32 v2, s7
	s_branch .LBB532_306
.LBB532_290:
	s_cmp_eq_u32 s38, 1
	s_cbranch_scc0 .LBB532_305
; %bb.291:
	s_mov_b32 s9, 0
	s_lshl_b32 s8, s6, 7
	s_mov_b32 s7, s9
	s_lshr_b64 s[0:1], s[22:23], 7
	s_cmp_lg_u64 s[0:1], s[6:7]
	s_cbranch_scc0 .LBB532_309
; %bb.292:
	s_lshl_b64 s[0:1], s[8:9], 3
	s_add_u32 s2, s24, s0
	s_addc_u32 s3, s25, s1
	s_add_u32 s0, s26, s0
	s_waitcnt lgkmcnt(1)
	v_lshlrev_b32_e32 v5, 3, v0
	s_addc_u32 s1, s27, s1
	global_load_dwordx2 v[1:2], v5, s[2:3]
	s_waitcnt lgkmcnt(0)
	global_load_dwordx2 v[3:4], v5, s[0:1]
	s_add_u32 s0, s20, s8
	s_addc_u32 s1, s21, 0
	v_mov_b32_e32 v6, s1
	v_add_co_u32_e32 v5, vcc, s0, v0
	v_addc_co_u32_e32 v6, vcc, 0, v6, vcc
	s_nop 0
	v_mov_b32_dpp v7, v5 quad_perm:[1,0,3,2] row_mask:0xf bank_mask:0xf bound_ctrl:1
	v_mov_b32_dpp v8, v6 quad_perm:[1,0,3,2] row_mask:0xf bank_mask:0xf bound_ctrl:1
	v_cmp_lt_i64_e32 vcc, v[5:6], v[7:8]
	s_waitcnt vmcnt(0)
	v_cmp_ne_u64_e64 s[0:1], v[1:2], v[3:4]
	v_cndmask_b32_e64 v1, 0, 1, s[0:1]
	s_and_b64 vcc, s[0:1], vcc
	s_nop 0
	v_mov_b32_dpp v1, v1 quad_perm:[1,0,3,2] row_mask:0xf bank_mask:0xf bound_ctrl:1
	v_and_b32_e32 v1, 1, v1
	v_cndmask_b32_e32 v2, v7, v5, vcc
	v_cndmask_b32_e32 v3, v8, v6, vcc
	v_cmp_eq_u32_e32 vcc, 1, v1
	s_or_b64 s[0:1], vcc, s[0:1]
	v_cndmask_b32_e64 v1, 0, 1, s[0:1]
	v_cndmask_b32_e32 v4, v6, v3, vcc
	v_cndmask_b32_e32 v3, v5, v2, vcc
	v_mov_b32_dpp v1, v1 quad_perm:[2,3,0,1] row_mask:0xf bank_mask:0xf bound_ctrl:1
	v_and_b32_e32 v1, 1, v1
	v_cmp_eq_u32_e32 vcc, 1, v1
	s_and_b64 s[2:3], vcc, s[0:1]
	v_mov_b32_dpp v5, v3 quad_perm:[2,3,0,1] row_mask:0xf bank_mask:0xf bound_ctrl:1
	v_mov_b32_dpp v6, v4 quad_perm:[2,3,0,1] row_mask:0xf bank_mask:0xf bound_ctrl:1
	s_xor_b64 s[2:3], s[2:3], -1
                                        ; implicit-def: $vgpr1_vgpr2
                                        ; implicit-def: $vgpr7
	s_and_saveexec_b64 s[10:11], s[2:3]
	s_xor_b64 s[2:3], exec, s[10:11]
; %bb.293:
	s_or_b64 s[0:1], vcc, s[0:1]
	v_cndmask_b32_e32 v2, v4, v6, vcc
	v_cndmask_b32_e32 v1, v3, v5, vcc
	v_cndmask_b32_e64 v7, 0, 1, s[0:1]
                                        ; implicit-def: $vgpr3_vgpr4
                                        ; implicit-def: $vgpr5_vgpr6
; %bb.294:
	s_andn2_saveexec_b64 s[0:1], s[2:3]
; %bb.295:
	v_cmp_lt_i64_e32 vcc, v[3:4], v[5:6]
	v_mov_b32_e32 v7, 1
	v_cndmask_b32_e32 v2, v6, v4, vcc
	v_cndmask_b32_e32 v1, v5, v3, vcc
; %bb.296:
	s_or_b64 exec, exec, s[0:1]
	s_nop 0
	v_mov_b32_dpp v4, v1 row_ror:4 row_mask:0xf bank_mask:0xf bound_ctrl:1
	v_mov_b32_dpp v5, v2 row_ror:4 row_mask:0xf bank_mask:0xf bound_ctrl:1
	v_and_b32_e32 v8, 1, v7
	v_cmp_lt_i64_e64 s[0:1], v[1:2], v[4:5]
	v_mov_b32_dpp v6, v7 row_ror:4 row_mask:0xf bank_mask:0xf bound_ctrl:1
	v_cmp_eq_u32_e32 vcc, 1, v8
	v_and_b32_e32 v6, 1, v6
	s_and_b64 vcc, vcc, s[0:1]
	v_cmp_eq_u32_e64 s[2:3], 1, v6
	v_cndmask_b32_e32 v4, v4, v1, vcc
	v_cndmask_b32_e32 v5, v5, v2, vcc
	v_cndmask_b32_e64 v2, v2, v5, s[2:3]
	v_cndmask_b32_e64 v1, v1, v4, s[2:3]
	;; [unrolled: 1-line block ×3, first 2 shown]
	v_mov_b32_dpp v5, v2 row_ror:8 row_mask:0xf bank_mask:0xf bound_ctrl:1
	v_mov_b32_dpp v4, v1 row_ror:8 row_mask:0xf bank_mask:0xf bound_ctrl:1
	v_and_b32_e32 v8, 1, v6
	v_cmp_lt_i64_e64 s[0:1], v[1:2], v[4:5]
	v_mov_b32_dpp v7, v6 row_ror:8 row_mask:0xf bank_mask:0xf bound_ctrl:1
	v_cmp_eq_u32_e32 vcc, 1, v8
	v_and_b32_e32 v7, 1, v7
	s_and_b64 vcc, vcc, s[0:1]
	v_cmp_eq_u32_e64 s[2:3], 1, v7
	v_cndmask_b32_e32 v4, v4, v1, vcc
	v_cndmask_b32_e32 v5, v5, v2, vcc
	v_cndmask_b32_e64 v2, v2, v5, s[2:3]
	v_cndmask_b32_e64 v1, v1, v4, s[2:3]
	;; [unrolled: 1-line block ×3, first 2 shown]
	v_mov_b32_dpp v5, v2 row_bcast:15 row_mask:0xf bank_mask:0xf bound_ctrl:1
	v_mov_b32_dpp v4, v1 row_bcast:15 row_mask:0xf bank_mask:0xf bound_ctrl:1
	v_and_b32_e32 v8, 1, v6
	v_cmp_lt_i64_e64 s[0:1], v[1:2], v[4:5]
	v_mov_b32_dpp v7, v6 row_bcast:15 row_mask:0xf bank_mask:0xf bound_ctrl:1
	v_cmp_eq_u32_e32 vcc, 1, v8
	v_and_b32_e32 v7, 1, v7
	s_and_b64 vcc, vcc, s[0:1]
	v_cmp_eq_u32_e64 s[2:3], 1, v7
	v_cndmask_b32_e32 v4, v4, v1, vcc
	v_cndmask_b32_e32 v5, v5, v2, vcc
	v_cndmask_b32_e64 v2, v2, v5, s[2:3]
	v_cndmask_b32_e64 v1, v1, v4, s[2:3]
	;; [unrolled: 1-line block ×3, first 2 shown]
	v_mov_b32_dpp v5, v2 row_bcast:31 row_mask:0xf bank_mask:0xf bound_ctrl:1
	v_mov_b32_dpp v4, v1 row_bcast:31 row_mask:0xf bank_mask:0xf bound_ctrl:1
	v_and_b32_e32 v8, 1, v6
	v_cmp_lt_i64_e64 s[0:1], v[1:2], v[4:5]
	v_mov_b32_dpp v7, v6 row_bcast:31 row_mask:0xf bank_mask:0xf bound_ctrl:1
	v_cmp_eq_u32_e32 vcc, 1, v8
	v_mbcnt_lo_u32_b32 v3, -1, 0
	v_and_b32_e32 v7, 1, v7
	s_and_b64 vcc, vcc, s[0:1]
	v_mbcnt_hi_u32_b32 v3, -1, v3
	v_cmp_eq_u32_e64 s[2:3], 1, v7
	v_cndmask_b32_e32 v5, v5, v2, vcc
	v_cndmask_b32_e32 v4, v4, v1, vcc
	v_cndmask_b32_e64 v2, v2, v5, s[2:3]
	v_lshlrev_b32_e32 v5, 2, v3
	v_cndmask_b32_e64 v6, v6, 1, s[2:3]
	v_cndmask_b32_e64 v1, v1, v4, s[2:3]
	v_or_b32_e32 v4, 0xfc, v5
	ds_bpermute_b32 v7, v4, v6
	ds_bpermute_b32 v1, v4, v1
	;; [unrolled: 1-line block ×3, first 2 shown]
	v_cmp_eq_u32_e32 vcc, 0, v3
	s_and_saveexec_b64 s[0:1], vcc
	s_cbranch_execz .LBB532_298
; %bb.297:
	v_lshrrev_b32_e32 v4, 2, v0
	v_and_b32_e32 v4, 16, v4
	s_waitcnt lgkmcnt(2)
	ds_write_b8 v4, v7
	s_waitcnt lgkmcnt(1)
	ds_write_b64 v4, v[1:2] offset:8
.LBB532_298:
	s_or_b64 exec, exec, s[0:1]
	v_cmp_gt_u32_e32 vcc, 64, v0
	s_waitcnt lgkmcnt(0)
	s_barrier
	s_and_saveexec_b64 s[0:1], vcc
	s_cbranch_execz .LBB532_304
; %bb.299:
	v_and_b32_e32 v1, 1, v3
	v_lshlrev_b32_e32 v1, 4, v1
	ds_read_u8 v8, v1
	ds_read_b64 v[3:4], v1 offset:8
	v_or_b32_e32 v2, 4, v5
	s_waitcnt lgkmcnt(1)
	v_and_b32_e32 v1, 0xff, v8
	ds_bpermute_b32 v9, v2, v1
	s_waitcnt lgkmcnt(1)
	ds_bpermute_b32 v5, v2, v3
	ds_bpermute_b32 v6, v2, v4
	s_waitcnt lgkmcnt(2)
	v_and_b32_e32 v1, v8, v9
	v_and_b32_e32 v1, 1, v1
	v_cmp_eq_u32_e32 vcc, 1, v1
                                        ; implicit-def: $vgpr1_vgpr2
	s_and_saveexec_b64 s[2:3], vcc
	s_xor_b64 s[2:3], exec, s[2:3]
	s_cbranch_execz .LBB532_301
; %bb.300:
	s_waitcnt lgkmcnt(0)
	v_cmp_lt_i64_e32 vcc, v[5:6], v[3:4]
                                        ; implicit-def: $vgpr8
                                        ; implicit-def: $vgpr9
	v_cndmask_b32_e32 v2, v4, v6, vcc
	v_cndmask_b32_e32 v1, v3, v5, vcc
                                        ; implicit-def: $vgpr5_vgpr6
                                        ; implicit-def: $vgpr3_vgpr4
.LBB532_301:
	s_or_saveexec_b64 s[2:3], s[2:3]
	v_mov_b32_e32 v7, 1
	s_xor_b64 exec, exec, s[2:3]
	s_cbranch_execz .LBB532_303
; %bb.302:
	v_and_b32_e32 v1, 1, v8
	v_cmp_eq_u32_e32 vcc, 1, v1
	s_waitcnt lgkmcnt(0)
	v_cndmask_b32_e32 v2, v6, v4, vcc
	v_cndmask_b32_e32 v1, v5, v3, vcc
	v_cndmask_b32_e64 v7, v9, 1, vcc
.LBB532_303:
	s_or_b64 exec, exec, s[2:3]
.LBB532_304:
	s_or_b64 exec, exec, s[0:1]
	s_branch .LBB532_359
.LBB532_305:
                                        ; implicit-def: $vgpr3_vgpr4
                                        ; implicit-def: $vgpr5
                                        ; implicit-def: $vgpr1_vgpr2
.LBB532_306:
	s_and_saveexec_b64 s[0:1], s[14:15]
	s_cbranch_execz .LBB532_308
.LBB532_307:
	s_load_dwordx2 s[0:1], s[4:5], 0x38
	v_lshlrev_b64 v[0:1], 4, v[1:2]
	s_waitcnt lgkmcnt(0)
	v_mov_b32_e32 v2, s1
	v_add_co_u32_e32 v0, vcc, s0, v0
	v_addc_co_u32_e32 v1, vcc, v2, v1, vcc
	global_store_byte v[0:1], v5, off
	global_store_dwordx2 v[0:1], v[3:4], off offset:8
.LBB532_308:
	s_endpgm
.LBB532_309:
                                        ; implicit-def: $vgpr1_vgpr2
                                        ; implicit-def: $vgpr7
	s_cbranch_execz .LBB532_359
; %bb.310:
	s_sub_i32 s2, s22, s8
	v_mov_b32_e32 v1, 0
	v_cmp_gt_u32_e32 vcc, s2, v0
	v_mov_b32_e32 v2, 0
	v_mov_b32_e32 v9, 0
	s_and_saveexec_b64 s[0:1], vcc
	s_cbranch_execz .LBB532_312
; %bb.311:
	s_lshl_b64 s[10:11], s[8:9], 3
	s_add_u32 s12, s26, s10
	s_addc_u32 s13, s27, s11
	s_add_u32 s10, s24, s10
	s_addc_u32 s11, s25, s11
	v_lshlrev_b32_e32 v1, 3, v0
	s_waitcnt lgkmcnt(0)
	global_load_dwordx2 v[3:4], v1, s[10:11]
	global_load_dwordx2 v[5:6], v1, s[12:13]
	s_add_u32 s3, s20, s8
	s_addc_u32 s8, s21, 0
	v_mov_b32_e32 v2, s8
	v_add_co_u32_e32 v1, vcc, s3, v0
	v_addc_co_u32_e32 v2, vcc, 0, v2, vcc
	s_waitcnt vmcnt(0)
	v_cmp_ne_u64_e32 vcc, v[3:4], v[5:6]
	v_cndmask_b32_e64 v9, 0, 1, vcc
.LBB532_312:
	s_or_b64 exec, exec, s[0:1]
	s_waitcnt lgkmcnt(2)
	v_mbcnt_lo_u32_b32 v3, -1, 0
	s_waitcnt lgkmcnt(1)
	v_mbcnt_hi_u32_b32 v5, -1, v3
	s_waitcnt lgkmcnt(0)
	v_and_b32_e32 v6, 63, v5
	v_cmp_ne_u32_e32 vcc, 63, v6
	v_addc_co_u32_e32 v3, vcc, 0, v5, vcc
	v_and_b32_e32 v7, 0xffff, v9
	v_lshlrev_b32_e32 v4, 2, v3
	ds_bpermute_b32 v10, v4, v7
	ds_bpermute_b32 v3, v4, v1
	;; [unrolled: 1-line block ×3, first 2 shown]
	s_min_u32 s8, s2, 0x80
	v_and_b32_e32 v8, 64, v0
	v_sub_u32_e64 v8, s8, v8 clamp
	v_add_u32_e32 v11, 1, v6
	v_cmp_lt_u32_e32 vcc, v11, v8
	s_and_saveexec_b64 s[0:1], vcc
	s_cbranch_execz .LBB532_318
; %bb.313:
	s_waitcnt lgkmcnt(2)
	v_and_b32_e32 v7, v10, v7
	v_and_b32_e32 v7, 1, v7
	v_cmp_eq_u32_e32 vcc, 1, v7
	s_and_saveexec_b64 s[2:3], vcc
	s_xor_b64 s[2:3], exec, s[2:3]
	s_cbranch_execz .LBB532_315
; %bb.314:
	s_waitcnt lgkmcnt(0)
	v_cmp_lt_i64_e32 vcc, v[3:4], v[1:2]
                                        ; implicit-def: $vgpr9
                                        ; implicit-def: $vgpr10
	v_cndmask_b32_e32 v2, v2, v4, vcc
	v_cndmask_b32_e32 v1, v1, v3, vcc
                                        ; implicit-def: $vgpr3_vgpr4
.LBB532_315:
	s_or_saveexec_b64 s[2:3], s[2:3]
	v_mov_b32_e32 v7, 1
	s_xor_b64 exec, exec, s[2:3]
	s_cbranch_execz .LBB532_317
; %bb.316:
	v_and_b32_e32 v7, 1, v9
	v_cmp_eq_u32_e32 vcc, 1, v7
	s_waitcnt lgkmcnt(1)
	v_cndmask_b32_e32 v1, v3, v1, vcc
	v_and_b32_e32 v3, 0xff, v10
	s_waitcnt lgkmcnt(0)
	v_cndmask_b32_e32 v2, v4, v2, vcc
	v_cndmask_b32_e64 v7, v3, 1, vcc
.LBB532_317:
	s_or_b64 exec, exec, s[2:3]
.LBB532_318:
	s_or_b64 exec, exec, s[0:1]
	v_cmp_gt_u32_e32 vcc, 62, v6
	s_waitcnt lgkmcnt(1)
	v_cndmask_b32_e64 v3, 0, 2, vcc
	s_waitcnt lgkmcnt(0)
	v_add_lshl_u32 v4, v3, v5, 2
	ds_bpermute_b32 v9, v4, v7
	ds_bpermute_b32 v3, v4, v1
	ds_bpermute_b32 v4, v4, v2
	v_add_u32_e32 v10, 2, v6
	v_cmp_lt_u32_e32 vcc, v10, v8
	s_and_saveexec_b64 s[0:1], vcc
	s_cbranch_execz .LBB532_324
; %bb.319:
	s_waitcnt lgkmcnt(2)
	v_and_b32_e32 v10, v7, v9
	v_and_b32_e32 v10, 1, v10
	v_cmp_eq_u32_e32 vcc, 1, v10
	s_and_saveexec_b64 s[2:3], vcc
	s_xor_b64 s[2:3], exec, s[2:3]
	s_cbranch_execz .LBB532_321
; %bb.320:
	s_waitcnt lgkmcnt(0)
	v_cmp_lt_i64_e32 vcc, v[3:4], v[1:2]
                                        ; implicit-def: $vgpr7
                                        ; implicit-def: $vgpr9
	v_cndmask_b32_e32 v2, v2, v4, vcc
	v_cndmask_b32_e32 v1, v1, v3, vcc
                                        ; implicit-def: $vgpr3_vgpr4
.LBB532_321:
	s_or_saveexec_b64 s[2:3], s[2:3]
	v_mov_b32_e32 v10, 1
	s_xor_b64 exec, exec, s[2:3]
	s_cbranch_execz .LBB532_323
; %bb.322:
	v_and_b32_e32 v7, 1, v7
	v_cmp_eq_u32_e32 vcc, 1, v7
	s_waitcnt lgkmcnt(1)
	v_cndmask_b32_e32 v1, v3, v1, vcc
	v_and_b32_e32 v3, 0xff, v9
	s_waitcnt lgkmcnt(0)
	v_cndmask_b32_e32 v2, v4, v2, vcc
	v_cndmask_b32_e64 v10, v3, 1, vcc
.LBB532_323:
	s_or_b64 exec, exec, s[2:3]
	v_mov_b32_e32 v7, v10
.LBB532_324:
	s_or_b64 exec, exec, s[0:1]
	v_cmp_gt_u32_e32 vcc, 60, v6
	s_waitcnt lgkmcnt(1)
	v_cndmask_b32_e64 v3, 0, 4, vcc
	s_waitcnt lgkmcnt(0)
	v_add_lshl_u32 v4, v3, v5, 2
	ds_bpermute_b32 v9, v4, v7
	ds_bpermute_b32 v3, v4, v1
	ds_bpermute_b32 v4, v4, v2
	v_add_u32_e32 v10, 4, v6
	v_cmp_lt_u32_e32 vcc, v10, v8
	s_and_saveexec_b64 s[0:1], vcc
	s_cbranch_execz .LBB532_330
; %bb.325:
	s_waitcnt lgkmcnt(2)
	v_and_b32_e32 v10, v7, v9
	v_and_b32_e32 v10, 1, v10
	v_cmp_eq_u32_e32 vcc, 1, v10
	s_and_saveexec_b64 s[2:3], vcc
	s_xor_b64 s[2:3], exec, s[2:3]
	s_cbranch_execz .LBB532_327
; %bb.326:
	s_waitcnt lgkmcnt(0)
	v_cmp_lt_i64_e32 vcc, v[3:4], v[1:2]
                                        ; implicit-def: $vgpr7
                                        ; implicit-def: $vgpr9
	v_cndmask_b32_e32 v2, v2, v4, vcc
	v_cndmask_b32_e32 v1, v1, v3, vcc
                                        ; implicit-def: $vgpr3_vgpr4
.LBB532_327:
	s_or_saveexec_b64 s[2:3], s[2:3]
	v_mov_b32_e32 v10, 1
	s_xor_b64 exec, exec, s[2:3]
	s_cbranch_execz .LBB532_329
; %bb.328:
	v_and_b32_e32 v7, 1, v7
	v_cmp_eq_u32_e32 vcc, 1, v7
	s_waitcnt lgkmcnt(1)
	v_cndmask_b32_e32 v1, v3, v1, vcc
	v_and_b32_e32 v3, 0xff, v9
	s_waitcnt lgkmcnt(0)
	v_cndmask_b32_e32 v2, v4, v2, vcc
	v_cndmask_b32_e64 v10, v3, 1, vcc
.LBB532_329:
	s_or_b64 exec, exec, s[2:3]
	v_mov_b32_e32 v7, v10
.LBB532_330:
	s_or_b64 exec, exec, s[0:1]
	v_cmp_gt_u32_e32 vcc, 56, v6
	s_waitcnt lgkmcnt(1)
	v_cndmask_b32_e64 v3, 0, 8, vcc
	s_waitcnt lgkmcnt(0)
	v_add_lshl_u32 v4, v3, v5, 2
	ds_bpermute_b32 v9, v4, v7
	ds_bpermute_b32 v3, v4, v1
	ds_bpermute_b32 v4, v4, v2
	v_add_u32_e32 v10, 8, v6
	v_cmp_lt_u32_e32 vcc, v10, v8
	s_and_saveexec_b64 s[0:1], vcc
	s_cbranch_execz .LBB532_336
; %bb.331:
	s_waitcnt lgkmcnt(2)
	v_and_b32_e32 v10, v7, v9
	v_and_b32_e32 v10, 1, v10
	v_cmp_eq_u32_e32 vcc, 1, v10
	s_and_saveexec_b64 s[2:3], vcc
	s_xor_b64 s[2:3], exec, s[2:3]
	s_cbranch_execz .LBB532_333
; %bb.332:
	s_waitcnt lgkmcnt(0)
	v_cmp_lt_i64_e32 vcc, v[3:4], v[1:2]
                                        ; implicit-def: $vgpr7
                                        ; implicit-def: $vgpr9
	v_cndmask_b32_e32 v2, v2, v4, vcc
	v_cndmask_b32_e32 v1, v1, v3, vcc
                                        ; implicit-def: $vgpr3_vgpr4
.LBB532_333:
	s_or_saveexec_b64 s[2:3], s[2:3]
	v_mov_b32_e32 v10, 1
	s_xor_b64 exec, exec, s[2:3]
	s_cbranch_execz .LBB532_335
; %bb.334:
	v_and_b32_e32 v7, 1, v7
	v_cmp_eq_u32_e32 vcc, 1, v7
	s_waitcnt lgkmcnt(1)
	v_cndmask_b32_e32 v1, v3, v1, vcc
	v_and_b32_e32 v3, 0xff, v9
	s_waitcnt lgkmcnt(0)
	v_cndmask_b32_e32 v2, v4, v2, vcc
	v_cndmask_b32_e64 v10, v3, 1, vcc
.LBB532_335:
	s_or_b64 exec, exec, s[2:3]
	v_mov_b32_e32 v7, v10
.LBB532_336:
	s_or_b64 exec, exec, s[0:1]
	v_cmp_gt_u32_e32 vcc, 48, v6
	s_waitcnt lgkmcnt(1)
	v_cndmask_b32_e64 v3, 0, 16, vcc
	s_waitcnt lgkmcnt(0)
	v_add_lshl_u32 v4, v3, v5, 2
	ds_bpermute_b32 v9, v4, v7
	ds_bpermute_b32 v3, v4, v1
	ds_bpermute_b32 v4, v4, v2
	v_add_u32_e32 v10, 16, v6
	v_cmp_lt_u32_e32 vcc, v10, v8
	s_and_saveexec_b64 s[0:1], vcc
	s_cbranch_execz .LBB532_342
; %bb.337:
	s_waitcnt lgkmcnt(2)
	v_and_b32_e32 v10, v7, v9
	v_and_b32_e32 v10, 1, v10
	v_cmp_eq_u32_e32 vcc, 1, v10
	s_and_saveexec_b64 s[2:3], vcc
	s_xor_b64 s[2:3], exec, s[2:3]
	s_cbranch_execz .LBB532_339
; %bb.338:
	s_waitcnt lgkmcnt(0)
	v_cmp_lt_i64_e32 vcc, v[3:4], v[1:2]
                                        ; implicit-def: $vgpr7
                                        ; implicit-def: $vgpr9
	v_cndmask_b32_e32 v2, v2, v4, vcc
	v_cndmask_b32_e32 v1, v1, v3, vcc
                                        ; implicit-def: $vgpr3_vgpr4
.LBB532_339:
	s_or_saveexec_b64 s[2:3], s[2:3]
	v_mov_b32_e32 v10, 1
	s_xor_b64 exec, exec, s[2:3]
	s_cbranch_execz .LBB532_341
; %bb.340:
	v_and_b32_e32 v7, 1, v7
	v_cmp_eq_u32_e32 vcc, 1, v7
	s_waitcnt lgkmcnt(1)
	v_cndmask_b32_e32 v1, v3, v1, vcc
	v_and_b32_e32 v3, 0xff, v9
	s_waitcnt lgkmcnt(0)
	v_cndmask_b32_e32 v2, v4, v2, vcc
	v_cndmask_b32_e64 v10, v3, 1, vcc
.LBB532_341:
	s_or_b64 exec, exec, s[2:3]
	v_mov_b32_e32 v7, v10
.LBB532_342:
	s_or_b64 exec, exec, s[0:1]
	s_waitcnt lgkmcnt(2)
	v_lshlrev_b32_e32 v9, 2, v5
	s_waitcnt lgkmcnt(0)
	v_or_b32_e32 v4, 0x80, v9
	ds_bpermute_b32 v10, v4, v7
	ds_bpermute_b32 v3, v4, v1
	;; [unrolled: 1-line block ×3, first 2 shown]
	v_add_u32_e32 v6, 32, v6
	v_cmp_lt_u32_e32 vcc, v6, v8
	v_mov_b32_e32 v6, v7
	s_and_saveexec_b64 s[0:1], vcc
	s_cbranch_execz .LBB532_348
; %bb.343:
	s_waitcnt lgkmcnt(2)
	v_and_b32_e32 v6, v7, v10
	v_and_b32_e32 v6, 1, v6
	v_cmp_eq_u32_e32 vcc, 1, v6
	s_and_saveexec_b64 s[2:3], vcc
	s_xor_b64 s[2:3], exec, s[2:3]
	s_cbranch_execz .LBB532_345
; %bb.344:
	s_waitcnt lgkmcnt(0)
	v_cmp_lt_i64_e32 vcc, v[3:4], v[1:2]
                                        ; implicit-def: $vgpr7
                                        ; implicit-def: $vgpr10
	v_cndmask_b32_e32 v2, v2, v4, vcc
	v_cndmask_b32_e32 v1, v1, v3, vcc
                                        ; implicit-def: $vgpr3_vgpr4
.LBB532_345:
	s_or_saveexec_b64 s[2:3], s[2:3]
	v_mov_b32_e32 v6, 1
	s_xor_b64 exec, exec, s[2:3]
	s_cbranch_execz .LBB532_347
; %bb.346:
	v_and_b32_e32 v6, 1, v7
	v_cmp_eq_u32_e32 vcc, 1, v6
	v_cndmask_b32_e64 v6, v10, 1, vcc
	s_waitcnt lgkmcnt(0)
	v_cndmask_b32_e32 v2, v4, v2, vcc
	v_cndmask_b32_e32 v1, v3, v1, vcc
.LBB532_347:
	s_or_b64 exec, exec, s[2:3]
	v_and_b32_e32 v7, 0xff, v6
.LBB532_348:
	s_or_b64 exec, exec, s[0:1]
	v_cmp_eq_u32_e32 vcc, 0, v5
	s_and_saveexec_b64 s[0:1], vcc
	s_cbranch_execz .LBB532_350
; %bb.349:
	s_waitcnt lgkmcnt(1)
	v_lshrrev_b32_e32 v3, 2, v0
	v_and_b32_e32 v3, 16, v3
	ds_write_b8 v3, v6 offset:128
	ds_write_b64 v3, v[1:2] offset:136
.LBB532_350:
	s_or_b64 exec, exec, s[0:1]
	v_cmp_gt_u32_e32 vcc, 2, v0
	s_waitcnt lgkmcnt(0)
	s_barrier
	s_and_saveexec_b64 s[0:1], vcc
	s_cbranch_execz .LBB532_358
; %bb.351:
	v_lshlrev_b32_e32 v1, 4, v5
	ds_read_u8 v6, v1 offset:128
	ds_read_b64 v[1:2], v1 offset:136
	v_or_b32_e32 v4, 4, v9
	s_add_i32 s8, s8, 63
	v_and_b32_e32 v5, 1, v5
	s_waitcnt lgkmcnt(1)
	v_and_b32_e32 v7, 0xff, v6
	s_waitcnt lgkmcnt(0)
	ds_bpermute_b32 v3, v4, v1
	ds_bpermute_b32 v8, v4, v7
	;; [unrolled: 1-line block ×3, first 2 shown]
	s_lshr_b32 s2, s8, 6
	v_add_u32_e32 v5, 1, v5
	v_cmp_gt_u32_e32 vcc, s2, v5
	s_and_saveexec_b64 s[2:3], vcc
	s_cbranch_execz .LBB532_357
; %bb.352:
	s_waitcnt lgkmcnt(1)
	v_and_b32_e32 v5, v7, v8
	v_and_b32_e32 v5, 1, v5
	v_cmp_eq_u32_e32 vcc, 1, v5
	s_and_saveexec_b64 s[8:9], vcc
	s_xor_b64 s[8:9], exec, s[8:9]
	s_cbranch_execz .LBB532_354
; %bb.353:
	s_waitcnt lgkmcnt(0)
	v_cmp_lt_i64_e32 vcc, v[3:4], v[1:2]
                                        ; implicit-def: $vgpr6
                                        ; implicit-def: $vgpr8
	v_cndmask_b32_e32 v2, v2, v4, vcc
	v_cndmask_b32_e32 v1, v1, v3, vcc
                                        ; implicit-def: $vgpr3_vgpr4
.LBB532_354:
	s_or_saveexec_b64 s[8:9], s[8:9]
	v_mov_b32_e32 v7, 1
	s_xor_b64 exec, exec, s[8:9]
	s_cbranch_execz .LBB532_356
; %bb.355:
	v_and_b32_e32 v5, 1, v6
	v_cmp_eq_u32_e32 vcc, 1, v5
	s_waitcnt lgkmcnt(0)
	v_cndmask_b32_e32 v2, v4, v2, vcc
	v_cndmask_b32_e32 v1, v3, v1, vcc
	v_cndmask_b32_e64 v7, v8, 1, vcc
.LBB532_356:
	s_or_b64 exec, exec, s[8:9]
.LBB532_357:
	s_or_b64 exec, exec, s[2:3]
.LBB532_358:
	s_or_b64 exec, exec, s[0:1]
.LBB532_359:
	v_cmp_eq_u32_e32 vcc, 0, v0
                                        ; implicit-def: $vgpr3_vgpr4
                                        ; implicit-def: $vgpr5
	s_and_saveexec_b64 s[8:9], vcc
	s_cbranch_execz .LBB532_363
; %bb.360:
	s_waitcnt lgkmcnt(0)
	v_mov_b32_e32 v3, s18
	s_cmp_eq_u64 s[22:23], 0
	v_mov_b32_e32 v4, s19
	v_mov_b32_e32 v5, s33
	s_cbranch_scc1 .LBB532_362
; %bb.361:
	v_and_b32_e32 v0, 1, v7
	v_cmp_gt_i64_e64 s[0:1], s[18:19], v[1:2]
	s_bitcmp1_b32 s33, 0
	v_cmp_eq_u32_e32 vcc, 1, v0
	s_cselect_b64 s[2:3], -1, 0
	v_mov_b32_e32 v0, s18
	s_and_b64 vcc, vcc, s[0:1]
	v_mov_b32_e32 v3, s19
	v_cndmask_b32_e32 v0, v0, v1, vcc
	v_cndmask_b32_e32 v3, v3, v2, vcc
	v_cndmask_b32_e64 v5, v7, 1, s[2:3]
	v_cndmask_b32_e64 v4, v2, v3, s[2:3]
	;; [unrolled: 1-line block ×3, first 2 shown]
.LBB532_362:
	s_or_b64 s[14:15], s[14:15], exec
.LBB532_363:
	s_or_b64 exec, exec, s[8:9]
	v_mov_b32_e32 v1, s6
	v_mov_b32_e32 v2, s7
	s_and_saveexec_b64 s[0:1], s[14:15]
	s_cbranch_execnz .LBB532_307
	s_branch .LBB532_308
	.section	.rodata,"a",@progbits
	.p2align	6, 0x0
	.amdhsa_kernel _ZN7rocprim17ROCPRIM_400000_NS6detail17trampoline_kernelINS0_14default_configENS1_22reduce_config_selectorIN6thrust23THRUST_200600_302600_NS5tupleIblNS6_9null_typeES8_S8_S8_S8_S8_S8_S8_EEEEZNS1_11reduce_implILb1ES3_NS6_12zip_iteratorINS7_INS6_11hip_rocprim26transform_input_iterator_tIbNSD_35transform_pair_of_input_iterators_tIbNS6_6detail15normal_iteratorINS6_10device_ptrIKxEEEESL_NS6_8equal_toIxEEEENSG_9not_fun_tINSD_8identityEEEEENSD_19counting_iterator_tIlEES8_S8_S8_S8_S8_S8_S8_S8_EEEEPS9_S9_NSD_9__find_if7functorIS9_EEEE10hipError_tPvRmT1_T2_T3_mT4_P12ihipStream_tbEUlT_E1_NS1_11comp_targetILNS1_3genE2ELNS1_11target_archE906ELNS1_3gpuE6ELNS1_3repE0EEENS1_30default_config_static_selectorELNS0_4arch9wavefront6targetE1EEEvS14_
		.amdhsa_group_segment_fixed_size 160
		.amdhsa_private_segment_fixed_size 0
		.amdhsa_kernarg_size 88
		.amdhsa_user_sgpr_count 6
		.amdhsa_user_sgpr_private_segment_buffer 1
		.amdhsa_user_sgpr_dispatch_ptr 0
		.amdhsa_user_sgpr_queue_ptr 0
		.amdhsa_user_sgpr_kernarg_segment_ptr 1
		.amdhsa_user_sgpr_dispatch_id 0
		.amdhsa_user_sgpr_flat_scratch_init 0
		.amdhsa_user_sgpr_private_segment_size 0
		.amdhsa_uses_dynamic_stack 0
		.amdhsa_system_sgpr_private_segment_wavefront_offset 0
		.amdhsa_system_sgpr_workgroup_id_x 1
		.amdhsa_system_sgpr_workgroup_id_y 0
		.amdhsa_system_sgpr_workgroup_id_z 0
		.amdhsa_system_sgpr_workgroup_info 0
		.amdhsa_system_vgpr_workitem_id 0
		.amdhsa_next_free_vgpr 31
		.amdhsa_next_free_sgpr 42
		.amdhsa_reserve_vcc 1
		.amdhsa_reserve_flat_scratch 0
		.amdhsa_float_round_mode_32 0
		.amdhsa_float_round_mode_16_64 0
		.amdhsa_float_denorm_mode_32 3
		.amdhsa_float_denorm_mode_16_64 3
		.amdhsa_dx10_clamp 1
		.amdhsa_ieee_mode 1
		.amdhsa_fp16_overflow 0
		.amdhsa_exception_fp_ieee_invalid_op 0
		.amdhsa_exception_fp_denorm_src 0
		.amdhsa_exception_fp_ieee_div_zero 0
		.amdhsa_exception_fp_ieee_overflow 0
		.amdhsa_exception_fp_ieee_underflow 0
		.amdhsa_exception_fp_ieee_inexact 0
		.amdhsa_exception_int_div_zero 0
	.end_amdhsa_kernel
	.section	.text._ZN7rocprim17ROCPRIM_400000_NS6detail17trampoline_kernelINS0_14default_configENS1_22reduce_config_selectorIN6thrust23THRUST_200600_302600_NS5tupleIblNS6_9null_typeES8_S8_S8_S8_S8_S8_S8_EEEEZNS1_11reduce_implILb1ES3_NS6_12zip_iteratorINS7_INS6_11hip_rocprim26transform_input_iterator_tIbNSD_35transform_pair_of_input_iterators_tIbNS6_6detail15normal_iteratorINS6_10device_ptrIKxEEEESL_NS6_8equal_toIxEEEENSG_9not_fun_tINSD_8identityEEEEENSD_19counting_iterator_tIlEES8_S8_S8_S8_S8_S8_S8_S8_EEEEPS9_S9_NSD_9__find_if7functorIS9_EEEE10hipError_tPvRmT1_T2_T3_mT4_P12ihipStream_tbEUlT_E1_NS1_11comp_targetILNS1_3genE2ELNS1_11target_archE906ELNS1_3gpuE6ELNS1_3repE0EEENS1_30default_config_static_selectorELNS0_4arch9wavefront6targetE1EEEvS14_,"axG",@progbits,_ZN7rocprim17ROCPRIM_400000_NS6detail17trampoline_kernelINS0_14default_configENS1_22reduce_config_selectorIN6thrust23THRUST_200600_302600_NS5tupleIblNS6_9null_typeES8_S8_S8_S8_S8_S8_S8_EEEEZNS1_11reduce_implILb1ES3_NS6_12zip_iteratorINS7_INS6_11hip_rocprim26transform_input_iterator_tIbNSD_35transform_pair_of_input_iterators_tIbNS6_6detail15normal_iteratorINS6_10device_ptrIKxEEEESL_NS6_8equal_toIxEEEENSG_9not_fun_tINSD_8identityEEEEENSD_19counting_iterator_tIlEES8_S8_S8_S8_S8_S8_S8_S8_EEEEPS9_S9_NSD_9__find_if7functorIS9_EEEE10hipError_tPvRmT1_T2_T3_mT4_P12ihipStream_tbEUlT_E1_NS1_11comp_targetILNS1_3genE2ELNS1_11target_archE906ELNS1_3gpuE6ELNS1_3repE0EEENS1_30default_config_static_selectorELNS0_4arch9wavefront6targetE1EEEvS14_,comdat
.Lfunc_end532:
	.size	_ZN7rocprim17ROCPRIM_400000_NS6detail17trampoline_kernelINS0_14default_configENS1_22reduce_config_selectorIN6thrust23THRUST_200600_302600_NS5tupleIblNS6_9null_typeES8_S8_S8_S8_S8_S8_S8_EEEEZNS1_11reduce_implILb1ES3_NS6_12zip_iteratorINS7_INS6_11hip_rocprim26transform_input_iterator_tIbNSD_35transform_pair_of_input_iterators_tIbNS6_6detail15normal_iteratorINS6_10device_ptrIKxEEEESL_NS6_8equal_toIxEEEENSG_9not_fun_tINSD_8identityEEEEENSD_19counting_iterator_tIlEES8_S8_S8_S8_S8_S8_S8_S8_EEEEPS9_S9_NSD_9__find_if7functorIS9_EEEE10hipError_tPvRmT1_T2_T3_mT4_P12ihipStream_tbEUlT_E1_NS1_11comp_targetILNS1_3genE2ELNS1_11target_archE906ELNS1_3gpuE6ELNS1_3repE0EEENS1_30default_config_static_selectorELNS0_4arch9wavefront6targetE1EEEvS14_, .Lfunc_end532-_ZN7rocprim17ROCPRIM_400000_NS6detail17trampoline_kernelINS0_14default_configENS1_22reduce_config_selectorIN6thrust23THRUST_200600_302600_NS5tupleIblNS6_9null_typeES8_S8_S8_S8_S8_S8_S8_EEEEZNS1_11reduce_implILb1ES3_NS6_12zip_iteratorINS7_INS6_11hip_rocprim26transform_input_iterator_tIbNSD_35transform_pair_of_input_iterators_tIbNS6_6detail15normal_iteratorINS6_10device_ptrIKxEEEESL_NS6_8equal_toIxEEEENSG_9not_fun_tINSD_8identityEEEEENSD_19counting_iterator_tIlEES8_S8_S8_S8_S8_S8_S8_S8_EEEEPS9_S9_NSD_9__find_if7functorIS9_EEEE10hipError_tPvRmT1_T2_T3_mT4_P12ihipStream_tbEUlT_E1_NS1_11comp_targetILNS1_3genE2ELNS1_11target_archE906ELNS1_3gpuE6ELNS1_3repE0EEENS1_30default_config_static_selectorELNS0_4arch9wavefront6targetE1EEEvS14_
                                        ; -- End function
	.set _ZN7rocprim17ROCPRIM_400000_NS6detail17trampoline_kernelINS0_14default_configENS1_22reduce_config_selectorIN6thrust23THRUST_200600_302600_NS5tupleIblNS6_9null_typeES8_S8_S8_S8_S8_S8_S8_EEEEZNS1_11reduce_implILb1ES3_NS6_12zip_iteratorINS7_INS6_11hip_rocprim26transform_input_iterator_tIbNSD_35transform_pair_of_input_iterators_tIbNS6_6detail15normal_iteratorINS6_10device_ptrIKxEEEESL_NS6_8equal_toIxEEEENSG_9not_fun_tINSD_8identityEEEEENSD_19counting_iterator_tIlEES8_S8_S8_S8_S8_S8_S8_S8_EEEEPS9_S9_NSD_9__find_if7functorIS9_EEEE10hipError_tPvRmT1_T2_T3_mT4_P12ihipStream_tbEUlT_E1_NS1_11comp_targetILNS1_3genE2ELNS1_11target_archE906ELNS1_3gpuE6ELNS1_3repE0EEENS1_30default_config_static_selectorELNS0_4arch9wavefront6targetE1EEEvS14_.num_vgpr, 31
	.set _ZN7rocprim17ROCPRIM_400000_NS6detail17trampoline_kernelINS0_14default_configENS1_22reduce_config_selectorIN6thrust23THRUST_200600_302600_NS5tupleIblNS6_9null_typeES8_S8_S8_S8_S8_S8_S8_EEEEZNS1_11reduce_implILb1ES3_NS6_12zip_iteratorINS7_INS6_11hip_rocprim26transform_input_iterator_tIbNSD_35transform_pair_of_input_iterators_tIbNS6_6detail15normal_iteratorINS6_10device_ptrIKxEEEESL_NS6_8equal_toIxEEEENSG_9not_fun_tINSD_8identityEEEEENSD_19counting_iterator_tIlEES8_S8_S8_S8_S8_S8_S8_S8_EEEEPS9_S9_NSD_9__find_if7functorIS9_EEEE10hipError_tPvRmT1_T2_T3_mT4_P12ihipStream_tbEUlT_E1_NS1_11comp_targetILNS1_3genE2ELNS1_11target_archE906ELNS1_3gpuE6ELNS1_3repE0EEENS1_30default_config_static_selectorELNS0_4arch9wavefront6targetE1EEEvS14_.num_agpr, 0
	.set _ZN7rocprim17ROCPRIM_400000_NS6detail17trampoline_kernelINS0_14default_configENS1_22reduce_config_selectorIN6thrust23THRUST_200600_302600_NS5tupleIblNS6_9null_typeES8_S8_S8_S8_S8_S8_S8_EEEEZNS1_11reduce_implILb1ES3_NS6_12zip_iteratorINS7_INS6_11hip_rocprim26transform_input_iterator_tIbNSD_35transform_pair_of_input_iterators_tIbNS6_6detail15normal_iteratorINS6_10device_ptrIKxEEEESL_NS6_8equal_toIxEEEENSG_9not_fun_tINSD_8identityEEEEENSD_19counting_iterator_tIlEES8_S8_S8_S8_S8_S8_S8_S8_EEEEPS9_S9_NSD_9__find_if7functorIS9_EEEE10hipError_tPvRmT1_T2_T3_mT4_P12ihipStream_tbEUlT_E1_NS1_11comp_targetILNS1_3genE2ELNS1_11target_archE906ELNS1_3gpuE6ELNS1_3repE0EEENS1_30default_config_static_selectorELNS0_4arch9wavefront6targetE1EEEvS14_.numbered_sgpr, 42
	.set _ZN7rocprim17ROCPRIM_400000_NS6detail17trampoline_kernelINS0_14default_configENS1_22reduce_config_selectorIN6thrust23THRUST_200600_302600_NS5tupleIblNS6_9null_typeES8_S8_S8_S8_S8_S8_S8_EEEEZNS1_11reduce_implILb1ES3_NS6_12zip_iteratorINS7_INS6_11hip_rocprim26transform_input_iterator_tIbNSD_35transform_pair_of_input_iterators_tIbNS6_6detail15normal_iteratorINS6_10device_ptrIKxEEEESL_NS6_8equal_toIxEEEENSG_9not_fun_tINSD_8identityEEEEENSD_19counting_iterator_tIlEES8_S8_S8_S8_S8_S8_S8_S8_EEEEPS9_S9_NSD_9__find_if7functorIS9_EEEE10hipError_tPvRmT1_T2_T3_mT4_P12ihipStream_tbEUlT_E1_NS1_11comp_targetILNS1_3genE2ELNS1_11target_archE906ELNS1_3gpuE6ELNS1_3repE0EEENS1_30default_config_static_selectorELNS0_4arch9wavefront6targetE1EEEvS14_.num_named_barrier, 0
	.set _ZN7rocprim17ROCPRIM_400000_NS6detail17trampoline_kernelINS0_14default_configENS1_22reduce_config_selectorIN6thrust23THRUST_200600_302600_NS5tupleIblNS6_9null_typeES8_S8_S8_S8_S8_S8_S8_EEEEZNS1_11reduce_implILb1ES3_NS6_12zip_iteratorINS7_INS6_11hip_rocprim26transform_input_iterator_tIbNSD_35transform_pair_of_input_iterators_tIbNS6_6detail15normal_iteratorINS6_10device_ptrIKxEEEESL_NS6_8equal_toIxEEEENSG_9not_fun_tINSD_8identityEEEEENSD_19counting_iterator_tIlEES8_S8_S8_S8_S8_S8_S8_S8_EEEEPS9_S9_NSD_9__find_if7functorIS9_EEEE10hipError_tPvRmT1_T2_T3_mT4_P12ihipStream_tbEUlT_E1_NS1_11comp_targetILNS1_3genE2ELNS1_11target_archE906ELNS1_3gpuE6ELNS1_3repE0EEENS1_30default_config_static_selectorELNS0_4arch9wavefront6targetE1EEEvS14_.private_seg_size, 0
	.set _ZN7rocprim17ROCPRIM_400000_NS6detail17trampoline_kernelINS0_14default_configENS1_22reduce_config_selectorIN6thrust23THRUST_200600_302600_NS5tupleIblNS6_9null_typeES8_S8_S8_S8_S8_S8_S8_EEEEZNS1_11reduce_implILb1ES3_NS6_12zip_iteratorINS7_INS6_11hip_rocprim26transform_input_iterator_tIbNSD_35transform_pair_of_input_iterators_tIbNS6_6detail15normal_iteratorINS6_10device_ptrIKxEEEESL_NS6_8equal_toIxEEEENSG_9not_fun_tINSD_8identityEEEEENSD_19counting_iterator_tIlEES8_S8_S8_S8_S8_S8_S8_S8_EEEEPS9_S9_NSD_9__find_if7functorIS9_EEEE10hipError_tPvRmT1_T2_T3_mT4_P12ihipStream_tbEUlT_E1_NS1_11comp_targetILNS1_3genE2ELNS1_11target_archE906ELNS1_3gpuE6ELNS1_3repE0EEENS1_30default_config_static_selectorELNS0_4arch9wavefront6targetE1EEEvS14_.uses_vcc, 1
	.set _ZN7rocprim17ROCPRIM_400000_NS6detail17trampoline_kernelINS0_14default_configENS1_22reduce_config_selectorIN6thrust23THRUST_200600_302600_NS5tupleIblNS6_9null_typeES8_S8_S8_S8_S8_S8_S8_EEEEZNS1_11reduce_implILb1ES3_NS6_12zip_iteratorINS7_INS6_11hip_rocprim26transform_input_iterator_tIbNSD_35transform_pair_of_input_iterators_tIbNS6_6detail15normal_iteratorINS6_10device_ptrIKxEEEESL_NS6_8equal_toIxEEEENSG_9not_fun_tINSD_8identityEEEEENSD_19counting_iterator_tIlEES8_S8_S8_S8_S8_S8_S8_S8_EEEEPS9_S9_NSD_9__find_if7functorIS9_EEEE10hipError_tPvRmT1_T2_T3_mT4_P12ihipStream_tbEUlT_E1_NS1_11comp_targetILNS1_3genE2ELNS1_11target_archE906ELNS1_3gpuE6ELNS1_3repE0EEENS1_30default_config_static_selectorELNS0_4arch9wavefront6targetE1EEEvS14_.uses_flat_scratch, 0
	.set _ZN7rocprim17ROCPRIM_400000_NS6detail17trampoline_kernelINS0_14default_configENS1_22reduce_config_selectorIN6thrust23THRUST_200600_302600_NS5tupleIblNS6_9null_typeES8_S8_S8_S8_S8_S8_S8_EEEEZNS1_11reduce_implILb1ES3_NS6_12zip_iteratorINS7_INS6_11hip_rocprim26transform_input_iterator_tIbNSD_35transform_pair_of_input_iterators_tIbNS6_6detail15normal_iteratorINS6_10device_ptrIKxEEEESL_NS6_8equal_toIxEEEENSG_9not_fun_tINSD_8identityEEEEENSD_19counting_iterator_tIlEES8_S8_S8_S8_S8_S8_S8_S8_EEEEPS9_S9_NSD_9__find_if7functorIS9_EEEE10hipError_tPvRmT1_T2_T3_mT4_P12ihipStream_tbEUlT_E1_NS1_11comp_targetILNS1_3genE2ELNS1_11target_archE906ELNS1_3gpuE6ELNS1_3repE0EEENS1_30default_config_static_selectorELNS0_4arch9wavefront6targetE1EEEvS14_.has_dyn_sized_stack, 0
	.set _ZN7rocprim17ROCPRIM_400000_NS6detail17trampoline_kernelINS0_14default_configENS1_22reduce_config_selectorIN6thrust23THRUST_200600_302600_NS5tupleIblNS6_9null_typeES8_S8_S8_S8_S8_S8_S8_EEEEZNS1_11reduce_implILb1ES3_NS6_12zip_iteratorINS7_INS6_11hip_rocprim26transform_input_iterator_tIbNSD_35transform_pair_of_input_iterators_tIbNS6_6detail15normal_iteratorINS6_10device_ptrIKxEEEESL_NS6_8equal_toIxEEEENSG_9not_fun_tINSD_8identityEEEEENSD_19counting_iterator_tIlEES8_S8_S8_S8_S8_S8_S8_S8_EEEEPS9_S9_NSD_9__find_if7functorIS9_EEEE10hipError_tPvRmT1_T2_T3_mT4_P12ihipStream_tbEUlT_E1_NS1_11comp_targetILNS1_3genE2ELNS1_11target_archE906ELNS1_3gpuE6ELNS1_3repE0EEENS1_30default_config_static_selectorELNS0_4arch9wavefront6targetE1EEEvS14_.has_recursion, 0
	.set _ZN7rocprim17ROCPRIM_400000_NS6detail17trampoline_kernelINS0_14default_configENS1_22reduce_config_selectorIN6thrust23THRUST_200600_302600_NS5tupleIblNS6_9null_typeES8_S8_S8_S8_S8_S8_S8_EEEEZNS1_11reduce_implILb1ES3_NS6_12zip_iteratorINS7_INS6_11hip_rocprim26transform_input_iterator_tIbNSD_35transform_pair_of_input_iterators_tIbNS6_6detail15normal_iteratorINS6_10device_ptrIKxEEEESL_NS6_8equal_toIxEEEENSG_9not_fun_tINSD_8identityEEEEENSD_19counting_iterator_tIlEES8_S8_S8_S8_S8_S8_S8_S8_EEEEPS9_S9_NSD_9__find_if7functorIS9_EEEE10hipError_tPvRmT1_T2_T3_mT4_P12ihipStream_tbEUlT_E1_NS1_11comp_targetILNS1_3genE2ELNS1_11target_archE906ELNS1_3gpuE6ELNS1_3repE0EEENS1_30default_config_static_selectorELNS0_4arch9wavefront6targetE1EEEvS14_.has_indirect_call, 0
	.section	.AMDGPU.csdata,"",@progbits
; Kernel info:
; codeLenInByte = 13192
; TotalNumSgprs: 46
; NumVgprs: 31
; ScratchSize: 0
; MemoryBound: 0
; FloatMode: 240
; IeeeMode: 1
; LDSByteSize: 160 bytes/workgroup (compile time only)
; SGPRBlocks: 5
; VGPRBlocks: 7
; NumSGPRsForWavesPerEU: 46
; NumVGPRsForWavesPerEU: 31
; Occupancy: 8
; WaveLimiterHint : 0
; COMPUTE_PGM_RSRC2:SCRATCH_EN: 0
; COMPUTE_PGM_RSRC2:USER_SGPR: 6
; COMPUTE_PGM_RSRC2:TRAP_HANDLER: 0
; COMPUTE_PGM_RSRC2:TGID_X_EN: 1
; COMPUTE_PGM_RSRC2:TGID_Y_EN: 0
; COMPUTE_PGM_RSRC2:TGID_Z_EN: 0
; COMPUTE_PGM_RSRC2:TIDIG_COMP_CNT: 0
	.section	.text._ZN7rocprim17ROCPRIM_400000_NS6detail17trampoline_kernelINS0_14default_configENS1_22reduce_config_selectorIN6thrust23THRUST_200600_302600_NS5tupleIblNS6_9null_typeES8_S8_S8_S8_S8_S8_S8_EEEEZNS1_11reduce_implILb1ES3_NS6_12zip_iteratorINS7_INS6_11hip_rocprim26transform_input_iterator_tIbNSD_35transform_pair_of_input_iterators_tIbNS6_6detail15normal_iteratorINS6_10device_ptrIKxEEEESL_NS6_8equal_toIxEEEENSG_9not_fun_tINSD_8identityEEEEENSD_19counting_iterator_tIlEES8_S8_S8_S8_S8_S8_S8_S8_EEEEPS9_S9_NSD_9__find_if7functorIS9_EEEE10hipError_tPvRmT1_T2_T3_mT4_P12ihipStream_tbEUlT_E1_NS1_11comp_targetILNS1_3genE10ELNS1_11target_archE1201ELNS1_3gpuE5ELNS1_3repE0EEENS1_30default_config_static_selectorELNS0_4arch9wavefront6targetE1EEEvS14_,"axG",@progbits,_ZN7rocprim17ROCPRIM_400000_NS6detail17trampoline_kernelINS0_14default_configENS1_22reduce_config_selectorIN6thrust23THRUST_200600_302600_NS5tupleIblNS6_9null_typeES8_S8_S8_S8_S8_S8_S8_EEEEZNS1_11reduce_implILb1ES3_NS6_12zip_iteratorINS7_INS6_11hip_rocprim26transform_input_iterator_tIbNSD_35transform_pair_of_input_iterators_tIbNS6_6detail15normal_iteratorINS6_10device_ptrIKxEEEESL_NS6_8equal_toIxEEEENSG_9not_fun_tINSD_8identityEEEEENSD_19counting_iterator_tIlEES8_S8_S8_S8_S8_S8_S8_S8_EEEEPS9_S9_NSD_9__find_if7functorIS9_EEEE10hipError_tPvRmT1_T2_T3_mT4_P12ihipStream_tbEUlT_E1_NS1_11comp_targetILNS1_3genE10ELNS1_11target_archE1201ELNS1_3gpuE5ELNS1_3repE0EEENS1_30default_config_static_selectorELNS0_4arch9wavefront6targetE1EEEvS14_,comdat
	.protected	_ZN7rocprim17ROCPRIM_400000_NS6detail17trampoline_kernelINS0_14default_configENS1_22reduce_config_selectorIN6thrust23THRUST_200600_302600_NS5tupleIblNS6_9null_typeES8_S8_S8_S8_S8_S8_S8_EEEEZNS1_11reduce_implILb1ES3_NS6_12zip_iteratorINS7_INS6_11hip_rocprim26transform_input_iterator_tIbNSD_35transform_pair_of_input_iterators_tIbNS6_6detail15normal_iteratorINS6_10device_ptrIKxEEEESL_NS6_8equal_toIxEEEENSG_9not_fun_tINSD_8identityEEEEENSD_19counting_iterator_tIlEES8_S8_S8_S8_S8_S8_S8_S8_EEEEPS9_S9_NSD_9__find_if7functorIS9_EEEE10hipError_tPvRmT1_T2_T3_mT4_P12ihipStream_tbEUlT_E1_NS1_11comp_targetILNS1_3genE10ELNS1_11target_archE1201ELNS1_3gpuE5ELNS1_3repE0EEENS1_30default_config_static_selectorELNS0_4arch9wavefront6targetE1EEEvS14_ ; -- Begin function _ZN7rocprim17ROCPRIM_400000_NS6detail17trampoline_kernelINS0_14default_configENS1_22reduce_config_selectorIN6thrust23THRUST_200600_302600_NS5tupleIblNS6_9null_typeES8_S8_S8_S8_S8_S8_S8_EEEEZNS1_11reduce_implILb1ES3_NS6_12zip_iteratorINS7_INS6_11hip_rocprim26transform_input_iterator_tIbNSD_35transform_pair_of_input_iterators_tIbNS6_6detail15normal_iteratorINS6_10device_ptrIKxEEEESL_NS6_8equal_toIxEEEENSG_9not_fun_tINSD_8identityEEEEENSD_19counting_iterator_tIlEES8_S8_S8_S8_S8_S8_S8_S8_EEEEPS9_S9_NSD_9__find_if7functorIS9_EEEE10hipError_tPvRmT1_T2_T3_mT4_P12ihipStream_tbEUlT_E1_NS1_11comp_targetILNS1_3genE10ELNS1_11target_archE1201ELNS1_3gpuE5ELNS1_3repE0EEENS1_30default_config_static_selectorELNS0_4arch9wavefront6targetE1EEEvS14_
	.globl	_ZN7rocprim17ROCPRIM_400000_NS6detail17trampoline_kernelINS0_14default_configENS1_22reduce_config_selectorIN6thrust23THRUST_200600_302600_NS5tupleIblNS6_9null_typeES8_S8_S8_S8_S8_S8_S8_EEEEZNS1_11reduce_implILb1ES3_NS6_12zip_iteratorINS7_INS6_11hip_rocprim26transform_input_iterator_tIbNSD_35transform_pair_of_input_iterators_tIbNS6_6detail15normal_iteratorINS6_10device_ptrIKxEEEESL_NS6_8equal_toIxEEEENSG_9not_fun_tINSD_8identityEEEEENSD_19counting_iterator_tIlEES8_S8_S8_S8_S8_S8_S8_S8_EEEEPS9_S9_NSD_9__find_if7functorIS9_EEEE10hipError_tPvRmT1_T2_T3_mT4_P12ihipStream_tbEUlT_E1_NS1_11comp_targetILNS1_3genE10ELNS1_11target_archE1201ELNS1_3gpuE5ELNS1_3repE0EEENS1_30default_config_static_selectorELNS0_4arch9wavefront6targetE1EEEvS14_
	.p2align	8
	.type	_ZN7rocprim17ROCPRIM_400000_NS6detail17trampoline_kernelINS0_14default_configENS1_22reduce_config_selectorIN6thrust23THRUST_200600_302600_NS5tupleIblNS6_9null_typeES8_S8_S8_S8_S8_S8_S8_EEEEZNS1_11reduce_implILb1ES3_NS6_12zip_iteratorINS7_INS6_11hip_rocprim26transform_input_iterator_tIbNSD_35transform_pair_of_input_iterators_tIbNS6_6detail15normal_iteratorINS6_10device_ptrIKxEEEESL_NS6_8equal_toIxEEEENSG_9not_fun_tINSD_8identityEEEEENSD_19counting_iterator_tIlEES8_S8_S8_S8_S8_S8_S8_S8_EEEEPS9_S9_NSD_9__find_if7functorIS9_EEEE10hipError_tPvRmT1_T2_T3_mT4_P12ihipStream_tbEUlT_E1_NS1_11comp_targetILNS1_3genE10ELNS1_11target_archE1201ELNS1_3gpuE5ELNS1_3repE0EEENS1_30default_config_static_selectorELNS0_4arch9wavefront6targetE1EEEvS14_,@function
_ZN7rocprim17ROCPRIM_400000_NS6detail17trampoline_kernelINS0_14default_configENS1_22reduce_config_selectorIN6thrust23THRUST_200600_302600_NS5tupleIblNS6_9null_typeES8_S8_S8_S8_S8_S8_S8_EEEEZNS1_11reduce_implILb1ES3_NS6_12zip_iteratorINS7_INS6_11hip_rocprim26transform_input_iterator_tIbNSD_35transform_pair_of_input_iterators_tIbNS6_6detail15normal_iteratorINS6_10device_ptrIKxEEEESL_NS6_8equal_toIxEEEENSG_9not_fun_tINSD_8identityEEEEENSD_19counting_iterator_tIlEES8_S8_S8_S8_S8_S8_S8_S8_EEEEPS9_S9_NSD_9__find_if7functorIS9_EEEE10hipError_tPvRmT1_T2_T3_mT4_P12ihipStream_tbEUlT_E1_NS1_11comp_targetILNS1_3genE10ELNS1_11target_archE1201ELNS1_3gpuE5ELNS1_3repE0EEENS1_30default_config_static_selectorELNS0_4arch9wavefront6targetE1EEEvS14_: ; @_ZN7rocprim17ROCPRIM_400000_NS6detail17trampoline_kernelINS0_14default_configENS1_22reduce_config_selectorIN6thrust23THRUST_200600_302600_NS5tupleIblNS6_9null_typeES8_S8_S8_S8_S8_S8_S8_EEEEZNS1_11reduce_implILb1ES3_NS6_12zip_iteratorINS7_INS6_11hip_rocprim26transform_input_iterator_tIbNSD_35transform_pair_of_input_iterators_tIbNS6_6detail15normal_iteratorINS6_10device_ptrIKxEEEESL_NS6_8equal_toIxEEEENSG_9not_fun_tINSD_8identityEEEEENSD_19counting_iterator_tIlEES8_S8_S8_S8_S8_S8_S8_S8_EEEEPS9_S9_NSD_9__find_if7functorIS9_EEEE10hipError_tPvRmT1_T2_T3_mT4_P12ihipStream_tbEUlT_E1_NS1_11comp_targetILNS1_3genE10ELNS1_11target_archE1201ELNS1_3gpuE5ELNS1_3repE0EEENS1_30default_config_static_selectorELNS0_4arch9wavefront6targetE1EEEvS14_
; %bb.0:
	.section	.rodata,"a",@progbits
	.p2align	6, 0x0
	.amdhsa_kernel _ZN7rocprim17ROCPRIM_400000_NS6detail17trampoline_kernelINS0_14default_configENS1_22reduce_config_selectorIN6thrust23THRUST_200600_302600_NS5tupleIblNS6_9null_typeES8_S8_S8_S8_S8_S8_S8_EEEEZNS1_11reduce_implILb1ES3_NS6_12zip_iteratorINS7_INS6_11hip_rocprim26transform_input_iterator_tIbNSD_35transform_pair_of_input_iterators_tIbNS6_6detail15normal_iteratorINS6_10device_ptrIKxEEEESL_NS6_8equal_toIxEEEENSG_9not_fun_tINSD_8identityEEEEENSD_19counting_iterator_tIlEES8_S8_S8_S8_S8_S8_S8_S8_EEEEPS9_S9_NSD_9__find_if7functorIS9_EEEE10hipError_tPvRmT1_T2_T3_mT4_P12ihipStream_tbEUlT_E1_NS1_11comp_targetILNS1_3genE10ELNS1_11target_archE1201ELNS1_3gpuE5ELNS1_3repE0EEENS1_30default_config_static_selectorELNS0_4arch9wavefront6targetE1EEEvS14_
		.amdhsa_group_segment_fixed_size 0
		.amdhsa_private_segment_fixed_size 0
		.amdhsa_kernarg_size 88
		.amdhsa_user_sgpr_count 6
		.amdhsa_user_sgpr_private_segment_buffer 1
		.amdhsa_user_sgpr_dispatch_ptr 0
		.amdhsa_user_sgpr_queue_ptr 0
		.amdhsa_user_sgpr_kernarg_segment_ptr 1
		.amdhsa_user_sgpr_dispatch_id 0
		.amdhsa_user_sgpr_flat_scratch_init 0
		.amdhsa_user_sgpr_private_segment_size 0
		.amdhsa_uses_dynamic_stack 0
		.amdhsa_system_sgpr_private_segment_wavefront_offset 0
		.amdhsa_system_sgpr_workgroup_id_x 1
		.amdhsa_system_sgpr_workgroup_id_y 0
		.amdhsa_system_sgpr_workgroup_id_z 0
		.amdhsa_system_sgpr_workgroup_info 0
		.amdhsa_system_vgpr_workitem_id 0
		.amdhsa_next_free_vgpr 1
		.amdhsa_next_free_sgpr 0
		.amdhsa_reserve_vcc 0
		.amdhsa_reserve_flat_scratch 0
		.amdhsa_float_round_mode_32 0
		.amdhsa_float_round_mode_16_64 0
		.amdhsa_float_denorm_mode_32 3
		.amdhsa_float_denorm_mode_16_64 3
		.amdhsa_dx10_clamp 1
		.amdhsa_ieee_mode 1
		.amdhsa_fp16_overflow 0
		.amdhsa_exception_fp_ieee_invalid_op 0
		.amdhsa_exception_fp_denorm_src 0
		.amdhsa_exception_fp_ieee_div_zero 0
		.amdhsa_exception_fp_ieee_overflow 0
		.amdhsa_exception_fp_ieee_underflow 0
		.amdhsa_exception_fp_ieee_inexact 0
		.amdhsa_exception_int_div_zero 0
	.end_amdhsa_kernel
	.section	.text._ZN7rocprim17ROCPRIM_400000_NS6detail17trampoline_kernelINS0_14default_configENS1_22reduce_config_selectorIN6thrust23THRUST_200600_302600_NS5tupleIblNS6_9null_typeES8_S8_S8_S8_S8_S8_S8_EEEEZNS1_11reduce_implILb1ES3_NS6_12zip_iteratorINS7_INS6_11hip_rocprim26transform_input_iterator_tIbNSD_35transform_pair_of_input_iterators_tIbNS6_6detail15normal_iteratorINS6_10device_ptrIKxEEEESL_NS6_8equal_toIxEEEENSG_9not_fun_tINSD_8identityEEEEENSD_19counting_iterator_tIlEES8_S8_S8_S8_S8_S8_S8_S8_EEEEPS9_S9_NSD_9__find_if7functorIS9_EEEE10hipError_tPvRmT1_T2_T3_mT4_P12ihipStream_tbEUlT_E1_NS1_11comp_targetILNS1_3genE10ELNS1_11target_archE1201ELNS1_3gpuE5ELNS1_3repE0EEENS1_30default_config_static_selectorELNS0_4arch9wavefront6targetE1EEEvS14_,"axG",@progbits,_ZN7rocprim17ROCPRIM_400000_NS6detail17trampoline_kernelINS0_14default_configENS1_22reduce_config_selectorIN6thrust23THRUST_200600_302600_NS5tupleIblNS6_9null_typeES8_S8_S8_S8_S8_S8_S8_EEEEZNS1_11reduce_implILb1ES3_NS6_12zip_iteratorINS7_INS6_11hip_rocprim26transform_input_iterator_tIbNSD_35transform_pair_of_input_iterators_tIbNS6_6detail15normal_iteratorINS6_10device_ptrIKxEEEESL_NS6_8equal_toIxEEEENSG_9not_fun_tINSD_8identityEEEEENSD_19counting_iterator_tIlEES8_S8_S8_S8_S8_S8_S8_S8_EEEEPS9_S9_NSD_9__find_if7functorIS9_EEEE10hipError_tPvRmT1_T2_T3_mT4_P12ihipStream_tbEUlT_E1_NS1_11comp_targetILNS1_3genE10ELNS1_11target_archE1201ELNS1_3gpuE5ELNS1_3repE0EEENS1_30default_config_static_selectorELNS0_4arch9wavefront6targetE1EEEvS14_,comdat
.Lfunc_end533:
	.size	_ZN7rocprim17ROCPRIM_400000_NS6detail17trampoline_kernelINS0_14default_configENS1_22reduce_config_selectorIN6thrust23THRUST_200600_302600_NS5tupleIblNS6_9null_typeES8_S8_S8_S8_S8_S8_S8_EEEEZNS1_11reduce_implILb1ES3_NS6_12zip_iteratorINS7_INS6_11hip_rocprim26transform_input_iterator_tIbNSD_35transform_pair_of_input_iterators_tIbNS6_6detail15normal_iteratorINS6_10device_ptrIKxEEEESL_NS6_8equal_toIxEEEENSG_9not_fun_tINSD_8identityEEEEENSD_19counting_iterator_tIlEES8_S8_S8_S8_S8_S8_S8_S8_EEEEPS9_S9_NSD_9__find_if7functorIS9_EEEE10hipError_tPvRmT1_T2_T3_mT4_P12ihipStream_tbEUlT_E1_NS1_11comp_targetILNS1_3genE10ELNS1_11target_archE1201ELNS1_3gpuE5ELNS1_3repE0EEENS1_30default_config_static_selectorELNS0_4arch9wavefront6targetE1EEEvS14_, .Lfunc_end533-_ZN7rocprim17ROCPRIM_400000_NS6detail17trampoline_kernelINS0_14default_configENS1_22reduce_config_selectorIN6thrust23THRUST_200600_302600_NS5tupleIblNS6_9null_typeES8_S8_S8_S8_S8_S8_S8_EEEEZNS1_11reduce_implILb1ES3_NS6_12zip_iteratorINS7_INS6_11hip_rocprim26transform_input_iterator_tIbNSD_35transform_pair_of_input_iterators_tIbNS6_6detail15normal_iteratorINS6_10device_ptrIKxEEEESL_NS6_8equal_toIxEEEENSG_9not_fun_tINSD_8identityEEEEENSD_19counting_iterator_tIlEES8_S8_S8_S8_S8_S8_S8_S8_EEEEPS9_S9_NSD_9__find_if7functorIS9_EEEE10hipError_tPvRmT1_T2_T3_mT4_P12ihipStream_tbEUlT_E1_NS1_11comp_targetILNS1_3genE10ELNS1_11target_archE1201ELNS1_3gpuE5ELNS1_3repE0EEENS1_30default_config_static_selectorELNS0_4arch9wavefront6targetE1EEEvS14_
                                        ; -- End function
	.set _ZN7rocprim17ROCPRIM_400000_NS6detail17trampoline_kernelINS0_14default_configENS1_22reduce_config_selectorIN6thrust23THRUST_200600_302600_NS5tupleIblNS6_9null_typeES8_S8_S8_S8_S8_S8_S8_EEEEZNS1_11reduce_implILb1ES3_NS6_12zip_iteratorINS7_INS6_11hip_rocprim26transform_input_iterator_tIbNSD_35transform_pair_of_input_iterators_tIbNS6_6detail15normal_iteratorINS6_10device_ptrIKxEEEESL_NS6_8equal_toIxEEEENSG_9not_fun_tINSD_8identityEEEEENSD_19counting_iterator_tIlEES8_S8_S8_S8_S8_S8_S8_S8_EEEEPS9_S9_NSD_9__find_if7functorIS9_EEEE10hipError_tPvRmT1_T2_T3_mT4_P12ihipStream_tbEUlT_E1_NS1_11comp_targetILNS1_3genE10ELNS1_11target_archE1201ELNS1_3gpuE5ELNS1_3repE0EEENS1_30default_config_static_selectorELNS0_4arch9wavefront6targetE1EEEvS14_.num_vgpr, 0
	.set _ZN7rocprim17ROCPRIM_400000_NS6detail17trampoline_kernelINS0_14default_configENS1_22reduce_config_selectorIN6thrust23THRUST_200600_302600_NS5tupleIblNS6_9null_typeES8_S8_S8_S8_S8_S8_S8_EEEEZNS1_11reduce_implILb1ES3_NS6_12zip_iteratorINS7_INS6_11hip_rocprim26transform_input_iterator_tIbNSD_35transform_pair_of_input_iterators_tIbNS6_6detail15normal_iteratorINS6_10device_ptrIKxEEEESL_NS6_8equal_toIxEEEENSG_9not_fun_tINSD_8identityEEEEENSD_19counting_iterator_tIlEES8_S8_S8_S8_S8_S8_S8_S8_EEEEPS9_S9_NSD_9__find_if7functorIS9_EEEE10hipError_tPvRmT1_T2_T3_mT4_P12ihipStream_tbEUlT_E1_NS1_11comp_targetILNS1_3genE10ELNS1_11target_archE1201ELNS1_3gpuE5ELNS1_3repE0EEENS1_30default_config_static_selectorELNS0_4arch9wavefront6targetE1EEEvS14_.num_agpr, 0
	.set _ZN7rocprim17ROCPRIM_400000_NS6detail17trampoline_kernelINS0_14default_configENS1_22reduce_config_selectorIN6thrust23THRUST_200600_302600_NS5tupleIblNS6_9null_typeES8_S8_S8_S8_S8_S8_S8_EEEEZNS1_11reduce_implILb1ES3_NS6_12zip_iteratorINS7_INS6_11hip_rocprim26transform_input_iterator_tIbNSD_35transform_pair_of_input_iterators_tIbNS6_6detail15normal_iteratorINS6_10device_ptrIKxEEEESL_NS6_8equal_toIxEEEENSG_9not_fun_tINSD_8identityEEEEENSD_19counting_iterator_tIlEES8_S8_S8_S8_S8_S8_S8_S8_EEEEPS9_S9_NSD_9__find_if7functorIS9_EEEE10hipError_tPvRmT1_T2_T3_mT4_P12ihipStream_tbEUlT_E1_NS1_11comp_targetILNS1_3genE10ELNS1_11target_archE1201ELNS1_3gpuE5ELNS1_3repE0EEENS1_30default_config_static_selectorELNS0_4arch9wavefront6targetE1EEEvS14_.numbered_sgpr, 0
	.set _ZN7rocprim17ROCPRIM_400000_NS6detail17trampoline_kernelINS0_14default_configENS1_22reduce_config_selectorIN6thrust23THRUST_200600_302600_NS5tupleIblNS6_9null_typeES8_S8_S8_S8_S8_S8_S8_EEEEZNS1_11reduce_implILb1ES3_NS6_12zip_iteratorINS7_INS6_11hip_rocprim26transform_input_iterator_tIbNSD_35transform_pair_of_input_iterators_tIbNS6_6detail15normal_iteratorINS6_10device_ptrIKxEEEESL_NS6_8equal_toIxEEEENSG_9not_fun_tINSD_8identityEEEEENSD_19counting_iterator_tIlEES8_S8_S8_S8_S8_S8_S8_S8_EEEEPS9_S9_NSD_9__find_if7functorIS9_EEEE10hipError_tPvRmT1_T2_T3_mT4_P12ihipStream_tbEUlT_E1_NS1_11comp_targetILNS1_3genE10ELNS1_11target_archE1201ELNS1_3gpuE5ELNS1_3repE0EEENS1_30default_config_static_selectorELNS0_4arch9wavefront6targetE1EEEvS14_.num_named_barrier, 0
	.set _ZN7rocprim17ROCPRIM_400000_NS6detail17trampoline_kernelINS0_14default_configENS1_22reduce_config_selectorIN6thrust23THRUST_200600_302600_NS5tupleIblNS6_9null_typeES8_S8_S8_S8_S8_S8_S8_EEEEZNS1_11reduce_implILb1ES3_NS6_12zip_iteratorINS7_INS6_11hip_rocprim26transform_input_iterator_tIbNSD_35transform_pair_of_input_iterators_tIbNS6_6detail15normal_iteratorINS6_10device_ptrIKxEEEESL_NS6_8equal_toIxEEEENSG_9not_fun_tINSD_8identityEEEEENSD_19counting_iterator_tIlEES8_S8_S8_S8_S8_S8_S8_S8_EEEEPS9_S9_NSD_9__find_if7functorIS9_EEEE10hipError_tPvRmT1_T2_T3_mT4_P12ihipStream_tbEUlT_E1_NS1_11comp_targetILNS1_3genE10ELNS1_11target_archE1201ELNS1_3gpuE5ELNS1_3repE0EEENS1_30default_config_static_selectorELNS0_4arch9wavefront6targetE1EEEvS14_.private_seg_size, 0
	.set _ZN7rocprim17ROCPRIM_400000_NS6detail17trampoline_kernelINS0_14default_configENS1_22reduce_config_selectorIN6thrust23THRUST_200600_302600_NS5tupleIblNS6_9null_typeES8_S8_S8_S8_S8_S8_S8_EEEEZNS1_11reduce_implILb1ES3_NS6_12zip_iteratorINS7_INS6_11hip_rocprim26transform_input_iterator_tIbNSD_35transform_pair_of_input_iterators_tIbNS6_6detail15normal_iteratorINS6_10device_ptrIKxEEEESL_NS6_8equal_toIxEEEENSG_9not_fun_tINSD_8identityEEEEENSD_19counting_iterator_tIlEES8_S8_S8_S8_S8_S8_S8_S8_EEEEPS9_S9_NSD_9__find_if7functorIS9_EEEE10hipError_tPvRmT1_T2_T3_mT4_P12ihipStream_tbEUlT_E1_NS1_11comp_targetILNS1_3genE10ELNS1_11target_archE1201ELNS1_3gpuE5ELNS1_3repE0EEENS1_30default_config_static_selectorELNS0_4arch9wavefront6targetE1EEEvS14_.uses_vcc, 0
	.set _ZN7rocprim17ROCPRIM_400000_NS6detail17trampoline_kernelINS0_14default_configENS1_22reduce_config_selectorIN6thrust23THRUST_200600_302600_NS5tupleIblNS6_9null_typeES8_S8_S8_S8_S8_S8_S8_EEEEZNS1_11reduce_implILb1ES3_NS6_12zip_iteratorINS7_INS6_11hip_rocprim26transform_input_iterator_tIbNSD_35transform_pair_of_input_iterators_tIbNS6_6detail15normal_iteratorINS6_10device_ptrIKxEEEESL_NS6_8equal_toIxEEEENSG_9not_fun_tINSD_8identityEEEEENSD_19counting_iterator_tIlEES8_S8_S8_S8_S8_S8_S8_S8_EEEEPS9_S9_NSD_9__find_if7functorIS9_EEEE10hipError_tPvRmT1_T2_T3_mT4_P12ihipStream_tbEUlT_E1_NS1_11comp_targetILNS1_3genE10ELNS1_11target_archE1201ELNS1_3gpuE5ELNS1_3repE0EEENS1_30default_config_static_selectorELNS0_4arch9wavefront6targetE1EEEvS14_.uses_flat_scratch, 0
	.set _ZN7rocprim17ROCPRIM_400000_NS6detail17trampoline_kernelINS0_14default_configENS1_22reduce_config_selectorIN6thrust23THRUST_200600_302600_NS5tupleIblNS6_9null_typeES8_S8_S8_S8_S8_S8_S8_EEEEZNS1_11reduce_implILb1ES3_NS6_12zip_iteratorINS7_INS6_11hip_rocprim26transform_input_iterator_tIbNSD_35transform_pair_of_input_iterators_tIbNS6_6detail15normal_iteratorINS6_10device_ptrIKxEEEESL_NS6_8equal_toIxEEEENSG_9not_fun_tINSD_8identityEEEEENSD_19counting_iterator_tIlEES8_S8_S8_S8_S8_S8_S8_S8_EEEEPS9_S9_NSD_9__find_if7functorIS9_EEEE10hipError_tPvRmT1_T2_T3_mT4_P12ihipStream_tbEUlT_E1_NS1_11comp_targetILNS1_3genE10ELNS1_11target_archE1201ELNS1_3gpuE5ELNS1_3repE0EEENS1_30default_config_static_selectorELNS0_4arch9wavefront6targetE1EEEvS14_.has_dyn_sized_stack, 0
	.set _ZN7rocprim17ROCPRIM_400000_NS6detail17trampoline_kernelINS0_14default_configENS1_22reduce_config_selectorIN6thrust23THRUST_200600_302600_NS5tupleIblNS6_9null_typeES8_S8_S8_S8_S8_S8_S8_EEEEZNS1_11reduce_implILb1ES3_NS6_12zip_iteratorINS7_INS6_11hip_rocprim26transform_input_iterator_tIbNSD_35transform_pair_of_input_iterators_tIbNS6_6detail15normal_iteratorINS6_10device_ptrIKxEEEESL_NS6_8equal_toIxEEEENSG_9not_fun_tINSD_8identityEEEEENSD_19counting_iterator_tIlEES8_S8_S8_S8_S8_S8_S8_S8_EEEEPS9_S9_NSD_9__find_if7functorIS9_EEEE10hipError_tPvRmT1_T2_T3_mT4_P12ihipStream_tbEUlT_E1_NS1_11comp_targetILNS1_3genE10ELNS1_11target_archE1201ELNS1_3gpuE5ELNS1_3repE0EEENS1_30default_config_static_selectorELNS0_4arch9wavefront6targetE1EEEvS14_.has_recursion, 0
	.set _ZN7rocprim17ROCPRIM_400000_NS6detail17trampoline_kernelINS0_14default_configENS1_22reduce_config_selectorIN6thrust23THRUST_200600_302600_NS5tupleIblNS6_9null_typeES8_S8_S8_S8_S8_S8_S8_EEEEZNS1_11reduce_implILb1ES3_NS6_12zip_iteratorINS7_INS6_11hip_rocprim26transform_input_iterator_tIbNSD_35transform_pair_of_input_iterators_tIbNS6_6detail15normal_iteratorINS6_10device_ptrIKxEEEESL_NS6_8equal_toIxEEEENSG_9not_fun_tINSD_8identityEEEEENSD_19counting_iterator_tIlEES8_S8_S8_S8_S8_S8_S8_S8_EEEEPS9_S9_NSD_9__find_if7functorIS9_EEEE10hipError_tPvRmT1_T2_T3_mT4_P12ihipStream_tbEUlT_E1_NS1_11comp_targetILNS1_3genE10ELNS1_11target_archE1201ELNS1_3gpuE5ELNS1_3repE0EEENS1_30default_config_static_selectorELNS0_4arch9wavefront6targetE1EEEvS14_.has_indirect_call, 0
	.section	.AMDGPU.csdata,"",@progbits
; Kernel info:
; codeLenInByte = 0
; TotalNumSgprs: 4
; NumVgprs: 0
; ScratchSize: 0
; MemoryBound: 0
; FloatMode: 240
; IeeeMode: 1
; LDSByteSize: 0 bytes/workgroup (compile time only)
; SGPRBlocks: 0
; VGPRBlocks: 0
; NumSGPRsForWavesPerEU: 4
; NumVGPRsForWavesPerEU: 1
; Occupancy: 10
; WaveLimiterHint : 0
; COMPUTE_PGM_RSRC2:SCRATCH_EN: 0
; COMPUTE_PGM_RSRC2:USER_SGPR: 6
; COMPUTE_PGM_RSRC2:TRAP_HANDLER: 0
; COMPUTE_PGM_RSRC2:TGID_X_EN: 1
; COMPUTE_PGM_RSRC2:TGID_Y_EN: 0
; COMPUTE_PGM_RSRC2:TGID_Z_EN: 0
; COMPUTE_PGM_RSRC2:TIDIG_COMP_CNT: 0
	.section	.text._ZN7rocprim17ROCPRIM_400000_NS6detail17trampoline_kernelINS0_14default_configENS1_22reduce_config_selectorIN6thrust23THRUST_200600_302600_NS5tupleIblNS6_9null_typeES8_S8_S8_S8_S8_S8_S8_EEEEZNS1_11reduce_implILb1ES3_NS6_12zip_iteratorINS7_INS6_11hip_rocprim26transform_input_iterator_tIbNSD_35transform_pair_of_input_iterators_tIbNS6_6detail15normal_iteratorINS6_10device_ptrIKxEEEESL_NS6_8equal_toIxEEEENSG_9not_fun_tINSD_8identityEEEEENSD_19counting_iterator_tIlEES8_S8_S8_S8_S8_S8_S8_S8_EEEEPS9_S9_NSD_9__find_if7functorIS9_EEEE10hipError_tPvRmT1_T2_T3_mT4_P12ihipStream_tbEUlT_E1_NS1_11comp_targetILNS1_3genE10ELNS1_11target_archE1200ELNS1_3gpuE4ELNS1_3repE0EEENS1_30default_config_static_selectorELNS0_4arch9wavefront6targetE1EEEvS14_,"axG",@progbits,_ZN7rocprim17ROCPRIM_400000_NS6detail17trampoline_kernelINS0_14default_configENS1_22reduce_config_selectorIN6thrust23THRUST_200600_302600_NS5tupleIblNS6_9null_typeES8_S8_S8_S8_S8_S8_S8_EEEEZNS1_11reduce_implILb1ES3_NS6_12zip_iteratorINS7_INS6_11hip_rocprim26transform_input_iterator_tIbNSD_35transform_pair_of_input_iterators_tIbNS6_6detail15normal_iteratorINS6_10device_ptrIKxEEEESL_NS6_8equal_toIxEEEENSG_9not_fun_tINSD_8identityEEEEENSD_19counting_iterator_tIlEES8_S8_S8_S8_S8_S8_S8_S8_EEEEPS9_S9_NSD_9__find_if7functorIS9_EEEE10hipError_tPvRmT1_T2_T3_mT4_P12ihipStream_tbEUlT_E1_NS1_11comp_targetILNS1_3genE10ELNS1_11target_archE1200ELNS1_3gpuE4ELNS1_3repE0EEENS1_30default_config_static_selectorELNS0_4arch9wavefront6targetE1EEEvS14_,comdat
	.protected	_ZN7rocprim17ROCPRIM_400000_NS6detail17trampoline_kernelINS0_14default_configENS1_22reduce_config_selectorIN6thrust23THRUST_200600_302600_NS5tupleIblNS6_9null_typeES8_S8_S8_S8_S8_S8_S8_EEEEZNS1_11reduce_implILb1ES3_NS6_12zip_iteratorINS7_INS6_11hip_rocprim26transform_input_iterator_tIbNSD_35transform_pair_of_input_iterators_tIbNS6_6detail15normal_iteratorINS6_10device_ptrIKxEEEESL_NS6_8equal_toIxEEEENSG_9not_fun_tINSD_8identityEEEEENSD_19counting_iterator_tIlEES8_S8_S8_S8_S8_S8_S8_S8_EEEEPS9_S9_NSD_9__find_if7functorIS9_EEEE10hipError_tPvRmT1_T2_T3_mT4_P12ihipStream_tbEUlT_E1_NS1_11comp_targetILNS1_3genE10ELNS1_11target_archE1200ELNS1_3gpuE4ELNS1_3repE0EEENS1_30default_config_static_selectorELNS0_4arch9wavefront6targetE1EEEvS14_ ; -- Begin function _ZN7rocprim17ROCPRIM_400000_NS6detail17trampoline_kernelINS0_14default_configENS1_22reduce_config_selectorIN6thrust23THRUST_200600_302600_NS5tupleIblNS6_9null_typeES8_S8_S8_S8_S8_S8_S8_EEEEZNS1_11reduce_implILb1ES3_NS6_12zip_iteratorINS7_INS6_11hip_rocprim26transform_input_iterator_tIbNSD_35transform_pair_of_input_iterators_tIbNS6_6detail15normal_iteratorINS6_10device_ptrIKxEEEESL_NS6_8equal_toIxEEEENSG_9not_fun_tINSD_8identityEEEEENSD_19counting_iterator_tIlEES8_S8_S8_S8_S8_S8_S8_S8_EEEEPS9_S9_NSD_9__find_if7functorIS9_EEEE10hipError_tPvRmT1_T2_T3_mT4_P12ihipStream_tbEUlT_E1_NS1_11comp_targetILNS1_3genE10ELNS1_11target_archE1200ELNS1_3gpuE4ELNS1_3repE0EEENS1_30default_config_static_selectorELNS0_4arch9wavefront6targetE1EEEvS14_
	.globl	_ZN7rocprim17ROCPRIM_400000_NS6detail17trampoline_kernelINS0_14default_configENS1_22reduce_config_selectorIN6thrust23THRUST_200600_302600_NS5tupleIblNS6_9null_typeES8_S8_S8_S8_S8_S8_S8_EEEEZNS1_11reduce_implILb1ES3_NS6_12zip_iteratorINS7_INS6_11hip_rocprim26transform_input_iterator_tIbNSD_35transform_pair_of_input_iterators_tIbNS6_6detail15normal_iteratorINS6_10device_ptrIKxEEEESL_NS6_8equal_toIxEEEENSG_9not_fun_tINSD_8identityEEEEENSD_19counting_iterator_tIlEES8_S8_S8_S8_S8_S8_S8_S8_EEEEPS9_S9_NSD_9__find_if7functorIS9_EEEE10hipError_tPvRmT1_T2_T3_mT4_P12ihipStream_tbEUlT_E1_NS1_11comp_targetILNS1_3genE10ELNS1_11target_archE1200ELNS1_3gpuE4ELNS1_3repE0EEENS1_30default_config_static_selectorELNS0_4arch9wavefront6targetE1EEEvS14_
	.p2align	8
	.type	_ZN7rocprim17ROCPRIM_400000_NS6detail17trampoline_kernelINS0_14default_configENS1_22reduce_config_selectorIN6thrust23THRUST_200600_302600_NS5tupleIblNS6_9null_typeES8_S8_S8_S8_S8_S8_S8_EEEEZNS1_11reduce_implILb1ES3_NS6_12zip_iteratorINS7_INS6_11hip_rocprim26transform_input_iterator_tIbNSD_35transform_pair_of_input_iterators_tIbNS6_6detail15normal_iteratorINS6_10device_ptrIKxEEEESL_NS6_8equal_toIxEEEENSG_9not_fun_tINSD_8identityEEEEENSD_19counting_iterator_tIlEES8_S8_S8_S8_S8_S8_S8_S8_EEEEPS9_S9_NSD_9__find_if7functorIS9_EEEE10hipError_tPvRmT1_T2_T3_mT4_P12ihipStream_tbEUlT_E1_NS1_11comp_targetILNS1_3genE10ELNS1_11target_archE1200ELNS1_3gpuE4ELNS1_3repE0EEENS1_30default_config_static_selectorELNS0_4arch9wavefront6targetE1EEEvS14_,@function
_ZN7rocprim17ROCPRIM_400000_NS6detail17trampoline_kernelINS0_14default_configENS1_22reduce_config_selectorIN6thrust23THRUST_200600_302600_NS5tupleIblNS6_9null_typeES8_S8_S8_S8_S8_S8_S8_EEEEZNS1_11reduce_implILb1ES3_NS6_12zip_iteratorINS7_INS6_11hip_rocprim26transform_input_iterator_tIbNSD_35transform_pair_of_input_iterators_tIbNS6_6detail15normal_iteratorINS6_10device_ptrIKxEEEESL_NS6_8equal_toIxEEEENSG_9not_fun_tINSD_8identityEEEEENSD_19counting_iterator_tIlEES8_S8_S8_S8_S8_S8_S8_S8_EEEEPS9_S9_NSD_9__find_if7functorIS9_EEEE10hipError_tPvRmT1_T2_T3_mT4_P12ihipStream_tbEUlT_E1_NS1_11comp_targetILNS1_3genE10ELNS1_11target_archE1200ELNS1_3gpuE4ELNS1_3repE0EEENS1_30default_config_static_selectorELNS0_4arch9wavefront6targetE1EEEvS14_: ; @_ZN7rocprim17ROCPRIM_400000_NS6detail17trampoline_kernelINS0_14default_configENS1_22reduce_config_selectorIN6thrust23THRUST_200600_302600_NS5tupleIblNS6_9null_typeES8_S8_S8_S8_S8_S8_S8_EEEEZNS1_11reduce_implILb1ES3_NS6_12zip_iteratorINS7_INS6_11hip_rocprim26transform_input_iterator_tIbNSD_35transform_pair_of_input_iterators_tIbNS6_6detail15normal_iteratorINS6_10device_ptrIKxEEEESL_NS6_8equal_toIxEEEENSG_9not_fun_tINSD_8identityEEEEENSD_19counting_iterator_tIlEES8_S8_S8_S8_S8_S8_S8_S8_EEEEPS9_S9_NSD_9__find_if7functorIS9_EEEE10hipError_tPvRmT1_T2_T3_mT4_P12ihipStream_tbEUlT_E1_NS1_11comp_targetILNS1_3genE10ELNS1_11target_archE1200ELNS1_3gpuE4ELNS1_3repE0EEENS1_30default_config_static_selectorELNS0_4arch9wavefront6targetE1EEEvS14_
; %bb.0:
	.section	.rodata,"a",@progbits
	.p2align	6, 0x0
	.amdhsa_kernel _ZN7rocprim17ROCPRIM_400000_NS6detail17trampoline_kernelINS0_14default_configENS1_22reduce_config_selectorIN6thrust23THRUST_200600_302600_NS5tupleIblNS6_9null_typeES8_S8_S8_S8_S8_S8_S8_EEEEZNS1_11reduce_implILb1ES3_NS6_12zip_iteratorINS7_INS6_11hip_rocprim26transform_input_iterator_tIbNSD_35transform_pair_of_input_iterators_tIbNS6_6detail15normal_iteratorINS6_10device_ptrIKxEEEESL_NS6_8equal_toIxEEEENSG_9not_fun_tINSD_8identityEEEEENSD_19counting_iterator_tIlEES8_S8_S8_S8_S8_S8_S8_S8_EEEEPS9_S9_NSD_9__find_if7functorIS9_EEEE10hipError_tPvRmT1_T2_T3_mT4_P12ihipStream_tbEUlT_E1_NS1_11comp_targetILNS1_3genE10ELNS1_11target_archE1200ELNS1_3gpuE4ELNS1_3repE0EEENS1_30default_config_static_selectorELNS0_4arch9wavefront6targetE1EEEvS14_
		.amdhsa_group_segment_fixed_size 0
		.amdhsa_private_segment_fixed_size 0
		.amdhsa_kernarg_size 88
		.amdhsa_user_sgpr_count 6
		.amdhsa_user_sgpr_private_segment_buffer 1
		.amdhsa_user_sgpr_dispatch_ptr 0
		.amdhsa_user_sgpr_queue_ptr 0
		.amdhsa_user_sgpr_kernarg_segment_ptr 1
		.amdhsa_user_sgpr_dispatch_id 0
		.amdhsa_user_sgpr_flat_scratch_init 0
		.amdhsa_user_sgpr_private_segment_size 0
		.amdhsa_uses_dynamic_stack 0
		.amdhsa_system_sgpr_private_segment_wavefront_offset 0
		.amdhsa_system_sgpr_workgroup_id_x 1
		.amdhsa_system_sgpr_workgroup_id_y 0
		.amdhsa_system_sgpr_workgroup_id_z 0
		.amdhsa_system_sgpr_workgroup_info 0
		.amdhsa_system_vgpr_workitem_id 0
		.amdhsa_next_free_vgpr 1
		.amdhsa_next_free_sgpr 0
		.amdhsa_reserve_vcc 0
		.amdhsa_reserve_flat_scratch 0
		.amdhsa_float_round_mode_32 0
		.amdhsa_float_round_mode_16_64 0
		.amdhsa_float_denorm_mode_32 3
		.amdhsa_float_denorm_mode_16_64 3
		.amdhsa_dx10_clamp 1
		.amdhsa_ieee_mode 1
		.amdhsa_fp16_overflow 0
		.amdhsa_exception_fp_ieee_invalid_op 0
		.amdhsa_exception_fp_denorm_src 0
		.amdhsa_exception_fp_ieee_div_zero 0
		.amdhsa_exception_fp_ieee_overflow 0
		.amdhsa_exception_fp_ieee_underflow 0
		.amdhsa_exception_fp_ieee_inexact 0
		.amdhsa_exception_int_div_zero 0
	.end_amdhsa_kernel
	.section	.text._ZN7rocprim17ROCPRIM_400000_NS6detail17trampoline_kernelINS0_14default_configENS1_22reduce_config_selectorIN6thrust23THRUST_200600_302600_NS5tupleIblNS6_9null_typeES8_S8_S8_S8_S8_S8_S8_EEEEZNS1_11reduce_implILb1ES3_NS6_12zip_iteratorINS7_INS6_11hip_rocprim26transform_input_iterator_tIbNSD_35transform_pair_of_input_iterators_tIbNS6_6detail15normal_iteratorINS6_10device_ptrIKxEEEESL_NS6_8equal_toIxEEEENSG_9not_fun_tINSD_8identityEEEEENSD_19counting_iterator_tIlEES8_S8_S8_S8_S8_S8_S8_S8_EEEEPS9_S9_NSD_9__find_if7functorIS9_EEEE10hipError_tPvRmT1_T2_T3_mT4_P12ihipStream_tbEUlT_E1_NS1_11comp_targetILNS1_3genE10ELNS1_11target_archE1200ELNS1_3gpuE4ELNS1_3repE0EEENS1_30default_config_static_selectorELNS0_4arch9wavefront6targetE1EEEvS14_,"axG",@progbits,_ZN7rocprim17ROCPRIM_400000_NS6detail17trampoline_kernelINS0_14default_configENS1_22reduce_config_selectorIN6thrust23THRUST_200600_302600_NS5tupleIblNS6_9null_typeES8_S8_S8_S8_S8_S8_S8_EEEEZNS1_11reduce_implILb1ES3_NS6_12zip_iteratorINS7_INS6_11hip_rocprim26transform_input_iterator_tIbNSD_35transform_pair_of_input_iterators_tIbNS6_6detail15normal_iteratorINS6_10device_ptrIKxEEEESL_NS6_8equal_toIxEEEENSG_9not_fun_tINSD_8identityEEEEENSD_19counting_iterator_tIlEES8_S8_S8_S8_S8_S8_S8_S8_EEEEPS9_S9_NSD_9__find_if7functorIS9_EEEE10hipError_tPvRmT1_T2_T3_mT4_P12ihipStream_tbEUlT_E1_NS1_11comp_targetILNS1_3genE10ELNS1_11target_archE1200ELNS1_3gpuE4ELNS1_3repE0EEENS1_30default_config_static_selectorELNS0_4arch9wavefront6targetE1EEEvS14_,comdat
.Lfunc_end534:
	.size	_ZN7rocprim17ROCPRIM_400000_NS6detail17trampoline_kernelINS0_14default_configENS1_22reduce_config_selectorIN6thrust23THRUST_200600_302600_NS5tupleIblNS6_9null_typeES8_S8_S8_S8_S8_S8_S8_EEEEZNS1_11reduce_implILb1ES3_NS6_12zip_iteratorINS7_INS6_11hip_rocprim26transform_input_iterator_tIbNSD_35transform_pair_of_input_iterators_tIbNS6_6detail15normal_iteratorINS6_10device_ptrIKxEEEESL_NS6_8equal_toIxEEEENSG_9not_fun_tINSD_8identityEEEEENSD_19counting_iterator_tIlEES8_S8_S8_S8_S8_S8_S8_S8_EEEEPS9_S9_NSD_9__find_if7functorIS9_EEEE10hipError_tPvRmT1_T2_T3_mT4_P12ihipStream_tbEUlT_E1_NS1_11comp_targetILNS1_3genE10ELNS1_11target_archE1200ELNS1_3gpuE4ELNS1_3repE0EEENS1_30default_config_static_selectorELNS0_4arch9wavefront6targetE1EEEvS14_, .Lfunc_end534-_ZN7rocprim17ROCPRIM_400000_NS6detail17trampoline_kernelINS0_14default_configENS1_22reduce_config_selectorIN6thrust23THRUST_200600_302600_NS5tupleIblNS6_9null_typeES8_S8_S8_S8_S8_S8_S8_EEEEZNS1_11reduce_implILb1ES3_NS6_12zip_iteratorINS7_INS6_11hip_rocprim26transform_input_iterator_tIbNSD_35transform_pair_of_input_iterators_tIbNS6_6detail15normal_iteratorINS6_10device_ptrIKxEEEESL_NS6_8equal_toIxEEEENSG_9not_fun_tINSD_8identityEEEEENSD_19counting_iterator_tIlEES8_S8_S8_S8_S8_S8_S8_S8_EEEEPS9_S9_NSD_9__find_if7functorIS9_EEEE10hipError_tPvRmT1_T2_T3_mT4_P12ihipStream_tbEUlT_E1_NS1_11comp_targetILNS1_3genE10ELNS1_11target_archE1200ELNS1_3gpuE4ELNS1_3repE0EEENS1_30default_config_static_selectorELNS0_4arch9wavefront6targetE1EEEvS14_
                                        ; -- End function
	.set _ZN7rocprim17ROCPRIM_400000_NS6detail17trampoline_kernelINS0_14default_configENS1_22reduce_config_selectorIN6thrust23THRUST_200600_302600_NS5tupleIblNS6_9null_typeES8_S8_S8_S8_S8_S8_S8_EEEEZNS1_11reduce_implILb1ES3_NS6_12zip_iteratorINS7_INS6_11hip_rocprim26transform_input_iterator_tIbNSD_35transform_pair_of_input_iterators_tIbNS6_6detail15normal_iteratorINS6_10device_ptrIKxEEEESL_NS6_8equal_toIxEEEENSG_9not_fun_tINSD_8identityEEEEENSD_19counting_iterator_tIlEES8_S8_S8_S8_S8_S8_S8_S8_EEEEPS9_S9_NSD_9__find_if7functorIS9_EEEE10hipError_tPvRmT1_T2_T3_mT4_P12ihipStream_tbEUlT_E1_NS1_11comp_targetILNS1_3genE10ELNS1_11target_archE1200ELNS1_3gpuE4ELNS1_3repE0EEENS1_30default_config_static_selectorELNS0_4arch9wavefront6targetE1EEEvS14_.num_vgpr, 0
	.set _ZN7rocprim17ROCPRIM_400000_NS6detail17trampoline_kernelINS0_14default_configENS1_22reduce_config_selectorIN6thrust23THRUST_200600_302600_NS5tupleIblNS6_9null_typeES8_S8_S8_S8_S8_S8_S8_EEEEZNS1_11reduce_implILb1ES3_NS6_12zip_iteratorINS7_INS6_11hip_rocprim26transform_input_iterator_tIbNSD_35transform_pair_of_input_iterators_tIbNS6_6detail15normal_iteratorINS6_10device_ptrIKxEEEESL_NS6_8equal_toIxEEEENSG_9not_fun_tINSD_8identityEEEEENSD_19counting_iterator_tIlEES8_S8_S8_S8_S8_S8_S8_S8_EEEEPS9_S9_NSD_9__find_if7functorIS9_EEEE10hipError_tPvRmT1_T2_T3_mT4_P12ihipStream_tbEUlT_E1_NS1_11comp_targetILNS1_3genE10ELNS1_11target_archE1200ELNS1_3gpuE4ELNS1_3repE0EEENS1_30default_config_static_selectorELNS0_4arch9wavefront6targetE1EEEvS14_.num_agpr, 0
	.set _ZN7rocprim17ROCPRIM_400000_NS6detail17trampoline_kernelINS0_14default_configENS1_22reduce_config_selectorIN6thrust23THRUST_200600_302600_NS5tupleIblNS6_9null_typeES8_S8_S8_S8_S8_S8_S8_EEEEZNS1_11reduce_implILb1ES3_NS6_12zip_iteratorINS7_INS6_11hip_rocprim26transform_input_iterator_tIbNSD_35transform_pair_of_input_iterators_tIbNS6_6detail15normal_iteratorINS6_10device_ptrIKxEEEESL_NS6_8equal_toIxEEEENSG_9not_fun_tINSD_8identityEEEEENSD_19counting_iterator_tIlEES8_S8_S8_S8_S8_S8_S8_S8_EEEEPS9_S9_NSD_9__find_if7functorIS9_EEEE10hipError_tPvRmT1_T2_T3_mT4_P12ihipStream_tbEUlT_E1_NS1_11comp_targetILNS1_3genE10ELNS1_11target_archE1200ELNS1_3gpuE4ELNS1_3repE0EEENS1_30default_config_static_selectorELNS0_4arch9wavefront6targetE1EEEvS14_.numbered_sgpr, 0
	.set _ZN7rocprim17ROCPRIM_400000_NS6detail17trampoline_kernelINS0_14default_configENS1_22reduce_config_selectorIN6thrust23THRUST_200600_302600_NS5tupleIblNS6_9null_typeES8_S8_S8_S8_S8_S8_S8_EEEEZNS1_11reduce_implILb1ES3_NS6_12zip_iteratorINS7_INS6_11hip_rocprim26transform_input_iterator_tIbNSD_35transform_pair_of_input_iterators_tIbNS6_6detail15normal_iteratorINS6_10device_ptrIKxEEEESL_NS6_8equal_toIxEEEENSG_9not_fun_tINSD_8identityEEEEENSD_19counting_iterator_tIlEES8_S8_S8_S8_S8_S8_S8_S8_EEEEPS9_S9_NSD_9__find_if7functorIS9_EEEE10hipError_tPvRmT1_T2_T3_mT4_P12ihipStream_tbEUlT_E1_NS1_11comp_targetILNS1_3genE10ELNS1_11target_archE1200ELNS1_3gpuE4ELNS1_3repE0EEENS1_30default_config_static_selectorELNS0_4arch9wavefront6targetE1EEEvS14_.num_named_barrier, 0
	.set _ZN7rocprim17ROCPRIM_400000_NS6detail17trampoline_kernelINS0_14default_configENS1_22reduce_config_selectorIN6thrust23THRUST_200600_302600_NS5tupleIblNS6_9null_typeES8_S8_S8_S8_S8_S8_S8_EEEEZNS1_11reduce_implILb1ES3_NS6_12zip_iteratorINS7_INS6_11hip_rocprim26transform_input_iterator_tIbNSD_35transform_pair_of_input_iterators_tIbNS6_6detail15normal_iteratorINS6_10device_ptrIKxEEEESL_NS6_8equal_toIxEEEENSG_9not_fun_tINSD_8identityEEEEENSD_19counting_iterator_tIlEES8_S8_S8_S8_S8_S8_S8_S8_EEEEPS9_S9_NSD_9__find_if7functorIS9_EEEE10hipError_tPvRmT1_T2_T3_mT4_P12ihipStream_tbEUlT_E1_NS1_11comp_targetILNS1_3genE10ELNS1_11target_archE1200ELNS1_3gpuE4ELNS1_3repE0EEENS1_30default_config_static_selectorELNS0_4arch9wavefront6targetE1EEEvS14_.private_seg_size, 0
	.set _ZN7rocprim17ROCPRIM_400000_NS6detail17trampoline_kernelINS0_14default_configENS1_22reduce_config_selectorIN6thrust23THRUST_200600_302600_NS5tupleIblNS6_9null_typeES8_S8_S8_S8_S8_S8_S8_EEEEZNS1_11reduce_implILb1ES3_NS6_12zip_iteratorINS7_INS6_11hip_rocprim26transform_input_iterator_tIbNSD_35transform_pair_of_input_iterators_tIbNS6_6detail15normal_iteratorINS6_10device_ptrIKxEEEESL_NS6_8equal_toIxEEEENSG_9not_fun_tINSD_8identityEEEEENSD_19counting_iterator_tIlEES8_S8_S8_S8_S8_S8_S8_S8_EEEEPS9_S9_NSD_9__find_if7functorIS9_EEEE10hipError_tPvRmT1_T2_T3_mT4_P12ihipStream_tbEUlT_E1_NS1_11comp_targetILNS1_3genE10ELNS1_11target_archE1200ELNS1_3gpuE4ELNS1_3repE0EEENS1_30default_config_static_selectorELNS0_4arch9wavefront6targetE1EEEvS14_.uses_vcc, 0
	.set _ZN7rocprim17ROCPRIM_400000_NS6detail17trampoline_kernelINS0_14default_configENS1_22reduce_config_selectorIN6thrust23THRUST_200600_302600_NS5tupleIblNS6_9null_typeES8_S8_S8_S8_S8_S8_S8_EEEEZNS1_11reduce_implILb1ES3_NS6_12zip_iteratorINS7_INS6_11hip_rocprim26transform_input_iterator_tIbNSD_35transform_pair_of_input_iterators_tIbNS6_6detail15normal_iteratorINS6_10device_ptrIKxEEEESL_NS6_8equal_toIxEEEENSG_9not_fun_tINSD_8identityEEEEENSD_19counting_iterator_tIlEES8_S8_S8_S8_S8_S8_S8_S8_EEEEPS9_S9_NSD_9__find_if7functorIS9_EEEE10hipError_tPvRmT1_T2_T3_mT4_P12ihipStream_tbEUlT_E1_NS1_11comp_targetILNS1_3genE10ELNS1_11target_archE1200ELNS1_3gpuE4ELNS1_3repE0EEENS1_30default_config_static_selectorELNS0_4arch9wavefront6targetE1EEEvS14_.uses_flat_scratch, 0
	.set _ZN7rocprim17ROCPRIM_400000_NS6detail17trampoline_kernelINS0_14default_configENS1_22reduce_config_selectorIN6thrust23THRUST_200600_302600_NS5tupleIblNS6_9null_typeES8_S8_S8_S8_S8_S8_S8_EEEEZNS1_11reduce_implILb1ES3_NS6_12zip_iteratorINS7_INS6_11hip_rocprim26transform_input_iterator_tIbNSD_35transform_pair_of_input_iterators_tIbNS6_6detail15normal_iteratorINS6_10device_ptrIKxEEEESL_NS6_8equal_toIxEEEENSG_9not_fun_tINSD_8identityEEEEENSD_19counting_iterator_tIlEES8_S8_S8_S8_S8_S8_S8_S8_EEEEPS9_S9_NSD_9__find_if7functorIS9_EEEE10hipError_tPvRmT1_T2_T3_mT4_P12ihipStream_tbEUlT_E1_NS1_11comp_targetILNS1_3genE10ELNS1_11target_archE1200ELNS1_3gpuE4ELNS1_3repE0EEENS1_30default_config_static_selectorELNS0_4arch9wavefront6targetE1EEEvS14_.has_dyn_sized_stack, 0
	.set _ZN7rocprim17ROCPRIM_400000_NS6detail17trampoline_kernelINS0_14default_configENS1_22reduce_config_selectorIN6thrust23THRUST_200600_302600_NS5tupleIblNS6_9null_typeES8_S8_S8_S8_S8_S8_S8_EEEEZNS1_11reduce_implILb1ES3_NS6_12zip_iteratorINS7_INS6_11hip_rocprim26transform_input_iterator_tIbNSD_35transform_pair_of_input_iterators_tIbNS6_6detail15normal_iteratorINS6_10device_ptrIKxEEEESL_NS6_8equal_toIxEEEENSG_9not_fun_tINSD_8identityEEEEENSD_19counting_iterator_tIlEES8_S8_S8_S8_S8_S8_S8_S8_EEEEPS9_S9_NSD_9__find_if7functorIS9_EEEE10hipError_tPvRmT1_T2_T3_mT4_P12ihipStream_tbEUlT_E1_NS1_11comp_targetILNS1_3genE10ELNS1_11target_archE1200ELNS1_3gpuE4ELNS1_3repE0EEENS1_30default_config_static_selectorELNS0_4arch9wavefront6targetE1EEEvS14_.has_recursion, 0
	.set _ZN7rocprim17ROCPRIM_400000_NS6detail17trampoline_kernelINS0_14default_configENS1_22reduce_config_selectorIN6thrust23THRUST_200600_302600_NS5tupleIblNS6_9null_typeES8_S8_S8_S8_S8_S8_S8_EEEEZNS1_11reduce_implILb1ES3_NS6_12zip_iteratorINS7_INS6_11hip_rocprim26transform_input_iterator_tIbNSD_35transform_pair_of_input_iterators_tIbNS6_6detail15normal_iteratorINS6_10device_ptrIKxEEEESL_NS6_8equal_toIxEEEENSG_9not_fun_tINSD_8identityEEEEENSD_19counting_iterator_tIlEES8_S8_S8_S8_S8_S8_S8_S8_EEEEPS9_S9_NSD_9__find_if7functorIS9_EEEE10hipError_tPvRmT1_T2_T3_mT4_P12ihipStream_tbEUlT_E1_NS1_11comp_targetILNS1_3genE10ELNS1_11target_archE1200ELNS1_3gpuE4ELNS1_3repE0EEENS1_30default_config_static_selectorELNS0_4arch9wavefront6targetE1EEEvS14_.has_indirect_call, 0
	.section	.AMDGPU.csdata,"",@progbits
; Kernel info:
; codeLenInByte = 0
; TotalNumSgprs: 4
; NumVgprs: 0
; ScratchSize: 0
; MemoryBound: 0
; FloatMode: 240
; IeeeMode: 1
; LDSByteSize: 0 bytes/workgroup (compile time only)
; SGPRBlocks: 0
; VGPRBlocks: 0
; NumSGPRsForWavesPerEU: 4
; NumVGPRsForWavesPerEU: 1
; Occupancy: 10
; WaveLimiterHint : 0
; COMPUTE_PGM_RSRC2:SCRATCH_EN: 0
; COMPUTE_PGM_RSRC2:USER_SGPR: 6
; COMPUTE_PGM_RSRC2:TRAP_HANDLER: 0
; COMPUTE_PGM_RSRC2:TGID_X_EN: 1
; COMPUTE_PGM_RSRC2:TGID_Y_EN: 0
; COMPUTE_PGM_RSRC2:TGID_Z_EN: 0
; COMPUTE_PGM_RSRC2:TIDIG_COMP_CNT: 0
	.section	.text._ZN7rocprim17ROCPRIM_400000_NS6detail17trampoline_kernelINS0_14default_configENS1_22reduce_config_selectorIN6thrust23THRUST_200600_302600_NS5tupleIblNS6_9null_typeES8_S8_S8_S8_S8_S8_S8_EEEEZNS1_11reduce_implILb1ES3_NS6_12zip_iteratorINS7_INS6_11hip_rocprim26transform_input_iterator_tIbNSD_35transform_pair_of_input_iterators_tIbNS6_6detail15normal_iteratorINS6_10device_ptrIKxEEEESL_NS6_8equal_toIxEEEENSG_9not_fun_tINSD_8identityEEEEENSD_19counting_iterator_tIlEES8_S8_S8_S8_S8_S8_S8_S8_EEEEPS9_S9_NSD_9__find_if7functorIS9_EEEE10hipError_tPvRmT1_T2_T3_mT4_P12ihipStream_tbEUlT_E1_NS1_11comp_targetILNS1_3genE9ELNS1_11target_archE1100ELNS1_3gpuE3ELNS1_3repE0EEENS1_30default_config_static_selectorELNS0_4arch9wavefront6targetE1EEEvS14_,"axG",@progbits,_ZN7rocprim17ROCPRIM_400000_NS6detail17trampoline_kernelINS0_14default_configENS1_22reduce_config_selectorIN6thrust23THRUST_200600_302600_NS5tupleIblNS6_9null_typeES8_S8_S8_S8_S8_S8_S8_EEEEZNS1_11reduce_implILb1ES3_NS6_12zip_iteratorINS7_INS6_11hip_rocprim26transform_input_iterator_tIbNSD_35transform_pair_of_input_iterators_tIbNS6_6detail15normal_iteratorINS6_10device_ptrIKxEEEESL_NS6_8equal_toIxEEEENSG_9not_fun_tINSD_8identityEEEEENSD_19counting_iterator_tIlEES8_S8_S8_S8_S8_S8_S8_S8_EEEEPS9_S9_NSD_9__find_if7functorIS9_EEEE10hipError_tPvRmT1_T2_T3_mT4_P12ihipStream_tbEUlT_E1_NS1_11comp_targetILNS1_3genE9ELNS1_11target_archE1100ELNS1_3gpuE3ELNS1_3repE0EEENS1_30default_config_static_selectorELNS0_4arch9wavefront6targetE1EEEvS14_,comdat
	.protected	_ZN7rocprim17ROCPRIM_400000_NS6detail17trampoline_kernelINS0_14default_configENS1_22reduce_config_selectorIN6thrust23THRUST_200600_302600_NS5tupleIblNS6_9null_typeES8_S8_S8_S8_S8_S8_S8_EEEEZNS1_11reduce_implILb1ES3_NS6_12zip_iteratorINS7_INS6_11hip_rocprim26transform_input_iterator_tIbNSD_35transform_pair_of_input_iterators_tIbNS6_6detail15normal_iteratorINS6_10device_ptrIKxEEEESL_NS6_8equal_toIxEEEENSG_9not_fun_tINSD_8identityEEEEENSD_19counting_iterator_tIlEES8_S8_S8_S8_S8_S8_S8_S8_EEEEPS9_S9_NSD_9__find_if7functorIS9_EEEE10hipError_tPvRmT1_T2_T3_mT4_P12ihipStream_tbEUlT_E1_NS1_11comp_targetILNS1_3genE9ELNS1_11target_archE1100ELNS1_3gpuE3ELNS1_3repE0EEENS1_30default_config_static_selectorELNS0_4arch9wavefront6targetE1EEEvS14_ ; -- Begin function _ZN7rocprim17ROCPRIM_400000_NS6detail17trampoline_kernelINS0_14default_configENS1_22reduce_config_selectorIN6thrust23THRUST_200600_302600_NS5tupleIblNS6_9null_typeES8_S8_S8_S8_S8_S8_S8_EEEEZNS1_11reduce_implILb1ES3_NS6_12zip_iteratorINS7_INS6_11hip_rocprim26transform_input_iterator_tIbNSD_35transform_pair_of_input_iterators_tIbNS6_6detail15normal_iteratorINS6_10device_ptrIKxEEEESL_NS6_8equal_toIxEEEENSG_9not_fun_tINSD_8identityEEEEENSD_19counting_iterator_tIlEES8_S8_S8_S8_S8_S8_S8_S8_EEEEPS9_S9_NSD_9__find_if7functorIS9_EEEE10hipError_tPvRmT1_T2_T3_mT4_P12ihipStream_tbEUlT_E1_NS1_11comp_targetILNS1_3genE9ELNS1_11target_archE1100ELNS1_3gpuE3ELNS1_3repE0EEENS1_30default_config_static_selectorELNS0_4arch9wavefront6targetE1EEEvS14_
	.globl	_ZN7rocprim17ROCPRIM_400000_NS6detail17trampoline_kernelINS0_14default_configENS1_22reduce_config_selectorIN6thrust23THRUST_200600_302600_NS5tupleIblNS6_9null_typeES8_S8_S8_S8_S8_S8_S8_EEEEZNS1_11reduce_implILb1ES3_NS6_12zip_iteratorINS7_INS6_11hip_rocprim26transform_input_iterator_tIbNSD_35transform_pair_of_input_iterators_tIbNS6_6detail15normal_iteratorINS6_10device_ptrIKxEEEESL_NS6_8equal_toIxEEEENSG_9not_fun_tINSD_8identityEEEEENSD_19counting_iterator_tIlEES8_S8_S8_S8_S8_S8_S8_S8_EEEEPS9_S9_NSD_9__find_if7functorIS9_EEEE10hipError_tPvRmT1_T2_T3_mT4_P12ihipStream_tbEUlT_E1_NS1_11comp_targetILNS1_3genE9ELNS1_11target_archE1100ELNS1_3gpuE3ELNS1_3repE0EEENS1_30default_config_static_selectorELNS0_4arch9wavefront6targetE1EEEvS14_
	.p2align	8
	.type	_ZN7rocprim17ROCPRIM_400000_NS6detail17trampoline_kernelINS0_14default_configENS1_22reduce_config_selectorIN6thrust23THRUST_200600_302600_NS5tupleIblNS6_9null_typeES8_S8_S8_S8_S8_S8_S8_EEEEZNS1_11reduce_implILb1ES3_NS6_12zip_iteratorINS7_INS6_11hip_rocprim26transform_input_iterator_tIbNSD_35transform_pair_of_input_iterators_tIbNS6_6detail15normal_iteratorINS6_10device_ptrIKxEEEESL_NS6_8equal_toIxEEEENSG_9not_fun_tINSD_8identityEEEEENSD_19counting_iterator_tIlEES8_S8_S8_S8_S8_S8_S8_S8_EEEEPS9_S9_NSD_9__find_if7functorIS9_EEEE10hipError_tPvRmT1_T2_T3_mT4_P12ihipStream_tbEUlT_E1_NS1_11comp_targetILNS1_3genE9ELNS1_11target_archE1100ELNS1_3gpuE3ELNS1_3repE0EEENS1_30default_config_static_selectorELNS0_4arch9wavefront6targetE1EEEvS14_,@function
_ZN7rocprim17ROCPRIM_400000_NS6detail17trampoline_kernelINS0_14default_configENS1_22reduce_config_selectorIN6thrust23THRUST_200600_302600_NS5tupleIblNS6_9null_typeES8_S8_S8_S8_S8_S8_S8_EEEEZNS1_11reduce_implILb1ES3_NS6_12zip_iteratorINS7_INS6_11hip_rocprim26transform_input_iterator_tIbNSD_35transform_pair_of_input_iterators_tIbNS6_6detail15normal_iteratorINS6_10device_ptrIKxEEEESL_NS6_8equal_toIxEEEENSG_9not_fun_tINSD_8identityEEEEENSD_19counting_iterator_tIlEES8_S8_S8_S8_S8_S8_S8_S8_EEEEPS9_S9_NSD_9__find_if7functorIS9_EEEE10hipError_tPvRmT1_T2_T3_mT4_P12ihipStream_tbEUlT_E1_NS1_11comp_targetILNS1_3genE9ELNS1_11target_archE1100ELNS1_3gpuE3ELNS1_3repE0EEENS1_30default_config_static_selectorELNS0_4arch9wavefront6targetE1EEEvS14_: ; @_ZN7rocprim17ROCPRIM_400000_NS6detail17trampoline_kernelINS0_14default_configENS1_22reduce_config_selectorIN6thrust23THRUST_200600_302600_NS5tupleIblNS6_9null_typeES8_S8_S8_S8_S8_S8_S8_EEEEZNS1_11reduce_implILb1ES3_NS6_12zip_iteratorINS7_INS6_11hip_rocprim26transform_input_iterator_tIbNSD_35transform_pair_of_input_iterators_tIbNS6_6detail15normal_iteratorINS6_10device_ptrIKxEEEESL_NS6_8equal_toIxEEEENSG_9not_fun_tINSD_8identityEEEEENSD_19counting_iterator_tIlEES8_S8_S8_S8_S8_S8_S8_S8_EEEEPS9_S9_NSD_9__find_if7functorIS9_EEEE10hipError_tPvRmT1_T2_T3_mT4_P12ihipStream_tbEUlT_E1_NS1_11comp_targetILNS1_3genE9ELNS1_11target_archE1100ELNS1_3gpuE3ELNS1_3repE0EEENS1_30default_config_static_selectorELNS0_4arch9wavefront6targetE1EEEvS14_
; %bb.0:
	.section	.rodata,"a",@progbits
	.p2align	6, 0x0
	.amdhsa_kernel _ZN7rocprim17ROCPRIM_400000_NS6detail17trampoline_kernelINS0_14default_configENS1_22reduce_config_selectorIN6thrust23THRUST_200600_302600_NS5tupleIblNS6_9null_typeES8_S8_S8_S8_S8_S8_S8_EEEEZNS1_11reduce_implILb1ES3_NS6_12zip_iteratorINS7_INS6_11hip_rocprim26transform_input_iterator_tIbNSD_35transform_pair_of_input_iterators_tIbNS6_6detail15normal_iteratorINS6_10device_ptrIKxEEEESL_NS6_8equal_toIxEEEENSG_9not_fun_tINSD_8identityEEEEENSD_19counting_iterator_tIlEES8_S8_S8_S8_S8_S8_S8_S8_EEEEPS9_S9_NSD_9__find_if7functorIS9_EEEE10hipError_tPvRmT1_T2_T3_mT4_P12ihipStream_tbEUlT_E1_NS1_11comp_targetILNS1_3genE9ELNS1_11target_archE1100ELNS1_3gpuE3ELNS1_3repE0EEENS1_30default_config_static_selectorELNS0_4arch9wavefront6targetE1EEEvS14_
		.amdhsa_group_segment_fixed_size 0
		.amdhsa_private_segment_fixed_size 0
		.amdhsa_kernarg_size 88
		.amdhsa_user_sgpr_count 6
		.amdhsa_user_sgpr_private_segment_buffer 1
		.amdhsa_user_sgpr_dispatch_ptr 0
		.amdhsa_user_sgpr_queue_ptr 0
		.amdhsa_user_sgpr_kernarg_segment_ptr 1
		.amdhsa_user_sgpr_dispatch_id 0
		.amdhsa_user_sgpr_flat_scratch_init 0
		.amdhsa_user_sgpr_private_segment_size 0
		.amdhsa_uses_dynamic_stack 0
		.amdhsa_system_sgpr_private_segment_wavefront_offset 0
		.amdhsa_system_sgpr_workgroup_id_x 1
		.amdhsa_system_sgpr_workgroup_id_y 0
		.amdhsa_system_sgpr_workgroup_id_z 0
		.amdhsa_system_sgpr_workgroup_info 0
		.amdhsa_system_vgpr_workitem_id 0
		.amdhsa_next_free_vgpr 1
		.amdhsa_next_free_sgpr 0
		.amdhsa_reserve_vcc 0
		.amdhsa_reserve_flat_scratch 0
		.amdhsa_float_round_mode_32 0
		.amdhsa_float_round_mode_16_64 0
		.amdhsa_float_denorm_mode_32 3
		.amdhsa_float_denorm_mode_16_64 3
		.amdhsa_dx10_clamp 1
		.amdhsa_ieee_mode 1
		.amdhsa_fp16_overflow 0
		.amdhsa_exception_fp_ieee_invalid_op 0
		.amdhsa_exception_fp_denorm_src 0
		.amdhsa_exception_fp_ieee_div_zero 0
		.amdhsa_exception_fp_ieee_overflow 0
		.amdhsa_exception_fp_ieee_underflow 0
		.amdhsa_exception_fp_ieee_inexact 0
		.amdhsa_exception_int_div_zero 0
	.end_amdhsa_kernel
	.section	.text._ZN7rocprim17ROCPRIM_400000_NS6detail17trampoline_kernelINS0_14default_configENS1_22reduce_config_selectorIN6thrust23THRUST_200600_302600_NS5tupleIblNS6_9null_typeES8_S8_S8_S8_S8_S8_S8_EEEEZNS1_11reduce_implILb1ES3_NS6_12zip_iteratorINS7_INS6_11hip_rocprim26transform_input_iterator_tIbNSD_35transform_pair_of_input_iterators_tIbNS6_6detail15normal_iteratorINS6_10device_ptrIKxEEEESL_NS6_8equal_toIxEEEENSG_9not_fun_tINSD_8identityEEEEENSD_19counting_iterator_tIlEES8_S8_S8_S8_S8_S8_S8_S8_EEEEPS9_S9_NSD_9__find_if7functorIS9_EEEE10hipError_tPvRmT1_T2_T3_mT4_P12ihipStream_tbEUlT_E1_NS1_11comp_targetILNS1_3genE9ELNS1_11target_archE1100ELNS1_3gpuE3ELNS1_3repE0EEENS1_30default_config_static_selectorELNS0_4arch9wavefront6targetE1EEEvS14_,"axG",@progbits,_ZN7rocprim17ROCPRIM_400000_NS6detail17trampoline_kernelINS0_14default_configENS1_22reduce_config_selectorIN6thrust23THRUST_200600_302600_NS5tupleIblNS6_9null_typeES8_S8_S8_S8_S8_S8_S8_EEEEZNS1_11reduce_implILb1ES3_NS6_12zip_iteratorINS7_INS6_11hip_rocprim26transform_input_iterator_tIbNSD_35transform_pair_of_input_iterators_tIbNS6_6detail15normal_iteratorINS6_10device_ptrIKxEEEESL_NS6_8equal_toIxEEEENSG_9not_fun_tINSD_8identityEEEEENSD_19counting_iterator_tIlEES8_S8_S8_S8_S8_S8_S8_S8_EEEEPS9_S9_NSD_9__find_if7functorIS9_EEEE10hipError_tPvRmT1_T2_T3_mT4_P12ihipStream_tbEUlT_E1_NS1_11comp_targetILNS1_3genE9ELNS1_11target_archE1100ELNS1_3gpuE3ELNS1_3repE0EEENS1_30default_config_static_selectorELNS0_4arch9wavefront6targetE1EEEvS14_,comdat
.Lfunc_end535:
	.size	_ZN7rocprim17ROCPRIM_400000_NS6detail17trampoline_kernelINS0_14default_configENS1_22reduce_config_selectorIN6thrust23THRUST_200600_302600_NS5tupleIblNS6_9null_typeES8_S8_S8_S8_S8_S8_S8_EEEEZNS1_11reduce_implILb1ES3_NS6_12zip_iteratorINS7_INS6_11hip_rocprim26transform_input_iterator_tIbNSD_35transform_pair_of_input_iterators_tIbNS6_6detail15normal_iteratorINS6_10device_ptrIKxEEEESL_NS6_8equal_toIxEEEENSG_9not_fun_tINSD_8identityEEEEENSD_19counting_iterator_tIlEES8_S8_S8_S8_S8_S8_S8_S8_EEEEPS9_S9_NSD_9__find_if7functorIS9_EEEE10hipError_tPvRmT1_T2_T3_mT4_P12ihipStream_tbEUlT_E1_NS1_11comp_targetILNS1_3genE9ELNS1_11target_archE1100ELNS1_3gpuE3ELNS1_3repE0EEENS1_30default_config_static_selectorELNS0_4arch9wavefront6targetE1EEEvS14_, .Lfunc_end535-_ZN7rocprim17ROCPRIM_400000_NS6detail17trampoline_kernelINS0_14default_configENS1_22reduce_config_selectorIN6thrust23THRUST_200600_302600_NS5tupleIblNS6_9null_typeES8_S8_S8_S8_S8_S8_S8_EEEEZNS1_11reduce_implILb1ES3_NS6_12zip_iteratorINS7_INS6_11hip_rocprim26transform_input_iterator_tIbNSD_35transform_pair_of_input_iterators_tIbNS6_6detail15normal_iteratorINS6_10device_ptrIKxEEEESL_NS6_8equal_toIxEEEENSG_9not_fun_tINSD_8identityEEEEENSD_19counting_iterator_tIlEES8_S8_S8_S8_S8_S8_S8_S8_EEEEPS9_S9_NSD_9__find_if7functorIS9_EEEE10hipError_tPvRmT1_T2_T3_mT4_P12ihipStream_tbEUlT_E1_NS1_11comp_targetILNS1_3genE9ELNS1_11target_archE1100ELNS1_3gpuE3ELNS1_3repE0EEENS1_30default_config_static_selectorELNS0_4arch9wavefront6targetE1EEEvS14_
                                        ; -- End function
	.set _ZN7rocprim17ROCPRIM_400000_NS6detail17trampoline_kernelINS0_14default_configENS1_22reduce_config_selectorIN6thrust23THRUST_200600_302600_NS5tupleIblNS6_9null_typeES8_S8_S8_S8_S8_S8_S8_EEEEZNS1_11reduce_implILb1ES3_NS6_12zip_iteratorINS7_INS6_11hip_rocprim26transform_input_iterator_tIbNSD_35transform_pair_of_input_iterators_tIbNS6_6detail15normal_iteratorINS6_10device_ptrIKxEEEESL_NS6_8equal_toIxEEEENSG_9not_fun_tINSD_8identityEEEEENSD_19counting_iterator_tIlEES8_S8_S8_S8_S8_S8_S8_S8_EEEEPS9_S9_NSD_9__find_if7functorIS9_EEEE10hipError_tPvRmT1_T2_T3_mT4_P12ihipStream_tbEUlT_E1_NS1_11comp_targetILNS1_3genE9ELNS1_11target_archE1100ELNS1_3gpuE3ELNS1_3repE0EEENS1_30default_config_static_selectorELNS0_4arch9wavefront6targetE1EEEvS14_.num_vgpr, 0
	.set _ZN7rocprim17ROCPRIM_400000_NS6detail17trampoline_kernelINS0_14default_configENS1_22reduce_config_selectorIN6thrust23THRUST_200600_302600_NS5tupleIblNS6_9null_typeES8_S8_S8_S8_S8_S8_S8_EEEEZNS1_11reduce_implILb1ES3_NS6_12zip_iteratorINS7_INS6_11hip_rocprim26transform_input_iterator_tIbNSD_35transform_pair_of_input_iterators_tIbNS6_6detail15normal_iteratorINS6_10device_ptrIKxEEEESL_NS6_8equal_toIxEEEENSG_9not_fun_tINSD_8identityEEEEENSD_19counting_iterator_tIlEES8_S8_S8_S8_S8_S8_S8_S8_EEEEPS9_S9_NSD_9__find_if7functorIS9_EEEE10hipError_tPvRmT1_T2_T3_mT4_P12ihipStream_tbEUlT_E1_NS1_11comp_targetILNS1_3genE9ELNS1_11target_archE1100ELNS1_3gpuE3ELNS1_3repE0EEENS1_30default_config_static_selectorELNS0_4arch9wavefront6targetE1EEEvS14_.num_agpr, 0
	.set _ZN7rocprim17ROCPRIM_400000_NS6detail17trampoline_kernelINS0_14default_configENS1_22reduce_config_selectorIN6thrust23THRUST_200600_302600_NS5tupleIblNS6_9null_typeES8_S8_S8_S8_S8_S8_S8_EEEEZNS1_11reduce_implILb1ES3_NS6_12zip_iteratorINS7_INS6_11hip_rocprim26transform_input_iterator_tIbNSD_35transform_pair_of_input_iterators_tIbNS6_6detail15normal_iteratorINS6_10device_ptrIKxEEEESL_NS6_8equal_toIxEEEENSG_9not_fun_tINSD_8identityEEEEENSD_19counting_iterator_tIlEES8_S8_S8_S8_S8_S8_S8_S8_EEEEPS9_S9_NSD_9__find_if7functorIS9_EEEE10hipError_tPvRmT1_T2_T3_mT4_P12ihipStream_tbEUlT_E1_NS1_11comp_targetILNS1_3genE9ELNS1_11target_archE1100ELNS1_3gpuE3ELNS1_3repE0EEENS1_30default_config_static_selectorELNS0_4arch9wavefront6targetE1EEEvS14_.numbered_sgpr, 0
	.set _ZN7rocprim17ROCPRIM_400000_NS6detail17trampoline_kernelINS0_14default_configENS1_22reduce_config_selectorIN6thrust23THRUST_200600_302600_NS5tupleIblNS6_9null_typeES8_S8_S8_S8_S8_S8_S8_EEEEZNS1_11reduce_implILb1ES3_NS6_12zip_iteratorINS7_INS6_11hip_rocprim26transform_input_iterator_tIbNSD_35transform_pair_of_input_iterators_tIbNS6_6detail15normal_iteratorINS6_10device_ptrIKxEEEESL_NS6_8equal_toIxEEEENSG_9not_fun_tINSD_8identityEEEEENSD_19counting_iterator_tIlEES8_S8_S8_S8_S8_S8_S8_S8_EEEEPS9_S9_NSD_9__find_if7functorIS9_EEEE10hipError_tPvRmT1_T2_T3_mT4_P12ihipStream_tbEUlT_E1_NS1_11comp_targetILNS1_3genE9ELNS1_11target_archE1100ELNS1_3gpuE3ELNS1_3repE0EEENS1_30default_config_static_selectorELNS0_4arch9wavefront6targetE1EEEvS14_.num_named_barrier, 0
	.set _ZN7rocprim17ROCPRIM_400000_NS6detail17trampoline_kernelINS0_14default_configENS1_22reduce_config_selectorIN6thrust23THRUST_200600_302600_NS5tupleIblNS6_9null_typeES8_S8_S8_S8_S8_S8_S8_EEEEZNS1_11reduce_implILb1ES3_NS6_12zip_iteratorINS7_INS6_11hip_rocprim26transform_input_iterator_tIbNSD_35transform_pair_of_input_iterators_tIbNS6_6detail15normal_iteratorINS6_10device_ptrIKxEEEESL_NS6_8equal_toIxEEEENSG_9not_fun_tINSD_8identityEEEEENSD_19counting_iterator_tIlEES8_S8_S8_S8_S8_S8_S8_S8_EEEEPS9_S9_NSD_9__find_if7functorIS9_EEEE10hipError_tPvRmT1_T2_T3_mT4_P12ihipStream_tbEUlT_E1_NS1_11comp_targetILNS1_3genE9ELNS1_11target_archE1100ELNS1_3gpuE3ELNS1_3repE0EEENS1_30default_config_static_selectorELNS0_4arch9wavefront6targetE1EEEvS14_.private_seg_size, 0
	.set _ZN7rocprim17ROCPRIM_400000_NS6detail17trampoline_kernelINS0_14default_configENS1_22reduce_config_selectorIN6thrust23THRUST_200600_302600_NS5tupleIblNS6_9null_typeES8_S8_S8_S8_S8_S8_S8_EEEEZNS1_11reduce_implILb1ES3_NS6_12zip_iteratorINS7_INS6_11hip_rocprim26transform_input_iterator_tIbNSD_35transform_pair_of_input_iterators_tIbNS6_6detail15normal_iteratorINS6_10device_ptrIKxEEEESL_NS6_8equal_toIxEEEENSG_9not_fun_tINSD_8identityEEEEENSD_19counting_iterator_tIlEES8_S8_S8_S8_S8_S8_S8_S8_EEEEPS9_S9_NSD_9__find_if7functorIS9_EEEE10hipError_tPvRmT1_T2_T3_mT4_P12ihipStream_tbEUlT_E1_NS1_11comp_targetILNS1_3genE9ELNS1_11target_archE1100ELNS1_3gpuE3ELNS1_3repE0EEENS1_30default_config_static_selectorELNS0_4arch9wavefront6targetE1EEEvS14_.uses_vcc, 0
	.set _ZN7rocprim17ROCPRIM_400000_NS6detail17trampoline_kernelINS0_14default_configENS1_22reduce_config_selectorIN6thrust23THRUST_200600_302600_NS5tupleIblNS6_9null_typeES8_S8_S8_S8_S8_S8_S8_EEEEZNS1_11reduce_implILb1ES3_NS6_12zip_iteratorINS7_INS6_11hip_rocprim26transform_input_iterator_tIbNSD_35transform_pair_of_input_iterators_tIbNS6_6detail15normal_iteratorINS6_10device_ptrIKxEEEESL_NS6_8equal_toIxEEEENSG_9not_fun_tINSD_8identityEEEEENSD_19counting_iterator_tIlEES8_S8_S8_S8_S8_S8_S8_S8_EEEEPS9_S9_NSD_9__find_if7functorIS9_EEEE10hipError_tPvRmT1_T2_T3_mT4_P12ihipStream_tbEUlT_E1_NS1_11comp_targetILNS1_3genE9ELNS1_11target_archE1100ELNS1_3gpuE3ELNS1_3repE0EEENS1_30default_config_static_selectorELNS0_4arch9wavefront6targetE1EEEvS14_.uses_flat_scratch, 0
	.set _ZN7rocprim17ROCPRIM_400000_NS6detail17trampoline_kernelINS0_14default_configENS1_22reduce_config_selectorIN6thrust23THRUST_200600_302600_NS5tupleIblNS6_9null_typeES8_S8_S8_S8_S8_S8_S8_EEEEZNS1_11reduce_implILb1ES3_NS6_12zip_iteratorINS7_INS6_11hip_rocprim26transform_input_iterator_tIbNSD_35transform_pair_of_input_iterators_tIbNS6_6detail15normal_iteratorINS6_10device_ptrIKxEEEESL_NS6_8equal_toIxEEEENSG_9not_fun_tINSD_8identityEEEEENSD_19counting_iterator_tIlEES8_S8_S8_S8_S8_S8_S8_S8_EEEEPS9_S9_NSD_9__find_if7functorIS9_EEEE10hipError_tPvRmT1_T2_T3_mT4_P12ihipStream_tbEUlT_E1_NS1_11comp_targetILNS1_3genE9ELNS1_11target_archE1100ELNS1_3gpuE3ELNS1_3repE0EEENS1_30default_config_static_selectorELNS0_4arch9wavefront6targetE1EEEvS14_.has_dyn_sized_stack, 0
	.set _ZN7rocprim17ROCPRIM_400000_NS6detail17trampoline_kernelINS0_14default_configENS1_22reduce_config_selectorIN6thrust23THRUST_200600_302600_NS5tupleIblNS6_9null_typeES8_S8_S8_S8_S8_S8_S8_EEEEZNS1_11reduce_implILb1ES3_NS6_12zip_iteratorINS7_INS6_11hip_rocprim26transform_input_iterator_tIbNSD_35transform_pair_of_input_iterators_tIbNS6_6detail15normal_iteratorINS6_10device_ptrIKxEEEESL_NS6_8equal_toIxEEEENSG_9not_fun_tINSD_8identityEEEEENSD_19counting_iterator_tIlEES8_S8_S8_S8_S8_S8_S8_S8_EEEEPS9_S9_NSD_9__find_if7functorIS9_EEEE10hipError_tPvRmT1_T2_T3_mT4_P12ihipStream_tbEUlT_E1_NS1_11comp_targetILNS1_3genE9ELNS1_11target_archE1100ELNS1_3gpuE3ELNS1_3repE0EEENS1_30default_config_static_selectorELNS0_4arch9wavefront6targetE1EEEvS14_.has_recursion, 0
	.set _ZN7rocprim17ROCPRIM_400000_NS6detail17trampoline_kernelINS0_14default_configENS1_22reduce_config_selectorIN6thrust23THRUST_200600_302600_NS5tupleIblNS6_9null_typeES8_S8_S8_S8_S8_S8_S8_EEEEZNS1_11reduce_implILb1ES3_NS6_12zip_iteratorINS7_INS6_11hip_rocprim26transform_input_iterator_tIbNSD_35transform_pair_of_input_iterators_tIbNS6_6detail15normal_iteratorINS6_10device_ptrIKxEEEESL_NS6_8equal_toIxEEEENSG_9not_fun_tINSD_8identityEEEEENSD_19counting_iterator_tIlEES8_S8_S8_S8_S8_S8_S8_S8_EEEEPS9_S9_NSD_9__find_if7functorIS9_EEEE10hipError_tPvRmT1_T2_T3_mT4_P12ihipStream_tbEUlT_E1_NS1_11comp_targetILNS1_3genE9ELNS1_11target_archE1100ELNS1_3gpuE3ELNS1_3repE0EEENS1_30default_config_static_selectorELNS0_4arch9wavefront6targetE1EEEvS14_.has_indirect_call, 0
	.section	.AMDGPU.csdata,"",@progbits
; Kernel info:
; codeLenInByte = 0
; TotalNumSgprs: 4
; NumVgprs: 0
; ScratchSize: 0
; MemoryBound: 0
; FloatMode: 240
; IeeeMode: 1
; LDSByteSize: 0 bytes/workgroup (compile time only)
; SGPRBlocks: 0
; VGPRBlocks: 0
; NumSGPRsForWavesPerEU: 4
; NumVGPRsForWavesPerEU: 1
; Occupancy: 10
; WaveLimiterHint : 0
; COMPUTE_PGM_RSRC2:SCRATCH_EN: 0
; COMPUTE_PGM_RSRC2:USER_SGPR: 6
; COMPUTE_PGM_RSRC2:TRAP_HANDLER: 0
; COMPUTE_PGM_RSRC2:TGID_X_EN: 1
; COMPUTE_PGM_RSRC2:TGID_Y_EN: 0
; COMPUTE_PGM_RSRC2:TGID_Z_EN: 0
; COMPUTE_PGM_RSRC2:TIDIG_COMP_CNT: 0
	.section	.text._ZN7rocprim17ROCPRIM_400000_NS6detail17trampoline_kernelINS0_14default_configENS1_22reduce_config_selectorIN6thrust23THRUST_200600_302600_NS5tupleIblNS6_9null_typeES8_S8_S8_S8_S8_S8_S8_EEEEZNS1_11reduce_implILb1ES3_NS6_12zip_iteratorINS7_INS6_11hip_rocprim26transform_input_iterator_tIbNSD_35transform_pair_of_input_iterators_tIbNS6_6detail15normal_iteratorINS6_10device_ptrIKxEEEESL_NS6_8equal_toIxEEEENSG_9not_fun_tINSD_8identityEEEEENSD_19counting_iterator_tIlEES8_S8_S8_S8_S8_S8_S8_S8_EEEEPS9_S9_NSD_9__find_if7functorIS9_EEEE10hipError_tPvRmT1_T2_T3_mT4_P12ihipStream_tbEUlT_E1_NS1_11comp_targetILNS1_3genE8ELNS1_11target_archE1030ELNS1_3gpuE2ELNS1_3repE0EEENS1_30default_config_static_selectorELNS0_4arch9wavefront6targetE1EEEvS14_,"axG",@progbits,_ZN7rocprim17ROCPRIM_400000_NS6detail17trampoline_kernelINS0_14default_configENS1_22reduce_config_selectorIN6thrust23THRUST_200600_302600_NS5tupleIblNS6_9null_typeES8_S8_S8_S8_S8_S8_S8_EEEEZNS1_11reduce_implILb1ES3_NS6_12zip_iteratorINS7_INS6_11hip_rocprim26transform_input_iterator_tIbNSD_35transform_pair_of_input_iterators_tIbNS6_6detail15normal_iteratorINS6_10device_ptrIKxEEEESL_NS6_8equal_toIxEEEENSG_9not_fun_tINSD_8identityEEEEENSD_19counting_iterator_tIlEES8_S8_S8_S8_S8_S8_S8_S8_EEEEPS9_S9_NSD_9__find_if7functorIS9_EEEE10hipError_tPvRmT1_T2_T3_mT4_P12ihipStream_tbEUlT_E1_NS1_11comp_targetILNS1_3genE8ELNS1_11target_archE1030ELNS1_3gpuE2ELNS1_3repE0EEENS1_30default_config_static_selectorELNS0_4arch9wavefront6targetE1EEEvS14_,comdat
	.protected	_ZN7rocprim17ROCPRIM_400000_NS6detail17trampoline_kernelINS0_14default_configENS1_22reduce_config_selectorIN6thrust23THRUST_200600_302600_NS5tupleIblNS6_9null_typeES8_S8_S8_S8_S8_S8_S8_EEEEZNS1_11reduce_implILb1ES3_NS6_12zip_iteratorINS7_INS6_11hip_rocprim26transform_input_iterator_tIbNSD_35transform_pair_of_input_iterators_tIbNS6_6detail15normal_iteratorINS6_10device_ptrIKxEEEESL_NS6_8equal_toIxEEEENSG_9not_fun_tINSD_8identityEEEEENSD_19counting_iterator_tIlEES8_S8_S8_S8_S8_S8_S8_S8_EEEEPS9_S9_NSD_9__find_if7functorIS9_EEEE10hipError_tPvRmT1_T2_T3_mT4_P12ihipStream_tbEUlT_E1_NS1_11comp_targetILNS1_3genE8ELNS1_11target_archE1030ELNS1_3gpuE2ELNS1_3repE0EEENS1_30default_config_static_selectorELNS0_4arch9wavefront6targetE1EEEvS14_ ; -- Begin function _ZN7rocprim17ROCPRIM_400000_NS6detail17trampoline_kernelINS0_14default_configENS1_22reduce_config_selectorIN6thrust23THRUST_200600_302600_NS5tupleIblNS6_9null_typeES8_S8_S8_S8_S8_S8_S8_EEEEZNS1_11reduce_implILb1ES3_NS6_12zip_iteratorINS7_INS6_11hip_rocprim26transform_input_iterator_tIbNSD_35transform_pair_of_input_iterators_tIbNS6_6detail15normal_iteratorINS6_10device_ptrIKxEEEESL_NS6_8equal_toIxEEEENSG_9not_fun_tINSD_8identityEEEEENSD_19counting_iterator_tIlEES8_S8_S8_S8_S8_S8_S8_S8_EEEEPS9_S9_NSD_9__find_if7functorIS9_EEEE10hipError_tPvRmT1_T2_T3_mT4_P12ihipStream_tbEUlT_E1_NS1_11comp_targetILNS1_3genE8ELNS1_11target_archE1030ELNS1_3gpuE2ELNS1_3repE0EEENS1_30default_config_static_selectorELNS0_4arch9wavefront6targetE1EEEvS14_
	.globl	_ZN7rocprim17ROCPRIM_400000_NS6detail17trampoline_kernelINS0_14default_configENS1_22reduce_config_selectorIN6thrust23THRUST_200600_302600_NS5tupleIblNS6_9null_typeES8_S8_S8_S8_S8_S8_S8_EEEEZNS1_11reduce_implILb1ES3_NS6_12zip_iteratorINS7_INS6_11hip_rocprim26transform_input_iterator_tIbNSD_35transform_pair_of_input_iterators_tIbNS6_6detail15normal_iteratorINS6_10device_ptrIKxEEEESL_NS6_8equal_toIxEEEENSG_9not_fun_tINSD_8identityEEEEENSD_19counting_iterator_tIlEES8_S8_S8_S8_S8_S8_S8_S8_EEEEPS9_S9_NSD_9__find_if7functorIS9_EEEE10hipError_tPvRmT1_T2_T3_mT4_P12ihipStream_tbEUlT_E1_NS1_11comp_targetILNS1_3genE8ELNS1_11target_archE1030ELNS1_3gpuE2ELNS1_3repE0EEENS1_30default_config_static_selectorELNS0_4arch9wavefront6targetE1EEEvS14_
	.p2align	8
	.type	_ZN7rocprim17ROCPRIM_400000_NS6detail17trampoline_kernelINS0_14default_configENS1_22reduce_config_selectorIN6thrust23THRUST_200600_302600_NS5tupleIblNS6_9null_typeES8_S8_S8_S8_S8_S8_S8_EEEEZNS1_11reduce_implILb1ES3_NS6_12zip_iteratorINS7_INS6_11hip_rocprim26transform_input_iterator_tIbNSD_35transform_pair_of_input_iterators_tIbNS6_6detail15normal_iteratorINS6_10device_ptrIKxEEEESL_NS6_8equal_toIxEEEENSG_9not_fun_tINSD_8identityEEEEENSD_19counting_iterator_tIlEES8_S8_S8_S8_S8_S8_S8_S8_EEEEPS9_S9_NSD_9__find_if7functorIS9_EEEE10hipError_tPvRmT1_T2_T3_mT4_P12ihipStream_tbEUlT_E1_NS1_11comp_targetILNS1_3genE8ELNS1_11target_archE1030ELNS1_3gpuE2ELNS1_3repE0EEENS1_30default_config_static_selectorELNS0_4arch9wavefront6targetE1EEEvS14_,@function
_ZN7rocprim17ROCPRIM_400000_NS6detail17trampoline_kernelINS0_14default_configENS1_22reduce_config_selectorIN6thrust23THRUST_200600_302600_NS5tupleIblNS6_9null_typeES8_S8_S8_S8_S8_S8_S8_EEEEZNS1_11reduce_implILb1ES3_NS6_12zip_iteratorINS7_INS6_11hip_rocprim26transform_input_iterator_tIbNSD_35transform_pair_of_input_iterators_tIbNS6_6detail15normal_iteratorINS6_10device_ptrIKxEEEESL_NS6_8equal_toIxEEEENSG_9not_fun_tINSD_8identityEEEEENSD_19counting_iterator_tIlEES8_S8_S8_S8_S8_S8_S8_S8_EEEEPS9_S9_NSD_9__find_if7functorIS9_EEEE10hipError_tPvRmT1_T2_T3_mT4_P12ihipStream_tbEUlT_E1_NS1_11comp_targetILNS1_3genE8ELNS1_11target_archE1030ELNS1_3gpuE2ELNS1_3repE0EEENS1_30default_config_static_selectorELNS0_4arch9wavefront6targetE1EEEvS14_: ; @_ZN7rocprim17ROCPRIM_400000_NS6detail17trampoline_kernelINS0_14default_configENS1_22reduce_config_selectorIN6thrust23THRUST_200600_302600_NS5tupleIblNS6_9null_typeES8_S8_S8_S8_S8_S8_S8_EEEEZNS1_11reduce_implILb1ES3_NS6_12zip_iteratorINS7_INS6_11hip_rocprim26transform_input_iterator_tIbNSD_35transform_pair_of_input_iterators_tIbNS6_6detail15normal_iteratorINS6_10device_ptrIKxEEEESL_NS6_8equal_toIxEEEENSG_9not_fun_tINSD_8identityEEEEENSD_19counting_iterator_tIlEES8_S8_S8_S8_S8_S8_S8_S8_EEEEPS9_S9_NSD_9__find_if7functorIS9_EEEE10hipError_tPvRmT1_T2_T3_mT4_P12ihipStream_tbEUlT_E1_NS1_11comp_targetILNS1_3genE8ELNS1_11target_archE1030ELNS1_3gpuE2ELNS1_3repE0EEENS1_30default_config_static_selectorELNS0_4arch9wavefront6targetE1EEEvS14_
; %bb.0:
	.section	.rodata,"a",@progbits
	.p2align	6, 0x0
	.amdhsa_kernel _ZN7rocprim17ROCPRIM_400000_NS6detail17trampoline_kernelINS0_14default_configENS1_22reduce_config_selectorIN6thrust23THRUST_200600_302600_NS5tupleIblNS6_9null_typeES8_S8_S8_S8_S8_S8_S8_EEEEZNS1_11reduce_implILb1ES3_NS6_12zip_iteratorINS7_INS6_11hip_rocprim26transform_input_iterator_tIbNSD_35transform_pair_of_input_iterators_tIbNS6_6detail15normal_iteratorINS6_10device_ptrIKxEEEESL_NS6_8equal_toIxEEEENSG_9not_fun_tINSD_8identityEEEEENSD_19counting_iterator_tIlEES8_S8_S8_S8_S8_S8_S8_S8_EEEEPS9_S9_NSD_9__find_if7functorIS9_EEEE10hipError_tPvRmT1_T2_T3_mT4_P12ihipStream_tbEUlT_E1_NS1_11comp_targetILNS1_3genE8ELNS1_11target_archE1030ELNS1_3gpuE2ELNS1_3repE0EEENS1_30default_config_static_selectorELNS0_4arch9wavefront6targetE1EEEvS14_
		.amdhsa_group_segment_fixed_size 0
		.amdhsa_private_segment_fixed_size 0
		.amdhsa_kernarg_size 88
		.amdhsa_user_sgpr_count 6
		.amdhsa_user_sgpr_private_segment_buffer 1
		.amdhsa_user_sgpr_dispatch_ptr 0
		.amdhsa_user_sgpr_queue_ptr 0
		.amdhsa_user_sgpr_kernarg_segment_ptr 1
		.amdhsa_user_sgpr_dispatch_id 0
		.amdhsa_user_sgpr_flat_scratch_init 0
		.amdhsa_user_sgpr_private_segment_size 0
		.amdhsa_uses_dynamic_stack 0
		.amdhsa_system_sgpr_private_segment_wavefront_offset 0
		.amdhsa_system_sgpr_workgroup_id_x 1
		.amdhsa_system_sgpr_workgroup_id_y 0
		.amdhsa_system_sgpr_workgroup_id_z 0
		.amdhsa_system_sgpr_workgroup_info 0
		.amdhsa_system_vgpr_workitem_id 0
		.amdhsa_next_free_vgpr 1
		.amdhsa_next_free_sgpr 0
		.amdhsa_reserve_vcc 0
		.amdhsa_reserve_flat_scratch 0
		.amdhsa_float_round_mode_32 0
		.amdhsa_float_round_mode_16_64 0
		.amdhsa_float_denorm_mode_32 3
		.amdhsa_float_denorm_mode_16_64 3
		.amdhsa_dx10_clamp 1
		.amdhsa_ieee_mode 1
		.amdhsa_fp16_overflow 0
		.amdhsa_exception_fp_ieee_invalid_op 0
		.amdhsa_exception_fp_denorm_src 0
		.amdhsa_exception_fp_ieee_div_zero 0
		.amdhsa_exception_fp_ieee_overflow 0
		.amdhsa_exception_fp_ieee_underflow 0
		.amdhsa_exception_fp_ieee_inexact 0
		.amdhsa_exception_int_div_zero 0
	.end_amdhsa_kernel
	.section	.text._ZN7rocprim17ROCPRIM_400000_NS6detail17trampoline_kernelINS0_14default_configENS1_22reduce_config_selectorIN6thrust23THRUST_200600_302600_NS5tupleIblNS6_9null_typeES8_S8_S8_S8_S8_S8_S8_EEEEZNS1_11reduce_implILb1ES3_NS6_12zip_iteratorINS7_INS6_11hip_rocprim26transform_input_iterator_tIbNSD_35transform_pair_of_input_iterators_tIbNS6_6detail15normal_iteratorINS6_10device_ptrIKxEEEESL_NS6_8equal_toIxEEEENSG_9not_fun_tINSD_8identityEEEEENSD_19counting_iterator_tIlEES8_S8_S8_S8_S8_S8_S8_S8_EEEEPS9_S9_NSD_9__find_if7functorIS9_EEEE10hipError_tPvRmT1_T2_T3_mT4_P12ihipStream_tbEUlT_E1_NS1_11comp_targetILNS1_3genE8ELNS1_11target_archE1030ELNS1_3gpuE2ELNS1_3repE0EEENS1_30default_config_static_selectorELNS0_4arch9wavefront6targetE1EEEvS14_,"axG",@progbits,_ZN7rocprim17ROCPRIM_400000_NS6detail17trampoline_kernelINS0_14default_configENS1_22reduce_config_selectorIN6thrust23THRUST_200600_302600_NS5tupleIblNS6_9null_typeES8_S8_S8_S8_S8_S8_S8_EEEEZNS1_11reduce_implILb1ES3_NS6_12zip_iteratorINS7_INS6_11hip_rocprim26transform_input_iterator_tIbNSD_35transform_pair_of_input_iterators_tIbNS6_6detail15normal_iteratorINS6_10device_ptrIKxEEEESL_NS6_8equal_toIxEEEENSG_9not_fun_tINSD_8identityEEEEENSD_19counting_iterator_tIlEES8_S8_S8_S8_S8_S8_S8_S8_EEEEPS9_S9_NSD_9__find_if7functorIS9_EEEE10hipError_tPvRmT1_T2_T3_mT4_P12ihipStream_tbEUlT_E1_NS1_11comp_targetILNS1_3genE8ELNS1_11target_archE1030ELNS1_3gpuE2ELNS1_3repE0EEENS1_30default_config_static_selectorELNS0_4arch9wavefront6targetE1EEEvS14_,comdat
.Lfunc_end536:
	.size	_ZN7rocprim17ROCPRIM_400000_NS6detail17trampoline_kernelINS0_14default_configENS1_22reduce_config_selectorIN6thrust23THRUST_200600_302600_NS5tupleIblNS6_9null_typeES8_S8_S8_S8_S8_S8_S8_EEEEZNS1_11reduce_implILb1ES3_NS6_12zip_iteratorINS7_INS6_11hip_rocprim26transform_input_iterator_tIbNSD_35transform_pair_of_input_iterators_tIbNS6_6detail15normal_iteratorINS6_10device_ptrIKxEEEESL_NS6_8equal_toIxEEEENSG_9not_fun_tINSD_8identityEEEEENSD_19counting_iterator_tIlEES8_S8_S8_S8_S8_S8_S8_S8_EEEEPS9_S9_NSD_9__find_if7functorIS9_EEEE10hipError_tPvRmT1_T2_T3_mT4_P12ihipStream_tbEUlT_E1_NS1_11comp_targetILNS1_3genE8ELNS1_11target_archE1030ELNS1_3gpuE2ELNS1_3repE0EEENS1_30default_config_static_selectorELNS0_4arch9wavefront6targetE1EEEvS14_, .Lfunc_end536-_ZN7rocprim17ROCPRIM_400000_NS6detail17trampoline_kernelINS0_14default_configENS1_22reduce_config_selectorIN6thrust23THRUST_200600_302600_NS5tupleIblNS6_9null_typeES8_S8_S8_S8_S8_S8_S8_EEEEZNS1_11reduce_implILb1ES3_NS6_12zip_iteratorINS7_INS6_11hip_rocprim26transform_input_iterator_tIbNSD_35transform_pair_of_input_iterators_tIbNS6_6detail15normal_iteratorINS6_10device_ptrIKxEEEESL_NS6_8equal_toIxEEEENSG_9not_fun_tINSD_8identityEEEEENSD_19counting_iterator_tIlEES8_S8_S8_S8_S8_S8_S8_S8_EEEEPS9_S9_NSD_9__find_if7functorIS9_EEEE10hipError_tPvRmT1_T2_T3_mT4_P12ihipStream_tbEUlT_E1_NS1_11comp_targetILNS1_3genE8ELNS1_11target_archE1030ELNS1_3gpuE2ELNS1_3repE0EEENS1_30default_config_static_selectorELNS0_4arch9wavefront6targetE1EEEvS14_
                                        ; -- End function
	.set _ZN7rocprim17ROCPRIM_400000_NS6detail17trampoline_kernelINS0_14default_configENS1_22reduce_config_selectorIN6thrust23THRUST_200600_302600_NS5tupleIblNS6_9null_typeES8_S8_S8_S8_S8_S8_S8_EEEEZNS1_11reduce_implILb1ES3_NS6_12zip_iteratorINS7_INS6_11hip_rocprim26transform_input_iterator_tIbNSD_35transform_pair_of_input_iterators_tIbNS6_6detail15normal_iteratorINS6_10device_ptrIKxEEEESL_NS6_8equal_toIxEEEENSG_9not_fun_tINSD_8identityEEEEENSD_19counting_iterator_tIlEES8_S8_S8_S8_S8_S8_S8_S8_EEEEPS9_S9_NSD_9__find_if7functorIS9_EEEE10hipError_tPvRmT1_T2_T3_mT4_P12ihipStream_tbEUlT_E1_NS1_11comp_targetILNS1_3genE8ELNS1_11target_archE1030ELNS1_3gpuE2ELNS1_3repE0EEENS1_30default_config_static_selectorELNS0_4arch9wavefront6targetE1EEEvS14_.num_vgpr, 0
	.set _ZN7rocprim17ROCPRIM_400000_NS6detail17trampoline_kernelINS0_14default_configENS1_22reduce_config_selectorIN6thrust23THRUST_200600_302600_NS5tupleIblNS6_9null_typeES8_S8_S8_S8_S8_S8_S8_EEEEZNS1_11reduce_implILb1ES3_NS6_12zip_iteratorINS7_INS6_11hip_rocprim26transform_input_iterator_tIbNSD_35transform_pair_of_input_iterators_tIbNS6_6detail15normal_iteratorINS6_10device_ptrIKxEEEESL_NS6_8equal_toIxEEEENSG_9not_fun_tINSD_8identityEEEEENSD_19counting_iterator_tIlEES8_S8_S8_S8_S8_S8_S8_S8_EEEEPS9_S9_NSD_9__find_if7functorIS9_EEEE10hipError_tPvRmT1_T2_T3_mT4_P12ihipStream_tbEUlT_E1_NS1_11comp_targetILNS1_3genE8ELNS1_11target_archE1030ELNS1_3gpuE2ELNS1_3repE0EEENS1_30default_config_static_selectorELNS0_4arch9wavefront6targetE1EEEvS14_.num_agpr, 0
	.set _ZN7rocprim17ROCPRIM_400000_NS6detail17trampoline_kernelINS0_14default_configENS1_22reduce_config_selectorIN6thrust23THRUST_200600_302600_NS5tupleIblNS6_9null_typeES8_S8_S8_S8_S8_S8_S8_EEEEZNS1_11reduce_implILb1ES3_NS6_12zip_iteratorINS7_INS6_11hip_rocprim26transform_input_iterator_tIbNSD_35transform_pair_of_input_iterators_tIbNS6_6detail15normal_iteratorINS6_10device_ptrIKxEEEESL_NS6_8equal_toIxEEEENSG_9not_fun_tINSD_8identityEEEEENSD_19counting_iterator_tIlEES8_S8_S8_S8_S8_S8_S8_S8_EEEEPS9_S9_NSD_9__find_if7functorIS9_EEEE10hipError_tPvRmT1_T2_T3_mT4_P12ihipStream_tbEUlT_E1_NS1_11comp_targetILNS1_3genE8ELNS1_11target_archE1030ELNS1_3gpuE2ELNS1_3repE0EEENS1_30default_config_static_selectorELNS0_4arch9wavefront6targetE1EEEvS14_.numbered_sgpr, 0
	.set _ZN7rocprim17ROCPRIM_400000_NS6detail17trampoline_kernelINS0_14default_configENS1_22reduce_config_selectorIN6thrust23THRUST_200600_302600_NS5tupleIblNS6_9null_typeES8_S8_S8_S8_S8_S8_S8_EEEEZNS1_11reduce_implILb1ES3_NS6_12zip_iteratorINS7_INS6_11hip_rocprim26transform_input_iterator_tIbNSD_35transform_pair_of_input_iterators_tIbNS6_6detail15normal_iteratorINS6_10device_ptrIKxEEEESL_NS6_8equal_toIxEEEENSG_9not_fun_tINSD_8identityEEEEENSD_19counting_iterator_tIlEES8_S8_S8_S8_S8_S8_S8_S8_EEEEPS9_S9_NSD_9__find_if7functorIS9_EEEE10hipError_tPvRmT1_T2_T3_mT4_P12ihipStream_tbEUlT_E1_NS1_11comp_targetILNS1_3genE8ELNS1_11target_archE1030ELNS1_3gpuE2ELNS1_3repE0EEENS1_30default_config_static_selectorELNS0_4arch9wavefront6targetE1EEEvS14_.num_named_barrier, 0
	.set _ZN7rocprim17ROCPRIM_400000_NS6detail17trampoline_kernelINS0_14default_configENS1_22reduce_config_selectorIN6thrust23THRUST_200600_302600_NS5tupleIblNS6_9null_typeES8_S8_S8_S8_S8_S8_S8_EEEEZNS1_11reduce_implILb1ES3_NS6_12zip_iteratorINS7_INS6_11hip_rocprim26transform_input_iterator_tIbNSD_35transform_pair_of_input_iterators_tIbNS6_6detail15normal_iteratorINS6_10device_ptrIKxEEEESL_NS6_8equal_toIxEEEENSG_9not_fun_tINSD_8identityEEEEENSD_19counting_iterator_tIlEES8_S8_S8_S8_S8_S8_S8_S8_EEEEPS9_S9_NSD_9__find_if7functorIS9_EEEE10hipError_tPvRmT1_T2_T3_mT4_P12ihipStream_tbEUlT_E1_NS1_11comp_targetILNS1_3genE8ELNS1_11target_archE1030ELNS1_3gpuE2ELNS1_3repE0EEENS1_30default_config_static_selectorELNS0_4arch9wavefront6targetE1EEEvS14_.private_seg_size, 0
	.set _ZN7rocprim17ROCPRIM_400000_NS6detail17trampoline_kernelINS0_14default_configENS1_22reduce_config_selectorIN6thrust23THRUST_200600_302600_NS5tupleIblNS6_9null_typeES8_S8_S8_S8_S8_S8_S8_EEEEZNS1_11reduce_implILb1ES3_NS6_12zip_iteratorINS7_INS6_11hip_rocprim26transform_input_iterator_tIbNSD_35transform_pair_of_input_iterators_tIbNS6_6detail15normal_iteratorINS6_10device_ptrIKxEEEESL_NS6_8equal_toIxEEEENSG_9not_fun_tINSD_8identityEEEEENSD_19counting_iterator_tIlEES8_S8_S8_S8_S8_S8_S8_S8_EEEEPS9_S9_NSD_9__find_if7functorIS9_EEEE10hipError_tPvRmT1_T2_T3_mT4_P12ihipStream_tbEUlT_E1_NS1_11comp_targetILNS1_3genE8ELNS1_11target_archE1030ELNS1_3gpuE2ELNS1_3repE0EEENS1_30default_config_static_selectorELNS0_4arch9wavefront6targetE1EEEvS14_.uses_vcc, 0
	.set _ZN7rocprim17ROCPRIM_400000_NS6detail17trampoline_kernelINS0_14default_configENS1_22reduce_config_selectorIN6thrust23THRUST_200600_302600_NS5tupleIblNS6_9null_typeES8_S8_S8_S8_S8_S8_S8_EEEEZNS1_11reduce_implILb1ES3_NS6_12zip_iteratorINS7_INS6_11hip_rocprim26transform_input_iterator_tIbNSD_35transform_pair_of_input_iterators_tIbNS6_6detail15normal_iteratorINS6_10device_ptrIKxEEEESL_NS6_8equal_toIxEEEENSG_9not_fun_tINSD_8identityEEEEENSD_19counting_iterator_tIlEES8_S8_S8_S8_S8_S8_S8_S8_EEEEPS9_S9_NSD_9__find_if7functorIS9_EEEE10hipError_tPvRmT1_T2_T3_mT4_P12ihipStream_tbEUlT_E1_NS1_11comp_targetILNS1_3genE8ELNS1_11target_archE1030ELNS1_3gpuE2ELNS1_3repE0EEENS1_30default_config_static_selectorELNS0_4arch9wavefront6targetE1EEEvS14_.uses_flat_scratch, 0
	.set _ZN7rocprim17ROCPRIM_400000_NS6detail17trampoline_kernelINS0_14default_configENS1_22reduce_config_selectorIN6thrust23THRUST_200600_302600_NS5tupleIblNS6_9null_typeES8_S8_S8_S8_S8_S8_S8_EEEEZNS1_11reduce_implILb1ES3_NS6_12zip_iteratorINS7_INS6_11hip_rocprim26transform_input_iterator_tIbNSD_35transform_pair_of_input_iterators_tIbNS6_6detail15normal_iteratorINS6_10device_ptrIKxEEEESL_NS6_8equal_toIxEEEENSG_9not_fun_tINSD_8identityEEEEENSD_19counting_iterator_tIlEES8_S8_S8_S8_S8_S8_S8_S8_EEEEPS9_S9_NSD_9__find_if7functorIS9_EEEE10hipError_tPvRmT1_T2_T3_mT4_P12ihipStream_tbEUlT_E1_NS1_11comp_targetILNS1_3genE8ELNS1_11target_archE1030ELNS1_3gpuE2ELNS1_3repE0EEENS1_30default_config_static_selectorELNS0_4arch9wavefront6targetE1EEEvS14_.has_dyn_sized_stack, 0
	.set _ZN7rocprim17ROCPRIM_400000_NS6detail17trampoline_kernelINS0_14default_configENS1_22reduce_config_selectorIN6thrust23THRUST_200600_302600_NS5tupleIblNS6_9null_typeES8_S8_S8_S8_S8_S8_S8_EEEEZNS1_11reduce_implILb1ES3_NS6_12zip_iteratorINS7_INS6_11hip_rocprim26transform_input_iterator_tIbNSD_35transform_pair_of_input_iterators_tIbNS6_6detail15normal_iteratorINS6_10device_ptrIKxEEEESL_NS6_8equal_toIxEEEENSG_9not_fun_tINSD_8identityEEEEENSD_19counting_iterator_tIlEES8_S8_S8_S8_S8_S8_S8_S8_EEEEPS9_S9_NSD_9__find_if7functorIS9_EEEE10hipError_tPvRmT1_T2_T3_mT4_P12ihipStream_tbEUlT_E1_NS1_11comp_targetILNS1_3genE8ELNS1_11target_archE1030ELNS1_3gpuE2ELNS1_3repE0EEENS1_30default_config_static_selectorELNS0_4arch9wavefront6targetE1EEEvS14_.has_recursion, 0
	.set _ZN7rocprim17ROCPRIM_400000_NS6detail17trampoline_kernelINS0_14default_configENS1_22reduce_config_selectorIN6thrust23THRUST_200600_302600_NS5tupleIblNS6_9null_typeES8_S8_S8_S8_S8_S8_S8_EEEEZNS1_11reduce_implILb1ES3_NS6_12zip_iteratorINS7_INS6_11hip_rocprim26transform_input_iterator_tIbNSD_35transform_pair_of_input_iterators_tIbNS6_6detail15normal_iteratorINS6_10device_ptrIKxEEEESL_NS6_8equal_toIxEEEENSG_9not_fun_tINSD_8identityEEEEENSD_19counting_iterator_tIlEES8_S8_S8_S8_S8_S8_S8_S8_EEEEPS9_S9_NSD_9__find_if7functorIS9_EEEE10hipError_tPvRmT1_T2_T3_mT4_P12ihipStream_tbEUlT_E1_NS1_11comp_targetILNS1_3genE8ELNS1_11target_archE1030ELNS1_3gpuE2ELNS1_3repE0EEENS1_30default_config_static_selectorELNS0_4arch9wavefront6targetE1EEEvS14_.has_indirect_call, 0
	.section	.AMDGPU.csdata,"",@progbits
; Kernel info:
; codeLenInByte = 0
; TotalNumSgprs: 4
; NumVgprs: 0
; ScratchSize: 0
; MemoryBound: 0
; FloatMode: 240
; IeeeMode: 1
; LDSByteSize: 0 bytes/workgroup (compile time only)
; SGPRBlocks: 0
; VGPRBlocks: 0
; NumSGPRsForWavesPerEU: 4
; NumVGPRsForWavesPerEU: 1
; Occupancy: 10
; WaveLimiterHint : 0
; COMPUTE_PGM_RSRC2:SCRATCH_EN: 0
; COMPUTE_PGM_RSRC2:USER_SGPR: 6
; COMPUTE_PGM_RSRC2:TRAP_HANDLER: 0
; COMPUTE_PGM_RSRC2:TGID_X_EN: 1
; COMPUTE_PGM_RSRC2:TGID_Y_EN: 0
; COMPUTE_PGM_RSRC2:TGID_Z_EN: 0
; COMPUTE_PGM_RSRC2:TIDIG_COMP_CNT: 0
	.section	.text._ZN7rocprim17ROCPRIM_400000_NS6detail17trampoline_kernelINS0_14default_configENS1_22reduce_config_selectorIN6thrust23THRUST_200600_302600_NS5tupleIblNS6_9null_typeES8_S8_S8_S8_S8_S8_S8_EEEEZNS1_11reduce_implILb1ES3_NS6_12zip_iteratorINS7_INS6_11hip_rocprim26transform_input_iterator_tIbNSD_35transform_pair_of_input_iterators_tIbNS6_6detail15normal_iteratorINS6_10device_ptrIKiEEEESL_NS6_8equal_toIiEEEENSG_9not_fun_tINSD_8identityEEEEENSD_19counting_iterator_tIlEES8_S8_S8_S8_S8_S8_S8_S8_EEEEPS9_S9_NSD_9__find_if7functorIS9_EEEE10hipError_tPvRmT1_T2_T3_mT4_P12ihipStream_tbEUlT_E0_NS1_11comp_targetILNS1_3genE0ELNS1_11target_archE4294967295ELNS1_3gpuE0ELNS1_3repE0EEENS1_30default_config_static_selectorELNS0_4arch9wavefront6targetE1EEEvS14_,"axG",@progbits,_ZN7rocprim17ROCPRIM_400000_NS6detail17trampoline_kernelINS0_14default_configENS1_22reduce_config_selectorIN6thrust23THRUST_200600_302600_NS5tupleIblNS6_9null_typeES8_S8_S8_S8_S8_S8_S8_EEEEZNS1_11reduce_implILb1ES3_NS6_12zip_iteratorINS7_INS6_11hip_rocprim26transform_input_iterator_tIbNSD_35transform_pair_of_input_iterators_tIbNS6_6detail15normal_iteratorINS6_10device_ptrIKiEEEESL_NS6_8equal_toIiEEEENSG_9not_fun_tINSD_8identityEEEEENSD_19counting_iterator_tIlEES8_S8_S8_S8_S8_S8_S8_S8_EEEEPS9_S9_NSD_9__find_if7functorIS9_EEEE10hipError_tPvRmT1_T2_T3_mT4_P12ihipStream_tbEUlT_E0_NS1_11comp_targetILNS1_3genE0ELNS1_11target_archE4294967295ELNS1_3gpuE0ELNS1_3repE0EEENS1_30default_config_static_selectorELNS0_4arch9wavefront6targetE1EEEvS14_,comdat
	.protected	_ZN7rocprim17ROCPRIM_400000_NS6detail17trampoline_kernelINS0_14default_configENS1_22reduce_config_selectorIN6thrust23THRUST_200600_302600_NS5tupleIblNS6_9null_typeES8_S8_S8_S8_S8_S8_S8_EEEEZNS1_11reduce_implILb1ES3_NS6_12zip_iteratorINS7_INS6_11hip_rocprim26transform_input_iterator_tIbNSD_35transform_pair_of_input_iterators_tIbNS6_6detail15normal_iteratorINS6_10device_ptrIKiEEEESL_NS6_8equal_toIiEEEENSG_9not_fun_tINSD_8identityEEEEENSD_19counting_iterator_tIlEES8_S8_S8_S8_S8_S8_S8_S8_EEEEPS9_S9_NSD_9__find_if7functorIS9_EEEE10hipError_tPvRmT1_T2_T3_mT4_P12ihipStream_tbEUlT_E0_NS1_11comp_targetILNS1_3genE0ELNS1_11target_archE4294967295ELNS1_3gpuE0ELNS1_3repE0EEENS1_30default_config_static_selectorELNS0_4arch9wavefront6targetE1EEEvS14_ ; -- Begin function _ZN7rocprim17ROCPRIM_400000_NS6detail17trampoline_kernelINS0_14default_configENS1_22reduce_config_selectorIN6thrust23THRUST_200600_302600_NS5tupleIblNS6_9null_typeES8_S8_S8_S8_S8_S8_S8_EEEEZNS1_11reduce_implILb1ES3_NS6_12zip_iteratorINS7_INS6_11hip_rocprim26transform_input_iterator_tIbNSD_35transform_pair_of_input_iterators_tIbNS6_6detail15normal_iteratorINS6_10device_ptrIKiEEEESL_NS6_8equal_toIiEEEENSG_9not_fun_tINSD_8identityEEEEENSD_19counting_iterator_tIlEES8_S8_S8_S8_S8_S8_S8_S8_EEEEPS9_S9_NSD_9__find_if7functorIS9_EEEE10hipError_tPvRmT1_T2_T3_mT4_P12ihipStream_tbEUlT_E0_NS1_11comp_targetILNS1_3genE0ELNS1_11target_archE4294967295ELNS1_3gpuE0ELNS1_3repE0EEENS1_30default_config_static_selectorELNS0_4arch9wavefront6targetE1EEEvS14_
	.globl	_ZN7rocprim17ROCPRIM_400000_NS6detail17trampoline_kernelINS0_14default_configENS1_22reduce_config_selectorIN6thrust23THRUST_200600_302600_NS5tupleIblNS6_9null_typeES8_S8_S8_S8_S8_S8_S8_EEEEZNS1_11reduce_implILb1ES3_NS6_12zip_iteratorINS7_INS6_11hip_rocprim26transform_input_iterator_tIbNSD_35transform_pair_of_input_iterators_tIbNS6_6detail15normal_iteratorINS6_10device_ptrIKiEEEESL_NS6_8equal_toIiEEEENSG_9not_fun_tINSD_8identityEEEEENSD_19counting_iterator_tIlEES8_S8_S8_S8_S8_S8_S8_S8_EEEEPS9_S9_NSD_9__find_if7functorIS9_EEEE10hipError_tPvRmT1_T2_T3_mT4_P12ihipStream_tbEUlT_E0_NS1_11comp_targetILNS1_3genE0ELNS1_11target_archE4294967295ELNS1_3gpuE0ELNS1_3repE0EEENS1_30default_config_static_selectorELNS0_4arch9wavefront6targetE1EEEvS14_
	.p2align	8
	.type	_ZN7rocprim17ROCPRIM_400000_NS6detail17trampoline_kernelINS0_14default_configENS1_22reduce_config_selectorIN6thrust23THRUST_200600_302600_NS5tupleIblNS6_9null_typeES8_S8_S8_S8_S8_S8_S8_EEEEZNS1_11reduce_implILb1ES3_NS6_12zip_iteratorINS7_INS6_11hip_rocprim26transform_input_iterator_tIbNSD_35transform_pair_of_input_iterators_tIbNS6_6detail15normal_iteratorINS6_10device_ptrIKiEEEESL_NS6_8equal_toIiEEEENSG_9not_fun_tINSD_8identityEEEEENSD_19counting_iterator_tIlEES8_S8_S8_S8_S8_S8_S8_S8_EEEEPS9_S9_NSD_9__find_if7functorIS9_EEEE10hipError_tPvRmT1_T2_T3_mT4_P12ihipStream_tbEUlT_E0_NS1_11comp_targetILNS1_3genE0ELNS1_11target_archE4294967295ELNS1_3gpuE0ELNS1_3repE0EEENS1_30default_config_static_selectorELNS0_4arch9wavefront6targetE1EEEvS14_,@function
_ZN7rocprim17ROCPRIM_400000_NS6detail17trampoline_kernelINS0_14default_configENS1_22reduce_config_selectorIN6thrust23THRUST_200600_302600_NS5tupleIblNS6_9null_typeES8_S8_S8_S8_S8_S8_S8_EEEEZNS1_11reduce_implILb1ES3_NS6_12zip_iteratorINS7_INS6_11hip_rocprim26transform_input_iterator_tIbNSD_35transform_pair_of_input_iterators_tIbNS6_6detail15normal_iteratorINS6_10device_ptrIKiEEEESL_NS6_8equal_toIiEEEENSG_9not_fun_tINSD_8identityEEEEENSD_19counting_iterator_tIlEES8_S8_S8_S8_S8_S8_S8_S8_EEEEPS9_S9_NSD_9__find_if7functorIS9_EEEE10hipError_tPvRmT1_T2_T3_mT4_P12ihipStream_tbEUlT_E0_NS1_11comp_targetILNS1_3genE0ELNS1_11target_archE4294967295ELNS1_3gpuE0ELNS1_3repE0EEENS1_30default_config_static_selectorELNS0_4arch9wavefront6targetE1EEEvS14_: ; @_ZN7rocprim17ROCPRIM_400000_NS6detail17trampoline_kernelINS0_14default_configENS1_22reduce_config_selectorIN6thrust23THRUST_200600_302600_NS5tupleIblNS6_9null_typeES8_S8_S8_S8_S8_S8_S8_EEEEZNS1_11reduce_implILb1ES3_NS6_12zip_iteratorINS7_INS6_11hip_rocprim26transform_input_iterator_tIbNSD_35transform_pair_of_input_iterators_tIbNS6_6detail15normal_iteratorINS6_10device_ptrIKiEEEESL_NS6_8equal_toIiEEEENSG_9not_fun_tINSD_8identityEEEEENSD_19counting_iterator_tIlEES8_S8_S8_S8_S8_S8_S8_S8_EEEEPS9_S9_NSD_9__find_if7functorIS9_EEEE10hipError_tPvRmT1_T2_T3_mT4_P12ihipStream_tbEUlT_E0_NS1_11comp_targetILNS1_3genE0ELNS1_11target_archE4294967295ELNS1_3gpuE0ELNS1_3repE0EEENS1_30default_config_static_selectorELNS0_4arch9wavefront6targetE1EEEvS14_
; %bb.0:
	.section	.rodata,"a",@progbits
	.p2align	6, 0x0
	.amdhsa_kernel _ZN7rocprim17ROCPRIM_400000_NS6detail17trampoline_kernelINS0_14default_configENS1_22reduce_config_selectorIN6thrust23THRUST_200600_302600_NS5tupleIblNS6_9null_typeES8_S8_S8_S8_S8_S8_S8_EEEEZNS1_11reduce_implILb1ES3_NS6_12zip_iteratorINS7_INS6_11hip_rocprim26transform_input_iterator_tIbNSD_35transform_pair_of_input_iterators_tIbNS6_6detail15normal_iteratorINS6_10device_ptrIKiEEEESL_NS6_8equal_toIiEEEENSG_9not_fun_tINSD_8identityEEEEENSD_19counting_iterator_tIlEES8_S8_S8_S8_S8_S8_S8_S8_EEEEPS9_S9_NSD_9__find_if7functorIS9_EEEE10hipError_tPvRmT1_T2_T3_mT4_P12ihipStream_tbEUlT_E0_NS1_11comp_targetILNS1_3genE0ELNS1_11target_archE4294967295ELNS1_3gpuE0ELNS1_3repE0EEENS1_30default_config_static_selectorELNS0_4arch9wavefront6targetE1EEEvS14_
		.amdhsa_group_segment_fixed_size 0
		.amdhsa_private_segment_fixed_size 0
		.amdhsa_kernarg_size 104
		.amdhsa_user_sgpr_count 6
		.amdhsa_user_sgpr_private_segment_buffer 1
		.amdhsa_user_sgpr_dispatch_ptr 0
		.amdhsa_user_sgpr_queue_ptr 0
		.amdhsa_user_sgpr_kernarg_segment_ptr 1
		.amdhsa_user_sgpr_dispatch_id 0
		.amdhsa_user_sgpr_flat_scratch_init 0
		.amdhsa_user_sgpr_private_segment_size 0
		.amdhsa_uses_dynamic_stack 0
		.amdhsa_system_sgpr_private_segment_wavefront_offset 0
		.amdhsa_system_sgpr_workgroup_id_x 1
		.amdhsa_system_sgpr_workgroup_id_y 0
		.amdhsa_system_sgpr_workgroup_id_z 0
		.amdhsa_system_sgpr_workgroup_info 0
		.amdhsa_system_vgpr_workitem_id 0
		.amdhsa_next_free_vgpr 1
		.amdhsa_next_free_sgpr 0
		.amdhsa_reserve_vcc 0
		.amdhsa_reserve_flat_scratch 0
		.amdhsa_float_round_mode_32 0
		.amdhsa_float_round_mode_16_64 0
		.amdhsa_float_denorm_mode_32 3
		.amdhsa_float_denorm_mode_16_64 3
		.amdhsa_dx10_clamp 1
		.amdhsa_ieee_mode 1
		.amdhsa_fp16_overflow 0
		.amdhsa_exception_fp_ieee_invalid_op 0
		.amdhsa_exception_fp_denorm_src 0
		.amdhsa_exception_fp_ieee_div_zero 0
		.amdhsa_exception_fp_ieee_overflow 0
		.amdhsa_exception_fp_ieee_underflow 0
		.amdhsa_exception_fp_ieee_inexact 0
		.amdhsa_exception_int_div_zero 0
	.end_amdhsa_kernel
	.section	.text._ZN7rocprim17ROCPRIM_400000_NS6detail17trampoline_kernelINS0_14default_configENS1_22reduce_config_selectorIN6thrust23THRUST_200600_302600_NS5tupleIblNS6_9null_typeES8_S8_S8_S8_S8_S8_S8_EEEEZNS1_11reduce_implILb1ES3_NS6_12zip_iteratorINS7_INS6_11hip_rocprim26transform_input_iterator_tIbNSD_35transform_pair_of_input_iterators_tIbNS6_6detail15normal_iteratorINS6_10device_ptrIKiEEEESL_NS6_8equal_toIiEEEENSG_9not_fun_tINSD_8identityEEEEENSD_19counting_iterator_tIlEES8_S8_S8_S8_S8_S8_S8_S8_EEEEPS9_S9_NSD_9__find_if7functorIS9_EEEE10hipError_tPvRmT1_T2_T3_mT4_P12ihipStream_tbEUlT_E0_NS1_11comp_targetILNS1_3genE0ELNS1_11target_archE4294967295ELNS1_3gpuE0ELNS1_3repE0EEENS1_30default_config_static_selectorELNS0_4arch9wavefront6targetE1EEEvS14_,"axG",@progbits,_ZN7rocprim17ROCPRIM_400000_NS6detail17trampoline_kernelINS0_14default_configENS1_22reduce_config_selectorIN6thrust23THRUST_200600_302600_NS5tupleIblNS6_9null_typeES8_S8_S8_S8_S8_S8_S8_EEEEZNS1_11reduce_implILb1ES3_NS6_12zip_iteratorINS7_INS6_11hip_rocprim26transform_input_iterator_tIbNSD_35transform_pair_of_input_iterators_tIbNS6_6detail15normal_iteratorINS6_10device_ptrIKiEEEESL_NS6_8equal_toIiEEEENSG_9not_fun_tINSD_8identityEEEEENSD_19counting_iterator_tIlEES8_S8_S8_S8_S8_S8_S8_S8_EEEEPS9_S9_NSD_9__find_if7functorIS9_EEEE10hipError_tPvRmT1_T2_T3_mT4_P12ihipStream_tbEUlT_E0_NS1_11comp_targetILNS1_3genE0ELNS1_11target_archE4294967295ELNS1_3gpuE0ELNS1_3repE0EEENS1_30default_config_static_selectorELNS0_4arch9wavefront6targetE1EEEvS14_,comdat
.Lfunc_end537:
	.size	_ZN7rocprim17ROCPRIM_400000_NS6detail17trampoline_kernelINS0_14default_configENS1_22reduce_config_selectorIN6thrust23THRUST_200600_302600_NS5tupleIblNS6_9null_typeES8_S8_S8_S8_S8_S8_S8_EEEEZNS1_11reduce_implILb1ES3_NS6_12zip_iteratorINS7_INS6_11hip_rocprim26transform_input_iterator_tIbNSD_35transform_pair_of_input_iterators_tIbNS6_6detail15normal_iteratorINS6_10device_ptrIKiEEEESL_NS6_8equal_toIiEEEENSG_9not_fun_tINSD_8identityEEEEENSD_19counting_iterator_tIlEES8_S8_S8_S8_S8_S8_S8_S8_EEEEPS9_S9_NSD_9__find_if7functorIS9_EEEE10hipError_tPvRmT1_T2_T3_mT4_P12ihipStream_tbEUlT_E0_NS1_11comp_targetILNS1_3genE0ELNS1_11target_archE4294967295ELNS1_3gpuE0ELNS1_3repE0EEENS1_30default_config_static_selectorELNS0_4arch9wavefront6targetE1EEEvS14_, .Lfunc_end537-_ZN7rocprim17ROCPRIM_400000_NS6detail17trampoline_kernelINS0_14default_configENS1_22reduce_config_selectorIN6thrust23THRUST_200600_302600_NS5tupleIblNS6_9null_typeES8_S8_S8_S8_S8_S8_S8_EEEEZNS1_11reduce_implILb1ES3_NS6_12zip_iteratorINS7_INS6_11hip_rocprim26transform_input_iterator_tIbNSD_35transform_pair_of_input_iterators_tIbNS6_6detail15normal_iteratorINS6_10device_ptrIKiEEEESL_NS6_8equal_toIiEEEENSG_9not_fun_tINSD_8identityEEEEENSD_19counting_iterator_tIlEES8_S8_S8_S8_S8_S8_S8_S8_EEEEPS9_S9_NSD_9__find_if7functorIS9_EEEE10hipError_tPvRmT1_T2_T3_mT4_P12ihipStream_tbEUlT_E0_NS1_11comp_targetILNS1_3genE0ELNS1_11target_archE4294967295ELNS1_3gpuE0ELNS1_3repE0EEENS1_30default_config_static_selectorELNS0_4arch9wavefront6targetE1EEEvS14_
                                        ; -- End function
	.set _ZN7rocprim17ROCPRIM_400000_NS6detail17trampoline_kernelINS0_14default_configENS1_22reduce_config_selectorIN6thrust23THRUST_200600_302600_NS5tupleIblNS6_9null_typeES8_S8_S8_S8_S8_S8_S8_EEEEZNS1_11reduce_implILb1ES3_NS6_12zip_iteratorINS7_INS6_11hip_rocprim26transform_input_iterator_tIbNSD_35transform_pair_of_input_iterators_tIbNS6_6detail15normal_iteratorINS6_10device_ptrIKiEEEESL_NS6_8equal_toIiEEEENSG_9not_fun_tINSD_8identityEEEEENSD_19counting_iterator_tIlEES8_S8_S8_S8_S8_S8_S8_S8_EEEEPS9_S9_NSD_9__find_if7functorIS9_EEEE10hipError_tPvRmT1_T2_T3_mT4_P12ihipStream_tbEUlT_E0_NS1_11comp_targetILNS1_3genE0ELNS1_11target_archE4294967295ELNS1_3gpuE0ELNS1_3repE0EEENS1_30default_config_static_selectorELNS0_4arch9wavefront6targetE1EEEvS14_.num_vgpr, 0
	.set _ZN7rocprim17ROCPRIM_400000_NS6detail17trampoline_kernelINS0_14default_configENS1_22reduce_config_selectorIN6thrust23THRUST_200600_302600_NS5tupleIblNS6_9null_typeES8_S8_S8_S8_S8_S8_S8_EEEEZNS1_11reduce_implILb1ES3_NS6_12zip_iteratorINS7_INS6_11hip_rocprim26transform_input_iterator_tIbNSD_35transform_pair_of_input_iterators_tIbNS6_6detail15normal_iteratorINS6_10device_ptrIKiEEEESL_NS6_8equal_toIiEEEENSG_9not_fun_tINSD_8identityEEEEENSD_19counting_iterator_tIlEES8_S8_S8_S8_S8_S8_S8_S8_EEEEPS9_S9_NSD_9__find_if7functorIS9_EEEE10hipError_tPvRmT1_T2_T3_mT4_P12ihipStream_tbEUlT_E0_NS1_11comp_targetILNS1_3genE0ELNS1_11target_archE4294967295ELNS1_3gpuE0ELNS1_3repE0EEENS1_30default_config_static_selectorELNS0_4arch9wavefront6targetE1EEEvS14_.num_agpr, 0
	.set _ZN7rocprim17ROCPRIM_400000_NS6detail17trampoline_kernelINS0_14default_configENS1_22reduce_config_selectorIN6thrust23THRUST_200600_302600_NS5tupleIblNS6_9null_typeES8_S8_S8_S8_S8_S8_S8_EEEEZNS1_11reduce_implILb1ES3_NS6_12zip_iteratorINS7_INS6_11hip_rocprim26transform_input_iterator_tIbNSD_35transform_pair_of_input_iterators_tIbNS6_6detail15normal_iteratorINS6_10device_ptrIKiEEEESL_NS6_8equal_toIiEEEENSG_9not_fun_tINSD_8identityEEEEENSD_19counting_iterator_tIlEES8_S8_S8_S8_S8_S8_S8_S8_EEEEPS9_S9_NSD_9__find_if7functorIS9_EEEE10hipError_tPvRmT1_T2_T3_mT4_P12ihipStream_tbEUlT_E0_NS1_11comp_targetILNS1_3genE0ELNS1_11target_archE4294967295ELNS1_3gpuE0ELNS1_3repE0EEENS1_30default_config_static_selectorELNS0_4arch9wavefront6targetE1EEEvS14_.numbered_sgpr, 0
	.set _ZN7rocprim17ROCPRIM_400000_NS6detail17trampoline_kernelINS0_14default_configENS1_22reduce_config_selectorIN6thrust23THRUST_200600_302600_NS5tupleIblNS6_9null_typeES8_S8_S8_S8_S8_S8_S8_EEEEZNS1_11reduce_implILb1ES3_NS6_12zip_iteratorINS7_INS6_11hip_rocprim26transform_input_iterator_tIbNSD_35transform_pair_of_input_iterators_tIbNS6_6detail15normal_iteratorINS6_10device_ptrIKiEEEESL_NS6_8equal_toIiEEEENSG_9not_fun_tINSD_8identityEEEEENSD_19counting_iterator_tIlEES8_S8_S8_S8_S8_S8_S8_S8_EEEEPS9_S9_NSD_9__find_if7functorIS9_EEEE10hipError_tPvRmT1_T2_T3_mT4_P12ihipStream_tbEUlT_E0_NS1_11comp_targetILNS1_3genE0ELNS1_11target_archE4294967295ELNS1_3gpuE0ELNS1_3repE0EEENS1_30default_config_static_selectorELNS0_4arch9wavefront6targetE1EEEvS14_.num_named_barrier, 0
	.set _ZN7rocprim17ROCPRIM_400000_NS6detail17trampoline_kernelINS0_14default_configENS1_22reduce_config_selectorIN6thrust23THRUST_200600_302600_NS5tupleIblNS6_9null_typeES8_S8_S8_S8_S8_S8_S8_EEEEZNS1_11reduce_implILb1ES3_NS6_12zip_iteratorINS7_INS6_11hip_rocprim26transform_input_iterator_tIbNSD_35transform_pair_of_input_iterators_tIbNS6_6detail15normal_iteratorINS6_10device_ptrIKiEEEESL_NS6_8equal_toIiEEEENSG_9not_fun_tINSD_8identityEEEEENSD_19counting_iterator_tIlEES8_S8_S8_S8_S8_S8_S8_S8_EEEEPS9_S9_NSD_9__find_if7functorIS9_EEEE10hipError_tPvRmT1_T2_T3_mT4_P12ihipStream_tbEUlT_E0_NS1_11comp_targetILNS1_3genE0ELNS1_11target_archE4294967295ELNS1_3gpuE0ELNS1_3repE0EEENS1_30default_config_static_selectorELNS0_4arch9wavefront6targetE1EEEvS14_.private_seg_size, 0
	.set _ZN7rocprim17ROCPRIM_400000_NS6detail17trampoline_kernelINS0_14default_configENS1_22reduce_config_selectorIN6thrust23THRUST_200600_302600_NS5tupleIblNS6_9null_typeES8_S8_S8_S8_S8_S8_S8_EEEEZNS1_11reduce_implILb1ES3_NS6_12zip_iteratorINS7_INS6_11hip_rocprim26transform_input_iterator_tIbNSD_35transform_pair_of_input_iterators_tIbNS6_6detail15normal_iteratorINS6_10device_ptrIKiEEEESL_NS6_8equal_toIiEEEENSG_9not_fun_tINSD_8identityEEEEENSD_19counting_iterator_tIlEES8_S8_S8_S8_S8_S8_S8_S8_EEEEPS9_S9_NSD_9__find_if7functorIS9_EEEE10hipError_tPvRmT1_T2_T3_mT4_P12ihipStream_tbEUlT_E0_NS1_11comp_targetILNS1_3genE0ELNS1_11target_archE4294967295ELNS1_3gpuE0ELNS1_3repE0EEENS1_30default_config_static_selectorELNS0_4arch9wavefront6targetE1EEEvS14_.uses_vcc, 0
	.set _ZN7rocprim17ROCPRIM_400000_NS6detail17trampoline_kernelINS0_14default_configENS1_22reduce_config_selectorIN6thrust23THRUST_200600_302600_NS5tupleIblNS6_9null_typeES8_S8_S8_S8_S8_S8_S8_EEEEZNS1_11reduce_implILb1ES3_NS6_12zip_iteratorINS7_INS6_11hip_rocprim26transform_input_iterator_tIbNSD_35transform_pair_of_input_iterators_tIbNS6_6detail15normal_iteratorINS6_10device_ptrIKiEEEESL_NS6_8equal_toIiEEEENSG_9not_fun_tINSD_8identityEEEEENSD_19counting_iterator_tIlEES8_S8_S8_S8_S8_S8_S8_S8_EEEEPS9_S9_NSD_9__find_if7functorIS9_EEEE10hipError_tPvRmT1_T2_T3_mT4_P12ihipStream_tbEUlT_E0_NS1_11comp_targetILNS1_3genE0ELNS1_11target_archE4294967295ELNS1_3gpuE0ELNS1_3repE0EEENS1_30default_config_static_selectorELNS0_4arch9wavefront6targetE1EEEvS14_.uses_flat_scratch, 0
	.set _ZN7rocprim17ROCPRIM_400000_NS6detail17trampoline_kernelINS0_14default_configENS1_22reduce_config_selectorIN6thrust23THRUST_200600_302600_NS5tupleIblNS6_9null_typeES8_S8_S8_S8_S8_S8_S8_EEEEZNS1_11reduce_implILb1ES3_NS6_12zip_iteratorINS7_INS6_11hip_rocprim26transform_input_iterator_tIbNSD_35transform_pair_of_input_iterators_tIbNS6_6detail15normal_iteratorINS6_10device_ptrIKiEEEESL_NS6_8equal_toIiEEEENSG_9not_fun_tINSD_8identityEEEEENSD_19counting_iterator_tIlEES8_S8_S8_S8_S8_S8_S8_S8_EEEEPS9_S9_NSD_9__find_if7functorIS9_EEEE10hipError_tPvRmT1_T2_T3_mT4_P12ihipStream_tbEUlT_E0_NS1_11comp_targetILNS1_3genE0ELNS1_11target_archE4294967295ELNS1_3gpuE0ELNS1_3repE0EEENS1_30default_config_static_selectorELNS0_4arch9wavefront6targetE1EEEvS14_.has_dyn_sized_stack, 0
	.set _ZN7rocprim17ROCPRIM_400000_NS6detail17trampoline_kernelINS0_14default_configENS1_22reduce_config_selectorIN6thrust23THRUST_200600_302600_NS5tupleIblNS6_9null_typeES8_S8_S8_S8_S8_S8_S8_EEEEZNS1_11reduce_implILb1ES3_NS6_12zip_iteratorINS7_INS6_11hip_rocprim26transform_input_iterator_tIbNSD_35transform_pair_of_input_iterators_tIbNS6_6detail15normal_iteratorINS6_10device_ptrIKiEEEESL_NS6_8equal_toIiEEEENSG_9not_fun_tINSD_8identityEEEEENSD_19counting_iterator_tIlEES8_S8_S8_S8_S8_S8_S8_S8_EEEEPS9_S9_NSD_9__find_if7functorIS9_EEEE10hipError_tPvRmT1_T2_T3_mT4_P12ihipStream_tbEUlT_E0_NS1_11comp_targetILNS1_3genE0ELNS1_11target_archE4294967295ELNS1_3gpuE0ELNS1_3repE0EEENS1_30default_config_static_selectorELNS0_4arch9wavefront6targetE1EEEvS14_.has_recursion, 0
	.set _ZN7rocprim17ROCPRIM_400000_NS6detail17trampoline_kernelINS0_14default_configENS1_22reduce_config_selectorIN6thrust23THRUST_200600_302600_NS5tupleIblNS6_9null_typeES8_S8_S8_S8_S8_S8_S8_EEEEZNS1_11reduce_implILb1ES3_NS6_12zip_iteratorINS7_INS6_11hip_rocprim26transform_input_iterator_tIbNSD_35transform_pair_of_input_iterators_tIbNS6_6detail15normal_iteratorINS6_10device_ptrIKiEEEESL_NS6_8equal_toIiEEEENSG_9not_fun_tINSD_8identityEEEEENSD_19counting_iterator_tIlEES8_S8_S8_S8_S8_S8_S8_S8_EEEEPS9_S9_NSD_9__find_if7functorIS9_EEEE10hipError_tPvRmT1_T2_T3_mT4_P12ihipStream_tbEUlT_E0_NS1_11comp_targetILNS1_3genE0ELNS1_11target_archE4294967295ELNS1_3gpuE0ELNS1_3repE0EEENS1_30default_config_static_selectorELNS0_4arch9wavefront6targetE1EEEvS14_.has_indirect_call, 0
	.section	.AMDGPU.csdata,"",@progbits
; Kernel info:
; codeLenInByte = 0
; TotalNumSgprs: 4
; NumVgprs: 0
; ScratchSize: 0
; MemoryBound: 0
; FloatMode: 240
; IeeeMode: 1
; LDSByteSize: 0 bytes/workgroup (compile time only)
; SGPRBlocks: 0
; VGPRBlocks: 0
; NumSGPRsForWavesPerEU: 4
; NumVGPRsForWavesPerEU: 1
; Occupancy: 10
; WaveLimiterHint : 0
; COMPUTE_PGM_RSRC2:SCRATCH_EN: 0
; COMPUTE_PGM_RSRC2:USER_SGPR: 6
; COMPUTE_PGM_RSRC2:TRAP_HANDLER: 0
; COMPUTE_PGM_RSRC2:TGID_X_EN: 1
; COMPUTE_PGM_RSRC2:TGID_Y_EN: 0
; COMPUTE_PGM_RSRC2:TGID_Z_EN: 0
; COMPUTE_PGM_RSRC2:TIDIG_COMP_CNT: 0
	.section	.text._ZN7rocprim17ROCPRIM_400000_NS6detail17trampoline_kernelINS0_14default_configENS1_22reduce_config_selectorIN6thrust23THRUST_200600_302600_NS5tupleIblNS6_9null_typeES8_S8_S8_S8_S8_S8_S8_EEEEZNS1_11reduce_implILb1ES3_NS6_12zip_iteratorINS7_INS6_11hip_rocprim26transform_input_iterator_tIbNSD_35transform_pair_of_input_iterators_tIbNS6_6detail15normal_iteratorINS6_10device_ptrIKiEEEESL_NS6_8equal_toIiEEEENSG_9not_fun_tINSD_8identityEEEEENSD_19counting_iterator_tIlEES8_S8_S8_S8_S8_S8_S8_S8_EEEEPS9_S9_NSD_9__find_if7functorIS9_EEEE10hipError_tPvRmT1_T2_T3_mT4_P12ihipStream_tbEUlT_E0_NS1_11comp_targetILNS1_3genE5ELNS1_11target_archE942ELNS1_3gpuE9ELNS1_3repE0EEENS1_30default_config_static_selectorELNS0_4arch9wavefront6targetE1EEEvS14_,"axG",@progbits,_ZN7rocprim17ROCPRIM_400000_NS6detail17trampoline_kernelINS0_14default_configENS1_22reduce_config_selectorIN6thrust23THRUST_200600_302600_NS5tupleIblNS6_9null_typeES8_S8_S8_S8_S8_S8_S8_EEEEZNS1_11reduce_implILb1ES3_NS6_12zip_iteratorINS7_INS6_11hip_rocprim26transform_input_iterator_tIbNSD_35transform_pair_of_input_iterators_tIbNS6_6detail15normal_iteratorINS6_10device_ptrIKiEEEESL_NS6_8equal_toIiEEEENSG_9not_fun_tINSD_8identityEEEEENSD_19counting_iterator_tIlEES8_S8_S8_S8_S8_S8_S8_S8_EEEEPS9_S9_NSD_9__find_if7functorIS9_EEEE10hipError_tPvRmT1_T2_T3_mT4_P12ihipStream_tbEUlT_E0_NS1_11comp_targetILNS1_3genE5ELNS1_11target_archE942ELNS1_3gpuE9ELNS1_3repE0EEENS1_30default_config_static_selectorELNS0_4arch9wavefront6targetE1EEEvS14_,comdat
	.protected	_ZN7rocprim17ROCPRIM_400000_NS6detail17trampoline_kernelINS0_14default_configENS1_22reduce_config_selectorIN6thrust23THRUST_200600_302600_NS5tupleIblNS6_9null_typeES8_S8_S8_S8_S8_S8_S8_EEEEZNS1_11reduce_implILb1ES3_NS6_12zip_iteratorINS7_INS6_11hip_rocprim26transform_input_iterator_tIbNSD_35transform_pair_of_input_iterators_tIbNS6_6detail15normal_iteratorINS6_10device_ptrIKiEEEESL_NS6_8equal_toIiEEEENSG_9not_fun_tINSD_8identityEEEEENSD_19counting_iterator_tIlEES8_S8_S8_S8_S8_S8_S8_S8_EEEEPS9_S9_NSD_9__find_if7functorIS9_EEEE10hipError_tPvRmT1_T2_T3_mT4_P12ihipStream_tbEUlT_E0_NS1_11comp_targetILNS1_3genE5ELNS1_11target_archE942ELNS1_3gpuE9ELNS1_3repE0EEENS1_30default_config_static_selectorELNS0_4arch9wavefront6targetE1EEEvS14_ ; -- Begin function _ZN7rocprim17ROCPRIM_400000_NS6detail17trampoline_kernelINS0_14default_configENS1_22reduce_config_selectorIN6thrust23THRUST_200600_302600_NS5tupleIblNS6_9null_typeES8_S8_S8_S8_S8_S8_S8_EEEEZNS1_11reduce_implILb1ES3_NS6_12zip_iteratorINS7_INS6_11hip_rocprim26transform_input_iterator_tIbNSD_35transform_pair_of_input_iterators_tIbNS6_6detail15normal_iteratorINS6_10device_ptrIKiEEEESL_NS6_8equal_toIiEEEENSG_9not_fun_tINSD_8identityEEEEENSD_19counting_iterator_tIlEES8_S8_S8_S8_S8_S8_S8_S8_EEEEPS9_S9_NSD_9__find_if7functorIS9_EEEE10hipError_tPvRmT1_T2_T3_mT4_P12ihipStream_tbEUlT_E0_NS1_11comp_targetILNS1_3genE5ELNS1_11target_archE942ELNS1_3gpuE9ELNS1_3repE0EEENS1_30default_config_static_selectorELNS0_4arch9wavefront6targetE1EEEvS14_
	.globl	_ZN7rocprim17ROCPRIM_400000_NS6detail17trampoline_kernelINS0_14default_configENS1_22reduce_config_selectorIN6thrust23THRUST_200600_302600_NS5tupleIblNS6_9null_typeES8_S8_S8_S8_S8_S8_S8_EEEEZNS1_11reduce_implILb1ES3_NS6_12zip_iteratorINS7_INS6_11hip_rocprim26transform_input_iterator_tIbNSD_35transform_pair_of_input_iterators_tIbNS6_6detail15normal_iteratorINS6_10device_ptrIKiEEEESL_NS6_8equal_toIiEEEENSG_9not_fun_tINSD_8identityEEEEENSD_19counting_iterator_tIlEES8_S8_S8_S8_S8_S8_S8_S8_EEEEPS9_S9_NSD_9__find_if7functorIS9_EEEE10hipError_tPvRmT1_T2_T3_mT4_P12ihipStream_tbEUlT_E0_NS1_11comp_targetILNS1_3genE5ELNS1_11target_archE942ELNS1_3gpuE9ELNS1_3repE0EEENS1_30default_config_static_selectorELNS0_4arch9wavefront6targetE1EEEvS14_
	.p2align	8
	.type	_ZN7rocprim17ROCPRIM_400000_NS6detail17trampoline_kernelINS0_14default_configENS1_22reduce_config_selectorIN6thrust23THRUST_200600_302600_NS5tupleIblNS6_9null_typeES8_S8_S8_S8_S8_S8_S8_EEEEZNS1_11reduce_implILb1ES3_NS6_12zip_iteratorINS7_INS6_11hip_rocprim26transform_input_iterator_tIbNSD_35transform_pair_of_input_iterators_tIbNS6_6detail15normal_iteratorINS6_10device_ptrIKiEEEESL_NS6_8equal_toIiEEEENSG_9not_fun_tINSD_8identityEEEEENSD_19counting_iterator_tIlEES8_S8_S8_S8_S8_S8_S8_S8_EEEEPS9_S9_NSD_9__find_if7functorIS9_EEEE10hipError_tPvRmT1_T2_T3_mT4_P12ihipStream_tbEUlT_E0_NS1_11comp_targetILNS1_3genE5ELNS1_11target_archE942ELNS1_3gpuE9ELNS1_3repE0EEENS1_30default_config_static_selectorELNS0_4arch9wavefront6targetE1EEEvS14_,@function
_ZN7rocprim17ROCPRIM_400000_NS6detail17trampoline_kernelINS0_14default_configENS1_22reduce_config_selectorIN6thrust23THRUST_200600_302600_NS5tupleIblNS6_9null_typeES8_S8_S8_S8_S8_S8_S8_EEEEZNS1_11reduce_implILb1ES3_NS6_12zip_iteratorINS7_INS6_11hip_rocprim26transform_input_iterator_tIbNSD_35transform_pair_of_input_iterators_tIbNS6_6detail15normal_iteratorINS6_10device_ptrIKiEEEESL_NS6_8equal_toIiEEEENSG_9not_fun_tINSD_8identityEEEEENSD_19counting_iterator_tIlEES8_S8_S8_S8_S8_S8_S8_S8_EEEEPS9_S9_NSD_9__find_if7functorIS9_EEEE10hipError_tPvRmT1_T2_T3_mT4_P12ihipStream_tbEUlT_E0_NS1_11comp_targetILNS1_3genE5ELNS1_11target_archE942ELNS1_3gpuE9ELNS1_3repE0EEENS1_30default_config_static_selectorELNS0_4arch9wavefront6targetE1EEEvS14_: ; @_ZN7rocprim17ROCPRIM_400000_NS6detail17trampoline_kernelINS0_14default_configENS1_22reduce_config_selectorIN6thrust23THRUST_200600_302600_NS5tupleIblNS6_9null_typeES8_S8_S8_S8_S8_S8_S8_EEEEZNS1_11reduce_implILb1ES3_NS6_12zip_iteratorINS7_INS6_11hip_rocprim26transform_input_iterator_tIbNSD_35transform_pair_of_input_iterators_tIbNS6_6detail15normal_iteratorINS6_10device_ptrIKiEEEESL_NS6_8equal_toIiEEEENSG_9not_fun_tINSD_8identityEEEEENSD_19counting_iterator_tIlEES8_S8_S8_S8_S8_S8_S8_S8_EEEEPS9_S9_NSD_9__find_if7functorIS9_EEEE10hipError_tPvRmT1_T2_T3_mT4_P12ihipStream_tbEUlT_E0_NS1_11comp_targetILNS1_3genE5ELNS1_11target_archE942ELNS1_3gpuE9ELNS1_3repE0EEENS1_30default_config_static_selectorELNS0_4arch9wavefront6targetE1EEEvS14_
; %bb.0:
	.section	.rodata,"a",@progbits
	.p2align	6, 0x0
	.amdhsa_kernel _ZN7rocprim17ROCPRIM_400000_NS6detail17trampoline_kernelINS0_14default_configENS1_22reduce_config_selectorIN6thrust23THRUST_200600_302600_NS5tupleIblNS6_9null_typeES8_S8_S8_S8_S8_S8_S8_EEEEZNS1_11reduce_implILb1ES3_NS6_12zip_iteratorINS7_INS6_11hip_rocprim26transform_input_iterator_tIbNSD_35transform_pair_of_input_iterators_tIbNS6_6detail15normal_iteratorINS6_10device_ptrIKiEEEESL_NS6_8equal_toIiEEEENSG_9not_fun_tINSD_8identityEEEEENSD_19counting_iterator_tIlEES8_S8_S8_S8_S8_S8_S8_S8_EEEEPS9_S9_NSD_9__find_if7functorIS9_EEEE10hipError_tPvRmT1_T2_T3_mT4_P12ihipStream_tbEUlT_E0_NS1_11comp_targetILNS1_3genE5ELNS1_11target_archE942ELNS1_3gpuE9ELNS1_3repE0EEENS1_30default_config_static_selectorELNS0_4arch9wavefront6targetE1EEEvS14_
		.amdhsa_group_segment_fixed_size 0
		.amdhsa_private_segment_fixed_size 0
		.amdhsa_kernarg_size 104
		.amdhsa_user_sgpr_count 6
		.amdhsa_user_sgpr_private_segment_buffer 1
		.amdhsa_user_sgpr_dispatch_ptr 0
		.amdhsa_user_sgpr_queue_ptr 0
		.amdhsa_user_sgpr_kernarg_segment_ptr 1
		.amdhsa_user_sgpr_dispatch_id 0
		.amdhsa_user_sgpr_flat_scratch_init 0
		.amdhsa_user_sgpr_private_segment_size 0
		.amdhsa_uses_dynamic_stack 0
		.amdhsa_system_sgpr_private_segment_wavefront_offset 0
		.amdhsa_system_sgpr_workgroup_id_x 1
		.amdhsa_system_sgpr_workgroup_id_y 0
		.amdhsa_system_sgpr_workgroup_id_z 0
		.amdhsa_system_sgpr_workgroup_info 0
		.amdhsa_system_vgpr_workitem_id 0
		.amdhsa_next_free_vgpr 1
		.amdhsa_next_free_sgpr 0
		.amdhsa_reserve_vcc 0
		.amdhsa_reserve_flat_scratch 0
		.amdhsa_float_round_mode_32 0
		.amdhsa_float_round_mode_16_64 0
		.amdhsa_float_denorm_mode_32 3
		.amdhsa_float_denorm_mode_16_64 3
		.amdhsa_dx10_clamp 1
		.amdhsa_ieee_mode 1
		.amdhsa_fp16_overflow 0
		.amdhsa_exception_fp_ieee_invalid_op 0
		.amdhsa_exception_fp_denorm_src 0
		.amdhsa_exception_fp_ieee_div_zero 0
		.amdhsa_exception_fp_ieee_overflow 0
		.amdhsa_exception_fp_ieee_underflow 0
		.amdhsa_exception_fp_ieee_inexact 0
		.amdhsa_exception_int_div_zero 0
	.end_amdhsa_kernel
	.section	.text._ZN7rocprim17ROCPRIM_400000_NS6detail17trampoline_kernelINS0_14default_configENS1_22reduce_config_selectorIN6thrust23THRUST_200600_302600_NS5tupleIblNS6_9null_typeES8_S8_S8_S8_S8_S8_S8_EEEEZNS1_11reduce_implILb1ES3_NS6_12zip_iteratorINS7_INS6_11hip_rocprim26transform_input_iterator_tIbNSD_35transform_pair_of_input_iterators_tIbNS6_6detail15normal_iteratorINS6_10device_ptrIKiEEEESL_NS6_8equal_toIiEEEENSG_9not_fun_tINSD_8identityEEEEENSD_19counting_iterator_tIlEES8_S8_S8_S8_S8_S8_S8_S8_EEEEPS9_S9_NSD_9__find_if7functorIS9_EEEE10hipError_tPvRmT1_T2_T3_mT4_P12ihipStream_tbEUlT_E0_NS1_11comp_targetILNS1_3genE5ELNS1_11target_archE942ELNS1_3gpuE9ELNS1_3repE0EEENS1_30default_config_static_selectorELNS0_4arch9wavefront6targetE1EEEvS14_,"axG",@progbits,_ZN7rocprim17ROCPRIM_400000_NS6detail17trampoline_kernelINS0_14default_configENS1_22reduce_config_selectorIN6thrust23THRUST_200600_302600_NS5tupleIblNS6_9null_typeES8_S8_S8_S8_S8_S8_S8_EEEEZNS1_11reduce_implILb1ES3_NS6_12zip_iteratorINS7_INS6_11hip_rocprim26transform_input_iterator_tIbNSD_35transform_pair_of_input_iterators_tIbNS6_6detail15normal_iteratorINS6_10device_ptrIKiEEEESL_NS6_8equal_toIiEEEENSG_9not_fun_tINSD_8identityEEEEENSD_19counting_iterator_tIlEES8_S8_S8_S8_S8_S8_S8_S8_EEEEPS9_S9_NSD_9__find_if7functorIS9_EEEE10hipError_tPvRmT1_T2_T3_mT4_P12ihipStream_tbEUlT_E0_NS1_11comp_targetILNS1_3genE5ELNS1_11target_archE942ELNS1_3gpuE9ELNS1_3repE0EEENS1_30default_config_static_selectorELNS0_4arch9wavefront6targetE1EEEvS14_,comdat
.Lfunc_end538:
	.size	_ZN7rocprim17ROCPRIM_400000_NS6detail17trampoline_kernelINS0_14default_configENS1_22reduce_config_selectorIN6thrust23THRUST_200600_302600_NS5tupleIblNS6_9null_typeES8_S8_S8_S8_S8_S8_S8_EEEEZNS1_11reduce_implILb1ES3_NS6_12zip_iteratorINS7_INS6_11hip_rocprim26transform_input_iterator_tIbNSD_35transform_pair_of_input_iterators_tIbNS6_6detail15normal_iteratorINS6_10device_ptrIKiEEEESL_NS6_8equal_toIiEEEENSG_9not_fun_tINSD_8identityEEEEENSD_19counting_iterator_tIlEES8_S8_S8_S8_S8_S8_S8_S8_EEEEPS9_S9_NSD_9__find_if7functorIS9_EEEE10hipError_tPvRmT1_T2_T3_mT4_P12ihipStream_tbEUlT_E0_NS1_11comp_targetILNS1_3genE5ELNS1_11target_archE942ELNS1_3gpuE9ELNS1_3repE0EEENS1_30default_config_static_selectorELNS0_4arch9wavefront6targetE1EEEvS14_, .Lfunc_end538-_ZN7rocprim17ROCPRIM_400000_NS6detail17trampoline_kernelINS0_14default_configENS1_22reduce_config_selectorIN6thrust23THRUST_200600_302600_NS5tupleIblNS6_9null_typeES8_S8_S8_S8_S8_S8_S8_EEEEZNS1_11reduce_implILb1ES3_NS6_12zip_iteratorINS7_INS6_11hip_rocprim26transform_input_iterator_tIbNSD_35transform_pair_of_input_iterators_tIbNS6_6detail15normal_iteratorINS6_10device_ptrIKiEEEESL_NS6_8equal_toIiEEEENSG_9not_fun_tINSD_8identityEEEEENSD_19counting_iterator_tIlEES8_S8_S8_S8_S8_S8_S8_S8_EEEEPS9_S9_NSD_9__find_if7functorIS9_EEEE10hipError_tPvRmT1_T2_T3_mT4_P12ihipStream_tbEUlT_E0_NS1_11comp_targetILNS1_3genE5ELNS1_11target_archE942ELNS1_3gpuE9ELNS1_3repE0EEENS1_30default_config_static_selectorELNS0_4arch9wavefront6targetE1EEEvS14_
                                        ; -- End function
	.set _ZN7rocprim17ROCPRIM_400000_NS6detail17trampoline_kernelINS0_14default_configENS1_22reduce_config_selectorIN6thrust23THRUST_200600_302600_NS5tupleIblNS6_9null_typeES8_S8_S8_S8_S8_S8_S8_EEEEZNS1_11reduce_implILb1ES3_NS6_12zip_iteratorINS7_INS6_11hip_rocprim26transform_input_iterator_tIbNSD_35transform_pair_of_input_iterators_tIbNS6_6detail15normal_iteratorINS6_10device_ptrIKiEEEESL_NS6_8equal_toIiEEEENSG_9not_fun_tINSD_8identityEEEEENSD_19counting_iterator_tIlEES8_S8_S8_S8_S8_S8_S8_S8_EEEEPS9_S9_NSD_9__find_if7functorIS9_EEEE10hipError_tPvRmT1_T2_T3_mT4_P12ihipStream_tbEUlT_E0_NS1_11comp_targetILNS1_3genE5ELNS1_11target_archE942ELNS1_3gpuE9ELNS1_3repE0EEENS1_30default_config_static_selectorELNS0_4arch9wavefront6targetE1EEEvS14_.num_vgpr, 0
	.set _ZN7rocprim17ROCPRIM_400000_NS6detail17trampoline_kernelINS0_14default_configENS1_22reduce_config_selectorIN6thrust23THRUST_200600_302600_NS5tupleIblNS6_9null_typeES8_S8_S8_S8_S8_S8_S8_EEEEZNS1_11reduce_implILb1ES3_NS6_12zip_iteratorINS7_INS6_11hip_rocprim26transform_input_iterator_tIbNSD_35transform_pair_of_input_iterators_tIbNS6_6detail15normal_iteratorINS6_10device_ptrIKiEEEESL_NS6_8equal_toIiEEEENSG_9not_fun_tINSD_8identityEEEEENSD_19counting_iterator_tIlEES8_S8_S8_S8_S8_S8_S8_S8_EEEEPS9_S9_NSD_9__find_if7functorIS9_EEEE10hipError_tPvRmT1_T2_T3_mT4_P12ihipStream_tbEUlT_E0_NS1_11comp_targetILNS1_3genE5ELNS1_11target_archE942ELNS1_3gpuE9ELNS1_3repE0EEENS1_30default_config_static_selectorELNS0_4arch9wavefront6targetE1EEEvS14_.num_agpr, 0
	.set _ZN7rocprim17ROCPRIM_400000_NS6detail17trampoline_kernelINS0_14default_configENS1_22reduce_config_selectorIN6thrust23THRUST_200600_302600_NS5tupleIblNS6_9null_typeES8_S8_S8_S8_S8_S8_S8_EEEEZNS1_11reduce_implILb1ES3_NS6_12zip_iteratorINS7_INS6_11hip_rocprim26transform_input_iterator_tIbNSD_35transform_pair_of_input_iterators_tIbNS6_6detail15normal_iteratorINS6_10device_ptrIKiEEEESL_NS6_8equal_toIiEEEENSG_9not_fun_tINSD_8identityEEEEENSD_19counting_iterator_tIlEES8_S8_S8_S8_S8_S8_S8_S8_EEEEPS9_S9_NSD_9__find_if7functorIS9_EEEE10hipError_tPvRmT1_T2_T3_mT4_P12ihipStream_tbEUlT_E0_NS1_11comp_targetILNS1_3genE5ELNS1_11target_archE942ELNS1_3gpuE9ELNS1_3repE0EEENS1_30default_config_static_selectorELNS0_4arch9wavefront6targetE1EEEvS14_.numbered_sgpr, 0
	.set _ZN7rocprim17ROCPRIM_400000_NS6detail17trampoline_kernelINS0_14default_configENS1_22reduce_config_selectorIN6thrust23THRUST_200600_302600_NS5tupleIblNS6_9null_typeES8_S8_S8_S8_S8_S8_S8_EEEEZNS1_11reduce_implILb1ES3_NS6_12zip_iteratorINS7_INS6_11hip_rocprim26transform_input_iterator_tIbNSD_35transform_pair_of_input_iterators_tIbNS6_6detail15normal_iteratorINS6_10device_ptrIKiEEEESL_NS6_8equal_toIiEEEENSG_9not_fun_tINSD_8identityEEEEENSD_19counting_iterator_tIlEES8_S8_S8_S8_S8_S8_S8_S8_EEEEPS9_S9_NSD_9__find_if7functorIS9_EEEE10hipError_tPvRmT1_T2_T3_mT4_P12ihipStream_tbEUlT_E0_NS1_11comp_targetILNS1_3genE5ELNS1_11target_archE942ELNS1_3gpuE9ELNS1_3repE0EEENS1_30default_config_static_selectorELNS0_4arch9wavefront6targetE1EEEvS14_.num_named_barrier, 0
	.set _ZN7rocprim17ROCPRIM_400000_NS6detail17trampoline_kernelINS0_14default_configENS1_22reduce_config_selectorIN6thrust23THRUST_200600_302600_NS5tupleIblNS6_9null_typeES8_S8_S8_S8_S8_S8_S8_EEEEZNS1_11reduce_implILb1ES3_NS6_12zip_iteratorINS7_INS6_11hip_rocprim26transform_input_iterator_tIbNSD_35transform_pair_of_input_iterators_tIbNS6_6detail15normal_iteratorINS6_10device_ptrIKiEEEESL_NS6_8equal_toIiEEEENSG_9not_fun_tINSD_8identityEEEEENSD_19counting_iterator_tIlEES8_S8_S8_S8_S8_S8_S8_S8_EEEEPS9_S9_NSD_9__find_if7functorIS9_EEEE10hipError_tPvRmT1_T2_T3_mT4_P12ihipStream_tbEUlT_E0_NS1_11comp_targetILNS1_3genE5ELNS1_11target_archE942ELNS1_3gpuE9ELNS1_3repE0EEENS1_30default_config_static_selectorELNS0_4arch9wavefront6targetE1EEEvS14_.private_seg_size, 0
	.set _ZN7rocprim17ROCPRIM_400000_NS6detail17trampoline_kernelINS0_14default_configENS1_22reduce_config_selectorIN6thrust23THRUST_200600_302600_NS5tupleIblNS6_9null_typeES8_S8_S8_S8_S8_S8_S8_EEEEZNS1_11reduce_implILb1ES3_NS6_12zip_iteratorINS7_INS6_11hip_rocprim26transform_input_iterator_tIbNSD_35transform_pair_of_input_iterators_tIbNS6_6detail15normal_iteratorINS6_10device_ptrIKiEEEESL_NS6_8equal_toIiEEEENSG_9not_fun_tINSD_8identityEEEEENSD_19counting_iterator_tIlEES8_S8_S8_S8_S8_S8_S8_S8_EEEEPS9_S9_NSD_9__find_if7functorIS9_EEEE10hipError_tPvRmT1_T2_T3_mT4_P12ihipStream_tbEUlT_E0_NS1_11comp_targetILNS1_3genE5ELNS1_11target_archE942ELNS1_3gpuE9ELNS1_3repE0EEENS1_30default_config_static_selectorELNS0_4arch9wavefront6targetE1EEEvS14_.uses_vcc, 0
	.set _ZN7rocprim17ROCPRIM_400000_NS6detail17trampoline_kernelINS0_14default_configENS1_22reduce_config_selectorIN6thrust23THRUST_200600_302600_NS5tupleIblNS6_9null_typeES8_S8_S8_S8_S8_S8_S8_EEEEZNS1_11reduce_implILb1ES3_NS6_12zip_iteratorINS7_INS6_11hip_rocprim26transform_input_iterator_tIbNSD_35transform_pair_of_input_iterators_tIbNS6_6detail15normal_iteratorINS6_10device_ptrIKiEEEESL_NS6_8equal_toIiEEEENSG_9not_fun_tINSD_8identityEEEEENSD_19counting_iterator_tIlEES8_S8_S8_S8_S8_S8_S8_S8_EEEEPS9_S9_NSD_9__find_if7functorIS9_EEEE10hipError_tPvRmT1_T2_T3_mT4_P12ihipStream_tbEUlT_E0_NS1_11comp_targetILNS1_3genE5ELNS1_11target_archE942ELNS1_3gpuE9ELNS1_3repE0EEENS1_30default_config_static_selectorELNS0_4arch9wavefront6targetE1EEEvS14_.uses_flat_scratch, 0
	.set _ZN7rocprim17ROCPRIM_400000_NS6detail17trampoline_kernelINS0_14default_configENS1_22reduce_config_selectorIN6thrust23THRUST_200600_302600_NS5tupleIblNS6_9null_typeES8_S8_S8_S8_S8_S8_S8_EEEEZNS1_11reduce_implILb1ES3_NS6_12zip_iteratorINS7_INS6_11hip_rocprim26transform_input_iterator_tIbNSD_35transform_pair_of_input_iterators_tIbNS6_6detail15normal_iteratorINS6_10device_ptrIKiEEEESL_NS6_8equal_toIiEEEENSG_9not_fun_tINSD_8identityEEEEENSD_19counting_iterator_tIlEES8_S8_S8_S8_S8_S8_S8_S8_EEEEPS9_S9_NSD_9__find_if7functorIS9_EEEE10hipError_tPvRmT1_T2_T3_mT4_P12ihipStream_tbEUlT_E0_NS1_11comp_targetILNS1_3genE5ELNS1_11target_archE942ELNS1_3gpuE9ELNS1_3repE0EEENS1_30default_config_static_selectorELNS0_4arch9wavefront6targetE1EEEvS14_.has_dyn_sized_stack, 0
	.set _ZN7rocprim17ROCPRIM_400000_NS6detail17trampoline_kernelINS0_14default_configENS1_22reduce_config_selectorIN6thrust23THRUST_200600_302600_NS5tupleIblNS6_9null_typeES8_S8_S8_S8_S8_S8_S8_EEEEZNS1_11reduce_implILb1ES3_NS6_12zip_iteratorINS7_INS6_11hip_rocprim26transform_input_iterator_tIbNSD_35transform_pair_of_input_iterators_tIbNS6_6detail15normal_iteratorINS6_10device_ptrIKiEEEESL_NS6_8equal_toIiEEEENSG_9not_fun_tINSD_8identityEEEEENSD_19counting_iterator_tIlEES8_S8_S8_S8_S8_S8_S8_S8_EEEEPS9_S9_NSD_9__find_if7functorIS9_EEEE10hipError_tPvRmT1_T2_T3_mT4_P12ihipStream_tbEUlT_E0_NS1_11comp_targetILNS1_3genE5ELNS1_11target_archE942ELNS1_3gpuE9ELNS1_3repE0EEENS1_30default_config_static_selectorELNS0_4arch9wavefront6targetE1EEEvS14_.has_recursion, 0
	.set _ZN7rocprim17ROCPRIM_400000_NS6detail17trampoline_kernelINS0_14default_configENS1_22reduce_config_selectorIN6thrust23THRUST_200600_302600_NS5tupleIblNS6_9null_typeES8_S8_S8_S8_S8_S8_S8_EEEEZNS1_11reduce_implILb1ES3_NS6_12zip_iteratorINS7_INS6_11hip_rocprim26transform_input_iterator_tIbNSD_35transform_pair_of_input_iterators_tIbNS6_6detail15normal_iteratorINS6_10device_ptrIKiEEEESL_NS6_8equal_toIiEEEENSG_9not_fun_tINSD_8identityEEEEENSD_19counting_iterator_tIlEES8_S8_S8_S8_S8_S8_S8_S8_EEEEPS9_S9_NSD_9__find_if7functorIS9_EEEE10hipError_tPvRmT1_T2_T3_mT4_P12ihipStream_tbEUlT_E0_NS1_11comp_targetILNS1_3genE5ELNS1_11target_archE942ELNS1_3gpuE9ELNS1_3repE0EEENS1_30default_config_static_selectorELNS0_4arch9wavefront6targetE1EEEvS14_.has_indirect_call, 0
	.section	.AMDGPU.csdata,"",@progbits
; Kernel info:
; codeLenInByte = 0
; TotalNumSgprs: 4
; NumVgprs: 0
; ScratchSize: 0
; MemoryBound: 0
; FloatMode: 240
; IeeeMode: 1
; LDSByteSize: 0 bytes/workgroup (compile time only)
; SGPRBlocks: 0
; VGPRBlocks: 0
; NumSGPRsForWavesPerEU: 4
; NumVGPRsForWavesPerEU: 1
; Occupancy: 10
; WaveLimiterHint : 0
; COMPUTE_PGM_RSRC2:SCRATCH_EN: 0
; COMPUTE_PGM_RSRC2:USER_SGPR: 6
; COMPUTE_PGM_RSRC2:TRAP_HANDLER: 0
; COMPUTE_PGM_RSRC2:TGID_X_EN: 1
; COMPUTE_PGM_RSRC2:TGID_Y_EN: 0
; COMPUTE_PGM_RSRC2:TGID_Z_EN: 0
; COMPUTE_PGM_RSRC2:TIDIG_COMP_CNT: 0
	.section	.text._ZN7rocprim17ROCPRIM_400000_NS6detail17trampoline_kernelINS0_14default_configENS1_22reduce_config_selectorIN6thrust23THRUST_200600_302600_NS5tupleIblNS6_9null_typeES8_S8_S8_S8_S8_S8_S8_EEEEZNS1_11reduce_implILb1ES3_NS6_12zip_iteratorINS7_INS6_11hip_rocprim26transform_input_iterator_tIbNSD_35transform_pair_of_input_iterators_tIbNS6_6detail15normal_iteratorINS6_10device_ptrIKiEEEESL_NS6_8equal_toIiEEEENSG_9not_fun_tINSD_8identityEEEEENSD_19counting_iterator_tIlEES8_S8_S8_S8_S8_S8_S8_S8_EEEEPS9_S9_NSD_9__find_if7functorIS9_EEEE10hipError_tPvRmT1_T2_T3_mT4_P12ihipStream_tbEUlT_E0_NS1_11comp_targetILNS1_3genE4ELNS1_11target_archE910ELNS1_3gpuE8ELNS1_3repE0EEENS1_30default_config_static_selectorELNS0_4arch9wavefront6targetE1EEEvS14_,"axG",@progbits,_ZN7rocprim17ROCPRIM_400000_NS6detail17trampoline_kernelINS0_14default_configENS1_22reduce_config_selectorIN6thrust23THRUST_200600_302600_NS5tupleIblNS6_9null_typeES8_S8_S8_S8_S8_S8_S8_EEEEZNS1_11reduce_implILb1ES3_NS6_12zip_iteratorINS7_INS6_11hip_rocprim26transform_input_iterator_tIbNSD_35transform_pair_of_input_iterators_tIbNS6_6detail15normal_iteratorINS6_10device_ptrIKiEEEESL_NS6_8equal_toIiEEEENSG_9not_fun_tINSD_8identityEEEEENSD_19counting_iterator_tIlEES8_S8_S8_S8_S8_S8_S8_S8_EEEEPS9_S9_NSD_9__find_if7functorIS9_EEEE10hipError_tPvRmT1_T2_T3_mT4_P12ihipStream_tbEUlT_E0_NS1_11comp_targetILNS1_3genE4ELNS1_11target_archE910ELNS1_3gpuE8ELNS1_3repE0EEENS1_30default_config_static_selectorELNS0_4arch9wavefront6targetE1EEEvS14_,comdat
	.protected	_ZN7rocprim17ROCPRIM_400000_NS6detail17trampoline_kernelINS0_14default_configENS1_22reduce_config_selectorIN6thrust23THRUST_200600_302600_NS5tupleIblNS6_9null_typeES8_S8_S8_S8_S8_S8_S8_EEEEZNS1_11reduce_implILb1ES3_NS6_12zip_iteratorINS7_INS6_11hip_rocprim26transform_input_iterator_tIbNSD_35transform_pair_of_input_iterators_tIbNS6_6detail15normal_iteratorINS6_10device_ptrIKiEEEESL_NS6_8equal_toIiEEEENSG_9not_fun_tINSD_8identityEEEEENSD_19counting_iterator_tIlEES8_S8_S8_S8_S8_S8_S8_S8_EEEEPS9_S9_NSD_9__find_if7functorIS9_EEEE10hipError_tPvRmT1_T2_T3_mT4_P12ihipStream_tbEUlT_E0_NS1_11comp_targetILNS1_3genE4ELNS1_11target_archE910ELNS1_3gpuE8ELNS1_3repE0EEENS1_30default_config_static_selectorELNS0_4arch9wavefront6targetE1EEEvS14_ ; -- Begin function _ZN7rocprim17ROCPRIM_400000_NS6detail17trampoline_kernelINS0_14default_configENS1_22reduce_config_selectorIN6thrust23THRUST_200600_302600_NS5tupleIblNS6_9null_typeES8_S8_S8_S8_S8_S8_S8_EEEEZNS1_11reduce_implILb1ES3_NS6_12zip_iteratorINS7_INS6_11hip_rocprim26transform_input_iterator_tIbNSD_35transform_pair_of_input_iterators_tIbNS6_6detail15normal_iteratorINS6_10device_ptrIKiEEEESL_NS6_8equal_toIiEEEENSG_9not_fun_tINSD_8identityEEEEENSD_19counting_iterator_tIlEES8_S8_S8_S8_S8_S8_S8_S8_EEEEPS9_S9_NSD_9__find_if7functorIS9_EEEE10hipError_tPvRmT1_T2_T3_mT4_P12ihipStream_tbEUlT_E0_NS1_11comp_targetILNS1_3genE4ELNS1_11target_archE910ELNS1_3gpuE8ELNS1_3repE0EEENS1_30default_config_static_selectorELNS0_4arch9wavefront6targetE1EEEvS14_
	.globl	_ZN7rocprim17ROCPRIM_400000_NS6detail17trampoline_kernelINS0_14default_configENS1_22reduce_config_selectorIN6thrust23THRUST_200600_302600_NS5tupleIblNS6_9null_typeES8_S8_S8_S8_S8_S8_S8_EEEEZNS1_11reduce_implILb1ES3_NS6_12zip_iteratorINS7_INS6_11hip_rocprim26transform_input_iterator_tIbNSD_35transform_pair_of_input_iterators_tIbNS6_6detail15normal_iteratorINS6_10device_ptrIKiEEEESL_NS6_8equal_toIiEEEENSG_9not_fun_tINSD_8identityEEEEENSD_19counting_iterator_tIlEES8_S8_S8_S8_S8_S8_S8_S8_EEEEPS9_S9_NSD_9__find_if7functorIS9_EEEE10hipError_tPvRmT1_T2_T3_mT4_P12ihipStream_tbEUlT_E0_NS1_11comp_targetILNS1_3genE4ELNS1_11target_archE910ELNS1_3gpuE8ELNS1_3repE0EEENS1_30default_config_static_selectorELNS0_4arch9wavefront6targetE1EEEvS14_
	.p2align	8
	.type	_ZN7rocprim17ROCPRIM_400000_NS6detail17trampoline_kernelINS0_14default_configENS1_22reduce_config_selectorIN6thrust23THRUST_200600_302600_NS5tupleIblNS6_9null_typeES8_S8_S8_S8_S8_S8_S8_EEEEZNS1_11reduce_implILb1ES3_NS6_12zip_iteratorINS7_INS6_11hip_rocprim26transform_input_iterator_tIbNSD_35transform_pair_of_input_iterators_tIbNS6_6detail15normal_iteratorINS6_10device_ptrIKiEEEESL_NS6_8equal_toIiEEEENSG_9not_fun_tINSD_8identityEEEEENSD_19counting_iterator_tIlEES8_S8_S8_S8_S8_S8_S8_S8_EEEEPS9_S9_NSD_9__find_if7functorIS9_EEEE10hipError_tPvRmT1_T2_T3_mT4_P12ihipStream_tbEUlT_E0_NS1_11comp_targetILNS1_3genE4ELNS1_11target_archE910ELNS1_3gpuE8ELNS1_3repE0EEENS1_30default_config_static_selectorELNS0_4arch9wavefront6targetE1EEEvS14_,@function
_ZN7rocprim17ROCPRIM_400000_NS6detail17trampoline_kernelINS0_14default_configENS1_22reduce_config_selectorIN6thrust23THRUST_200600_302600_NS5tupleIblNS6_9null_typeES8_S8_S8_S8_S8_S8_S8_EEEEZNS1_11reduce_implILb1ES3_NS6_12zip_iteratorINS7_INS6_11hip_rocprim26transform_input_iterator_tIbNSD_35transform_pair_of_input_iterators_tIbNS6_6detail15normal_iteratorINS6_10device_ptrIKiEEEESL_NS6_8equal_toIiEEEENSG_9not_fun_tINSD_8identityEEEEENSD_19counting_iterator_tIlEES8_S8_S8_S8_S8_S8_S8_S8_EEEEPS9_S9_NSD_9__find_if7functorIS9_EEEE10hipError_tPvRmT1_T2_T3_mT4_P12ihipStream_tbEUlT_E0_NS1_11comp_targetILNS1_3genE4ELNS1_11target_archE910ELNS1_3gpuE8ELNS1_3repE0EEENS1_30default_config_static_selectorELNS0_4arch9wavefront6targetE1EEEvS14_: ; @_ZN7rocprim17ROCPRIM_400000_NS6detail17trampoline_kernelINS0_14default_configENS1_22reduce_config_selectorIN6thrust23THRUST_200600_302600_NS5tupleIblNS6_9null_typeES8_S8_S8_S8_S8_S8_S8_EEEEZNS1_11reduce_implILb1ES3_NS6_12zip_iteratorINS7_INS6_11hip_rocprim26transform_input_iterator_tIbNSD_35transform_pair_of_input_iterators_tIbNS6_6detail15normal_iteratorINS6_10device_ptrIKiEEEESL_NS6_8equal_toIiEEEENSG_9not_fun_tINSD_8identityEEEEENSD_19counting_iterator_tIlEES8_S8_S8_S8_S8_S8_S8_S8_EEEEPS9_S9_NSD_9__find_if7functorIS9_EEEE10hipError_tPvRmT1_T2_T3_mT4_P12ihipStream_tbEUlT_E0_NS1_11comp_targetILNS1_3genE4ELNS1_11target_archE910ELNS1_3gpuE8ELNS1_3repE0EEENS1_30default_config_static_selectorELNS0_4arch9wavefront6targetE1EEEvS14_
; %bb.0:
	.section	.rodata,"a",@progbits
	.p2align	6, 0x0
	.amdhsa_kernel _ZN7rocprim17ROCPRIM_400000_NS6detail17trampoline_kernelINS0_14default_configENS1_22reduce_config_selectorIN6thrust23THRUST_200600_302600_NS5tupleIblNS6_9null_typeES8_S8_S8_S8_S8_S8_S8_EEEEZNS1_11reduce_implILb1ES3_NS6_12zip_iteratorINS7_INS6_11hip_rocprim26transform_input_iterator_tIbNSD_35transform_pair_of_input_iterators_tIbNS6_6detail15normal_iteratorINS6_10device_ptrIKiEEEESL_NS6_8equal_toIiEEEENSG_9not_fun_tINSD_8identityEEEEENSD_19counting_iterator_tIlEES8_S8_S8_S8_S8_S8_S8_S8_EEEEPS9_S9_NSD_9__find_if7functorIS9_EEEE10hipError_tPvRmT1_T2_T3_mT4_P12ihipStream_tbEUlT_E0_NS1_11comp_targetILNS1_3genE4ELNS1_11target_archE910ELNS1_3gpuE8ELNS1_3repE0EEENS1_30default_config_static_selectorELNS0_4arch9wavefront6targetE1EEEvS14_
		.amdhsa_group_segment_fixed_size 0
		.amdhsa_private_segment_fixed_size 0
		.amdhsa_kernarg_size 104
		.amdhsa_user_sgpr_count 6
		.amdhsa_user_sgpr_private_segment_buffer 1
		.amdhsa_user_sgpr_dispatch_ptr 0
		.amdhsa_user_sgpr_queue_ptr 0
		.amdhsa_user_sgpr_kernarg_segment_ptr 1
		.amdhsa_user_sgpr_dispatch_id 0
		.amdhsa_user_sgpr_flat_scratch_init 0
		.amdhsa_user_sgpr_private_segment_size 0
		.amdhsa_uses_dynamic_stack 0
		.amdhsa_system_sgpr_private_segment_wavefront_offset 0
		.amdhsa_system_sgpr_workgroup_id_x 1
		.amdhsa_system_sgpr_workgroup_id_y 0
		.amdhsa_system_sgpr_workgroup_id_z 0
		.amdhsa_system_sgpr_workgroup_info 0
		.amdhsa_system_vgpr_workitem_id 0
		.amdhsa_next_free_vgpr 1
		.amdhsa_next_free_sgpr 0
		.amdhsa_reserve_vcc 0
		.amdhsa_reserve_flat_scratch 0
		.amdhsa_float_round_mode_32 0
		.amdhsa_float_round_mode_16_64 0
		.amdhsa_float_denorm_mode_32 3
		.amdhsa_float_denorm_mode_16_64 3
		.amdhsa_dx10_clamp 1
		.amdhsa_ieee_mode 1
		.amdhsa_fp16_overflow 0
		.amdhsa_exception_fp_ieee_invalid_op 0
		.amdhsa_exception_fp_denorm_src 0
		.amdhsa_exception_fp_ieee_div_zero 0
		.amdhsa_exception_fp_ieee_overflow 0
		.amdhsa_exception_fp_ieee_underflow 0
		.amdhsa_exception_fp_ieee_inexact 0
		.amdhsa_exception_int_div_zero 0
	.end_amdhsa_kernel
	.section	.text._ZN7rocprim17ROCPRIM_400000_NS6detail17trampoline_kernelINS0_14default_configENS1_22reduce_config_selectorIN6thrust23THRUST_200600_302600_NS5tupleIblNS6_9null_typeES8_S8_S8_S8_S8_S8_S8_EEEEZNS1_11reduce_implILb1ES3_NS6_12zip_iteratorINS7_INS6_11hip_rocprim26transform_input_iterator_tIbNSD_35transform_pair_of_input_iterators_tIbNS6_6detail15normal_iteratorINS6_10device_ptrIKiEEEESL_NS6_8equal_toIiEEEENSG_9not_fun_tINSD_8identityEEEEENSD_19counting_iterator_tIlEES8_S8_S8_S8_S8_S8_S8_S8_EEEEPS9_S9_NSD_9__find_if7functorIS9_EEEE10hipError_tPvRmT1_T2_T3_mT4_P12ihipStream_tbEUlT_E0_NS1_11comp_targetILNS1_3genE4ELNS1_11target_archE910ELNS1_3gpuE8ELNS1_3repE0EEENS1_30default_config_static_selectorELNS0_4arch9wavefront6targetE1EEEvS14_,"axG",@progbits,_ZN7rocprim17ROCPRIM_400000_NS6detail17trampoline_kernelINS0_14default_configENS1_22reduce_config_selectorIN6thrust23THRUST_200600_302600_NS5tupleIblNS6_9null_typeES8_S8_S8_S8_S8_S8_S8_EEEEZNS1_11reduce_implILb1ES3_NS6_12zip_iteratorINS7_INS6_11hip_rocprim26transform_input_iterator_tIbNSD_35transform_pair_of_input_iterators_tIbNS6_6detail15normal_iteratorINS6_10device_ptrIKiEEEESL_NS6_8equal_toIiEEEENSG_9not_fun_tINSD_8identityEEEEENSD_19counting_iterator_tIlEES8_S8_S8_S8_S8_S8_S8_S8_EEEEPS9_S9_NSD_9__find_if7functorIS9_EEEE10hipError_tPvRmT1_T2_T3_mT4_P12ihipStream_tbEUlT_E0_NS1_11comp_targetILNS1_3genE4ELNS1_11target_archE910ELNS1_3gpuE8ELNS1_3repE0EEENS1_30default_config_static_selectorELNS0_4arch9wavefront6targetE1EEEvS14_,comdat
.Lfunc_end539:
	.size	_ZN7rocprim17ROCPRIM_400000_NS6detail17trampoline_kernelINS0_14default_configENS1_22reduce_config_selectorIN6thrust23THRUST_200600_302600_NS5tupleIblNS6_9null_typeES8_S8_S8_S8_S8_S8_S8_EEEEZNS1_11reduce_implILb1ES3_NS6_12zip_iteratorINS7_INS6_11hip_rocprim26transform_input_iterator_tIbNSD_35transform_pair_of_input_iterators_tIbNS6_6detail15normal_iteratorINS6_10device_ptrIKiEEEESL_NS6_8equal_toIiEEEENSG_9not_fun_tINSD_8identityEEEEENSD_19counting_iterator_tIlEES8_S8_S8_S8_S8_S8_S8_S8_EEEEPS9_S9_NSD_9__find_if7functorIS9_EEEE10hipError_tPvRmT1_T2_T3_mT4_P12ihipStream_tbEUlT_E0_NS1_11comp_targetILNS1_3genE4ELNS1_11target_archE910ELNS1_3gpuE8ELNS1_3repE0EEENS1_30default_config_static_selectorELNS0_4arch9wavefront6targetE1EEEvS14_, .Lfunc_end539-_ZN7rocprim17ROCPRIM_400000_NS6detail17trampoline_kernelINS0_14default_configENS1_22reduce_config_selectorIN6thrust23THRUST_200600_302600_NS5tupleIblNS6_9null_typeES8_S8_S8_S8_S8_S8_S8_EEEEZNS1_11reduce_implILb1ES3_NS6_12zip_iteratorINS7_INS6_11hip_rocprim26transform_input_iterator_tIbNSD_35transform_pair_of_input_iterators_tIbNS6_6detail15normal_iteratorINS6_10device_ptrIKiEEEESL_NS6_8equal_toIiEEEENSG_9not_fun_tINSD_8identityEEEEENSD_19counting_iterator_tIlEES8_S8_S8_S8_S8_S8_S8_S8_EEEEPS9_S9_NSD_9__find_if7functorIS9_EEEE10hipError_tPvRmT1_T2_T3_mT4_P12ihipStream_tbEUlT_E0_NS1_11comp_targetILNS1_3genE4ELNS1_11target_archE910ELNS1_3gpuE8ELNS1_3repE0EEENS1_30default_config_static_selectorELNS0_4arch9wavefront6targetE1EEEvS14_
                                        ; -- End function
	.set _ZN7rocprim17ROCPRIM_400000_NS6detail17trampoline_kernelINS0_14default_configENS1_22reduce_config_selectorIN6thrust23THRUST_200600_302600_NS5tupleIblNS6_9null_typeES8_S8_S8_S8_S8_S8_S8_EEEEZNS1_11reduce_implILb1ES3_NS6_12zip_iteratorINS7_INS6_11hip_rocprim26transform_input_iterator_tIbNSD_35transform_pair_of_input_iterators_tIbNS6_6detail15normal_iteratorINS6_10device_ptrIKiEEEESL_NS6_8equal_toIiEEEENSG_9not_fun_tINSD_8identityEEEEENSD_19counting_iterator_tIlEES8_S8_S8_S8_S8_S8_S8_S8_EEEEPS9_S9_NSD_9__find_if7functorIS9_EEEE10hipError_tPvRmT1_T2_T3_mT4_P12ihipStream_tbEUlT_E0_NS1_11comp_targetILNS1_3genE4ELNS1_11target_archE910ELNS1_3gpuE8ELNS1_3repE0EEENS1_30default_config_static_selectorELNS0_4arch9wavefront6targetE1EEEvS14_.num_vgpr, 0
	.set _ZN7rocprim17ROCPRIM_400000_NS6detail17trampoline_kernelINS0_14default_configENS1_22reduce_config_selectorIN6thrust23THRUST_200600_302600_NS5tupleIblNS6_9null_typeES8_S8_S8_S8_S8_S8_S8_EEEEZNS1_11reduce_implILb1ES3_NS6_12zip_iteratorINS7_INS6_11hip_rocprim26transform_input_iterator_tIbNSD_35transform_pair_of_input_iterators_tIbNS6_6detail15normal_iteratorINS6_10device_ptrIKiEEEESL_NS6_8equal_toIiEEEENSG_9not_fun_tINSD_8identityEEEEENSD_19counting_iterator_tIlEES8_S8_S8_S8_S8_S8_S8_S8_EEEEPS9_S9_NSD_9__find_if7functorIS9_EEEE10hipError_tPvRmT1_T2_T3_mT4_P12ihipStream_tbEUlT_E0_NS1_11comp_targetILNS1_3genE4ELNS1_11target_archE910ELNS1_3gpuE8ELNS1_3repE0EEENS1_30default_config_static_selectorELNS0_4arch9wavefront6targetE1EEEvS14_.num_agpr, 0
	.set _ZN7rocprim17ROCPRIM_400000_NS6detail17trampoline_kernelINS0_14default_configENS1_22reduce_config_selectorIN6thrust23THRUST_200600_302600_NS5tupleIblNS6_9null_typeES8_S8_S8_S8_S8_S8_S8_EEEEZNS1_11reduce_implILb1ES3_NS6_12zip_iteratorINS7_INS6_11hip_rocprim26transform_input_iterator_tIbNSD_35transform_pair_of_input_iterators_tIbNS6_6detail15normal_iteratorINS6_10device_ptrIKiEEEESL_NS6_8equal_toIiEEEENSG_9not_fun_tINSD_8identityEEEEENSD_19counting_iterator_tIlEES8_S8_S8_S8_S8_S8_S8_S8_EEEEPS9_S9_NSD_9__find_if7functorIS9_EEEE10hipError_tPvRmT1_T2_T3_mT4_P12ihipStream_tbEUlT_E0_NS1_11comp_targetILNS1_3genE4ELNS1_11target_archE910ELNS1_3gpuE8ELNS1_3repE0EEENS1_30default_config_static_selectorELNS0_4arch9wavefront6targetE1EEEvS14_.numbered_sgpr, 0
	.set _ZN7rocprim17ROCPRIM_400000_NS6detail17trampoline_kernelINS0_14default_configENS1_22reduce_config_selectorIN6thrust23THRUST_200600_302600_NS5tupleIblNS6_9null_typeES8_S8_S8_S8_S8_S8_S8_EEEEZNS1_11reduce_implILb1ES3_NS6_12zip_iteratorINS7_INS6_11hip_rocprim26transform_input_iterator_tIbNSD_35transform_pair_of_input_iterators_tIbNS6_6detail15normal_iteratorINS6_10device_ptrIKiEEEESL_NS6_8equal_toIiEEEENSG_9not_fun_tINSD_8identityEEEEENSD_19counting_iterator_tIlEES8_S8_S8_S8_S8_S8_S8_S8_EEEEPS9_S9_NSD_9__find_if7functorIS9_EEEE10hipError_tPvRmT1_T2_T3_mT4_P12ihipStream_tbEUlT_E0_NS1_11comp_targetILNS1_3genE4ELNS1_11target_archE910ELNS1_3gpuE8ELNS1_3repE0EEENS1_30default_config_static_selectorELNS0_4arch9wavefront6targetE1EEEvS14_.num_named_barrier, 0
	.set _ZN7rocprim17ROCPRIM_400000_NS6detail17trampoline_kernelINS0_14default_configENS1_22reduce_config_selectorIN6thrust23THRUST_200600_302600_NS5tupleIblNS6_9null_typeES8_S8_S8_S8_S8_S8_S8_EEEEZNS1_11reduce_implILb1ES3_NS6_12zip_iteratorINS7_INS6_11hip_rocprim26transform_input_iterator_tIbNSD_35transform_pair_of_input_iterators_tIbNS6_6detail15normal_iteratorINS6_10device_ptrIKiEEEESL_NS6_8equal_toIiEEEENSG_9not_fun_tINSD_8identityEEEEENSD_19counting_iterator_tIlEES8_S8_S8_S8_S8_S8_S8_S8_EEEEPS9_S9_NSD_9__find_if7functorIS9_EEEE10hipError_tPvRmT1_T2_T3_mT4_P12ihipStream_tbEUlT_E0_NS1_11comp_targetILNS1_3genE4ELNS1_11target_archE910ELNS1_3gpuE8ELNS1_3repE0EEENS1_30default_config_static_selectorELNS0_4arch9wavefront6targetE1EEEvS14_.private_seg_size, 0
	.set _ZN7rocprim17ROCPRIM_400000_NS6detail17trampoline_kernelINS0_14default_configENS1_22reduce_config_selectorIN6thrust23THRUST_200600_302600_NS5tupleIblNS6_9null_typeES8_S8_S8_S8_S8_S8_S8_EEEEZNS1_11reduce_implILb1ES3_NS6_12zip_iteratorINS7_INS6_11hip_rocprim26transform_input_iterator_tIbNSD_35transform_pair_of_input_iterators_tIbNS6_6detail15normal_iteratorINS6_10device_ptrIKiEEEESL_NS6_8equal_toIiEEEENSG_9not_fun_tINSD_8identityEEEEENSD_19counting_iterator_tIlEES8_S8_S8_S8_S8_S8_S8_S8_EEEEPS9_S9_NSD_9__find_if7functorIS9_EEEE10hipError_tPvRmT1_T2_T3_mT4_P12ihipStream_tbEUlT_E0_NS1_11comp_targetILNS1_3genE4ELNS1_11target_archE910ELNS1_3gpuE8ELNS1_3repE0EEENS1_30default_config_static_selectorELNS0_4arch9wavefront6targetE1EEEvS14_.uses_vcc, 0
	.set _ZN7rocprim17ROCPRIM_400000_NS6detail17trampoline_kernelINS0_14default_configENS1_22reduce_config_selectorIN6thrust23THRUST_200600_302600_NS5tupleIblNS6_9null_typeES8_S8_S8_S8_S8_S8_S8_EEEEZNS1_11reduce_implILb1ES3_NS6_12zip_iteratorINS7_INS6_11hip_rocprim26transform_input_iterator_tIbNSD_35transform_pair_of_input_iterators_tIbNS6_6detail15normal_iteratorINS6_10device_ptrIKiEEEESL_NS6_8equal_toIiEEEENSG_9not_fun_tINSD_8identityEEEEENSD_19counting_iterator_tIlEES8_S8_S8_S8_S8_S8_S8_S8_EEEEPS9_S9_NSD_9__find_if7functorIS9_EEEE10hipError_tPvRmT1_T2_T3_mT4_P12ihipStream_tbEUlT_E0_NS1_11comp_targetILNS1_3genE4ELNS1_11target_archE910ELNS1_3gpuE8ELNS1_3repE0EEENS1_30default_config_static_selectorELNS0_4arch9wavefront6targetE1EEEvS14_.uses_flat_scratch, 0
	.set _ZN7rocprim17ROCPRIM_400000_NS6detail17trampoline_kernelINS0_14default_configENS1_22reduce_config_selectorIN6thrust23THRUST_200600_302600_NS5tupleIblNS6_9null_typeES8_S8_S8_S8_S8_S8_S8_EEEEZNS1_11reduce_implILb1ES3_NS6_12zip_iteratorINS7_INS6_11hip_rocprim26transform_input_iterator_tIbNSD_35transform_pair_of_input_iterators_tIbNS6_6detail15normal_iteratorINS6_10device_ptrIKiEEEESL_NS6_8equal_toIiEEEENSG_9not_fun_tINSD_8identityEEEEENSD_19counting_iterator_tIlEES8_S8_S8_S8_S8_S8_S8_S8_EEEEPS9_S9_NSD_9__find_if7functorIS9_EEEE10hipError_tPvRmT1_T2_T3_mT4_P12ihipStream_tbEUlT_E0_NS1_11comp_targetILNS1_3genE4ELNS1_11target_archE910ELNS1_3gpuE8ELNS1_3repE0EEENS1_30default_config_static_selectorELNS0_4arch9wavefront6targetE1EEEvS14_.has_dyn_sized_stack, 0
	.set _ZN7rocprim17ROCPRIM_400000_NS6detail17trampoline_kernelINS0_14default_configENS1_22reduce_config_selectorIN6thrust23THRUST_200600_302600_NS5tupleIblNS6_9null_typeES8_S8_S8_S8_S8_S8_S8_EEEEZNS1_11reduce_implILb1ES3_NS6_12zip_iteratorINS7_INS6_11hip_rocprim26transform_input_iterator_tIbNSD_35transform_pair_of_input_iterators_tIbNS6_6detail15normal_iteratorINS6_10device_ptrIKiEEEESL_NS6_8equal_toIiEEEENSG_9not_fun_tINSD_8identityEEEEENSD_19counting_iterator_tIlEES8_S8_S8_S8_S8_S8_S8_S8_EEEEPS9_S9_NSD_9__find_if7functorIS9_EEEE10hipError_tPvRmT1_T2_T3_mT4_P12ihipStream_tbEUlT_E0_NS1_11comp_targetILNS1_3genE4ELNS1_11target_archE910ELNS1_3gpuE8ELNS1_3repE0EEENS1_30default_config_static_selectorELNS0_4arch9wavefront6targetE1EEEvS14_.has_recursion, 0
	.set _ZN7rocprim17ROCPRIM_400000_NS6detail17trampoline_kernelINS0_14default_configENS1_22reduce_config_selectorIN6thrust23THRUST_200600_302600_NS5tupleIblNS6_9null_typeES8_S8_S8_S8_S8_S8_S8_EEEEZNS1_11reduce_implILb1ES3_NS6_12zip_iteratorINS7_INS6_11hip_rocprim26transform_input_iterator_tIbNSD_35transform_pair_of_input_iterators_tIbNS6_6detail15normal_iteratorINS6_10device_ptrIKiEEEESL_NS6_8equal_toIiEEEENSG_9not_fun_tINSD_8identityEEEEENSD_19counting_iterator_tIlEES8_S8_S8_S8_S8_S8_S8_S8_EEEEPS9_S9_NSD_9__find_if7functorIS9_EEEE10hipError_tPvRmT1_T2_T3_mT4_P12ihipStream_tbEUlT_E0_NS1_11comp_targetILNS1_3genE4ELNS1_11target_archE910ELNS1_3gpuE8ELNS1_3repE0EEENS1_30default_config_static_selectorELNS0_4arch9wavefront6targetE1EEEvS14_.has_indirect_call, 0
	.section	.AMDGPU.csdata,"",@progbits
; Kernel info:
; codeLenInByte = 0
; TotalNumSgprs: 4
; NumVgprs: 0
; ScratchSize: 0
; MemoryBound: 0
; FloatMode: 240
; IeeeMode: 1
; LDSByteSize: 0 bytes/workgroup (compile time only)
; SGPRBlocks: 0
; VGPRBlocks: 0
; NumSGPRsForWavesPerEU: 4
; NumVGPRsForWavesPerEU: 1
; Occupancy: 10
; WaveLimiterHint : 0
; COMPUTE_PGM_RSRC2:SCRATCH_EN: 0
; COMPUTE_PGM_RSRC2:USER_SGPR: 6
; COMPUTE_PGM_RSRC2:TRAP_HANDLER: 0
; COMPUTE_PGM_RSRC2:TGID_X_EN: 1
; COMPUTE_PGM_RSRC2:TGID_Y_EN: 0
; COMPUTE_PGM_RSRC2:TGID_Z_EN: 0
; COMPUTE_PGM_RSRC2:TIDIG_COMP_CNT: 0
	.section	.text._ZN7rocprim17ROCPRIM_400000_NS6detail17trampoline_kernelINS0_14default_configENS1_22reduce_config_selectorIN6thrust23THRUST_200600_302600_NS5tupleIblNS6_9null_typeES8_S8_S8_S8_S8_S8_S8_EEEEZNS1_11reduce_implILb1ES3_NS6_12zip_iteratorINS7_INS6_11hip_rocprim26transform_input_iterator_tIbNSD_35transform_pair_of_input_iterators_tIbNS6_6detail15normal_iteratorINS6_10device_ptrIKiEEEESL_NS6_8equal_toIiEEEENSG_9not_fun_tINSD_8identityEEEEENSD_19counting_iterator_tIlEES8_S8_S8_S8_S8_S8_S8_S8_EEEEPS9_S9_NSD_9__find_if7functorIS9_EEEE10hipError_tPvRmT1_T2_T3_mT4_P12ihipStream_tbEUlT_E0_NS1_11comp_targetILNS1_3genE3ELNS1_11target_archE908ELNS1_3gpuE7ELNS1_3repE0EEENS1_30default_config_static_selectorELNS0_4arch9wavefront6targetE1EEEvS14_,"axG",@progbits,_ZN7rocprim17ROCPRIM_400000_NS6detail17trampoline_kernelINS0_14default_configENS1_22reduce_config_selectorIN6thrust23THRUST_200600_302600_NS5tupleIblNS6_9null_typeES8_S8_S8_S8_S8_S8_S8_EEEEZNS1_11reduce_implILb1ES3_NS6_12zip_iteratorINS7_INS6_11hip_rocprim26transform_input_iterator_tIbNSD_35transform_pair_of_input_iterators_tIbNS6_6detail15normal_iteratorINS6_10device_ptrIKiEEEESL_NS6_8equal_toIiEEEENSG_9not_fun_tINSD_8identityEEEEENSD_19counting_iterator_tIlEES8_S8_S8_S8_S8_S8_S8_S8_EEEEPS9_S9_NSD_9__find_if7functorIS9_EEEE10hipError_tPvRmT1_T2_T3_mT4_P12ihipStream_tbEUlT_E0_NS1_11comp_targetILNS1_3genE3ELNS1_11target_archE908ELNS1_3gpuE7ELNS1_3repE0EEENS1_30default_config_static_selectorELNS0_4arch9wavefront6targetE1EEEvS14_,comdat
	.protected	_ZN7rocprim17ROCPRIM_400000_NS6detail17trampoline_kernelINS0_14default_configENS1_22reduce_config_selectorIN6thrust23THRUST_200600_302600_NS5tupleIblNS6_9null_typeES8_S8_S8_S8_S8_S8_S8_EEEEZNS1_11reduce_implILb1ES3_NS6_12zip_iteratorINS7_INS6_11hip_rocprim26transform_input_iterator_tIbNSD_35transform_pair_of_input_iterators_tIbNS6_6detail15normal_iteratorINS6_10device_ptrIKiEEEESL_NS6_8equal_toIiEEEENSG_9not_fun_tINSD_8identityEEEEENSD_19counting_iterator_tIlEES8_S8_S8_S8_S8_S8_S8_S8_EEEEPS9_S9_NSD_9__find_if7functorIS9_EEEE10hipError_tPvRmT1_T2_T3_mT4_P12ihipStream_tbEUlT_E0_NS1_11comp_targetILNS1_3genE3ELNS1_11target_archE908ELNS1_3gpuE7ELNS1_3repE0EEENS1_30default_config_static_selectorELNS0_4arch9wavefront6targetE1EEEvS14_ ; -- Begin function _ZN7rocprim17ROCPRIM_400000_NS6detail17trampoline_kernelINS0_14default_configENS1_22reduce_config_selectorIN6thrust23THRUST_200600_302600_NS5tupleIblNS6_9null_typeES8_S8_S8_S8_S8_S8_S8_EEEEZNS1_11reduce_implILb1ES3_NS6_12zip_iteratorINS7_INS6_11hip_rocprim26transform_input_iterator_tIbNSD_35transform_pair_of_input_iterators_tIbNS6_6detail15normal_iteratorINS6_10device_ptrIKiEEEESL_NS6_8equal_toIiEEEENSG_9not_fun_tINSD_8identityEEEEENSD_19counting_iterator_tIlEES8_S8_S8_S8_S8_S8_S8_S8_EEEEPS9_S9_NSD_9__find_if7functorIS9_EEEE10hipError_tPvRmT1_T2_T3_mT4_P12ihipStream_tbEUlT_E0_NS1_11comp_targetILNS1_3genE3ELNS1_11target_archE908ELNS1_3gpuE7ELNS1_3repE0EEENS1_30default_config_static_selectorELNS0_4arch9wavefront6targetE1EEEvS14_
	.globl	_ZN7rocprim17ROCPRIM_400000_NS6detail17trampoline_kernelINS0_14default_configENS1_22reduce_config_selectorIN6thrust23THRUST_200600_302600_NS5tupleIblNS6_9null_typeES8_S8_S8_S8_S8_S8_S8_EEEEZNS1_11reduce_implILb1ES3_NS6_12zip_iteratorINS7_INS6_11hip_rocprim26transform_input_iterator_tIbNSD_35transform_pair_of_input_iterators_tIbNS6_6detail15normal_iteratorINS6_10device_ptrIKiEEEESL_NS6_8equal_toIiEEEENSG_9not_fun_tINSD_8identityEEEEENSD_19counting_iterator_tIlEES8_S8_S8_S8_S8_S8_S8_S8_EEEEPS9_S9_NSD_9__find_if7functorIS9_EEEE10hipError_tPvRmT1_T2_T3_mT4_P12ihipStream_tbEUlT_E0_NS1_11comp_targetILNS1_3genE3ELNS1_11target_archE908ELNS1_3gpuE7ELNS1_3repE0EEENS1_30default_config_static_selectorELNS0_4arch9wavefront6targetE1EEEvS14_
	.p2align	8
	.type	_ZN7rocprim17ROCPRIM_400000_NS6detail17trampoline_kernelINS0_14default_configENS1_22reduce_config_selectorIN6thrust23THRUST_200600_302600_NS5tupleIblNS6_9null_typeES8_S8_S8_S8_S8_S8_S8_EEEEZNS1_11reduce_implILb1ES3_NS6_12zip_iteratorINS7_INS6_11hip_rocprim26transform_input_iterator_tIbNSD_35transform_pair_of_input_iterators_tIbNS6_6detail15normal_iteratorINS6_10device_ptrIKiEEEESL_NS6_8equal_toIiEEEENSG_9not_fun_tINSD_8identityEEEEENSD_19counting_iterator_tIlEES8_S8_S8_S8_S8_S8_S8_S8_EEEEPS9_S9_NSD_9__find_if7functorIS9_EEEE10hipError_tPvRmT1_T2_T3_mT4_P12ihipStream_tbEUlT_E0_NS1_11comp_targetILNS1_3genE3ELNS1_11target_archE908ELNS1_3gpuE7ELNS1_3repE0EEENS1_30default_config_static_selectorELNS0_4arch9wavefront6targetE1EEEvS14_,@function
_ZN7rocprim17ROCPRIM_400000_NS6detail17trampoline_kernelINS0_14default_configENS1_22reduce_config_selectorIN6thrust23THRUST_200600_302600_NS5tupleIblNS6_9null_typeES8_S8_S8_S8_S8_S8_S8_EEEEZNS1_11reduce_implILb1ES3_NS6_12zip_iteratorINS7_INS6_11hip_rocprim26transform_input_iterator_tIbNSD_35transform_pair_of_input_iterators_tIbNS6_6detail15normal_iteratorINS6_10device_ptrIKiEEEESL_NS6_8equal_toIiEEEENSG_9not_fun_tINSD_8identityEEEEENSD_19counting_iterator_tIlEES8_S8_S8_S8_S8_S8_S8_S8_EEEEPS9_S9_NSD_9__find_if7functorIS9_EEEE10hipError_tPvRmT1_T2_T3_mT4_P12ihipStream_tbEUlT_E0_NS1_11comp_targetILNS1_3genE3ELNS1_11target_archE908ELNS1_3gpuE7ELNS1_3repE0EEENS1_30default_config_static_selectorELNS0_4arch9wavefront6targetE1EEEvS14_: ; @_ZN7rocprim17ROCPRIM_400000_NS6detail17trampoline_kernelINS0_14default_configENS1_22reduce_config_selectorIN6thrust23THRUST_200600_302600_NS5tupleIblNS6_9null_typeES8_S8_S8_S8_S8_S8_S8_EEEEZNS1_11reduce_implILb1ES3_NS6_12zip_iteratorINS7_INS6_11hip_rocprim26transform_input_iterator_tIbNSD_35transform_pair_of_input_iterators_tIbNS6_6detail15normal_iteratorINS6_10device_ptrIKiEEEESL_NS6_8equal_toIiEEEENSG_9not_fun_tINSD_8identityEEEEENSD_19counting_iterator_tIlEES8_S8_S8_S8_S8_S8_S8_S8_EEEEPS9_S9_NSD_9__find_if7functorIS9_EEEE10hipError_tPvRmT1_T2_T3_mT4_P12ihipStream_tbEUlT_E0_NS1_11comp_targetILNS1_3genE3ELNS1_11target_archE908ELNS1_3gpuE7ELNS1_3repE0EEENS1_30default_config_static_selectorELNS0_4arch9wavefront6targetE1EEEvS14_
; %bb.0:
	.section	.rodata,"a",@progbits
	.p2align	6, 0x0
	.amdhsa_kernel _ZN7rocprim17ROCPRIM_400000_NS6detail17trampoline_kernelINS0_14default_configENS1_22reduce_config_selectorIN6thrust23THRUST_200600_302600_NS5tupleIblNS6_9null_typeES8_S8_S8_S8_S8_S8_S8_EEEEZNS1_11reduce_implILb1ES3_NS6_12zip_iteratorINS7_INS6_11hip_rocprim26transform_input_iterator_tIbNSD_35transform_pair_of_input_iterators_tIbNS6_6detail15normal_iteratorINS6_10device_ptrIKiEEEESL_NS6_8equal_toIiEEEENSG_9not_fun_tINSD_8identityEEEEENSD_19counting_iterator_tIlEES8_S8_S8_S8_S8_S8_S8_S8_EEEEPS9_S9_NSD_9__find_if7functorIS9_EEEE10hipError_tPvRmT1_T2_T3_mT4_P12ihipStream_tbEUlT_E0_NS1_11comp_targetILNS1_3genE3ELNS1_11target_archE908ELNS1_3gpuE7ELNS1_3repE0EEENS1_30default_config_static_selectorELNS0_4arch9wavefront6targetE1EEEvS14_
		.amdhsa_group_segment_fixed_size 0
		.amdhsa_private_segment_fixed_size 0
		.amdhsa_kernarg_size 104
		.amdhsa_user_sgpr_count 6
		.amdhsa_user_sgpr_private_segment_buffer 1
		.amdhsa_user_sgpr_dispatch_ptr 0
		.amdhsa_user_sgpr_queue_ptr 0
		.amdhsa_user_sgpr_kernarg_segment_ptr 1
		.amdhsa_user_sgpr_dispatch_id 0
		.amdhsa_user_sgpr_flat_scratch_init 0
		.amdhsa_user_sgpr_private_segment_size 0
		.amdhsa_uses_dynamic_stack 0
		.amdhsa_system_sgpr_private_segment_wavefront_offset 0
		.amdhsa_system_sgpr_workgroup_id_x 1
		.amdhsa_system_sgpr_workgroup_id_y 0
		.amdhsa_system_sgpr_workgroup_id_z 0
		.amdhsa_system_sgpr_workgroup_info 0
		.amdhsa_system_vgpr_workitem_id 0
		.amdhsa_next_free_vgpr 1
		.amdhsa_next_free_sgpr 0
		.amdhsa_reserve_vcc 0
		.amdhsa_reserve_flat_scratch 0
		.amdhsa_float_round_mode_32 0
		.amdhsa_float_round_mode_16_64 0
		.amdhsa_float_denorm_mode_32 3
		.amdhsa_float_denorm_mode_16_64 3
		.amdhsa_dx10_clamp 1
		.amdhsa_ieee_mode 1
		.amdhsa_fp16_overflow 0
		.amdhsa_exception_fp_ieee_invalid_op 0
		.amdhsa_exception_fp_denorm_src 0
		.amdhsa_exception_fp_ieee_div_zero 0
		.amdhsa_exception_fp_ieee_overflow 0
		.amdhsa_exception_fp_ieee_underflow 0
		.amdhsa_exception_fp_ieee_inexact 0
		.amdhsa_exception_int_div_zero 0
	.end_amdhsa_kernel
	.section	.text._ZN7rocprim17ROCPRIM_400000_NS6detail17trampoline_kernelINS0_14default_configENS1_22reduce_config_selectorIN6thrust23THRUST_200600_302600_NS5tupleIblNS6_9null_typeES8_S8_S8_S8_S8_S8_S8_EEEEZNS1_11reduce_implILb1ES3_NS6_12zip_iteratorINS7_INS6_11hip_rocprim26transform_input_iterator_tIbNSD_35transform_pair_of_input_iterators_tIbNS6_6detail15normal_iteratorINS6_10device_ptrIKiEEEESL_NS6_8equal_toIiEEEENSG_9not_fun_tINSD_8identityEEEEENSD_19counting_iterator_tIlEES8_S8_S8_S8_S8_S8_S8_S8_EEEEPS9_S9_NSD_9__find_if7functorIS9_EEEE10hipError_tPvRmT1_T2_T3_mT4_P12ihipStream_tbEUlT_E0_NS1_11comp_targetILNS1_3genE3ELNS1_11target_archE908ELNS1_3gpuE7ELNS1_3repE0EEENS1_30default_config_static_selectorELNS0_4arch9wavefront6targetE1EEEvS14_,"axG",@progbits,_ZN7rocprim17ROCPRIM_400000_NS6detail17trampoline_kernelINS0_14default_configENS1_22reduce_config_selectorIN6thrust23THRUST_200600_302600_NS5tupleIblNS6_9null_typeES8_S8_S8_S8_S8_S8_S8_EEEEZNS1_11reduce_implILb1ES3_NS6_12zip_iteratorINS7_INS6_11hip_rocprim26transform_input_iterator_tIbNSD_35transform_pair_of_input_iterators_tIbNS6_6detail15normal_iteratorINS6_10device_ptrIKiEEEESL_NS6_8equal_toIiEEEENSG_9not_fun_tINSD_8identityEEEEENSD_19counting_iterator_tIlEES8_S8_S8_S8_S8_S8_S8_S8_EEEEPS9_S9_NSD_9__find_if7functorIS9_EEEE10hipError_tPvRmT1_T2_T3_mT4_P12ihipStream_tbEUlT_E0_NS1_11comp_targetILNS1_3genE3ELNS1_11target_archE908ELNS1_3gpuE7ELNS1_3repE0EEENS1_30default_config_static_selectorELNS0_4arch9wavefront6targetE1EEEvS14_,comdat
.Lfunc_end540:
	.size	_ZN7rocprim17ROCPRIM_400000_NS6detail17trampoline_kernelINS0_14default_configENS1_22reduce_config_selectorIN6thrust23THRUST_200600_302600_NS5tupleIblNS6_9null_typeES8_S8_S8_S8_S8_S8_S8_EEEEZNS1_11reduce_implILb1ES3_NS6_12zip_iteratorINS7_INS6_11hip_rocprim26transform_input_iterator_tIbNSD_35transform_pair_of_input_iterators_tIbNS6_6detail15normal_iteratorINS6_10device_ptrIKiEEEESL_NS6_8equal_toIiEEEENSG_9not_fun_tINSD_8identityEEEEENSD_19counting_iterator_tIlEES8_S8_S8_S8_S8_S8_S8_S8_EEEEPS9_S9_NSD_9__find_if7functorIS9_EEEE10hipError_tPvRmT1_T2_T3_mT4_P12ihipStream_tbEUlT_E0_NS1_11comp_targetILNS1_3genE3ELNS1_11target_archE908ELNS1_3gpuE7ELNS1_3repE0EEENS1_30default_config_static_selectorELNS0_4arch9wavefront6targetE1EEEvS14_, .Lfunc_end540-_ZN7rocprim17ROCPRIM_400000_NS6detail17trampoline_kernelINS0_14default_configENS1_22reduce_config_selectorIN6thrust23THRUST_200600_302600_NS5tupleIblNS6_9null_typeES8_S8_S8_S8_S8_S8_S8_EEEEZNS1_11reduce_implILb1ES3_NS6_12zip_iteratorINS7_INS6_11hip_rocprim26transform_input_iterator_tIbNSD_35transform_pair_of_input_iterators_tIbNS6_6detail15normal_iteratorINS6_10device_ptrIKiEEEESL_NS6_8equal_toIiEEEENSG_9not_fun_tINSD_8identityEEEEENSD_19counting_iterator_tIlEES8_S8_S8_S8_S8_S8_S8_S8_EEEEPS9_S9_NSD_9__find_if7functorIS9_EEEE10hipError_tPvRmT1_T2_T3_mT4_P12ihipStream_tbEUlT_E0_NS1_11comp_targetILNS1_3genE3ELNS1_11target_archE908ELNS1_3gpuE7ELNS1_3repE0EEENS1_30default_config_static_selectorELNS0_4arch9wavefront6targetE1EEEvS14_
                                        ; -- End function
	.set _ZN7rocprim17ROCPRIM_400000_NS6detail17trampoline_kernelINS0_14default_configENS1_22reduce_config_selectorIN6thrust23THRUST_200600_302600_NS5tupleIblNS6_9null_typeES8_S8_S8_S8_S8_S8_S8_EEEEZNS1_11reduce_implILb1ES3_NS6_12zip_iteratorINS7_INS6_11hip_rocprim26transform_input_iterator_tIbNSD_35transform_pair_of_input_iterators_tIbNS6_6detail15normal_iteratorINS6_10device_ptrIKiEEEESL_NS6_8equal_toIiEEEENSG_9not_fun_tINSD_8identityEEEEENSD_19counting_iterator_tIlEES8_S8_S8_S8_S8_S8_S8_S8_EEEEPS9_S9_NSD_9__find_if7functorIS9_EEEE10hipError_tPvRmT1_T2_T3_mT4_P12ihipStream_tbEUlT_E0_NS1_11comp_targetILNS1_3genE3ELNS1_11target_archE908ELNS1_3gpuE7ELNS1_3repE0EEENS1_30default_config_static_selectorELNS0_4arch9wavefront6targetE1EEEvS14_.num_vgpr, 0
	.set _ZN7rocprim17ROCPRIM_400000_NS6detail17trampoline_kernelINS0_14default_configENS1_22reduce_config_selectorIN6thrust23THRUST_200600_302600_NS5tupleIblNS6_9null_typeES8_S8_S8_S8_S8_S8_S8_EEEEZNS1_11reduce_implILb1ES3_NS6_12zip_iteratorINS7_INS6_11hip_rocprim26transform_input_iterator_tIbNSD_35transform_pair_of_input_iterators_tIbNS6_6detail15normal_iteratorINS6_10device_ptrIKiEEEESL_NS6_8equal_toIiEEEENSG_9not_fun_tINSD_8identityEEEEENSD_19counting_iterator_tIlEES8_S8_S8_S8_S8_S8_S8_S8_EEEEPS9_S9_NSD_9__find_if7functorIS9_EEEE10hipError_tPvRmT1_T2_T3_mT4_P12ihipStream_tbEUlT_E0_NS1_11comp_targetILNS1_3genE3ELNS1_11target_archE908ELNS1_3gpuE7ELNS1_3repE0EEENS1_30default_config_static_selectorELNS0_4arch9wavefront6targetE1EEEvS14_.num_agpr, 0
	.set _ZN7rocprim17ROCPRIM_400000_NS6detail17trampoline_kernelINS0_14default_configENS1_22reduce_config_selectorIN6thrust23THRUST_200600_302600_NS5tupleIblNS6_9null_typeES8_S8_S8_S8_S8_S8_S8_EEEEZNS1_11reduce_implILb1ES3_NS6_12zip_iteratorINS7_INS6_11hip_rocprim26transform_input_iterator_tIbNSD_35transform_pair_of_input_iterators_tIbNS6_6detail15normal_iteratorINS6_10device_ptrIKiEEEESL_NS6_8equal_toIiEEEENSG_9not_fun_tINSD_8identityEEEEENSD_19counting_iterator_tIlEES8_S8_S8_S8_S8_S8_S8_S8_EEEEPS9_S9_NSD_9__find_if7functorIS9_EEEE10hipError_tPvRmT1_T2_T3_mT4_P12ihipStream_tbEUlT_E0_NS1_11comp_targetILNS1_3genE3ELNS1_11target_archE908ELNS1_3gpuE7ELNS1_3repE0EEENS1_30default_config_static_selectorELNS0_4arch9wavefront6targetE1EEEvS14_.numbered_sgpr, 0
	.set _ZN7rocprim17ROCPRIM_400000_NS6detail17trampoline_kernelINS0_14default_configENS1_22reduce_config_selectorIN6thrust23THRUST_200600_302600_NS5tupleIblNS6_9null_typeES8_S8_S8_S8_S8_S8_S8_EEEEZNS1_11reduce_implILb1ES3_NS6_12zip_iteratorINS7_INS6_11hip_rocprim26transform_input_iterator_tIbNSD_35transform_pair_of_input_iterators_tIbNS6_6detail15normal_iteratorINS6_10device_ptrIKiEEEESL_NS6_8equal_toIiEEEENSG_9not_fun_tINSD_8identityEEEEENSD_19counting_iterator_tIlEES8_S8_S8_S8_S8_S8_S8_S8_EEEEPS9_S9_NSD_9__find_if7functorIS9_EEEE10hipError_tPvRmT1_T2_T3_mT4_P12ihipStream_tbEUlT_E0_NS1_11comp_targetILNS1_3genE3ELNS1_11target_archE908ELNS1_3gpuE7ELNS1_3repE0EEENS1_30default_config_static_selectorELNS0_4arch9wavefront6targetE1EEEvS14_.num_named_barrier, 0
	.set _ZN7rocprim17ROCPRIM_400000_NS6detail17trampoline_kernelINS0_14default_configENS1_22reduce_config_selectorIN6thrust23THRUST_200600_302600_NS5tupleIblNS6_9null_typeES8_S8_S8_S8_S8_S8_S8_EEEEZNS1_11reduce_implILb1ES3_NS6_12zip_iteratorINS7_INS6_11hip_rocprim26transform_input_iterator_tIbNSD_35transform_pair_of_input_iterators_tIbNS6_6detail15normal_iteratorINS6_10device_ptrIKiEEEESL_NS6_8equal_toIiEEEENSG_9not_fun_tINSD_8identityEEEEENSD_19counting_iterator_tIlEES8_S8_S8_S8_S8_S8_S8_S8_EEEEPS9_S9_NSD_9__find_if7functorIS9_EEEE10hipError_tPvRmT1_T2_T3_mT4_P12ihipStream_tbEUlT_E0_NS1_11comp_targetILNS1_3genE3ELNS1_11target_archE908ELNS1_3gpuE7ELNS1_3repE0EEENS1_30default_config_static_selectorELNS0_4arch9wavefront6targetE1EEEvS14_.private_seg_size, 0
	.set _ZN7rocprim17ROCPRIM_400000_NS6detail17trampoline_kernelINS0_14default_configENS1_22reduce_config_selectorIN6thrust23THRUST_200600_302600_NS5tupleIblNS6_9null_typeES8_S8_S8_S8_S8_S8_S8_EEEEZNS1_11reduce_implILb1ES3_NS6_12zip_iteratorINS7_INS6_11hip_rocprim26transform_input_iterator_tIbNSD_35transform_pair_of_input_iterators_tIbNS6_6detail15normal_iteratorINS6_10device_ptrIKiEEEESL_NS6_8equal_toIiEEEENSG_9not_fun_tINSD_8identityEEEEENSD_19counting_iterator_tIlEES8_S8_S8_S8_S8_S8_S8_S8_EEEEPS9_S9_NSD_9__find_if7functorIS9_EEEE10hipError_tPvRmT1_T2_T3_mT4_P12ihipStream_tbEUlT_E0_NS1_11comp_targetILNS1_3genE3ELNS1_11target_archE908ELNS1_3gpuE7ELNS1_3repE0EEENS1_30default_config_static_selectorELNS0_4arch9wavefront6targetE1EEEvS14_.uses_vcc, 0
	.set _ZN7rocprim17ROCPRIM_400000_NS6detail17trampoline_kernelINS0_14default_configENS1_22reduce_config_selectorIN6thrust23THRUST_200600_302600_NS5tupleIblNS6_9null_typeES8_S8_S8_S8_S8_S8_S8_EEEEZNS1_11reduce_implILb1ES3_NS6_12zip_iteratorINS7_INS6_11hip_rocprim26transform_input_iterator_tIbNSD_35transform_pair_of_input_iterators_tIbNS6_6detail15normal_iteratorINS6_10device_ptrIKiEEEESL_NS6_8equal_toIiEEEENSG_9not_fun_tINSD_8identityEEEEENSD_19counting_iterator_tIlEES8_S8_S8_S8_S8_S8_S8_S8_EEEEPS9_S9_NSD_9__find_if7functorIS9_EEEE10hipError_tPvRmT1_T2_T3_mT4_P12ihipStream_tbEUlT_E0_NS1_11comp_targetILNS1_3genE3ELNS1_11target_archE908ELNS1_3gpuE7ELNS1_3repE0EEENS1_30default_config_static_selectorELNS0_4arch9wavefront6targetE1EEEvS14_.uses_flat_scratch, 0
	.set _ZN7rocprim17ROCPRIM_400000_NS6detail17trampoline_kernelINS0_14default_configENS1_22reduce_config_selectorIN6thrust23THRUST_200600_302600_NS5tupleIblNS6_9null_typeES8_S8_S8_S8_S8_S8_S8_EEEEZNS1_11reduce_implILb1ES3_NS6_12zip_iteratorINS7_INS6_11hip_rocprim26transform_input_iterator_tIbNSD_35transform_pair_of_input_iterators_tIbNS6_6detail15normal_iteratorINS6_10device_ptrIKiEEEESL_NS6_8equal_toIiEEEENSG_9not_fun_tINSD_8identityEEEEENSD_19counting_iterator_tIlEES8_S8_S8_S8_S8_S8_S8_S8_EEEEPS9_S9_NSD_9__find_if7functorIS9_EEEE10hipError_tPvRmT1_T2_T3_mT4_P12ihipStream_tbEUlT_E0_NS1_11comp_targetILNS1_3genE3ELNS1_11target_archE908ELNS1_3gpuE7ELNS1_3repE0EEENS1_30default_config_static_selectorELNS0_4arch9wavefront6targetE1EEEvS14_.has_dyn_sized_stack, 0
	.set _ZN7rocprim17ROCPRIM_400000_NS6detail17trampoline_kernelINS0_14default_configENS1_22reduce_config_selectorIN6thrust23THRUST_200600_302600_NS5tupleIblNS6_9null_typeES8_S8_S8_S8_S8_S8_S8_EEEEZNS1_11reduce_implILb1ES3_NS6_12zip_iteratorINS7_INS6_11hip_rocprim26transform_input_iterator_tIbNSD_35transform_pair_of_input_iterators_tIbNS6_6detail15normal_iteratorINS6_10device_ptrIKiEEEESL_NS6_8equal_toIiEEEENSG_9not_fun_tINSD_8identityEEEEENSD_19counting_iterator_tIlEES8_S8_S8_S8_S8_S8_S8_S8_EEEEPS9_S9_NSD_9__find_if7functorIS9_EEEE10hipError_tPvRmT1_T2_T3_mT4_P12ihipStream_tbEUlT_E0_NS1_11comp_targetILNS1_3genE3ELNS1_11target_archE908ELNS1_3gpuE7ELNS1_3repE0EEENS1_30default_config_static_selectorELNS0_4arch9wavefront6targetE1EEEvS14_.has_recursion, 0
	.set _ZN7rocprim17ROCPRIM_400000_NS6detail17trampoline_kernelINS0_14default_configENS1_22reduce_config_selectorIN6thrust23THRUST_200600_302600_NS5tupleIblNS6_9null_typeES8_S8_S8_S8_S8_S8_S8_EEEEZNS1_11reduce_implILb1ES3_NS6_12zip_iteratorINS7_INS6_11hip_rocprim26transform_input_iterator_tIbNSD_35transform_pair_of_input_iterators_tIbNS6_6detail15normal_iteratorINS6_10device_ptrIKiEEEESL_NS6_8equal_toIiEEEENSG_9not_fun_tINSD_8identityEEEEENSD_19counting_iterator_tIlEES8_S8_S8_S8_S8_S8_S8_S8_EEEEPS9_S9_NSD_9__find_if7functorIS9_EEEE10hipError_tPvRmT1_T2_T3_mT4_P12ihipStream_tbEUlT_E0_NS1_11comp_targetILNS1_3genE3ELNS1_11target_archE908ELNS1_3gpuE7ELNS1_3repE0EEENS1_30default_config_static_selectorELNS0_4arch9wavefront6targetE1EEEvS14_.has_indirect_call, 0
	.section	.AMDGPU.csdata,"",@progbits
; Kernel info:
; codeLenInByte = 0
; TotalNumSgprs: 4
; NumVgprs: 0
; ScratchSize: 0
; MemoryBound: 0
; FloatMode: 240
; IeeeMode: 1
; LDSByteSize: 0 bytes/workgroup (compile time only)
; SGPRBlocks: 0
; VGPRBlocks: 0
; NumSGPRsForWavesPerEU: 4
; NumVGPRsForWavesPerEU: 1
; Occupancy: 10
; WaveLimiterHint : 0
; COMPUTE_PGM_RSRC2:SCRATCH_EN: 0
; COMPUTE_PGM_RSRC2:USER_SGPR: 6
; COMPUTE_PGM_RSRC2:TRAP_HANDLER: 0
; COMPUTE_PGM_RSRC2:TGID_X_EN: 1
; COMPUTE_PGM_RSRC2:TGID_Y_EN: 0
; COMPUTE_PGM_RSRC2:TGID_Z_EN: 0
; COMPUTE_PGM_RSRC2:TIDIG_COMP_CNT: 0
	.section	.text._ZN7rocprim17ROCPRIM_400000_NS6detail17trampoline_kernelINS0_14default_configENS1_22reduce_config_selectorIN6thrust23THRUST_200600_302600_NS5tupleIblNS6_9null_typeES8_S8_S8_S8_S8_S8_S8_EEEEZNS1_11reduce_implILb1ES3_NS6_12zip_iteratorINS7_INS6_11hip_rocprim26transform_input_iterator_tIbNSD_35transform_pair_of_input_iterators_tIbNS6_6detail15normal_iteratorINS6_10device_ptrIKiEEEESL_NS6_8equal_toIiEEEENSG_9not_fun_tINSD_8identityEEEEENSD_19counting_iterator_tIlEES8_S8_S8_S8_S8_S8_S8_S8_EEEEPS9_S9_NSD_9__find_if7functorIS9_EEEE10hipError_tPvRmT1_T2_T3_mT4_P12ihipStream_tbEUlT_E0_NS1_11comp_targetILNS1_3genE2ELNS1_11target_archE906ELNS1_3gpuE6ELNS1_3repE0EEENS1_30default_config_static_selectorELNS0_4arch9wavefront6targetE1EEEvS14_,"axG",@progbits,_ZN7rocprim17ROCPRIM_400000_NS6detail17trampoline_kernelINS0_14default_configENS1_22reduce_config_selectorIN6thrust23THRUST_200600_302600_NS5tupleIblNS6_9null_typeES8_S8_S8_S8_S8_S8_S8_EEEEZNS1_11reduce_implILb1ES3_NS6_12zip_iteratorINS7_INS6_11hip_rocprim26transform_input_iterator_tIbNSD_35transform_pair_of_input_iterators_tIbNS6_6detail15normal_iteratorINS6_10device_ptrIKiEEEESL_NS6_8equal_toIiEEEENSG_9not_fun_tINSD_8identityEEEEENSD_19counting_iterator_tIlEES8_S8_S8_S8_S8_S8_S8_S8_EEEEPS9_S9_NSD_9__find_if7functorIS9_EEEE10hipError_tPvRmT1_T2_T3_mT4_P12ihipStream_tbEUlT_E0_NS1_11comp_targetILNS1_3genE2ELNS1_11target_archE906ELNS1_3gpuE6ELNS1_3repE0EEENS1_30default_config_static_selectorELNS0_4arch9wavefront6targetE1EEEvS14_,comdat
	.protected	_ZN7rocprim17ROCPRIM_400000_NS6detail17trampoline_kernelINS0_14default_configENS1_22reduce_config_selectorIN6thrust23THRUST_200600_302600_NS5tupleIblNS6_9null_typeES8_S8_S8_S8_S8_S8_S8_EEEEZNS1_11reduce_implILb1ES3_NS6_12zip_iteratorINS7_INS6_11hip_rocprim26transform_input_iterator_tIbNSD_35transform_pair_of_input_iterators_tIbNS6_6detail15normal_iteratorINS6_10device_ptrIKiEEEESL_NS6_8equal_toIiEEEENSG_9not_fun_tINSD_8identityEEEEENSD_19counting_iterator_tIlEES8_S8_S8_S8_S8_S8_S8_S8_EEEEPS9_S9_NSD_9__find_if7functorIS9_EEEE10hipError_tPvRmT1_T2_T3_mT4_P12ihipStream_tbEUlT_E0_NS1_11comp_targetILNS1_3genE2ELNS1_11target_archE906ELNS1_3gpuE6ELNS1_3repE0EEENS1_30default_config_static_selectorELNS0_4arch9wavefront6targetE1EEEvS14_ ; -- Begin function _ZN7rocprim17ROCPRIM_400000_NS6detail17trampoline_kernelINS0_14default_configENS1_22reduce_config_selectorIN6thrust23THRUST_200600_302600_NS5tupleIblNS6_9null_typeES8_S8_S8_S8_S8_S8_S8_EEEEZNS1_11reduce_implILb1ES3_NS6_12zip_iteratorINS7_INS6_11hip_rocprim26transform_input_iterator_tIbNSD_35transform_pair_of_input_iterators_tIbNS6_6detail15normal_iteratorINS6_10device_ptrIKiEEEESL_NS6_8equal_toIiEEEENSG_9not_fun_tINSD_8identityEEEEENSD_19counting_iterator_tIlEES8_S8_S8_S8_S8_S8_S8_S8_EEEEPS9_S9_NSD_9__find_if7functorIS9_EEEE10hipError_tPvRmT1_T2_T3_mT4_P12ihipStream_tbEUlT_E0_NS1_11comp_targetILNS1_3genE2ELNS1_11target_archE906ELNS1_3gpuE6ELNS1_3repE0EEENS1_30default_config_static_selectorELNS0_4arch9wavefront6targetE1EEEvS14_
	.globl	_ZN7rocprim17ROCPRIM_400000_NS6detail17trampoline_kernelINS0_14default_configENS1_22reduce_config_selectorIN6thrust23THRUST_200600_302600_NS5tupleIblNS6_9null_typeES8_S8_S8_S8_S8_S8_S8_EEEEZNS1_11reduce_implILb1ES3_NS6_12zip_iteratorINS7_INS6_11hip_rocprim26transform_input_iterator_tIbNSD_35transform_pair_of_input_iterators_tIbNS6_6detail15normal_iteratorINS6_10device_ptrIKiEEEESL_NS6_8equal_toIiEEEENSG_9not_fun_tINSD_8identityEEEEENSD_19counting_iterator_tIlEES8_S8_S8_S8_S8_S8_S8_S8_EEEEPS9_S9_NSD_9__find_if7functorIS9_EEEE10hipError_tPvRmT1_T2_T3_mT4_P12ihipStream_tbEUlT_E0_NS1_11comp_targetILNS1_3genE2ELNS1_11target_archE906ELNS1_3gpuE6ELNS1_3repE0EEENS1_30default_config_static_selectorELNS0_4arch9wavefront6targetE1EEEvS14_
	.p2align	8
	.type	_ZN7rocprim17ROCPRIM_400000_NS6detail17trampoline_kernelINS0_14default_configENS1_22reduce_config_selectorIN6thrust23THRUST_200600_302600_NS5tupleIblNS6_9null_typeES8_S8_S8_S8_S8_S8_S8_EEEEZNS1_11reduce_implILb1ES3_NS6_12zip_iteratorINS7_INS6_11hip_rocprim26transform_input_iterator_tIbNSD_35transform_pair_of_input_iterators_tIbNS6_6detail15normal_iteratorINS6_10device_ptrIKiEEEESL_NS6_8equal_toIiEEEENSG_9not_fun_tINSD_8identityEEEEENSD_19counting_iterator_tIlEES8_S8_S8_S8_S8_S8_S8_S8_EEEEPS9_S9_NSD_9__find_if7functorIS9_EEEE10hipError_tPvRmT1_T2_T3_mT4_P12ihipStream_tbEUlT_E0_NS1_11comp_targetILNS1_3genE2ELNS1_11target_archE906ELNS1_3gpuE6ELNS1_3repE0EEENS1_30default_config_static_selectorELNS0_4arch9wavefront6targetE1EEEvS14_,@function
_ZN7rocprim17ROCPRIM_400000_NS6detail17trampoline_kernelINS0_14default_configENS1_22reduce_config_selectorIN6thrust23THRUST_200600_302600_NS5tupleIblNS6_9null_typeES8_S8_S8_S8_S8_S8_S8_EEEEZNS1_11reduce_implILb1ES3_NS6_12zip_iteratorINS7_INS6_11hip_rocprim26transform_input_iterator_tIbNSD_35transform_pair_of_input_iterators_tIbNS6_6detail15normal_iteratorINS6_10device_ptrIKiEEEESL_NS6_8equal_toIiEEEENSG_9not_fun_tINSD_8identityEEEEENSD_19counting_iterator_tIlEES8_S8_S8_S8_S8_S8_S8_S8_EEEEPS9_S9_NSD_9__find_if7functorIS9_EEEE10hipError_tPvRmT1_T2_T3_mT4_P12ihipStream_tbEUlT_E0_NS1_11comp_targetILNS1_3genE2ELNS1_11target_archE906ELNS1_3gpuE6ELNS1_3repE0EEENS1_30default_config_static_selectorELNS0_4arch9wavefront6targetE1EEEvS14_: ; @_ZN7rocprim17ROCPRIM_400000_NS6detail17trampoline_kernelINS0_14default_configENS1_22reduce_config_selectorIN6thrust23THRUST_200600_302600_NS5tupleIblNS6_9null_typeES8_S8_S8_S8_S8_S8_S8_EEEEZNS1_11reduce_implILb1ES3_NS6_12zip_iteratorINS7_INS6_11hip_rocprim26transform_input_iterator_tIbNSD_35transform_pair_of_input_iterators_tIbNS6_6detail15normal_iteratorINS6_10device_ptrIKiEEEESL_NS6_8equal_toIiEEEENSG_9not_fun_tINSD_8identityEEEEENSD_19counting_iterator_tIlEES8_S8_S8_S8_S8_S8_S8_S8_EEEEPS9_S9_NSD_9__find_if7functorIS9_EEEE10hipError_tPvRmT1_T2_T3_mT4_P12ihipStream_tbEUlT_E0_NS1_11comp_targetILNS1_3genE2ELNS1_11target_archE906ELNS1_3gpuE6ELNS1_3repE0EEENS1_30default_config_static_selectorELNS0_4arch9wavefront6targetE1EEEvS14_
; %bb.0:
	s_load_dwordx8 s[12:19], s[4:5], 0x20
	s_load_dwordx4 s[0:3], s[4:5], 0x0
	s_load_dwordx4 s[20:23], s[4:5], 0x40
	s_mov_b32 s29, 0
	s_mov_b32 s7, s29
	s_waitcnt lgkmcnt(0)
	s_lshl_b64 s[8:9], s[14:15], 2
	s_add_u32 s10, s0, s8
	s_addc_u32 s11, s1, s9
	s_add_u32 s8, s2, s8
	s_addc_u32 s9, s3, s9
	s_lshl_b32 s28, s6, 8
	s_lshr_b64 s[0:1], s[16:17], 8
	s_lshl_b64 s[2:3], s[28:29], 2
	s_add_u32 s24, s10, s2
	s_addc_u32 s25, s11, s3
	s_add_u32 s26, s8, s2
	s_addc_u32 s27, s9, s3
	;; [unrolled: 2-line block ×4, first 2 shown]
	s_cmp_lg_u64 s[0:1], s[6:7]
	v_lshlrev_b32_e32 v9, 2, v0
	v_mbcnt_lo_u32_b32 v8, -1, 0
	s_cbranch_scc0 .LBB541_10
; %bb.1:
	global_load_dword v1, v9, s[26:27]
	global_load_dword v2, v9, s[26:27] offset:512
	global_load_dword v4, v9, s[24:25] offset:512
	global_load_dword v6, v9, s[24:25]
	v_mov_b32_e32 v5, s15
	v_add_co_u32_e32 v7, vcc, s14, v0
	v_addc_co_u32_e32 v10, vcc, 0, v5, vcc
	v_add_co_u32_e32 v11, vcc, 0x80, v7
	v_addc_co_u32_e32 v12, vcc, 0, v10, vcc
	v_mbcnt_hi_u32_b32 v3, -1, v8
	v_lshlrev_b32_e32 v5, 2, v3
	v_or_b32_e32 v13, 0xfc, v5
	s_waitcnt vmcnt(1)
	v_cmp_ne_u32_e32 vcc, v4, v2
	s_waitcnt vmcnt(0)
	v_cmp_ne_u32_e64 s[0:1], v6, v1
	v_cndmask_b32_e64 v2, v12, v10, s[0:1]
	v_cndmask_b32_e64 v1, v11, v7, s[0:1]
	s_or_b64 s[0:1], s[0:1], vcc
	v_mov_b32_dpp v7, v2 quad_perm:[1,0,3,2] row_mask:0xf bank_mask:0xf bound_ctrl:1
	v_mov_b32_dpp v6, v1 quad_perm:[1,0,3,2] row_mask:0xf bank_mask:0xf bound_ctrl:1
	v_cndmask_b32_e64 v4, 0, 1, s[0:1]
	v_cmp_lt_i64_e32 vcc, v[1:2], v[6:7]
	s_and_b64 vcc, s[0:1], vcc
	v_mov_b32_dpp v10, v4 quad_perm:[1,0,3,2] row_mask:0xf bank_mask:0xf bound_ctrl:1
	v_and_b32_e32 v10, 1, v10
	v_cndmask_b32_e32 v6, v6, v1, vcc
	v_cndmask_b32_e32 v7, v7, v2, vcc
	v_cmp_eq_u32_e32 vcc, 1, v10
	v_cndmask_b32_e32 v2, v2, v7, vcc
	v_cndmask_b32_e32 v1, v1, v6, vcc
	v_cndmask_b32_e64 v4, v4, 1, vcc
	v_mov_b32_dpp v7, v2 quad_perm:[2,3,0,1] row_mask:0xf bank_mask:0xf bound_ctrl:1
	v_mov_b32_dpp v6, v1 quad_perm:[2,3,0,1] row_mask:0xf bank_mask:0xf bound_ctrl:1
	v_and_b32_e32 v11, 1, v4
	v_cmp_lt_i64_e64 s[0:1], v[1:2], v[6:7]
	v_mov_b32_dpp v10, v4 quad_perm:[2,3,0,1] row_mask:0xf bank_mask:0xf bound_ctrl:1
	v_cmp_eq_u32_e32 vcc, 1, v11
	v_and_b32_e32 v10, 1, v10
	s_and_b64 vcc, vcc, s[0:1]
	v_cmp_eq_u32_e64 s[2:3], 1, v10
	v_cndmask_b32_e32 v6, v6, v1, vcc
	v_cndmask_b32_e32 v7, v7, v2, vcc
	v_cndmask_b32_e64 v1, v1, v6, s[2:3]
	v_cndmask_b32_e64 v2, v2, v7, s[2:3]
	;; [unrolled: 1-line block ×3, first 2 shown]
	v_mov_b32_dpp v6, v1 row_ror:4 row_mask:0xf bank_mask:0xf bound_ctrl:1
	v_mov_b32_dpp v7, v2 row_ror:4 row_mask:0xf bank_mask:0xf bound_ctrl:1
	v_and_b32_e32 v11, 1, v4
	v_cmp_lt_i64_e64 s[2:3], v[1:2], v[6:7]
	v_mov_b32_dpp v10, v4 row_ror:4 row_mask:0xf bank_mask:0xf bound_ctrl:1
	v_cmp_eq_u32_e32 vcc, 1, v11
	v_and_b32_e32 v10, 1, v10
	s_and_b64 vcc, vcc, s[2:3]
	v_cmp_eq_u32_e64 s[0:1], 1, v10
	v_cndmask_b32_e32 v6, v6, v1, vcc
	v_cndmask_b32_e32 v7, v7, v2, vcc
	v_cndmask_b32_e64 v1, v1, v6, s[0:1]
	v_cndmask_b32_e64 v2, v2, v7, s[0:1]
	;; [unrolled: 1-line block ×3, first 2 shown]
	v_mov_b32_dpp v6, v1 row_ror:8 row_mask:0xf bank_mask:0xf bound_ctrl:1
	v_mov_b32_dpp v7, v2 row_ror:8 row_mask:0xf bank_mask:0xf bound_ctrl:1
	v_and_b32_e32 v11, 1, v4
	v_cmp_lt_i64_e64 s[2:3], v[1:2], v[6:7]
	v_mov_b32_dpp v10, v4 row_ror:8 row_mask:0xf bank_mask:0xf bound_ctrl:1
	v_cmp_eq_u32_e64 s[8:9], 1, v11
	v_and_b32_e32 v10, 1, v10
	s_and_b64 s[2:3], s[8:9], s[2:3]
	v_cmp_eq_u32_e64 s[10:11], 1, v10
	v_cndmask_b32_e64 v6, v6, v1, s[2:3]
	v_cndmask_b32_e64 v7, v7, v2, s[2:3]
	;; [unrolled: 1-line block ×5, first 2 shown]
	v_mov_b32_dpp v10, v4 row_bcast:15 row_mask:0xf bank_mask:0xf bound_ctrl:1
	v_mov_b32_dpp v6, v1 row_bcast:15 row_mask:0xf bank_mask:0xf bound_ctrl:1
	v_mov_b32_dpp v7, v2 row_bcast:15 row_mask:0xf bank_mask:0xf bound_ctrl:1
	v_and_b32_e32 v11, 1, v4
	v_and_b32_e32 v10, 1, v10
	v_cmp_lt_i64_e64 s[2:3], v[1:2], v[6:7]
	v_cmp_eq_u32_e32 vcc, 1, v11
	v_cmp_eq_u32_e64 s[0:1], 1, v10
	v_cndmask_b32_e64 v4, v4, 1, s[0:1]
	s_and_b64 vcc, vcc, s[2:3]
	v_cndmask_b32_e32 v6, v6, v1, vcc
	v_mov_b32_dpp v10, v4 row_bcast:31 row_mask:0xf bank_mask:0xf bound_ctrl:1
	v_cndmask_b32_e32 v7, v7, v2, vcc
	v_and_b32_e32 v11, 1, v4
	v_and_b32_e32 v10, 1, v10
	v_cndmask_b32_e64 v1, v1, v6, s[0:1]
	v_cndmask_b32_e64 v2, v2, v7, s[0:1]
	v_cmp_eq_u32_e64 s[12:13], 1, v11
	v_cmp_eq_u32_e64 s[8:9], 1, v10
	v_mov_b32_dpp v10, v1 row_bcast:31 row_mask:0xf bank_mask:0xf bound_ctrl:1
	v_mov_b32_dpp v11, v2 row_bcast:31 row_mask:0xf bank_mask:0xf bound_ctrl:1
	v_cmp_lt_i64_e32 vcc, v[1:2], v[10:11]
	v_cndmask_b32_e64 v4, v4, 1, s[8:9]
	s_and_b64 vcc, s[12:13], vcc
	ds_bpermute_b32 v7, v13, v4
	v_cndmask_b32_e32 v4, v10, v1, vcc
	v_cndmask_b32_e32 v6, v11, v2, vcc
	v_cndmask_b32_e64 v1, v1, v4, s[8:9]
	v_cndmask_b32_e64 v2, v2, v6, s[8:9]
	ds_bpermute_b32 v1, v13, v1
	ds_bpermute_b32 v2, v13, v2
	v_cmp_eq_u32_e32 vcc, 0, v3
	s_and_saveexec_b64 s[0:1], vcc
	s_cbranch_execz .LBB541_3
; %bb.2:
	v_lshrrev_b32_e32 v4, 2, v0
	v_and_b32_e32 v4, 16, v4
	s_waitcnt lgkmcnt(2)
	ds_write_b8 v4, v7
	s_waitcnt lgkmcnt(1)
	ds_write_b64 v4, v[1:2] offset:8
.LBB541_3:
	s_or_b64 exec, exec, s[0:1]
	v_cmp_gt_u32_e32 vcc, 64, v0
	s_waitcnt lgkmcnt(0)
	s_barrier
	s_and_saveexec_b64 s[0:1], vcc
	s_cbranch_execz .LBB541_9
; %bb.4:
	v_and_b32_e32 v1, 1, v3
	v_lshlrev_b32_e32 v1, 4, v1
	ds_read_u8 v10, v1
	ds_read_b64 v[3:4], v1 offset:8
	v_or_b32_e32 v2, 4, v5
	s_waitcnt lgkmcnt(1)
	v_and_b32_e32 v1, 0xff, v10
	ds_bpermute_b32 v11, v2, v1
	s_waitcnt lgkmcnt(1)
	ds_bpermute_b32 v5, v2, v3
	ds_bpermute_b32 v6, v2, v4
	s_waitcnt lgkmcnt(2)
	v_and_b32_e32 v1, v10, v11
	v_and_b32_e32 v1, 1, v1
	v_cmp_eq_u32_e32 vcc, 1, v1
                                        ; implicit-def: $vgpr1_vgpr2
	s_and_saveexec_b64 s[2:3], vcc
	s_xor_b64 s[2:3], exec, s[2:3]
	s_cbranch_execz .LBB541_6
; %bb.5:
	s_waitcnt lgkmcnt(0)
	v_cmp_lt_i64_e32 vcc, v[5:6], v[3:4]
                                        ; implicit-def: $vgpr10
                                        ; implicit-def: $vgpr11
	v_cndmask_b32_e32 v2, v4, v6, vcc
	v_cndmask_b32_e32 v1, v3, v5, vcc
                                        ; implicit-def: $vgpr5_vgpr6
                                        ; implicit-def: $vgpr3_vgpr4
.LBB541_6:
	s_or_saveexec_b64 s[2:3], s[2:3]
	v_mov_b32_e32 v7, 1
	s_xor_b64 exec, exec, s[2:3]
	s_cbranch_execz .LBB541_8
; %bb.7:
	v_and_b32_e32 v1, 1, v10
	v_cmp_eq_u32_e32 vcc, 1, v1
	s_waitcnt lgkmcnt(0)
	v_cndmask_b32_e32 v2, v6, v4, vcc
	v_cndmask_b32_e32 v1, v5, v3, vcc
	v_cndmask_b32_e64 v7, v11, 1, vcc
.LBB541_8:
	s_or_b64 exec, exec, s[2:3]
.LBB541_9:
	s_or_b64 exec, exec, s[0:1]
	s_load_dword s10, s[4:5], 0x50
	s_load_dwordx2 s[8:9], s[4:5], 0x58
	s_branch .LBB541_62
.LBB541_10:
                                        ; implicit-def: $vgpr1_vgpr2
                                        ; implicit-def: $vgpr7
	s_load_dword s10, s[4:5], 0x50
	s_load_dwordx2 s[8:9], s[4:5], 0x58
	s_cbranch_execz .LBB541_62
; %bb.11:
	s_sub_i32 s11, s16, s28
	v_mov_b32_e32 v3, 0
	v_mov_b32_e32 v1, 0
	v_cmp_gt_u32_e32 vcc, s11, v0
	s_waitcnt lgkmcnt(0)
	v_mov_b32_e32 v6, 0
	v_mov_b32_e32 v4, 0
	;; [unrolled: 1-line block ×4, first 2 shown]
	s_and_saveexec_b64 s[0:1], vcc
	s_cbranch_execz .LBB541_13
; %bb.12:
	global_load_dword v5, v9, s[24:25]
	global_load_dword v7, v9, s[26:27]
	v_mov_b32_e32 v2, s15
	v_add_co_u32_e32 v1, vcc, s14, v0
	v_addc_co_u32_e32 v2, vcc, 0, v2, vcc
	s_waitcnt vmcnt(0)
	v_cmp_ne_u32_e32 vcc, v5, v7
	v_cndmask_b32_e64 v5, 0, 1, vcc
.LBB541_13:
	s_or_b64 exec, exec, s[0:1]
	v_or_b32_e32 v7, 0x80, v0
	v_cmp_gt_u32_e32 vcc, s11, v7
	s_and_saveexec_b64 s[2:3], vcc
	s_cbranch_execz .LBB541_15
; %bb.14:
	global_load_dword v6, v9, s[24:25] offset:512
	global_load_dword v10, v9, s[26:27] offset:512
	v_mov_b32_e32 v4, s15
	v_add_co_u32_e64 v3, s[0:1], s14, v7
	v_addc_co_u32_e64 v4, s[0:1], 0, v4, s[0:1]
	s_waitcnt vmcnt(0)
	v_cmp_ne_u32_e64 s[0:1], v6, v10
	v_cndmask_b32_e64 v6, 0, 1, s[0:1]
.LBB541_15:
	s_or_b64 exec, exec, s[2:3]
	v_and_b32_e32 v7, 0xffff, v5
	v_and_b32_e32 v9, 0xffff, v6
	;; [unrolled: 1-line block ×4, first 2 shown]
	v_cmp_lt_i64_e64 s[2:3], v[3:4], v[1:2]
	v_cmp_eq_u32_e64 s[0:1], 1, v6
	v_cmp_eq_u32_e64 s[4:5], 1, v5
	v_cndmask_b32_e64 v5, v9, 1, s[4:5]
	s_and_b64 s[0:1], s[0:1], s[2:3]
	v_cndmask_b32_e64 v6, v2, v4, s[0:1]
	v_cndmask_b32_e64 v9, v1, v3, s[0:1]
	v_cndmask_b32_e32 v7, v7, v5, vcc
	v_mbcnt_hi_u32_b32 v5, -1, v8
	v_cndmask_b32_e64 v3, v3, v9, s[4:5]
	v_cndmask_b32_e64 v4, v4, v6, s[4:5]
	v_and_b32_e32 v6, 63, v5
	v_cndmask_b32_e32 v2, v2, v4, vcc
	v_cndmask_b32_e32 v1, v1, v3, vcc
	v_cmp_ne_u32_e32 vcc, 63, v6
	v_addc_co_u32_e32 v3, vcc, 0, v5, vcc
	v_lshlrev_b32_e32 v4, 2, v3
	ds_bpermute_b32 v9, v4, v7
	ds_bpermute_b32 v3, v4, v1
	;; [unrolled: 1-line block ×3, first 2 shown]
	s_min_u32 s4, s11, 0x80
	v_and_b32_e32 v8, 64, v0
	v_sub_u32_e64 v8, s4, v8 clamp
	v_add_u32_e32 v10, 1, v6
	v_cmp_lt_u32_e32 vcc, v10, v8
	s_and_saveexec_b64 s[0:1], vcc
	s_cbranch_execz .LBB541_21
; %bb.16:
	s_waitcnt lgkmcnt(2)
	v_and_b32_e32 v10, v9, v7
	v_cmp_ne_u32_e32 vcc, 0, v10
	s_and_saveexec_b64 s[2:3], vcc
	s_xor_b64 s[2:3], exec, s[2:3]
	s_cbranch_execz .LBB541_18
; %bb.17:
	s_waitcnt lgkmcnt(0)
	v_cmp_lt_i64_e32 vcc, v[3:4], v[1:2]
                                        ; implicit-def: $vgpr7
                                        ; implicit-def: $vgpr9
	v_cndmask_b32_e32 v2, v2, v4, vcc
	v_cndmask_b32_e32 v1, v1, v3, vcc
                                        ; implicit-def: $vgpr3_vgpr4
.LBB541_18:
	s_or_saveexec_b64 s[2:3], s[2:3]
	v_mov_b32_e32 v10, 1
	s_xor_b64 exec, exec, s[2:3]
	s_cbranch_execz .LBB541_20
; %bb.19:
	v_and_b32_e32 v7, 1, v7
	v_cmp_eq_u32_e32 vcc, 1, v7
	s_waitcnt lgkmcnt(1)
	v_cndmask_b32_e32 v1, v3, v1, vcc
	v_and_b32_e32 v3, 0xff, v9
	s_waitcnt lgkmcnt(0)
	v_cndmask_b32_e32 v2, v4, v2, vcc
	v_cndmask_b32_e64 v10, v3, 1, vcc
.LBB541_20:
	s_or_b64 exec, exec, s[2:3]
	v_mov_b32_e32 v7, v10
.LBB541_21:
	s_or_b64 exec, exec, s[0:1]
	v_cmp_gt_u32_e32 vcc, 62, v6
	s_waitcnt lgkmcnt(1)
	v_cndmask_b32_e64 v3, 0, 2, vcc
	s_waitcnt lgkmcnt(0)
	v_add_lshl_u32 v4, v3, v5, 2
	ds_bpermute_b32 v9, v4, v7
	ds_bpermute_b32 v3, v4, v1
	ds_bpermute_b32 v4, v4, v2
	v_add_u32_e32 v10, 2, v6
	v_cmp_lt_u32_e32 vcc, v10, v8
	s_and_saveexec_b64 s[0:1], vcc
	s_cbranch_execz .LBB541_27
; %bb.22:
	s_waitcnt lgkmcnt(2)
	v_and_b32_e32 v10, v7, v9
	v_and_b32_e32 v10, 1, v10
	v_cmp_eq_u32_e32 vcc, 1, v10
	s_and_saveexec_b64 s[2:3], vcc
	s_xor_b64 s[2:3], exec, s[2:3]
	s_cbranch_execz .LBB541_24
; %bb.23:
	s_waitcnt lgkmcnt(0)
	v_cmp_lt_i64_e32 vcc, v[3:4], v[1:2]
                                        ; implicit-def: $vgpr7
                                        ; implicit-def: $vgpr9
	v_cndmask_b32_e32 v2, v2, v4, vcc
	v_cndmask_b32_e32 v1, v1, v3, vcc
                                        ; implicit-def: $vgpr3_vgpr4
.LBB541_24:
	s_or_saveexec_b64 s[2:3], s[2:3]
	v_mov_b32_e32 v10, 1
	s_xor_b64 exec, exec, s[2:3]
	s_cbranch_execz .LBB541_26
; %bb.25:
	v_and_b32_e32 v7, 1, v7
	v_cmp_eq_u32_e32 vcc, 1, v7
	s_waitcnt lgkmcnt(1)
	v_cndmask_b32_e32 v1, v3, v1, vcc
	v_and_b32_e32 v3, 0xff, v9
	s_waitcnt lgkmcnt(0)
	v_cndmask_b32_e32 v2, v4, v2, vcc
	v_cndmask_b32_e64 v10, v3, 1, vcc
.LBB541_26:
	s_or_b64 exec, exec, s[2:3]
	v_mov_b32_e32 v7, v10
.LBB541_27:
	s_or_b64 exec, exec, s[0:1]
	v_cmp_gt_u32_e32 vcc, 60, v6
	s_waitcnt lgkmcnt(1)
	v_cndmask_b32_e64 v3, 0, 4, vcc
	s_waitcnt lgkmcnt(0)
	v_add_lshl_u32 v4, v3, v5, 2
	ds_bpermute_b32 v9, v4, v7
	ds_bpermute_b32 v3, v4, v1
	ds_bpermute_b32 v4, v4, v2
	v_add_u32_e32 v10, 4, v6
	v_cmp_lt_u32_e32 vcc, v10, v8
	s_and_saveexec_b64 s[0:1], vcc
	s_cbranch_execz .LBB541_33
; %bb.28:
	s_waitcnt lgkmcnt(2)
	v_and_b32_e32 v10, v7, v9
	v_and_b32_e32 v10, 1, v10
	v_cmp_eq_u32_e32 vcc, 1, v10
	s_and_saveexec_b64 s[2:3], vcc
	s_xor_b64 s[2:3], exec, s[2:3]
	s_cbranch_execz .LBB541_30
; %bb.29:
	s_waitcnt lgkmcnt(0)
	v_cmp_lt_i64_e32 vcc, v[3:4], v[1:2]
                                        ; implicit-def: $vgpr7
                                        ; implicit-def: $vgpr9
	v_cndmask_b32_e32 v2, v2, v4, vcc
	v_cndmask_b32_e32 v1, v1, v3, vcc
                                        ; implicit-def: $vgpr3_vgpr4
.LBB541_30:
	s_or_saveexec_b64 s[2:3], s[2:3]
	v_mov_b32_e32 v10, 1
	s_xor_b64 exec, exec, s[2:3]
	s_cbranch_execz .LBB541_32
; %bb.31:
	v_and_b32_e32 v7, 1, v7
	v_cmp_eq_u32_e32 vcc, 1, v7
	s_waitcnt lgkmcnt(1)
	v_cndmask_b32_e32 v1, v3, v1, vcc
	v_and_b32_e32 v3, 0xff, v9
	s_waitcnt lgkmcnt(0)
	v_cndmask_b32_e32 v2, v4, v2, vcc
	v_cndmask_b32_e64 v10, v3, 1, vcc
.LBB541_32:
	s_or_b64 exec, exec, s[2:3]
	v_mov_b32_e32 v7, v10
.LBB541_33:
	;; [unrolled: 47-line block ×4, first 2 shown]
	s_or_b64 exec, exec, s[0:1]
	s_waitcnt lgkmcnt(2)
	v_lshlrev_b32_e32 v9, 2, v5
	s_waitcnt lgkmcnt(0)
	v_or_b32_e32 v4, 0x80, v9
	ds_bpermute_b32 v10, v4, v7
	ds_bpermute_b32 v3, v4, v1
	;; [unrolled: 1-line block ×3, first 2 shown]
	v_add_u32_e32 v6, 32, v6
	v_cmp_lt_u32_e32 vcc, v6, v8
	v_mov_b32_e32 v6, v7
	s_and_saveexec_b64 s[0:1], vcc
	s_cbranch_execz .LBB541_51
; %bb.46:
	s_waitcnt lgkmcnt(2)
	v_and_b32_e32 v6, v7, v10
	v_and_b32_e32 v6, 1, v6
	v_cmp_eq_u32_e32 vcc, 1, v6
	s_and_saveexec_b64 s[2:3], vcc
	s_xor_b64 s[2:3], exec, s[2:3]
	s_cbranch_execz .LBB541_48
; %bb.47:
	s_waitcnt lgkmcnt(0)
	v_cmp_lt_i64_e32 vcc, v[3:4], v[1:2]
                                        ; implicit-def: $vgpr7
                                        ; implicit-def: $vgpr10
	v_cndmask_b32_e32 v2, v2, v4, vcc
	v_cndmask_b32_e32 v1, v1, v3, vcc
                                        ; implicit-def: $vgpr3_vgpr4
.LBB541_48:
	s_or_saveexec_b64 s[2:3], s[2:3]
	v_mov_b32_e32 v6, 1
	s_xor_b64 exec, exec, s[2:3]
	s_cbranch_execz .LBB541_50
; %bb.49:
	v_and_b32_e32 v6, 1, v7
	v_cmp_eq_u32_e32 vcc, 1, v6
	v_cndmask_b32_e64 v6, v10, 1, vcc
	s_waitcnt lgkmcnt(0)
	v_cndmask_b32_e32 v2, v4, v2, vcc
	v_cndmask_b32_e32 v1, v3, v1, vcc
.LBB541_50:
	s_or_b64 exec, exec, s[2:3]
	v_and_b32_e32 v7, 0xff, v6
.LBB541_51:
	s_or_b64 exec, exec, s[0:1]
	v_cmp_eq_u32_e32 vcc, 0, v5
	s_and_saveexec_b64 s[0:1], vcc
	s_cbranch_execz .LBB541_53
; %bb.52:
	s_waitcnt lgkmcnt(1)
	v_lshrrev_b32_e32 v3, 2, v0
	v_and_b32_e32 v3, 16, v3
	ds_write_b8 v3, v6 offset:32
	ds_write_b64 v3, v[1:2] offset:40
.LBB541_53:
	s_or_b64 exec, exec, s[0:1]
	v_cmp_gt_u32_e32 vcc, 2, v0
	s_waitcnt lgkmcnt(0)
	s_barrier
	s_and_saveexec_b64 s[0:1], vcc
	s_cbranch_execz .LBB541_61
; %bb.54:
	v_lshlrev_b32_e32 v1, 4, v5
	ds_read_u8 v6, v1 offset:32
	ds_read_b64 v[1:2], v1 offset:40
	v_or_b32_e32 v4, 4, v9
	s_add_i32 s4, s4, 63
	v_and_b32_e32 v5, 1, v5
	s_waitcnt lgkmcnt(1)
	v_and_b32_e32 v7, 0xff, v6
	s_waitcnt lgkmcnt(0)
	ds_bpermute_b32 v3, v4, v1
	ds_bpermute_b32 v8, v4, v7
	;; [unrolled: 1-line block ×3, first 2 shown]
	s_lshr_b32 s2, s4, 6
	v_add_u32_e32 v5, 1, v5
	v_cmp_gt_u32_e32 vcc, s2, v5
	s_and_saveexec_b64 s[2:3], vcc
	s_cbranch_execz .LBB541_60
; %bb.55:
	s_waitcnt lgkmcnt(1)
	v_and_b32_e32 v5, v7, v8
	v_and_b32_e32 v5, 1, v5
	v_cmp_eq_u32_e32 vcc, 1, v5
	s_and_saveexec_b64 s[4:5], vcc
	s_xor_b64 s[4:5], exec, s[4:5]
	s_cbranch_execz .LBB541_57
; %bb.56:
	s_waitcnt lgkmcnt(0)
	v_cmp_lt_i64_e32 vcc, v[3:4], v[1:2]
                                        ; implicit-def: $vgpr6
                                        ; implicit-def: $vgpr8
	v_cndmask_b32_e32 v2, v2, v4, vcc
	v_cndmask_b32_e32 v1, v1, v3, vcc
                                        ; implicit-def: $vgpr3_vgpr4
.LBB541_57:
	s_or_saveexec_b64 s[4:5], s[4:5]
	v_mov_b32_e32 v7, 1
	s_xor_b64 exec, exec, s[4:5]
	s_cbranch_execz .LBB541_59
; %bb.58:
	v_and_b32_e32 v5, 1, v6
	v_cmp_eq_u32_e32 vcc, 1, v5
	s_waitcnt lgkmcnt(0)
	v_cndmask_b32_e32 v2, v4, v2, vcc
	v_cndmask_b32_e32 v1, v3, v1, vcc
	v_cndmask_b32_e64 v7, v8, 1, vcc
.LBB541_59:
	s_or_b64 exec, exec, s[4:5]
.LBB541_60:
	s_or_b64 exec, exec, s[2:3]
.LBB541_61:
	s_or_b64 exec, exec, s[0:1]
.LBB541_62:
	v_cmp_eq_u32_e32 vcc, 0, v0
	s_and_saveexec_b64 s[0:1], vcc
	s_cbranch_execnz .LBB541_64
; %bb.63:
	s_endpgm
.LBB541_64:
	s_mul_i32 s0, s22, s21
	s_mul_hi_u32 s1, s22, s20
	s_add_i32 s0, s1, s0
	s_mul_i32 s1, s23, s20
	s_add_i32 s1, s0, s1
	s_mul_i32 s0, s22, s20
	s_lshl_b64 s[0:1], s[0:1], 4
	s_add_u32 s2, s18, s0
	s_addc_u32 s3, s19, s1
	s_cmp_eq_u64 s[16:17], 0
	s_waitcnt lgkmcnt(0)
	v_mov_b32_e32 v0, s9
	s_cselect_b64 vcc, -1, 0
	v_cndmask_b32_e32 v2, v2, v0, vcc
	v_mov_b32_e32 v0, s8
	s_lshl_b64 s[0:1], s[6:7], 4
	v_cndmask_b32_e32 v1, v1, v0, vcc
	v_mov_b32_e32 v0, s10
	s_add_u32 s0, s2, s0
	v_cndmask_b32_e32 v0, v7, v0, vcc
	s_addc_u32 s1, s3, s1
	v_mov_b32_e32 v3, 0
	global_store_byte v3, v0, s[0:1]
	global_store_dwordx2 v3, v[1:2], s[0:1] offset:8
	s_endpgm
	.section	.rodata,"a",@progbits
	.p2align	6, 0x0
	.amdhsa_kernel _ZN7rocprim17ROCPRIM_400000_NS6detail17trampoline_kernelINS0_14default_configENS1_22reduce_config_selectorIN6thrust23THRUST_200600_302600_NS5tupleIblNS6_9null_typeES8_S8_S8_S8_S8_S8_S8_EEEEZNS1_11reduce_implILb1ES3_NS6_12zip_iteratorINS7_INS6_11hip_rocprim26transform_input_iterator_tIbNSD_35transform_pair_of_input_iterators_tIbNS6_6detail15normal_iteratorINS6_10device_ptrIKiEEEESL_NS6_8equal_toIiEEEENSG_9not_fun_tINSD_8identityEEEEENSD_19counting_iterator_tIlEES8_S8_S8_S8_S8_S8_S8_S8_EEEEPS9_S9_NSD_9__find_if7functorIS9_EEEE10hipError_tPvRmT1_T2_T3_mT4_P12ihipStream_tbEUlT_E0_NS1_11comp_targetILNS1_3genE2ELNS1_11target_archE906ELNS1_3gpuE6ELNS1_3repE0EEENS1_30default_config_static_selectorELNS0_4arch9wavefront6targetE1EEEvS14_
		.amdhsa_group_segment_fixed_size 64
		.amdhsa_private_segment_fixed_size 0
		.amdhsa_kernarg_size 104
		.amdhsa_user_sgpr_count 6
		.amdhsa_user_sgpr_private_segment_buffer 1
		.amdhsa_user_sgpr_dispatch_ptr 0
		.amdhsa_user_sgpr_queue_ptr 0
		.amdhsa_user_sgpr_kernarg_segment_ptr 1
		.amdhsa_user_sgpr_dispatch_id 0
		.amdhsa_user_sgpr_flat_scratch_init 0
		.amdhsa_user_sgpr_private_segment_size 0
		.amdhsa_uses_dynamic_stack 0
		.amdhsa_system_sgpr_private_segment_wavefront_offset 0
		.amdhsa_system_sgpr_workgroup_id_x 1
		.amdhsa_system_sgpr_workgroup_id_y 0
		.amdhsa_system_sgpr_workgroup_id_z 0
		.amdhsa_system_sgpr_workgroup_info 0
		.amdhsa_system_vgpr_workitem_id 0
		.amdhsa_next_free_vgpr 14
		.amdhsa_next_free_sgpr 30
		.amdhsa_reserve_vcc 1
		.amdhsa_reserve_flat_scratch 0
		.amdhsa_float_round_mode_32 0
		.amdhsa_float_round_mode_16_64 0
		.amdhsa_float_denorm_mode_32 3
		.amdhsa_float_denorm_mode_16_64 3
		.amdhsa_dx10_clamp 1
		.amdhsa_ieee_mode 1
		.amdhsa_fp16_overflow 0
		.amdhsa_exception_fp_ieee_invalid_op 0
		.amdhsa_exception_fp_denorm_src 0
		.amdhsa_exception_fp_ieee_div_zero 0
		.amdhsa_exception_fp_ieee_overflow 0
		.amdhsa_exception_fp_ieee_underflow 0
		.amdhsa_exception_fp_ieee_inexact 0
		.amdhsa_exception_int_div_zero 0
	.end_amdhsa_kernel
	.section	.text._ZN7rocprim17ROCPRIM_400000_NS6detail17trampoline_kernelINS0_14default_configENS1_22reduce_config_selectorIN6thrust23THRUST_200600_302600_NS5tupleIblNS6_9null_typeES8_S8_S8_S8_S8_S8_S8_EEEEZNS1_11reduce_implILb1ES3_NS6_12zip_iteratorINS7_INS6_11hip_rocprim26transform_input_iterator_tIbNSD_35transform_pair_of_input_iterators_tIbNS6_6detail15normal_iteratorINS6_10device_ptrIKiEEEESL_NS6_8equal_toIiEEEENSG_9not_fun_tINSD_8identityEEEEENSD_19counting_iterator_tIlEES8_S8_S8_S8_S8_S8_S8_S8_EEEEPS9_S9_NSD_9__find_if7functorIS9_EEEE10hipError_tPvRmT1_T2_T3_mT4_P12ihipStream_tbEUlT_E0_NS1_11comp_targetILNS1_3genE2ELNS1_11target_archE906ELNS1_3gpuE6ELNS1_3repE0EEENS1_30default_config_static_selectorELNS0_4arch9wavefront6targetE1EEEvS14_,"axG",@progbits,_ZN7rocprim17ROCPRIM_400000_NS6detail17trampoline_kernelINS0_14default_configENS1_22reduce_config_selectorIN6thrust23THRUST_200600_302600_NS5tupleIblNS6_9null_typeES8_S8_S8_S8_S8_S8_S8_EEEEZNS1_11reduce_implILb1ES3_NS6_12zip_iteratorINS7_INS6_11hip_rocprim26transform_input_iterator_tIbNSD_35transform_pair_of_input_iterators_tIbNS6_6detail15normal_iteratorINS6_10device_ptrIKiEEEESL_NS6_8equal_toIiEEEENSG_9not_fun_tINSD_8identityEEEEENSD_19counting_iterator_tIlEES8_S8_S8_S8_S8_S8_S8_S8_EEEEPS9_S9_NSD_9__find_if7functorIS9_EEEE10hipError_tPvRmT1_T2_T3_mT4_P12ihipStream_tbEUlT_E0_NS1_11comp_targetILNS1_3genE2ELNS1_11target_archE906ELNS1_3gpuE6ELNS1_3repE0EEENS1_30default_config_static_selectorELNS0_4arch9wavefront6targetE1EEEvS14_,comdat
.Lfunc_end541:
	.size	_ZN7rocprim17ROCPRIM_400000_NS6detail17trampoline_kernelINS0_14default_configENS1_22reduce_config_selectorIN6thrust23THRUST_200600_302600_NS5tupleIblNS6_9null_typeES8_S8_S8_S8_S8_S8_S8_EEEEZNS1_11reduce_implILb1ES3_NS6_12zip_iteratorINS7_INS6_11hip_rocprim26transform_input_iterator_tIbNSD_35transform_pair_of_input_iterators_tIbNS6_6detail15normal_iteratorINS6_10device_ptrIKiEEEESL_NS6_8equal_toIiEEEENSG_9not_fun_tINSD_8identityEEEEENSD_19counting_iterator_tIlEES8_S8_S8_S8_S8_S8_S8_S8_EEEEPS9_S9_NSD_9__find_if7functorIS9_EEEE10hipError_tPvRmT1_T2_T3_mT4_P12ihipStream_tbEUlT_E0_NS1_11comp_targetILNS1_3genE2ELNS1_11target_archE906ELNS1_3gpuE6ELNS1_3repE0EEENS1_30default_config_static_selectorELNS0_4arch9wavefront6targetE1EEEvS14_, .Lfunc_end541-_ZN7rocprim17ROCPRIM_400000_NS6detail17trampoline_kernelINS0_14default_configENS1_22reduce_config_selectorIN6thrust23THRUST_200600_302600_NS5tupleIblNS6_9null_typeES8_S8_S8_S8_S8_S8_S8_EEEEZNS1_11reduce_implILb1ES3_NS6_12zip_iteratorINS7_INS6_11hip_rocprim26transform_input_iterator_tIbNSD_35transform_pair_of_input_iterators_tIbNS6_6detail15normal_iteratorINS6_10device_ptrIKiEEEESL_NS6_8equal_toIiEEEENSG_9not_fun_tINSD_8identityEEEEENSD_19counting_iterator_tIlEES8_S8_S8_S8_S8_S8_S8_S8_EEEEPS9_S9_NSD_9__find_if7functorIS9_EEEE10hipError_tPvRmT1_T2_T3_mT4_P12ihipStream_tbEUlT_E0_NS1_11comp_targetILNS1_3genE2ELNS1_11target_archE906ELNS1_3gpuE6ELNS1_3repE0EEENS1_30default_config_static_selectorELNS0_4arch9wavefront6targetE1EEEvS14_
                                        ; -- End function
	.set _ZN7rocprim17ROCPRIM_400000_NS6detail17trampoline_kernelINS0_14default_configENS1_22reduce_config_selectorIN6thrust23THRUST_200600_302600_NS5tupleIblNS6_9null_typeES8_S8_S8_S8_S8_S8_S8_EEEEZNS1_11reduce_implILb1ES3_NS6_12zip_iteratorINS7_INS6_11hip_rocprim26transform_input_iterator_tIbNSD_35transform_pair_of_input_iterators_tIbNS6_6detail15normal_iteratorINS6_10device_ptrIKiEEEESL_NS6_8equal_toIiEEEENSG_9not_fun_tINSD_8identityEEEEENSD_19counting_iterator_tIlEES8_S8_S8_S8_S8_S8_S8_S8_EEEEPS9_S9_NSD_9__find_if7functorIS9_EEEE10hipError_tPvRmT1_T2_T3_mT4_P12ihipStream_tbEUlT_E0_NS1_11comp_targetILNS1_3genE2ELNS1_11target_archE906ELNS1_3gpuE6ELNS1_3repE0EEENS1_30default_config_static_selectorELNS0_4arch9wavefront6targetE1EEEvS14_.num_vgpr, 14
	.set _ZN7rocprim17ROCPRIM_400000_NS6detail17trampoline_kernelINS0_14default_configENS1_22reduce_config_selectorIN6thrust23THRUST_200600_302600_NS5tupleIblNS6_9null_typeES8_S8_S8_S8_S8_S8_S8_EEEEZNS1_11reduce_implILb1ES3_NS6_12zip_iteratorINS7_INS6_11hip_rocprim26transform_input_iterator_tIbNSD_35transform_pair_of_input_iterators_tIbNS6_6detail15normal_iteratorINS6_10device_ptrIKiEEEESL_NS6_8equal_toIiEEEENSG_9not_fun_tINSD_8identityEEEEENSD_19counting_iterator_tIlEES8_S8_S8_S8_S8_S8_S8_S8_EEEEPS9_S9_NSD_9__find_if7functorIS9_EEEE10hipError_tPvRmT1_T2_T3_mT4_P12ihipStream_tbEUlT_E0_NS1_11comp_targetILNS1_3genE2ELNS1_11target_archE906ELNS1_3gpuE6ELNS1_3repE0EEENS1_30default_config_static_selectorELNS0_4arch9wavefront6targetE1EEEvS14_.num_agpr, 0
	.set _ZN7rocprim17ROCPRIM_400000_NS6detail17trampoline_kernelINS0_14default_configENS1_22reduce_config_selectorIN6thrust23THRUST_200600_302600_NS5tupleIblNS6_9null_typeES8_S8_S8_S8_S8_S8_S8_EEEEZNS1_11reduce_implILb1ES3_NS6_12zip_iteratorINS7_INS6_11hip_rocprim26transform_input_iterator_tIbNSD_35transform_pair_of_input_iterators_tIbNS6_6detail15normal_iteratorINS6_10device_ptrIKiEEEESL_NS6_8equal_toIiEEEENSG_9not_fun_tINSD_8identityEEEEENSD_19counting_iterator_tIlEES8_S8_S8_S8_S8_S8_S8_S8_EEEEPS9_S9_NSD_9__find_if7functorIS9_EEEE10hipError_tPvRmT1_T2_T3_mT4_P12ihipStream_tbEUlT_E0_NS1_11comp_targetILNS1_3genE2ELNS1_11target_archE906ELNS1_3gpuE6ELNS1_3repE0EEENS1_30default_config_static_selectorELNS0_4arch9wavefront6targetE1EEEvS14_.numbered_sgpr, 30
	.set _ZN7rocprim17ROCPRIM_400000_NS6detail17trampoline_kernelINS0_14default_configENS1_22reduce_config_selectorIN6thrust23THRUST_200600_302600_NS5tupleIblNS6_9null_typeES8_S8_S8_S8_S8_S8_S8_EEEEZNS1_11reduce_implILb1ES3_NS6_12zip_iteratorINS7_INS6_11hip_rocprim26transform_input_iterator_tIbNSD_35transform_pair_of_input_iterators_tIbNS6_6detail15normal_iteratorINS6_10device_ptrIKiEEEESL_NS6_8equal_toIiEEEENSG_9not_fun_tINSD_8identityEEEEENSD_19counting_iterator_tIlEES8_S8_S8_S8_S8_S8_S8_S8_EEEEPS9_S9_NSD_9__find_if7functorIS9_EEEE10hipError_tPvRmT1_T2_T3_mT4_P12ihipStream_tbEUlT_E0_NS1_11comp_targetILNS1_3genE2ELNS1_11target_archE906ELNS1_3gpuE6ELNS1_3repE0EEENS1_30default_config_static_selectorELNS0_4arch9wavefront6targetE1EEEvS14_.num_named_barrier, 0
	.set _ZN7rocprim17ROCPRIM_400000_NS6detail17trampoline_kernelINS0_14default_configENS1_22reduce_config_selectorIN6thrust23THRUST_200600_302600_NS5tupleIblNS6_9null_typeES8_S8_S8_S8_S8_S8_S8_EEEEZNS1_11reduce_implILb1ES3_NS6_12zip_iteratorINS7_INS6_11hip_rocprim26transform_input_iterator_tIbNSD_35transform_pair_of_input_iterators_tIbNS6_6detail15normal_iteratorINS6_10device_ptrIKiEEEESL_NS6_8equal_toIiEEEENSG_9not_fun_tINSD_8identityEEEEENSD_19counting_iterator_tIlEES8_S8_S8_S8_S8_S8_S8_S8_EEEEPS9_S9_NSD_9__find_if7functorIS9_EEEE10hipError_tPvRmT1_T2_T3_mT4_P12ihipStream_tbEUlT_E0_NS1_11comp_targetILNS1_3genE2ELNS1_11target_archE906ELNS1_3gpuE6ELNS1_3repE0EEENS1_30default_config_static_selectorELNS0_4arch9wavefront6targetE1EEEvS14_.private_seg_size, 0
	.set _ZN7rocprim17ROCPRIM_400000_NS6detail17trampoline_kernelINS0_14default_configENS1_22reduce_config_selectorIN6thrust23THRUST_200600_302600_NS5tupleIblNS6_9null_typeES8_S8_S8_S8_S8_S8_S8_EEEEZNS1_11reduce_implILb1ES3_NS6_12zip_iteratorINS7_INS6_11hip_rocprim26transform_input_iterator_tIbNSD_35transform_pair_of_input_iterators_tIbNS6_6detail15normal_iteratorINS6_10device_ptrIKiEEEESL_NS6_8equal_toIiEEEENSG_9not_fun_tINSD_8identityEEEEENSD_19counting_iterator_tIlEES8_S8_S8_S8_S8_S8_S8_S8_EEEEPS9_S9_NSD_9__find_if7functorIS9_EEEE10hipError_tPvRmT1_T2_T3_mT4_P12ihipStream_tbEUlT_E0_NS1_11comp_targetILNS1_3genE2ELNS1_11target_archE906ELNS1_3gpuE6ELNS1_3repE0EEENS1_30default_config_static_selectorELNS0_4arch9wavefront6targetE1EEEvS14_.uses_vcc, 1
	.set _ZN7rocprim17ROCPRIM_400000_NS6detail17trampoline_kernelINS0_14default_configENS1_22reduce_config_selectorIN6thrust23THRUST_200600_302600_NS5tupleIblNS6_9null_typeES8_S8_S8_S8_S8_S8_S8_EEEEZNS1_11reduce_implILb1ES3_NS6_12zip_iteratorINS7_INS6_11hip_rocprim26transform_input_iterator_tIbNSD_35transform_pair_of_input_iterators_tIbNS6_6detail15normal_iteratorINS6_10device_ptrIKiEEEESL_NS6_8equal_toIiEEEENSG_9not_fun_tINSD_8identityEEEEENSD_19counting_iterator_tIlEES8_S8_S8_S8_S8_S8_S8_S8_EEEEPS9_S9_NSD_9__find_if7functorIS9_EEEE10hipError_tPvRmT1_T2_T3_mT4_P12ihipStream_tbEUlT_E0_NS1_11comp_targetILNS1_3genE2ELNS1_11target_archE906ELNS1_3gpuE6ELNS1_3repE0EEENS1_30default_config_static_selectorELNS0_4arch9wavefront6targetE1EEEvS14_.uses_flat_scratch, 0
	.set _ZN7rocprim17ROCPRIM_400000_NS6detail17trampoline_kernelINS0_14default_configENS1_22reduce_config_selectorIN6thrust23THRUST_200600_302600_NS5tupleIblNS6_9null_typeES8_S8_S8_S8_S8_S8_S8_EEEEZNS1_11reduce_implILb1ES3_NS6_12zip_iteratorINS7_INS6_11hip_rocprim26transform_input_iterator_tIbNSD_35transform_pair_of_input_iterators_tIbNS6_6detail15normal_iteratorINS6_10device_ptrIKiEEEESL_NS6_8equal_toIiEEEENSG_9not_fun_tINSD_8identityEEEEENSD_19counting_iterator_tIlEES8_S8_S8_S8_S8_S8_S8_S8_EEEEPS9_S9_NSD_9__find_if7functorIS9_EEEE10hipError_tPvRmT1_T2_T3_mT4_P12ihipStream_tbEUlT_E0_NS1_11comp_targetILNS1_3genE2ELNS1_11target_archE906ELNS1_3gpuE6ELNS1_3repE0EEENS1_30default_config_static_selectorELNS0_4arch9wavefront6targetE1EEEvS14_.has_dyn_sized_stack, 0
	.set _ZN7rocprim17ROCPRIM_400000_NS6detail17trampoline_kernelINS0_14default_configENS1_22reduce_config_selectorIN6thrust23THRUST_200600_302600_NS5tupleIblNS6_9null_typeES8_S8_S8_S8_S8_S8_S8_EEEEZNS1_11reduce_implILb1ES3_NS6_12zip_iteratorINS7_INS6_11hip_rocprim26transform_input_iterator_tIbNSD_35transform_pair_of_input_iterators_tIbNS6_6detail15normal_iteratorINS6_10device_ptrIKiEEEESL_NS6_8equal_toIiEEEENSG_9not_fun_tINSD_8identityEEEEENSD_19counting_iterator_tIlEES8_S8_S8_S8_S8_S8_S8_S8_EEEEPS9_S9_NSD_9__find_if7functorIS9_EEEE10hipError_tPvRmT1_T2_T3_mT4_P12ihipStream_tbEUlT_E0_NS1_11comp_targetILNS1_3genE2ELNS1_11target_archE906ELNS1_3gpuE6ELNS1_3repE0EEENS1_30default_config_static_selectorELNS0_4arch9wavefront6targetE1EEEvS14_.has_recursion, 0
	.set _ZN7rocprim17ROCPRIM_400000_NS6detail17trampoline_kernelINS0_14default_configENS1_22reduce_config_selectorIN6thrust23THRUST_200600_302600_NS5tupleIblNS6_9null_typeES8_S8_S8_S8_S8_S8_S8_EEEEZNS1_11reduce_implILb1ES3_NS6_12zip_iteratorINS7_INS6_11hip_rocprim26transform_input_iterator_tIbNSD_35transform_pair_of_input_iterators_tIbNS6_6detail15normal_iteratorINS6_10device_ptrIKiEEEESL_NS6_8equal_toIiEEEENSG_9not_fun_tINSD_8identityEEEEENSD_19counting_iterator_tIlEES8_S8_S8_S8_S8_S8_S8_S8_EEEEPS9_S9_NSD_9__find_if7functorIS9_EEEE10hipError_tPvRmT1_T2_T3_mT4_P12ihipStream_tbEUlT_E0_NS1_11comp_targetILNS1_3genE2ELNS1_11target_archE906ELNS1_3gpuE6ELNS1_3repE0EEENS1_30default_config_static_selectorELNS0_4arch9wavefront6targetE1EEEvS14_.has_indirect_call, 0
	.section	.AMDGPU.csdata,"",@progbits
; Kernel info:
; codeLenInByte = 2792
; TotalNumSgprs: 34
; NumVgprs: 14
; ScratchSize: 0
; MemoryBound: 0
; FloatMode: 240
; IeeeMode: 1
; LDSByteSize: 64 bytes/workgroup (compile time only)
; SGPRBlocks: 4
; VGPRBlocks: 3
; NumSGPRsForWavesPerEU: 34
; NumVGPRsForWavesPerEU: 14
; Occupancy: 10
; WaveLimiterHint : 0
; COMPUTE_PGM_RSRC2:SCRATCH_EN: 0
; COMPUTE_PGM_RSRC2:USER_SGPR: 6
; COMPUTE_PGM_RSRC2:TRAP_HANDLER: 0
; COMPUTE_PGM_RSRC2:TGID_X_EN: 1
; COMPUTE_PGM_RSRC2:TGID_Y_EN: 0
; COMPUTE_PGM_RSRC2:TGID_Z_EN: 0
; COMPUTE_PGM_RSRC2:TIDIG_COMP_CNT: 0
	.section	.text._ZN7rocprim17ROCPRIM_400000_NS6detail17trampoline_kernelINS0_14default_configENS1_22reduce_config_selectorIN6thrust23THRUST_200600_302600_NS5tupleIblNS6_9null_typeES8_S8_S8_S8_S8_S8_S8_EEEEZNS1_11reduce_implILb1ES3_NS6_12zip_iteratorINS7_INS6_11hip_rocprim26transform_input_iterator_tIbNSD_35transform_pair_of_input_iterators_tIbNS6_6detail15normal_iteratorINS6_10device_ptrIKiEEEESL_NS6_8equal_toIiEEEENSG_9not_fun_tINSD_8identityEEEEENSD_19counting_iterator_tIlEES8_S8_S8_S8_S8_S8_S8_S8_EEEEPS9_S9_NSD_9__find_if7functorIS9_EEEE10hipError_tPvRmT1_T2_T3_mT4_P12ihipStream_tbEUlT_E0_NS1_11comp_targetILNS1_3genE10ELNS1_11target_archE1201ELNS1_3gpuE5ELNS1_3repE0EEENS1_30default_config_static_selectorELNS0_4arch9wavefront6targetE1EEEvS14_,"axG",@progbits,_ZN7rocprim17ROCPRIM_400000_NS6detail17trampoline_kernelINS0_14default_configENS1_22reduce_config_selectorIN6thrust23THRUST_200600_302600_NS5tupleIblNS6_9null_typeES8_S8_S8_S8_S8_S8_S8_EEEEZNS1_11reduce_implILb1ES3_NS6_12zip_iteratorINS7_INS6_11hip_rocprim26transform_input_iterator_tIbNSD_35transform_pair_of_input_iterators_tIbNS6_6detail15normal_iteratorINS6_10device_ptrIKiEEEESL_NS6_8equal_toIiEEEENSG_9not_fun_tINSD_8identityEEEEENSD_19counting_iterator_tIlEES8_S8_S8_S8_S8_S8_S8_S8_EEEEPS9_S9_NSD_9__find_if7functorIS9_EEEE10hipError_tPvRmT1_T2_T3_mT4_P12ihipStream_tbEUlT_E0_NS1_11comp_targetILNS1_3genE10ELNS1_11target_archE1201ELNS1_3gpuE5ELNS1_3repE0EEENS1_30default_config_static_selectorELNS0_4arch9wavefront6targetE1EEEvS14_,comdat
	.protected	_ZN7rocprim17ROCPRIM_400000_NS6detail17trampoline_kernelINS0_14default_configENS1_22reduce_config_selectorIN6thrust23THRUST_200600_302600_NS5tupleIblNS6_9null_typeES8_S8_S8_S8_S8_S8_S8_EEEEZNS1_11reduce_implILb1ES3_NS6_12zip_iteratorINS7_INS6_11hip_rocprim26transform_input_iterator_tIbNSD_35transform_pair_of_input_iterators_tIbNS6_6detail15normal_iteratorINS6_10device_ptrIKiEEEESL_NS6_8equal_toIiEEEENSG_9not_fun_tINSD_8identityEEEEENSD_19counting_iterator_tIlEES8_S8_S8_S8_S8_S8_S8_S8_EEEEPS9_S9_NSD_9__find_if7functorIS9_EEEE10hipError_tPvRmT1_T2_T3_mT4_P12ihipStream_tbEUlT_E0_NS1_11comp_targetILNS1_3genE10ELNS1_11target_archE1201ELNS1_3gpuE5ELNS1_3repE0EEENS1_30default_config_static_selectorELNS0_4arch9wavefront6targetE1EEEvS14_ ; -- Begin function _ZN7rocprim17ROCPRIM_400000_NS6detail17trampoline_kernelINS0_14default_configENS1_22reduce_config_selectorIN6thrust23THRUST_200600_302600_NS5tupleIblNS6_9null_typeES8_S8_S8_S8_S8_S8_S8_EEEEZNS1_11reduce_implILb1ES3_NS6_12zip_iteratorINS7_INS6_11hip_rocprim26transform_input_iterator_tIbNSD_35transform_pair_of_input_iterators_tIbNS6_6detail15normal_iteratorINS6_10device_ptrIKiEEEESL_NS6_8equal_toIiEEEENSG_9not_fun_tINSD_8identityEEEEENSD_19counting_iterator_tIlEES8_S8_S8_S8_S8_S8_S8_S8_EEEEPS9_S9_NSD_9__find_if7functorIS9_EEEE10hipError_tPvRmT1_T2_T3_mT4_P12ihipStream_tbEUlT_E0_NS1_11comp_targetILNS1_3genE10ELNS1_11target_archE1201ELNS1_3gpuE5ELNS1_3repE0EEENS1_30default_config_static_selectorELNS0_4arch9wavefront6targetE1EEEvS14_
	.globl	_ZN7rocprim17ROCPRIM_400000_NS6detail17trampoline_kernelINS0_14default_configENS1_22reduce_config_selectorIN6thrust23THRUST_200600_302600_NS5tupleIblNS6_9null_typeES8_S8_S8_S8_S8_S8_S8_EEEEZNS1_11reduce_implILb1ES3_NS6_12zip_iteratorINS7_INS6_11hip_rocprim26transform_input_iterator_tIbNSD_35transform_pair_of_input_iterators_tIbNS6_6detail15normal_iteratorINS6_10device_ptrIKiEEEESL_NS6_8equal_toIiEEEENSG_9not_fun_tINSD_8identityEEEEENSD_19counting_iterator_tIlEES8_S8_S8_S8_S8_S8_S8_S8_EEEEPS9_S9_NSD_9__find_if7functorIS9_EEEE10hipError_tPvRmT1_T2_T3_mT4_P12ihipStream_tbEUlT_E0_NS1_11comp_targetILNS1_3genE10ELNS1_11target_archE1201ELNS1_3gpuE5ELNS1_3repE0EEENS1_30default_config_static_selectorELNS0_4arch9wavefront6targetE1EEEvS14_
	.p2align	8
	.type	_ZN7rocprim17ROCPRIM_400000_NS6detail17trampoline_kernelINS0_14default_configENS1_22reduce_config_selectorIN6thrust23THRUST_200600_302600_NS5tupleIblNS6_9null_typeES8_S8_S8_S8_S8_S8_S8_EEEEZNS1_11reduce_implILb1ES3_NS6_12zip_iteratorINS7_INS6_11hip_rocprim26transform_input_iterator_tIbNSD_35transform_pair_of_input_iterators_tIbNS6_6detail15normal_iteratorINS6_10device_ptrIKiEEEESL_NS6_8equal_toIiEEEENSG_9not_fun_tINSD_8identityEEEEENSD_19counting_iterator_tIlEES8_S8_S8_S8_S8_S8_S8_S8_EEEEPS9_S9_NSD_9__find_if7functorIS9_EEEE10hipError_tPvRmT1_T2_T3_mT4_P12ihipStream_tbEUlT_E0_NS1_11comp_targetILNS1_3genE10ELNS1_11target_archE1201ELNS1_3gpuE5ELNS1_3repE0EEENS1_30default_config_static_selectorELNS0_4arch9wavefront6targetE1EEEvS14_,@function
_ZN7rocprim17ROCPRIM_400000_NS6detail17trampoline_kernelINS0_14default_configENS1_22reduce_config_selectorIN6thrust23THRUST_200600_302600_NS5tupleIblNS6_9null_typeES8_S8_S8_S8_S8_S8_S8_EEEEZNS1_11reduce_implILb1ES3_NS6_12zip_iteratorINS7_INS6_11hip_rocprim26transform_input_iterator_tIbNSD_35transform_pair_of_input_iterators_tIbNS6_6detail15normal_iteratorINS6_10device_ptrIKiEEEESL_NS6_8equal_toIiEEEENSG_9not_fun_tINSD_8identityEEEEENSD_19counting_iterator_tIlEES8_S8_S8_S8_S8_S8_S8_S8_EEEEPS9_S9_NSD_9__find_if7functorIS9_EEEE10hipError_tPvRmT1_T2_T3_mT4_P12ihipStream_tbEUlT_E0_NS1_11comp_targetILNS1_3genE10ELNS1_11target_archE1201ELNS1_3gpuE5ELNS1_3repE0EEENS1_30default_config_static_selectorELNS0_4arch9wavefront6targetE1EEEvS14_: ; @_ZN7rocprim17ROCPRIM_400000_NS6detail17trampoline_kernelINS0_14default_configENS1_22reduce_config_selectorIN6thrust23THRUST_200600_302600_NS5tupleIblNS6_9null_typeES8_S8_S8_S8_S8_S8_S8_EEEEZNS1_11reduce_implILb1ES3_NS6_12zip_iteratorINS7_INS6_11hip_rocprim26transform_input_iterator_tIbNSD_35transform_pair_of_input_iterators_tIbNS6_6detail15normal_iteratorINS6_10device_ptrIKiEEEESL_NS6_8equal_toIiEEEENSG_9not_fun_tINSD_8identityEEEEENSD_19counting_iterator_tIlEES8_S8_S8_S8_S8_S8_S8_S8_EEEEPS9_S9_NSD_9__find_if7functorIS9_EEEE10hipError_tPvRmT1_T2_T3_mT4_P12ihipStream_tbEUlT_E0_NS1_11comp_targetILNS1_3genE10ELNS1_11target_archE1201ELNS1_3gpuE5ELNS1_3repE0EEENS1_30default_config_static_selectorELNS0_4arch9wavefront6targetE1EEEvS14_
; %bb.0:
	.section	.rodata,"a",@progbits
	.p2align	6, 0x0
	.amdhsa_kernel _ZN7rocprim17ROCPRIM_400000_NS6detail17trampoline_kernelINS0_14default_configENS1_22reduce_config_selectorIN6thrust23THRUST_200600_302600_NS5tupleIblNS6_9null_typeES8_S8_S8_S8_S8_S8_S8_EEEEZNS1_11reduce_implILb1ES3_NS6_12zip_iteratorINS7_INS6_11hip_rocprim26transform_input_iterator_tIbNSD_35transform_pair_of_input_iterators_tIbNS6_6detail15normal_iteratorINS6_10device_ptrIKiEEEESL_NS6_8equal_toIiEEEENSG_9not_fun_tINSD_8identityEEEEENSD_19counting_iterator_tIlEES8_S8_S8_S8_S8_S8_S8_S8_EEEEPS9_S9_NSD_9__find_if7functorIS9_EEEE10hipError_tPvRmT1_T2_T3_mT4_P12ihipStream_tbEUlT_E0_NS1_11comp_targetILNS1_3genE10ELNS1_11target_archE1201ELNS1_3gpuE5ELNS1_3repE0EEENS1_30default_config_static_selectorELNS0_4arch9wavefront6targetE1EEEvS14_
		.amdhsa_group_segment_fixed_size 0
		.amdhsa_private_segment_fixed_size 0
		.amdhsa_kernarg_size 104
		.amdhsa_user_sgpr_count 6
		.amdhsa_user_sgpr_private_segment_buffer 1
		.amdhsa_user_sgpr_dispatch_ptr 0
		.amdhsa_user_sgpr_queue_ptr 0
		.amdhsa_user_sgpr_kernarg_segment_ptr 1
		.amdhsa_user_sgpr_dispatch_id 0
		.amdhsa_user_sgpr_flat_scratch_init 0
		.amdhsa_user_sgpr_private_segment_size 0
		.amdhsa_uses_dynamic_stack 0
		.amdhsa_system_sgpr_private_segment_wavefront_offset 0
		.amdhsa_system_sgpr_workgroup_id_x 1
		.amdhsa_system_sgpr_workgroup_id_y 0
		.amdhsa_system_sgpr_workgroup_id_z 0
		.amdhsa_system_sgpr_workgroup_info 0
		.amdhsa_system_vgpr_workitem_id 0
		.amdhsa_next_free_vgpr 1
		.amdhsa_next_free_sgpr 0
		.amdhsa_reserve_vcc 0
		.amdhsa_reserve_flat_scratch 0
		.amdhsa_float_round_mode_32 0
		.amdhsa_float_round_mode_16_64 0
		.amdhsa_float_denorm_mode_32 3
		.amdhsa_float_denorm_mode_16_64 3
		.amdhsa_dx10_clamp 1
		.amdhsa_ieee_mode 1
		.amdhsa_fp16_overflow 0
		.amdhsa_exception_fp_ieee_invalid_op 0
		.amdhsa_exception_fp_denorm_src 0
		.amdhsa_exception_fp_ieee_div_zero 0
		.amdhsa_exception_fp_ieee_overflow 0
		.amdhsa_exception_fp_ieee_underflow 0
		.amdhsa_exception_fp_ieee_inexact 0
		.amdhsa_exception_int_div_zero 0
	.end_amdhsa_kernel
	.section	.text._ZN7rocprim17ROCPRIM_400000_NS6detail17trampoline_kernelINS0_14default_configENS1_22reduce_config_selectorIN6thrust23THRUST_200600_302600_NS5tupleIblNS6_9null_typeES8_S8_S8_S8_S8_S8_S8_EEEEZNS1_11reduce_implILb1ES3_NS6_12zip_iteratorINS7_INS6_11hip_rocprim26transform_input_iterator_tIbNSD_35transform_pair_of_input_iterators_tIbNS6_6detail15normal_iteratorINS6_10device_ptrIKiEEEESL_NS6_8equal_toIiEEEENSG_9not_fun_tINSD_8identityEEEEENSD_19counting_iterator_tIlEES8_S8_S8_S8_S8_S8_S8_S8_EEEEPS9_S9_NSD_9__find_if7functorIS9_EEEE10hipError_tPvRmT1_T2_T3_mT4_P12ihipStream_tbEUlT_E0_NS1_11comp_targetILNS1_3genE10ELNS1_11target_archE1201ELNS1_3gpuE5ELNS1_3repE0EEENS1_30default_config_static_selectorELNS0_4arch9wavefront6targetE1EEEvS14_,"axG",@progbits,_ZN7rocprim17ROCPRIM_400000_NS6detail17trampoline_kernelINS0_14default_configENS1_22reduce_config_selectorIN6thrust23THRUST_200600_302600_NS5tupleIblNS6_9null_typeES8_S8_S8_S8_S8_S8_S8_EEEEZNS1_11reduce_implILb1ES3_NS6_12zip_iteratorINS7_INS6_11hip_rocprim26transform_input_iterator_tIbNSD_35transform_pair_of_input_iterators_tIbNS6_6detail15normal_iteratorINS6_10device_ptrIKiEEEESL_NS6_8equal_toIiEEEENSG_9not_fun_tINSD_8identityEEEEENSD_19counting_iterator_tIlEES8_S8_S8_S8_S8_S8_S8_S8_EEEEPS9_S9_NSD_9__find_if7functorIS9_EEEE10hipError_tPvRmT1_T2_T3_mT4_P12ihipStream_tbEUlT_E0_NS1_11comp_targetILNS1_3genE10ELNS1_11target_archE1201ELNS1_3gpuE5ELNS1_3repE0EEENS1_30default_config_static_selectorELNS0_4arch9wavefront6targetE1EEEvS14_,comdat
.Lfunc_end542:
	.size	_ZN7rocprim17ROCPRIM_400000_NS6detail17trampoline_kernelINS0_14default_configENS1_22reduce_config_selectorIN6thrust23THRUST_200600_302600_NS5tupleIblNS6_9null_typeES8_S8_S8_S8_S8_S8_S8_EEEEZNS1_11reduce_implILb1ES3_NS6_12zip_iteratorINS7_INS6_11hip_rocprim26transform_input_iterator_tIbNSD_35transform_pair_of_input_iterators_tIbNS6_6detail15normal_iteratorINS6_10device_ptrIKiEEEESL_NS6_8equal_toIiEEEENSG_9not_fun_tINSD_8identityEEEEENSD_19counting_iterator_tIlEES8_S8_S8_S8_S8_S8_S8_S8_EEEEPS9_S9_NSD_9__find_if7functorIS9_EEEE10hipError_tPvRmT1_T2_T3_mT4_P12ihipStream_tbEUlT_E0_NS1_11comp_targetILNS1_3genE10ELNS1_11target_archE1201ELNS1_3gpuE5ELNS1_3repE0EEENS1_30default_config_static_selectorELNS0_4arch9wavefront6targetE1EEEvS14_, .Lfunc_end542-_ZN7rocprim17ROCPRIM_400000_NS6detail17trampoline_kernelINS0_14default_configENS1_22reduce_config_selectorIN6thrust23THRUST_200600_302600_NS5tupleIblNS6_9null_typeES8_S8_S8_S8_S8_S8_S8_EEEEZNS1_11reduce_implILb1ES3_NS6_12zip_iteratorINS7_INS6_11hip_rocprim26transform_input_iterator_tIbNSD_35transform_pair_of_input_iterators_tIbNS6_6detail15normal_iteratorINS6_10device_ptrIKiEEEESL_NS6_8equal_toIiEEEENSG_9not_fun_tINSD_8identityEEEEENSD_19counting_iterator_tIlEES8_S8_S8_S8_S8_S8_S8_S8_EEEEPS9_S9_NSD_9__find_if7functorIS9_EEEE10hipError_tPvRmT1_T2_T3_mT4_P12ihipStream_tbEUlT_E0_NS1_11comp_targetILNS1_3genE10ELNS1_11target_archE1201ELNS1_3gpuE5ELNS1_3repE0EEENS1_30default_config_static_selectorELNS0_4arch9wavefront6targetE1EEEvS14_
                                        ; -- End function
	.set _ZN7rocprim17ROCPRIM_400000_NS6detail17trampoline_kernelINS0_14default_configENS1_22reduce_config_selectorIN6thrust23THRUST_200600_302600_NS5tupleIblNS6_9null_typeES8_S8_S8_S8_S8_S8_S8_EEEEZNS1_11reduce_implILb1ES3_NS6_12zip_iteratorINS7_INS6_11hip_rocprim26transform_input_iterator_tIbNSD_35transform_pair_of_input_iterators_tIbNS6_6detail15normal_iteratorINS6_10device_ptrIKiEEEESL_NS6_8equal_toIiEEEENSG_9not_fun_tINSD_8identityEEEEENSD_19counting_iterator_tIlEES8_S8_S8_S8_S8_S8_S8_S8_EEEEPS9_S9_NSD_9__find_if7functorIS9_EEEE10hipError_tPvRmT1_T2_T3_mT4_P12ihipStream_tbEUlT_E0_NS1_11comp_targetILNS1_3genE10ELNS1_11target_archE1201ELNS1_3gpuE5ELNS1_3repE0EEENS1_30default_config_static_selectorELNS0_4arch9wavefront6targetE1EEEvS14_.num_vgpr, 0
	.set _ZN7rocprim17ROCPRIM_400000_NS6detail17trampoline_kernelINS0_14default_configENS1_22reduce_config_selectorIN6thrust23THRUST_200600_302600_NS5tupleIblNS6_9null_typeES8_S8_S8_S8_S8_S8_S8_EEEEZNS1_11reduce_implILb1ES3_NS6_12zip_iteratorINS7_INS6_11hip_rocprim26transform_input_iterator_tIbNSD_35transform_pair_of_input_iterators_tIbNS6_6detail15normal_iteratorINS6_10device_ptrIKiEEEESL_NS6_8equal_toIiEEEENSG_9not_fun_tINSD_8identityEEEEENSD_19counting_iterator_tIlEES8_S8_S8_S8_S8_S8_S8_S8_EEEEPS9_S9_NSD_9__find_if7functorIS9_EEEE10hipError_tPvRmT1_T2_T3_mT4_P12ihipStream_tbEUlT_E0_NS1_11comp_targetILNS1_3genE10ELNS1_11target_archE1201ELNS1_3gpuE5ELNS1_3repE0EEENS1_30default_config_static_selectorELNS0_4arch9wavefront6targetE1EEEvS14_.num_agpr, 0
	.set _ZN7rocprim17ROCPRIM_400000_NS6detail17trampoline_kernelINS0_14default_configENS1_22reduce_config_selectorIN6thrust23THRUST_200600_302600_NS5tupleIblNS6_9null_typeES8_S8_S8_S8_S8_S8_S8_EEEEZNS1_11reduce_implILb1ES3_NS6_12zip_iteratorINS7_INS6_11hip_rocprim26transform_input_iterator_tIbNSD_35transform_pair_of_input_iterators_tIbNS6_6detail15normal_iteratorINS6_10device_ptrIKiEEEESL_NS6_8equal_toIiEEEENSG_9not_fun_tINSD_8identityEEEEENSD_19counting_iterator_tIlEES8_S8_S8_S8_S8_S8_S8_S8_EEEEPS9_S9_NSD_9__find_if7functorIS9_EEEE10hipError_tPvRmT1_T2_T3_mT4_P12ihipStream_tbEUlT_E0_NS1_11comp_targetILNS1_3genE10ELNS1_11target_archE1201ELNS1_3gpuE5ELNS1_3repE0EEENS1_30default_config_static_selectorELNS0_4arch9wavefront6targetE1EEEvS14_.numbered_sgpr, 0
	.set _ZN7rocprim17ROCPRIM_400000_NS6detail17trampoline_kernelINS0_14default_configENS1_22reduce_config_selectorIN6thrust23THRUST_200600_302600_NS5tupleIblNS6_9null_typeES8_S8_S8_S8_S8_S8_S8_EEEEZNS1_11reduce_implILb1ES3_NS6_12zip_iteratorINS7_INS6_11hip_rocprim26transform_input_iterator_tIbNSD_35transform_pair_of_input_iterators_tIbNS6_6detail15normal_iteratorINS6_10device_ptrIKiEEEESL_NS6_8equal_toIiEEEENSG_9not_fun_tINSD_8identityEEEEENSD_19counting_iterator_tIlEES8_S8_S8_S8_S8_S8_S8_S8_EEEEPS9_S9_NSD_9__find_if7functorIS9_EEEE10hipError_tPvRmT1_T2_T3_mT4_P12ihipStream_tbEUlT_E0_NS1_11comp_targetILNS1_3genE10ELNS1_11target_archE1201ELNS1_3gpuE5ELNS1_3repE0EEENS1_30default_config_static_selectorELNS0_4arch9wavefront6targetE1EEEvS14_.num_named_barrier, 0
	.set _ZN7rocprim17ROCPRIM_400000_NS6detail17trampoline_kernelINS0_14default_configENS1_22reduce_config_selectorIN6thrust23THRUST_200600_302600_NS5tupleIblNS6_9null_typeES8_S8_S8_S8_S8_S8_S8_EEEEZNS1_11reduce_implILb1ES3_NS6_12zip_iteratorINS7_INS6_11hip_rocprim26transform_input_iterator_tIbNSD_35transform_pair_of_input_iterators_tIbNS6_6detail15normal_iteratorINS6_10device_ptrIKiEEEESL_NS6_8equal_toIiEEEENSG_9not_fun_tINSD_8identityEEEEENSD_19counting_iterator_tIlEES8_S8_S8_S8_S8_S8_S8_S8_EEEEPS9_S9_NSD_9__find_if7functorIS9_EEEE10hipError_tPvRmT1_T2_T3_mT4_P12ihipStream_tbEUlT_E0_NS1_11comp_targetILNS1_3genE10ELNS1_11target_archE1201ELNS1_3gpuE5ELNS1_3repE0EEENS1_30default_config_static_selectorELNS0_4arch9wavefront6targetE1EEEvS14_.private_seg_size, 0
	.set _ZN7rocprim17ROCPRIM_400000_NS6detail17trampoline_kernelINS0_14default_configENS1_22reduce_config_selectorIN6thrust23THRUST_200600_302600_NS5tupleIblNS6_9null_typeES8_S8_S8_S8_S8_S8_S8_EEEEZNS1_11reduce_implILb1ES3_NS6_12zip_iteratorINS7_INS6_11hip_rocprim26transform_input_iterator_tIbNSD_35transform_pair_of_input_iterators_tIbNS6_6detail15normal_iteratorINS6_10device_ptrIKiEEEESL_NS6_8equal_toIiEEEENSG_9not_fun_tINSD_8identityEEEEENSD_19counting_iterator_tIlEES8_S8_S8_S8_S8_S8_S8_S8_EEEEPS9_S9_NSD_9__find_if7functorIS9_EEEE10hipError_tPvRmT1_T2_T3_mT4_P12ihipStream_tbEUlT_E0_NS1_11comp_targetILNS1_3genE10ELNS1_11target_archE1201ELNS1_3gpuE5ELNS1_3repE0EEENS1_30default_config_static_selectorELNS0_4arch9wavefront6targetE1EEEvS14_.uses_vcc, 0
	.set _ZN7rocprim17ROCPRIM_400000_NS6detail17trampoline_kernelINS0_14default_configENS1_22reduce_config_selectorIN6thrust23THRUST_200600_302600_NS5tupleIblNS6_9null_typeES8_S8_S8_S8_S8_S8_S8_EEEEZNS1_11reduce_implILb1ES3_NS6_12zip_iteratorINS7_INS6_11hip_rocprim26transform_input_iterator_tIbNSD_35transform_pair_of_input_iterators_tIbNS6_6detail15normal_iteratorINS6_10device_ptrIKiEEEESL_NS6_8equal_toIiEEEENSG_9not_fun_tINSD_8identityEEEEENSD_19counting_iterator_tIlEES8_S8_S8_S8_S8_S8_S8_S8_EEEEPS9_S9_NSD_9__find_if7functorIS9_EEEE10hipError_tPvRmT1_T2_T3_mT4_P12ihipStream_tbEUlT_E0_NS1_11comp_targetILNS1_3genE10ELNS1_11target_archE1201ELNS1_3gpuE5ELNS1_3repE0EEENS1_30default_config_static_selectorELNS0_4arch9wavefront6targetE1EEEvS14_.uses_flat_scratch, 0
	.set _ZN7rocprim17ROCPRIM_400000_NS6detail17trampoline_kernelINS0_14default_configENS1_22reduce_config_selectorIN6thrust23THRUST_200600_302600_NS5tupleIblNS6_9null_typeES8_S8_S8_S8_S8_S8_S8_EEEEZNS1_11reduce_implILb1ES3_NS6_12zip_iteratorINS7_INS6_11hip_rocprim26transform_input_iterator_tIbNSD_35transform_pair_of_input_iterators_tIbNS6_6detail15normal_iteratorINS6_10device_ptrIKiEEEESL_NS6_8equal_toIiEEEENSG_9not_fun_tINSD_8identityEEEEENSD_19counting_iterator_tIlEES8_S8_S8_S8_S8_S8_S8_S8_EEEEPS9_S9_NSD_9__find_if7functorIS9_EEEE10hipError_tPvRmT1_T2_T3_mT4_P12ihipStream_tbEUlT_E0_NS1_11comp_targetILNS1_3genE10ELNS1_11target_archE1201ELNS1_3gpuE5ELNS1_3repE0EEENS1_30default_config_static_selectorELNS0_4arch9wavefront6targetE1EEEvS14_.has_dyn_sized_stack, 0
	.set _ZN7rocprim17ROCPRIM_400000_NS6detail17trampoline_kernelINS0_14default_configENS1_22reduce_config_selectorIN6thrust23THRUST_200600_302600_NS5tupleIblNS6_9null_typeES8_S8_S8_S8_S8_S8_S8_EEEEZNS1_11reduce_implILb1ES3_NS6_12zip_iteratorINS7_INS6_11hip_rocprim26transform_input_iterator_tIbNSD_35transform_pair_of_input_iterators_tIbNS6_6detail15normal_iteratorINS6_10device_ptrIKiEEEESL_NS6_8equal_toIiEEEENSG_9not_fun_tINSD_8identityEEEEENSD_19counting_iterator_tIlEES8_S8_S8_S8_S8_S8_S8_S8_EEEEPS9_S9_NSD_9__find_if7functorIS9_EEEE10hipError_tPvRmT1_T2_T3_mT4_P12ihipStream_tbEUlT_E0_NS1_11comp_targetILNS1_3genE10ELNS1_11target_archE1201ELNS1_3gpuE5ELNS1_3repE0EEENS1_30default_config_static_selectorELNS0_4arch9wavefront6targetE1EEEvS14_.has_recursion, 0
	.set _ZN7rocprim17ROCPRIM_400000_NS6detail17trampoline_kernelINS0_14default_configENS1_22reduce_config_selectorIN6thrust23THRUST_200600_302600_NS5tupleIblNS6_9null_typeES8_S8_S8_S8_S8_S8_S8_EEEEZNS1_11reduce_implILb1ES3_NS6_12zip_iteratorINS7_INS6_11hip_rocprim26transform_input_iterator_tIbNSD_35transform_pair_of_input_iterators_tIbNS6_6detail15normal_iteratorINS6_10device_ptrIKiEEEESL_NS6_8equal_toIiEEEENSG_9not_fun_tINSD_8identityEEEEENSD_19counting_iterator_tIlEES8_S8_S8_S8_S8_S8_S8_S8_EEEEPS9_S9_NSD_9__find_if7functorIS9_EEEE10hipError_tPvRmT1_T2_T3_mT4_P12ihipStream_tbEUlT_E0_NS1_11comp_targetILNS1_3genE10ELNS1_11target_archE1201ELNS1_3gpuE5ELNS1_3repE0EEENS1_30default_config_static_selectorELNS0_4arch9wavefront6targetE1EEEvS14_.has_indirect_call, 0
	.section	.AMDGPU.csdata,"",@progbits
; Kernel info:
; codeLenInByte = 0
; TotalNumSgprs: 4
; NumVgprs: 0
; ScratchSize: 0
; MemoryBound: 0
; FloatMode: 240
; IeeeMode: 1
; LDSByteSize: 0 bytes/workgroup (compile time only)
; SGPRBlocks: 0
; VGPRBlocks: 0
; NumSGPRsForWavesPerEU: 4
; NumVGPRsForWavesPerEU: 1
; Occupancy: 10
; WaveLimiterHint : 0
; COMPUTE_PGM_RSRC2:SCRATCH_EN: 0
; COMPUTE_PGM_RSRC2:USER_SGPR: 6
; COMPUTE_PGM_RSRC2:TRAP_HANDLER: 0
; COMPUTE_PGM_RSRC2:TGID_X_EN: 1
; COMPUTE_PGM_RSRC2:TGID_Y_EN: 0
; COMPUTE_PGM_RSRC2:TGID_Z_EN: 0
; COMPUTE_PGM_RSRC2:TIDIG_COMP_CNT: 0
	.section	.text._ZN7rocprim17ROCPRIM_400000_NS6detail17trampoline_kernelINS0_14default_configENS1_22reduce_config_selectorIN6thrust23THRUST_200600_302600_NS5tupleIblNS6_9null_typeES8_S8_S8_S8_S8_S8_S8_EEEEZNS1_11reduce_implILb1ES3_NS6_12zip_iteratorINS7_INS6_11hip_rocprim26transform_input_iterator_tIbNSD_35transform_pair_of_input_iterators_tIbNS6_6detail15normal_iteratorINS6_10device_ptrIKiEEEESL_NS6_8equal_toIiEEEENSG_9not_fun_tINSD_8identityEEEEENSD_19counting_iterator_tIlEES8_S8_S8_S8_S8_S8_S8_S8_EEEEPS9_S9_NSD_9__find_if7functorIS9_EEEE10hipError_tPvRmT1_T2_T3_mT4_P12ihipStream_tbEUlT_E0_NS1_11comp_targetILNS1_3genE10ELNS1_11target_archE1200ELNS1_3gpuE4ELNS1_3repE0EEENS1_30default_config_static_selectorELNS0_4arch9wavefront6targetE1EEEvS14_,"axG",@progbits,_ZN7rocprim17ROCPRIM_400000_NS6detail17trampoline_kernelINS0_14default_configENS1_22reduce_config_selectorIN6thrust23THRUST_200600_302600_NS5tupleIblNS6_9null_typeES8_S8_S8_S8_S8_S8_S8_EEEEZNS1_11reduce_implILb1ES3_NS6_12zip_iteratorINS7_INS6_11hip_rocprim26transform_input_iterator_tIbNSD_35transform_pair_of_input_iterators_tIbNS6_6detail15normal_iteratorINS6_10device_ptrIKiEEEESL_NS6_8equal_toIiEEEENSG_9not_fun_tINSD_8identityEEEEENSD_19counting_iterator_tIlEES8_S8_S8_S8_S8_S8_S8_S8_EEEEPS9_S9_NSD_9__find_if7functorIS9_EEEE10hipError_tPvRmT1_T2_T3_mT4_P12ihipStream_tbEUlT_E0_NS1_11comp_targetILNS1_3genE10ELNS1_11target_archE1200ELNS1_3gpuE4ELNS1_3repE0EEENS1_30default_config_static_selectorELNS0_4arch9wavefront6targetE1EEEvS14_,comdat
	.protected	_ZN7rocprim17ROCPRIM_400000_NS6detail17trampoline_kernelINS0_14default_configENS1_22reduce_config_selectorIN6thrust23THRUST_200600_302600_NS5tupleIblNS6_9null_typeES8_S8_S8_S8_S8_S8_S8_EEEEZNS1_11reduce_implILb1ES3_NS6_12zip_iteratorINS7_INS6_11hip_rocprim26transform_input_iterator_tIbNSD_35transform_pair_of_input_iterators_tIbNS6_6detail15normal_iteratorINS6_10device_ptrIKiEEEESL_NS6_8equal_toIiEEEENSG_9not_fun_tINSD_8identityEEEEENSD_19counting_iterator_tIlEES8_S8_S8_S8_S8_S8_S8_S8_EEEEPS9_S9_NSD_9__find_if7functorIS9_EEEE10hipError_tPvRmT1_T2_T3_mT4_P12ihipStream_tbEUlT_E0_NS1_11comp_targetILNS1_3genE10ELNS1_11target_archE1200ELNS1_3gpuE4ELNS1_3repE0EEENS1_30default_config_static_selectorELNS0_4arch9wavefront6targetE1EEEvS14_ ; -- Begin function _ZN7rocprim17ROCPRIM_400000_NS6detail17trampoline_kernelINS0_14default_configENS1_22reduce_config_selectorIN6thrust23THRUST_200600_302600_NS5tupleIblNS6_9null_typeES8_S8_S8_S8_S8_S8_S8_EEEEZNS1_11reduce_implILb1ES3_NS6_12zip_iteratorINS7_INS6_11hip_rocprim26transform_input_iterator_tIbNSD_35transform_pair_of_input_iterators_tIbNS6_6detail15normal_iteratorINS6_10device_ptrIKiEEEESL_NS6_8equal_toIiEEEENSG_9not_fun_tINSD_8identityEEEEENSD_19counting_iterator_tIlEES8_S8_S8_S8_S8_S8_S8_S8_EEEEPS9_S9_NSD_9__find_if7functorIS9_EEEE10hipError_tPvRmT1_T2_T3_mT4_P12ihipStream_tbEUlT_E0_NS1_11comp_targetILNS1_3genE10ELNS1_11target_archE1200ELNS1_3gpuE4ELNS1_3repE0EEENS1_30default_config_static_selectorELNS0_4arch9wavefront6targetE1EEEvS14_
	.globl	_ZN7rocprim17ROCPRIM_400000_NS6detail17trampoline_kernelINS0_14default_configENS1_22reduce_config_selectorIN6thrust23THRUST_200600_302600_NS5tupleIblNS6_9null_typeES8_S8_S8_S8_S8_S8_S8_EEEEZNS1_11reduce_implILb1ES3_NS6_12zip_iteratorINS7_INS6_11hip_rocprim26transform_input_iterator_tIbNSD_35transform_pair_of_input_iterators_tIbNS6_6detail15normal_iteratorINS6_10device_ptrIKiEEEESL_NS6_8equal_toIiEEEENSG_9not_fun_tINSD_8identityEEEEENSD_19counting_iterator_tIlEES8_S8_S8_S8_S8_S8_S8_S8_EEEEPS9_S9_NSD_9__find_if7functorIS9_EEEE10hipError_tPvRmT1_T2_T3_mT4_P12ihipStream_tbEUlT_E0_NS1_11comp_targetILNS1_3genE10ELNS1_11target_archE1200ELNS1_3gpuE4ELNS1_3repE0EEENS1_30default_config_static_selectorELNS0_4arch9wavefront6targetE1EEEvS14_
	.p2align	8
	.type	_ZN7rocprim17ROCPRIM_400000_NS6detail17trampoline_kernelINS0_14default_configENS1_22reduce_config_selectorIN6thrust23THRUST_200600_302600_NS5tupleIblNS6_9null_typeES8_S8_S8_S8_S8_S8_S8_EEEEZNS1_11reduce_implILb1ES3_NS6_12zip_iteratorINS7_INS6_11hip_rocprim26transform_input_iterator_tIbNSD_35transform_pair_of_input_iterators_tIbNS6_6detail15normal_iteratorINS6_10device_ptrIKiEEEESL_NS6_8equal_toIiEEEENSG_9not_fun_tINSD_8identityEEEEENSD_19counting_iterator_tIlEES8_S8_S8_S8_S8_S8_S8_S8_EEEEPS9_S9_NSD_9__find_if7functorIS9_EEEE10hipError_tPvRmT1_T2_T3_mT4_P12ihipStream_tbEUlT_E0_NS1_11comp_targetILNS1_3genE10ELNS1_11target_archE1200ELNS1_3gpuE4ELNS1_3repE0EEENS1_30default_config_static_selectorELNS0_4arch9wavefront6targetE1EEEvS14_,@function
_ZN7rocprim17ROCPRIM_400000_NS6detail17trampoline_kernelINS0_14default_configENS1_22reduce_config_selectorIN6thrust23THRUST_200600_302600_NS5tupleIblNS6_9null_typeES8_S8_S8_S8_S8_S8_S8_EEEEZNS1_11reduce_implILb1ES3_NS6_12zip_iteratorINS7_INS6_11hip_rocprim26transform_input_iterator_tIbNSD_35transform_pair_of_input_iterators_tIbNS6_6detail15normal_iteratorINS6_10device_ptrIKiEEEESL_NS6_8equal_toIiEEEENSG_9not_fun_tINSD_8identityEEEEENSD_19counting_iterator_tIlEES8_S8_S8_S8_S8_S8_S8_S8_EEEEPS9_S9_NSD_9__find_if7functorIS9_EEEE10hipError_tPvRmT1_T2_T3_mT4_P12ihipStream_tbEUlT_E0_NS1_11comp_targetILNS1_3genE10ELNS1_11target_archE1200ELNS1_3gpuE4ELNS1_3repE0EEENS1_30default_config_static_selectorELNS0_4arch9wavefront6targetE1EEEvS14_: ; @_ZN7rocprim17ROCPRIM_400000_NS6detail17trampoline_kernelINS0_14default_configENS1_22reduce_config_selectorIN6thrust23THRUST_200600_302600_NS5tupleIblNS6_9null_typeES8_S8_S8_S8_S8_S8_S8_EEEEZNS1_11reduce_implILb1ES3_NS6_12zip_iteratorINS7_INS6_11hip_rocprim26transform_input_iterator_tIbNSD_35transform_pair_of_input_iterators_tIbNS6_6detail15normal_iteratorINS6_10device_ptrIKiEEEESL_NS6_8equal_toIiEEEENSG_9not_fun_tINSD_8identityEEEEENSD_19counting_iterator_tIlEES8_S8_S8_S8_S8_S8_S8_S8_EEEEPS9_S9_NSD_9__find_if7functorIS9_EEEE10hipError_tPvRmT1_T2_T3_mT4_P12ihipStream_tbEUlT_E0_NS1_11comp_targetILNS1_3genE10ELNS1_11target_archE1200ELNS1_3gpuE4ELNS1_3repE0EEENS1_30default_config_static_selectorELNS0_4arch9wavefront6targetE1EEEvS14_
; %bb.0:
	.section	.rodata,"a",@progbits
	.p2align	6, 0x0
	.amdhsa_kernel _ZN7rocprim17ROCPRIM_400000_NS6detail17trampoline_kernelINS0_14default_configENS1_22reduce_config_selectorIN6thrust23THRUST_200600_302600_NS5tupleIblNS6_9null_typeES8_S8_S8_S8_S8_S8_S8_EEEEZNS1_11reduce_implILb1ES3_NS6_12zip_iteratorINS7_INS6_11hip_rocprim26transform_input_iterator_tIbNSD_35transform_pair_of_input_iterators_tIbNS6_6detail15normal_iteratorINS6_10device_ptrIKiEEEESL_NS6_8equal_toIiEEEENSG_9not_fun_tINSD_8identityEEEEENSD_19counting_iterator_tIlEES8_S8_S8_S8_S8_S8_S8_S8_EEEEPS9_S9_NSD_9__find_if7functorIS9_EEEE10hipError_tPvRmT1_T2_T3_mT4_P12ihipStream_tbEUlT_E0_NS1_11comp_targetILNS1_3genE10ELNS1_11target_archE1200ELNS1_3gpuE4ELNS1_3repE0EEENS1_30default_config_static_selectorELNS0_4arch9wavefront6targetE1EEEvS14_
		.amdhsa_group_segment_fixed_size 0
		.amdhsa_private_segment_fixed_size 0
		.amdhsa_kernarg_size 104
		.amdhsa_user_sgpr_count 6
		.amdhsa_user_sgpr_private_segment_buffer 1
		.amdhsa_user_sgpr_dispatch_ptr 0
		.amdhsa_user_sgpr_queue_ptr 0
		.amdhsa_user_sgpr_kernarg_segment_ptr 1
		.amdhsa_user_sgpr_dispatch_id 0
		.amdhsa_user_sgpr_flat_scratch_init 0
		.amdhsa_user_sgpr_private_segment_size 0
		.amdhsa_uses_dynamic_stack 0
		.amdhsa_system_sgpr_private_segment_wavefront_offset 0
		.amdhsa_system_sgpr_workgroup_id_x 1
		.amdhsa_system_sgpr_workgroup_id_y 0
		.amdhsa_system_sgpr_workgroup_id_z 0
		.amdhsa_system_sgpr_workgroup_info 0
		.amdhsa_system_vgpr_workitem_id 0
		.amdhsa_next_free_vgpr 1
		.amdhsa_next_free_sgpr 0
		.amdhsa_reserve_vcc 0
		.amdhsa_reserve_flat_scratch 0
		.amdhsa_float_round_mode_32 0
		.amdhsa_float_round_mode_16_64 0
		.amdhsa_float_denorm_mode_32 3
		.amdhsa_float_denorm_mode_16_64 3
		.amdhsa_dx10_clamp 1
		.amdhsa_ieee_mode 1
		.amdhsa_fp16_overflow 0
		.amdhsa_exception_fp_ieee_invalid_op 0
		.amdhsa_exception_fp_denorm_src 0
		.amdhsa_exception_fp_ieee_div_zero 0
		.amdhsa_exception_fp_ieee_overflow 0
		.amdhsa_exception_fp_ieee_underflow 0
		.amdhsa_exception_fp_ieee_inexact 0
		.amdhsa_exception_int_div_zero 0
	.end_amdhsa_kernel
	.section	.text._ZN7rocprim17ROCPRIM_400000_NS6detail17trampoline_kernelINS0_14default_configENS1_22reduce_config_selectorIN6thrust23THRUST_200600_302600_NS5tupleIblNS6_9null_typeES8_S8_S8_S8_S8_S8_S8_EEEEZNS1_11reduce_implILb1ES3_NS6_12zip_iteratorINS7_INS6_11hip_rocprim26transform_input_iterator_tIbNSD_35transform_pair_of_input_iterators_tIbNS6_6detail15normal_iteratorINS6_10device_ptrIKiEEEESL_NS6_8equal_toIiEEEENSG_9not_fun_tINSD_8identityEEEEENSD_19counting_iterator_tIlEES8_S8_S8_S8_S8_S8_S8_S8_EEEEPS9_S9_NSD_9__find_if7functorIS9_EEEE10hipError_tPvRmT1_T2_T3_mT4_P12ihipStream_tbEUlT_E0_NS1_11comp_targetILNS1_3genE10ELNS1_11target_archE1200ELNS1_3gpuE4ELNS1_3repE0EEENS1_30default_config_static_selectorELNS0_4arch9wavefront6targetE1EEEvS14_,"axG",@progbits,_ZN7rocprim17ROCPRIM_400000_NS6detail17trampoline_kernelINS0_14default_configENS1_22reduce_config_selectorIN6thrust23THRUST_200600_302600_NS5tupleIblNS6_9null_typeES8_S8_S8_S8_S8_S8_S8_EEEEZNS1_11reduce_implILb1ES3_NS6_12zip_iteratorINS7_INS6_11hip_rocprim26transform_input_iterator_tIbNSD_35transform_pair_of_input_iterators_tIbNS6_6detail15normal_iteratorINS6_10device_ptrIKiEEEESL_NS6_8equal_toIiEEEENSG_9not_fun_tINSD_8identityEEEEENSD_19counting_iterator_tIlEES8_S8_S8_S8_S8_S8_S8_S8_EEEEPS9_S9_NSD_9__find_if7functorIS9_EEEE10hipError_tPvRmT1_T2_T3_mT4_P12ihipStream_tbEUlT_E0_NS1_11comp_targetILNS1_3genE10ELNS1_11target_archE1200ELNS1_3gpuE4ELNS1_3repE0EEENS1_30default_config_static_selectorELNS0_4arch9wavefront6targetE1EEEvS14_,comdat
.Lfunc_end543:
	.size	_ZN7rocprim17ROCPRIM_400000_NS6detail17trampoline_kernelINS0_14default_configENS1_22reduce_config_selectorIN6thrust23THRUST_200600_302600_NS5tupleIblNS6_9null_typeES8_S8_S8_S8_S8_S8_S8_EEEEZNS1_11reduce_implILb1ES3_NS6_12zip_iteratorINS7_INS6_11hip_rocprim26transform_input_iterator_tIbNSD_35transform_pair_of_input_iterators_tIbNS6_6detail15normal_iteratorINS6_10device_ptrIKiEEEESL_NS6_8equal_toIiEEEENSG_9not_fun_tINSD_8identityEEEEENSD_19counting_iterator_tIlEES8_S8_S8_S8_S8_S8_S8_S8_EEEEPS9_S9_NSD_9__find_if7functorIS9_EEEE10hipError_tPvRmT1_T2_T3_mT4_P12ihipStream_tbEUlT_E0_NS1_11comp_targetILNS1_3genE10ELNS1_11target_archE1200ELNS1_3gpuE4ELNS1_3repE0EEENS1_30default_config_static_selectorELNS0_4arch9wavefront6targetE1EEEvS14_, .Lfunc_end543-_ZN7rocprim17ROCPRIM_400000_NS6detail17trampoline_kernelINS0_14default_configENS1_22reduce_config_selectorIN6thrust23THRUST_200600_302600_NS5tupleIblNS6_9null_typeES8_S8_S8_S8_S8_S8_S8_EEEEZNS1_11reduce_implILb1ES3_NS6_12zip_iteratorINS7_INS6_11hip_rocprim26transform_input_iterator_tIbNSD_35transform_pair_of_input_iterators_tIbNS6_6detail15normal_iteratorINS6_10device_ptrIKiEEEESL_NS6_8equal_toIiEEEENSG_9not_fun_tINSD_8identityEEEEENSD_19counting_iterator_tIlEES8_S8_S8_S8_S8_S8_S8_S8_EEEEPS9_S9_NSD_9__find_if7functorIS9_EEEE10hipError_tPvRmT1_T2_T3_mT4_P12ihipStream_tbEUlT_E0_NS1_11comp_targetILNS1_3genE10ELNS1_11target_archE1200ELNS1_3gpuE4ELNS1_3repE0EEENS1_30default_config_static_selectorELNS0_4arch9wavefront6targetE1EEEvS14_
                                        ; -- End function
	.set _ZN7rocprim17ROCPRIM_400000_NS6detail17trampoline_kernelINS0_14default_configENS1_22reduce_config_selectorIN6thrust23THRUST_200600_302600_NS5tupleIblNS6_9null_typeES8_S8_S8_S8_S8_S8_S8_EEEEZNS1_11reduce_implILb1ES3_NS6_12zip_iteratorINS7_INS6_11hip_rocprim26transform_input_iterator_tIbNSD_35transform_pair_of_input_iterators_tIbNS6_6detail15normal_iteratorINS6_10device_ptrIKiEEEESL_NS6_8equal_toIiEEEENSG_9not_fun_tINSD_8identityEEEEENSD_19counting_iterator_tIlEES8_S8_S8_S8_S8_S8_S8_S8_EEEEPS9_S9_NSD_9__find_if7functorIS9_EEEE10hipError_tPvRmT1_T2_T3_mT4_P12ihipStream_tbEUlT_E0_NS1_11comp_targetILNS1_3genE10ELNS1_11target_archE1200ELNS1_3gpuE4ELNS1_3repE0EEENS1_30default_config_static_selectorELNS0_4arch9wavefront6targetE1EEEvS14_.num_vgpr, 0
	.set _ZN7rocprim17ROCPRIM_400000_NS6detail17trampoline_kernelINS0_14default_configENS1_22reduce_config_selectorIN6thrust23THRUST_200600_302600_NS5tupleIblNS6_9null_typeES8_S8_S8_S8_S8_S8_S8_EEEEZNS1_11reduce_implILb1ES3_NS6_12zip_iteratorINS7_INS6_11hip_rocprim26transform_input_iterator_tIbNSD_35transform_pair_of_input_iterators_tIbNS6_6detail15normal_iteratorINS6_10device_ptrIKiEEEESL_NS6_8equal_toIiEEEENSG_9not_fun_tINSD_8identityEEEEENSD_19counting_iterator_tIlEES8_S8_S8_S8_S8_S8_S8_S8_EEEEPS9_S9_NSD_9__find_if7functorIS9_EEEE10hipError_tPvRmT1_T2_T3_mT4_P12ihipStream_tbEUlT_E0_NS1_11comp_targetILNS1_3genE10ELNS1_11target_archE1200ELNS1_3gpuE4ELNS1_3repE0EEENS1_30default_config_static_selectorELNS0_4arch9wavefront6targetE1EEEvS14_.num_agpr, 0
	.set _ZN7rocprim17ROCPRIM_400000_NS6detail17trampoline_kernelINS0_14default_configENS1_22reduce_config_selectorIN6thrust23THRUST_200600_302600_NS5tupleIblNS6_9null_typeES8_S8_S8_S8_S8_S8_S8_EEEEZNS1_11reduce_implILb1ES3_NS6_12zip_iteratorINS7_INS6_11hip_rocprim26transform_input_iterator_tIbNSD_35transform_pair_of_input_iterators_tIbNS6_6detail15normal_iteratorINS6_10device_ptrIKiEEEESL_NS6_8equal_toIiEEEENSG_9not_fun_tINSD_8identityEEEEENSD_19counting_iterator_tIlEES8_S8_S8_S8_S8_S8_S8_S8_EEEEPS9_S9_NSD_9__find_if7functorIS9_EEEE10hipError_tPvRmT1_T2_T3_mT4_P12ihipStream_tbEUlT_E0_NS1_11comp_targetILNS1_3genE10ELNS1_11target_archE1200ELNS1_3gpuE4ELNS1_3repE0EEENS1_30default_config_static_selectorELNS0_4arch9wavefront6targetE1EEEvS14_.numbered_sgpr, 0
	.set _ZN7rocprim17ROCPRIM_400000_NS6detail17trampoline_kernelINS0_14default_configENS1_22reduce_config_selectorIN6thrust23THRUST_200600_302600_NS5tupleIblNS6_9null_typeES8_S8_S8_S8_S8_S8_S8_EEEEZNS1_11reduce_implILb1ES3_NS6_12zip_iteratorINS7_INS6_11hip_rocprim26transform_input_iterator_tIbNSD_35transform_pair_of_input_iterators_tIbNS6_6detail15normal_iteratorINS6_10device_ptrIKiEEEESL_NS6_8equal_toIiEEEENSG_9not_fun_tINSD_8identityEEEEENSD_19counting_iterator_tIlEES8_S8_S8_S8_S8_S8_S8_S8_EEEEPS9_S9_NSD_9__find_if7functorIS9_EEEE10hipError_tPvRmT1_T2_T3_mT4_P12ihipStream_tbEUlT_E0_NS1_11comp_targetILNS1_3genE10ELNS1_11target_archE1200ELNS1_3gpuE4ELNS1_3repE0EEENS1_30default_config_static_selectorELNS0_4arch9wavefront6targetE1EEEvS14_.num_named_barrier, 0
	.set _ZN7rocprim17ROCPRIM_400000_NS6detail17trampoline_kernelINS0_14default_configENS1_22reduce_config_selectorIN6thrust23THRUST_200600_302600_NS5tupleIblNS6_9null_typeES8_S8_S8_S8_S8_S8_S8_EEEEZNS1_11reduce_implILb1ES3_NS6_12zip_iteratorINS7_INS6_11hip_rocprim26transform_input_iterator_tIbNSD_35transform_pair_of_input_iterators_tIbNS6_6detail15normal_iteratorINS6_10device_ptrIKiEEEESL_NS6_8equal_toIiEEEENSG_9not_fun_tINSD_8identityEEEEENSD_19counting_iterator_tIlEES8_S8_S8_S8_S8_S8_S8_S8_EEEEPS9_S9_NSD_9__find_if7functorIS9_EEEE10hipError_tPvRmT1_T2_T3_mT4_P12ihipStream_tbEUlT_E0_NS1_11comp_targetILNS1_3genE10ELNS1_11target_archE1200ELNS1_3gpuE4ELNS1_3repE0EEENS1_30default_config_static_selectorELNS0_4arch9wavefront6targetE1EEEvS14_.private_seg_size, 0
	.set _ZN7rocprim17ROCPRIM_400000_NS6detail17trampoline_kernelINS0_14default_configENS1_22reduce_config_selectorIN6thrust23THRUST_200600_302600_NS5tupleIblNS6_9null_typeES8_S8_S8_S8_S8_S8_S8_EEEEZNS1_11reduce_implILb1ES3_NS6_12zip_iteratorINS7_INS6_11hip_rocprim26transform_input_iterator_tIbNSD_35transform_pair_of_input_iterators_tIbNS6_6detail15normal_iteratorINS6_10device_ptrIKiEEEESL_NS6_8equal_toIiEEEENSG_9not_fun_tINSD_8identityEEEEENSD_19counting_iterator_tIlEES8_S8_S8_S8_S8_S8_S8_S8_EEEEPS9_S9_NSD_9__find_if7functorIS9_EEEE10hipError_tPvRmT1_T2_T3_mT4_P12ihipStream_tbEUlT_E0_NS1_11comp_targetILNS1_3genE10ELNS1_11target_archE1200ELNS1_3gpuE4ELNS1_3repE0EEENS1_30default_config_static_selectorELNS0_4arch9wavefront6targetE1EEEvS14_.uses_vcc, 0
	.set _ZN7rocprim17ROCPRIM_400000_NS6detail17trampoline_kernelINS0_14default_configENS1_22reduce_config_selectorIN6thrust23THRUST_200600_302600_NS5tupleIblNS6_9null_typeES8_S8_S8_S8_S8_S8_S8_EEEEZNS1_11reduce_implILb1ES3_NS6_12zip_iteratorINS7_INS6_11hip_rocprim26transform_input_iterator_tIbNSD_35transform_pair_of_input_iterators_tIbNS6_6detail15normal_iteratorINS6_10device_ptrIKiEEEESL_NS6_8equal_toIiEEEENSG_9not_fun_tINSD_8identityEEEEENSD_19counting_iterator_tIlEES8_S8_S8_S8_S8_S8_S8_S8_EEEEPS9_S9_NSD_9__find_if7functorIS9_EEEE10hipError_tPvRmT1_T2_T3_mT4_P12ihipStream_tbEUlT_E0_NS1_11comp_targetILNS1_3genE10ELNS1_11target_archE1200ELNS1_3gpuE4ELNS1_3repE0EEENS1_30default_config_static_selectorELNS0_4arch9wavefront6targetE1EEEvS14_.uses_flat_scratch, 0
	.set _ZN7rocprim17ROCPRIM_400000_NS6detail17trampoline_kernelINS0_14default_configENS1_22reduce_config_selectorIN6thrust23THRUST_200600_302600_NS5tupleIblNS6_9null_typeES8_S8_S8_S8_S8_S8_S8_EEEEZNS1_11reduce_implILb1ES3_NS6_12zip_iteratorINS7_INS6_11hip_rocprim26transform_input_iterator_tIbNSD_35transform_pair_of_input_iterators_tIbNS6_6detail15normal_iteratorINS6_10device_ptrIKiEEEESL_NS6_8equal_toIiEEEENSG_9not_fun_tINSD_8identityEEEEENSD_19counting_iterator_tIlEES8_S8_S8_S8_S8_S8_S8_S8_EEEEPS9_S9_NSD_9__find_if7functorIS9_EEEE10hipError_tPvRmT1_T2_T3_mT4_P12ihipStream_tbEUlT_E0_NS1_11comp_targetILNS1_3genE10ELNS1_11target_archE1200ELNS1_3gpuE4ELNS1_3repE0EEENS1_30default_config_static_selectorELNS0_4arch9wavefront6targetE1EEEvS14_.has_dyn_sized_stack, 0
	.set _ZN7rocprim17ROCPRIM_400000_NS6detail17trampoline_kernelINS0_14default_configENS1_22reduce_config_selectorIN6thrust23THRUST_200600_302600_NS5tupleIblNS6_9null_typeES8_S8_S8_S8_S8_S8_S8_EEEEZNS1_11reduce_implILb1ES3_NS6_12zip_iteratorINS7_INS6_11hip_rocprim26transform_input_iterator_tIbNSD_35transform_pair_of_input_iterators_tIbNS6_6detail15normal_iteratorINS6_10device_ptrIKiEEEESL_NS6_8equal_toIiEEEENSG_9not_fun_tINSD_8identityEEEEENSD_19counting_iterator_tIlEES8_S8_S8_S8_S8_S8_S8_S8_EEEEPS9_S9_NSD_9__find_if7functorIS9_EEEE10hipError_tPvRmT1_T2_T3_mT4_P12ihipStream_tbEUlT_E0_NS1_11comp_targetILNS1_3genE10ELNS1_11target_archE1200ELNS1_3gpuE4ELNS1_3repE0EEENS1_30default_config_static_selectorELNS0_4arch9wavefront6targetE1EEEvS14_.has_recursion, 0
	.set _ZN7rocprim17ROCPRIM_400000_NS6detail17trampoline_kernelINS0_14default_configENS1_22reduce_config_selectorIN6thrust23THRUST_200600_302600_NS5tupleIblNS6_9null_typeES8_S8_S8_S8_S8_S8_S8_EEEEZNS1_11reduce_implILb1ES3_NS6_12zip_iteratorINS7_INS6_11hip_rocprim26transform_input_iterator_tIbNSD_35transform_pair_of_input_iterators_tIbNS6_6detail15normal_iteratorINS6_10device_ptrIKiEEEESL_NS6_8equal_toIiEEEENSG_9not_fun_tINSD_8identityEEEEENSD_19counting_iterator_tIlEES8_S8_S8_S8_S8_S8_S8_S8_EEEEPS9_S9_NSD_9__find_if7functorIS9_EEEE10hipError_tPvRmT1_T2_T3_mT4_P12ihipStream_tbEUlT_E0_NS1_11comp_targetILNS1_3genE10ELNS1_11target_archE1200ELNS1_3gpuE4ELNS1_3repE0EEENS1_30default_config_static_selectorELNS0_4arch9wavefront6targetE1EEEvS14_.has_indirect_call, 0
	.section	.AMDGPU.csdata,"",@progbits
; Kernel info:
; codeLenInByte = 0
; TotalNumSgprs: 4
; NumVgprs: 0
; ScratchSize: 0
; MemoryBound: 0
; FloatMode: 240
; IeeeMode: 1
; LDSByteSize: 0 bytes/workgroup (compile time only)
; SGPRBlocks: 0
; VGPRBlocks: 0
; NumSGPRsForWavesPerEU: 4
; NumVGPRsForWavesPerEU: 1
; Occupancy: 10
; WaveLimiterHint : 0
; COMPUTE_PGM_RSRC2:SCRATCH_EN: 0
; COMPUTE_PGM_RSRC2:USER_SGPR: 6
; COMPUTE_PGM_RSRC2:TRAP_HANDLER: 0
; COMPUTE_PGM_RSRC2:TGID_X_EN: 1
; COMPUTE_PGM_RSRC2:TGID_Y_EN: 0
; COMPUTE_PGM_RSRC2:TGID_Z_EN: 0
; COMPUTE_PGM_RSRC2:TIDIG_COMP_CNT: 0
	.section	.text._ZN7rocprim17ROCPRIM_400000_NS6detail17trampoline_kernelINS0_14default_configENS1_22reduce_config_selectorIN6thrust23THRUST_200600_302600_NS5tupleIblNS6_9null_typeES8_S8_S8_S8_S8_S8_S8_EEEEZNS1_11reduce_implILb1ES3_NS6_12zip_iteratorINS7_INS6_11hip_rocprim26transform_input_iterator_tIbNSD_35transform_pair_of_input_iterators_tIbNS6_6detail15normal_iteratorINS6_10device_ptrIKiEEEESL_NS6_8equal_toIiEEEENSG_9not_fun_tINSD_8identityEEEEENSD_19counting_iterator_tIlEES8_S8_S8_S8_S8_S8_S8_S8_EEEEPS9_S9_NSD_9__find_if7functorIS9_EEEE10hipError_tPvRmT1_T2_T3_mT4_P12ihipStream_tbEUlT_E0_NS1_11comp_targetILNS1_3genE9ELNS1_11target_archE1100ELNS1_3gpuE3ELNS1_3repE0EEENS1_30default_config_static_selectorELNS0_4arch9wavefront6targetE1EEEvS14_,"axG",@progbits,_ZN7rocprim17ROCPRIM_400000_NS6detail17trampoline_kernelINS0_14default_configENS1_22reduce_config_selectorIN6thrust23THRUST_200600_302600_NS5tupleIblNS6_9null_typeES8_S8_S8_S8_S8_S8_S8_EEEEZNS1_11reduce_implILb1ES3_NS6_12zip_iteratorINS7_INS6_11hip_rocprim26transform_input_iterator_tIbNSD_35transform_pair_of_input_iterators_tIbNS6_6detail15normal_iteratorINS6_10device_ptrIKiEEEESL_NS6_8equal_toIiEEEENSG_9not_fun_tINSD_8identityEEEEENSD_19counting_iterator_tIlEES8_S8_S8_S8_S8_S8_S8_S8_EEEEPS9_S9_NSD_9__find_if7functorIS9_EEEE10hipError_tPvRmT1_T2_T3_mT4_P12ihipStream_tbEUlT_E0_NS1_11comp_targetILNS1_3genE9ELNS1_11target_archE1100ELNS1_3gpuE3ELNS1_3repE0EEENS1_30default_config_static_selectorELNS0_4arch9wavefront6targetE1EEEvS14_,comdat
	.protected	_ZN7rocprim17ROCPRIM_400000_NS6detail17trampoline_kernelINS0_14default_configENS1_22reduce_config_selectorIN6thrust23THRUST_200600_302600_NS5tupleIblNS6_9null_typeES8_S8_S8_S8_S8_S8_S8_EEEEZNS1_11reduce_implILb1ES3_NS6_12zip_iteratorINS7_INS6_11hip_rocprim26transform_input_iterator_tIbNSD_35transform_pair_of_input_iterators_tIbNS6_6detail15normal_iteratorINS6_10device_ptrIKiEEEESL_NS6_8equal_toIiEEEENSG_9not_fun_tINSD_8identityEEEEENSD_19counting_iterator_tIlEES8_S8_S8_S8_S8_S8_S8_S8_EEEEPS9_S9_NSD_9__find_if7functorIS9_EEEE10hipError_tPvRmT1_T2_T3_mT4_P12ihipStream_tbEUlT_E0_NS1_11comp_targetILNS1_3genE9ELNS1_11target_archE1100ELNS1_3gpuE3ELNS1_3repE0EEENS1_30default_config_static_selectorELNS0_4arch9wavefront6targetE1EEEvS14_ ; -- Begin function _ZN7rocprim17ROCPRIM_400000_NS6detail17trampoline_kernelINS0_14default_configENS1_22reduce_config_selectorIN6thrust23THRUST_200600_302600_NS5tupleIblNS6_9null_typeES8_S8_S8_S8_S8_S8_S8_EEEEZNS1_11reduce_implILb1ES3_NS6_12zip_iteratorINS7_INS6_11hip_rocprim26transform_input_iterator_tIbNSD_35transform_pair_of_input_iterators_tIbNS6_6detail15normal_iteratorINS6_10device_ptrIKiEEEESL_NS6_8equal_toIiEEEENSG_9not_fun_tINSD_8identityEEEEENSD_19counting_iterator_tIlEES8_S8_S8_S8_S8_S8_S8_S8_EEEEPS9_S9_NSD_9__find_if7functorIS9_EEEE10hipError_tPvRmT1_T2_T3_mT4_P12ihipStream_tbEUlT_E0_NS1_11comp_targetILNS1_3genE9ELNS1_11target_archE1100ELNS1_3gpuE3ELNS1_3repE0EEENS1_30default_config_static_selectorELNS0_4arch9wavefront6targetE1EEEvS14_
	.globl	_ZN7rocprim17ROCPRIM_400000_NS6detail17trampoline_kernelINS0_14default_configENS1_22reduce_config_selectorIN6thrust23THRUST_200600_302600_NS5tupleIblNS6_9null_typeES8_S8_S8_S8_S8_S8_S8_EEEEZNS1_11reduce_implILb1ES3_NS6_12zip_iteratorINS7_INS6_11hip_rocprim26transform_input_iterator_tIbNSD_35transform_pair_of_input_iterators_tIbNS6_6detail15normal_iteratorINS6_10device_ptrIKiEEEESL_NS6_8equal_toIiEEEENSG_9not_fun_tINSD_8identityEEEEENSD_19counting_iterator_tIlEES8_S8_S8_S8_S8_S8_S8_S8_EEEEPS9_S9_NSD_9__find_if7functorIS9_EEEE10hipError_tPvRmT1_T2_T3_mT4_P12ihipStream_tbEUlT_E0_NS1_11comp_targetILNS1_3genE9ELNS1_11target_archE1100ELNS1_3gpuE3ELNS1_3repE0EEENS1_30default_config_static_selectorELNS0_4arch9wavefront6targetE1EEEvS14_
	.p2align	8
	.type	_ZN7rocprim17ROCPRIM_400000_NS6detail17trampoline_kernelINS0_14default_configENS1_22reduce_config_selectorIN6thrust23THRUST_200600_302600_NS5tupleIblNS6_9null_typeES8_S8_S8_S8_S8_S8_S8_EEEEZNS1_11reduce_implILb1ES3_NS6_12zip_iteratorINS7_INS6_11hip_rocprim26transform_input_iterator_tIbNSD_35transform_pair_of_input_iterators_tIbNS6_6detail15normal_iteratorINS6_10device_ptrIKiEEEESL_NS6_8equal_toIiEEEENSG_9not_fun_tINSD_8identityEEEEENSD_19counting_iterator_tIlEES8_S8_S8_S8_S8_S8_S8_S8_EEEEPS9_S9_NSD_9__find_if7functorIS9_EEEE10hipError_tPvRmT1_T2_T3_mT4_P12ihipStream_tbEUlT_E0_NS1_11comp_targetILNS1_3genE9ELNS1_11target_archE1100ELNS1_3gpuE3ELNS1_3repE0EEENS1_30default_config_static_selectorELNS0_4arch9wavefront6targetE1EEEvS14_,@function
_ZN7rocprim17ROCPRIM_400000_NS6detail17trampoline_kernelINS0_14default_configENS1_22reduce_config_selectorIN6thrust23THRUST_200600_302600_NS5tupleIblNS6_9null_typeES8_S8_S8_S8_S8_S8_S8_EEEEZNS1_11reduce_implILb1ES3_NS6_12zip_iteratorINS7_INS6_11hip_rocprim26transform_input_iterator_tIbNSD_35transform_pair_of_input_iterators_tIbNS6_6detail15normal_iteratorINS6_10device_ptrIKiEEEESL_NS6_8equal_toIiEEEENSG_9not_fun_tINSD_8identityEEEEENSD_19counting_iterator_tIlEES8_S8_S8_S8_S8_S8_S8_S8_EEEEPS9_S9_NSD_9__find_if7functorIS9_EEEE10hipError_tPvRmT1_T2_T3_mT4_P12ihipStream_tbEUlT_E0_NS1_11comp_targetILNS1_3genE9ELNS1_11target_archE1100ELNS1_3gpuE3ELNS1_3repE0EEENS1_30default_config_static_selectorELNS0_4arch9wavefront6targetE1EEEvS14_: ; @_ZN7rocprim17ROCPRIM_400000_NS6detail17trampoline_kernelINS0_14default_configENS1_22reduce_config_selectorIN6thrust23THRUST_200600_302600_NS5tupleIblNS6_9null_typeES8_S8_S8_S8_S8_S8_S8_EEEEZNS1_11reduce_implILb1ES3_NS6_12zip_iteratorINS7_INS6_11hip_rocprim26transform_input_iterator_tIbNSD_35transform_pair_of_input_iterators_tIbNS6_6detail15normal_iteratorINS6_10device_ptrIKiEEEESL_NS6_8equal_toIiEEEENSG_9not_fun_tINSD_8identityEEEEENSD_19counting_iterator_tIlEES8_S8_S8_S8_S8_S8_S8_S8_EEEEPS9_S9_NSD_9__find_if7functorIS9_EEEE10hipError_tPvRmT1_T2_T3_mT4_P12ihipStream_tbEUlT_E0_NS1_11comp_targetILNS1_3genE9ELNS1_11target_archE1100ELNS1_3gpuE3ELNS1_3repE0EEENS1_30default_config_static_selectorELNS0_4arch9wavefront6targetE1EEEvS14_
; %bb.0:
	.section	.rodata,"a",@progbits
	.p2align	6, 0x0
	.amdhsa_kernel _ZN7rocprim17ROCPRIM_400000_NS6detail17trampoline_kernelINS0_14default_configENS1_22reduce_config_selectorIN6thrust23THRUST_200600_302600_NS5tupleIblNS6_9null_typeES8_S8_S8_S8_S8_S8_S8_EEEEZNS1_11reduce_implILb1ES3_NS6_12zip_iteratorINS7_INS6_11hip_rocprim26transform_input_iterator_tIbNSD_35transform_pair_of_input_iterators_tIbNS6_6detail15normal_iteratorINS6_10device_ptrIKiEEEESL_NS6_8equal_toIiEEEENSG_9not_fun_tINSD_8identityEEEEENSD_19counting_iterator_tIlEES8_S8_S8_S8_S8_S8_S8_S8_EEEEPS9_S9_NSD_9__find_if7functorIS9_EEEE10hipError_tPvRmT1_T2_T3_mT4_P12ihipStream_tbEUlT_E0_NS1_11comp_targetILNS1_3genE9ELNS1_11target_archE1100ELNS1_3gpuE3ELNS1_3repE0EEENS1_30default_config_static_selectorELNS0_4arch9wavefront6targetE1EEEvS14_
		.amdhsa_group_segment_fixed_size 0
		.amdhsa_private_segment_fixed_size 0
		.amdhsa_kernarg_size 104
		.amdhsa_user_sgpr_count 6
		.amdhsa_user_sgpr_private_segment_buffer 1
		.amdhsa_user_sgpr_dispatch_ptr 0
		.amdhsa_user_sgpr_queue_ptr 0
		.amdhsa_user_sgpr_kernarg_segment_ptr 1
		.amdhsa_user_sgpr_dispatch_id 0
		.amdhsa_user_sgpr_flat_scratch_init 0
		.amdhsa_user_sgpr_private_segment_size 0
		.amdhsa_uses_dynamic_stack 0
		.amdhsa_system_sgpr_private_segment_wavefront_offset 0
		.amdhsa_system_sgpr_workgroup_id_x 1
		.amdhsa_system_sgpr_workgroup_id_y 0
		.amdhsa_system_sgpr_workgroup_id_z 0
		.amdhsa_system_sgpr_workgroup_info 0
		.amdhsa_system_vgpr_workitem_id 0
		.amdhsa_next_free_vgpr 1
		.amdhsa_next_free_sgpr 0
		.amdhsa_reserve_vcc 0
		.amdhsa_reserve_flat_scratch 0
		.amdhsa_float_round_mode_32 0
		.amdhsa_float_round_mode_16_64 0
		.amdhsa_float_denorm_mode_32 3
		.amdhsa_float_denorm_mode_16_64 3
		.amdhsa_dx10_clamp 1
		.amdhsa_ieee_mode 1
		.amdhsa_fp16_overflow 0
		.amdhsa_exception_fp_ieee_invalid_op 0
		.amdhsa_exception_fp_denorm_src 0
		.amdhsa_exception_fp_ieee_div_zero 0
		.amdhsa_exception_fp_ieee_overflow 0
		.amdhsa_exception_fp_ieee_underflow 0
		.amdhsa_exception_fp_ieee_inexact 0
		.amdhsa_exception_int_div_zero 0
	.end_amdhsa_kernel
	.section	.text._ZN7rocprim17ROCPRIM_400000_NS6detail17trampoline_kernelINS0_14default_configENS1_22reduce_config_selectorIN6thrust23THRUST_200600_302600_NS5tupleIblNS6_9null_typeES8_S8_S8_S8_S8_S8_S8_EEEEZNS1_11reduce_implILb1ES3_NS6_12zip_iteratorINS7_INS6_11hip_rocprim26transform_input_iterator_tIbNSD_35transform_pair_of_input_iterators_tIbNS6_6detail15normal_iteratorINS6_10device_ptrIKiEEEESL_NS6_8equal_toIiEEEENSG_9not_fun_tINSD_8identityEEEEENSD_19counting_iterator_tIlEES8_S8_S8_S8_S8_S8_S8_S8_EEEEPS9_S9_NSD_9__find_if7functorIS9_EEEE10hipError_tPvRmT1_T2_T3_mT4_P12ihipStream_tbEUlT_E0_NS1_11comp_targetILNS1_3genE9ELNS1_11target_archE1100ELNS1_3gpuE3ELNS1_3repE0EEENS1_30default_config_static_selectorELNS0_4arch9wavefront6targetE1EEEvS14_,"axG",@progbits,_ZN7rocprim17ROCPRIM_400000_NS6detail17trampoline_kernelINS0_14default_configENS1_22reduce_config_selectorIN6thrust23THRUST_200600_302600_NS5tupleIblNS6_9null_typeES8_S8_S8_S8_S8_S8_S8_EEEEZNS1_11reduce_implILb1ES3_NS6_12zip_iteratorINS7_INS6_11hip_rocprim26transform_input_iterator_tIbNSD_35transform_pair_of_input_iterators_tIbNS6_6detail15normal_iteratorINS6_10device_ptrIKiEEEESL_NS6_8equal_toIiEEEENSG_9not_fun_tINSD_8identityEEEEENSD_19counting_iterator_tIlEES8_S8_S8_S8_S8_S8_S8_S8_EEEEPS9_S9_NSD_9__find_if7functorIS9_EEEE10hipError_tPvRmT1_T2_T3_mT4_P12ihipStream_tbEUlT_E0_NS1_11comp_targetILNS1_3genE9ELNS1_11target_archE1100ELNS1_3gpuE3ELNS1_3repE0EEENS1_30default_config_static_selectorELNS0_4arch9wavefront6targetE1EEEvS14_,comdat
.Lfunc_end544:
	.size	_ZN7rocprim17ROCPRIM_400000_NS6detail17trampoline_kernelINS0_14default_configENS1_22reduce_config_selectorIN6thrust23THRUST_200600_302600_NS5tupleIblNS6_9null_typeES8_S8_S8_S8_S8_S8_S8_EEEEZNS1_11reduce_implILb1ES3_NS6_12zip_iteratorINS7_INS6_11hip_rocprim26transform_input_iterator_tIbNSD_35transform_pair_of_input_iterators_tIbNS6_6detail15normal_iteratorINS6_10device_ptrIKiEEEESL_NS6_8equal_toIiEEEENSG_9not_fun_tINSD_8identityEEEEENSD_19counting_iterator_tIlEES8_S8_S8_S8_S8_S8_S8_S8_EEEEPS9_S9_NSD_9__find_if7functorIS9_EEEE10hipError_tPvRmT1_T2_T3_mT4_P12ihipStream_tbEUlT_E0_NS1_11comp_targetILNS1_3genE9ELNS1_11target_archE1100ELNS1_3gpuE3ELNS1_3repE0EEENS1_30default_config_static_selectorELNS0_4arch9wavefront6targetE1EEEvS14_, .Lfunc_end544-_ZN7rocprim17ROCPRIM_400000_NS6detail17trampoline_kernelINS0_14default_configENS1_22reduce_config_selectorIN6thrust23THRUST_200600_302600_NS5tupleIblNS6_9null_typeES8_S8_S8_S8_S8_S8_S8_EEEEZNS1_11reduce_implILb1ES3_NS6_12zip_iteratorINS7_INS6_11hip_rocprim26transform_input_iterator_tIbNSD_35transform_pair_of_input_iterators_tIbNS6_6detail15normal_iteratorINS6_10device_ptrIKiEEEESL_NS6_8equal_toIiEEEENSG_9not_fun_tINSD_8identityEEEEENSD_19counting_iterator_tIlEES8_S8_S8_S8_S8_S8_S8_S8_EEEEPS9_S9_NSD_9__find_if7functorIS9_EEEE10hipError_tPvRmT1_T2_T3_mT4_P12ihipStream_tbEUlT_E0_NS1_11comp_targetILNS1_3genE9ELNS1_11target_archE1100ELNS1_3gpuE3ELNS1_3repE0EEENS1_30default_config_static_selectorELNS0_4arch9wavefront6targetE1EEEvS14_
                                        ; -- End function
	.set _ZN7rocprim17ROCPRIM_400000_NS6detail17trampoline_kernelINS0_14default_configENS1_22reduce_config_selectorIN6thrust23THRUST_200600_302600_NS5tupleIblNS6_9null_typeES8_S8_S8_S8_S8_S8_S8_EEEEZNS1_11reduce_implILb1ES3_NS6_12zip_iteratorINS7_INS6_11hip_rocprim26transform_input_iterator_tIbNSD_35transform_pair_of_input_iterators_tIbNS6_6detail15normal_iteratorINS6_10device_ptrIKiEEEESL_NS6_8equal_toIiEEEENSG_9not_fun_tINSD_8identityEEEEENSD_19counting_iterator_tIlEES8_S8_S8_S8_S8_S8_S8_S8_EEEEPS9_S9_NSD_9__find_if7functorIS9_EEEE10hipError_tPvRmT1_T2_T3_mT4_P12ihipStream_tbEUlT_E0_NS1_11comp_targetILNS1_3genE9ELNS1_11target_archE1100ELNS1_3gpuE3ELNS1_3repE0EEENS1_30default_config_static_selectorELNS0_4arch9wavefront6targetE1EEEvS14_.num_vgpr, 0
	.set _ZN7rocprim17ROCPRIM_400000_NS6detail17trampoline_kernelINS0_14default_configENS1_22reduce_config_selectorIN6thrust23THRUST_200600_302600_NS5tupleIblNS6_9null_typeES8_S8_S8_S8_S8_S8_S8_EEEEZNS1_11reduce_implILb1ES3_NS6_12zip_iteratorINS7_INS6_11hip_rocprim26transform_input_iterator_tIbNSD_35transform_pair_of_input_iterators_tIbNS6_6detail15normal_iteratorINS6_10device_ptrIKiEEEESL_NS6_8equal_toIiEEEENSG_9not_fun_tINSD_8identityEEEEENSD_19counting_iterator_tIlEES8_S8_S8_S8_S8_S8_S8_S8_EEEEPS9_S9_NSD_9__find_if7functorIS9_EEEE10hipError_tPvRmT1_T2_T3_mT4_P12ihipStream_tbEUlT_E0_NS1_11comp_targetILNS1_3genE9ELNS1_11target_archE1100ELNS1_3gpuE3ELNS1_3repE0EEENS1_30default_config_static_selectorELNS0_4arch9wavefront6targetE1EEEvS14_.num_agpr, 0
	.set _ZN7rocprim17ROCPRIM_400000_NS6detail17trampoline_kernelINS0_14default_configENS1_22reduce_config_selectorIN6thrust23THRUST_200600_302600_NS5tupleIblNS6_9null_typeES8_S8_S8_S8_S8_S8_S8_EEEEZNS1_11reduce_implILb1ES3_NS6_12zip_iteratorINS7_INS6_11hip_rocprim26transform_input_iterator_tIbNSD_35transform_pair_of_input_iterators_tIbNS6_6detail15normal_iteratorINS6_10device_ptrIKiEEEESL_NS6_8equal_toIiEEEENSG_9not_fun_tINSD_8identityEEEEENSD_19counting_iterator_tIlEES8_S8_S8_S8_S8_S8_S8_S8_EEEEPS9_S9_NSD_9__find_if7functorIS9_EEEE10hipError_tPvRmT1_T2_T3_mT4_P12ihipStream_tbEUlT_E0_NS1_11comp_targetILNS1_3genE9ELNS1_11target_archE1100ELNS1_3gpuE3ELNS1_3repE0EEENS1_30default_config_static_selectorELNS0_4arch9wavefront6targetE1EEEvS14_.numbered_sgpr, 0
	.set _ZN7rocprim17ROCPRIM_400000_NS6detail17trampoline_kernelINS0_14default_configENS1_22reduce_config_selectorIN6thrust23THRUST_200600_302600_NS5tupleIblNS6_9null_typeES8_S8_S8_S8_S8_S8_S8_EEEEZNS1_11reduce_implILb1ES3_NS6_12zip_iteratorINS7_INS6_11hip_rocprim26transform_input_iterator_tIbNSD_35transform_pair_of_input_iterators_tIbNS6_6detail15normal_iteratorINS6_10device_ptrIKiEEEESL_NS6_8equal_toIiEEEENSG_9not_fun_tINSD_8identityEEEEENSD_19counting_iterator_tIlEES8_S8_S8_S8_S8_S8_S8_S8_EEEEPS9_S9_NSD_9__find_if7functorIS9_EEEE10hipError_tPvRmT1_T2_T3_mT4_P12ihipStream_tbEUlT_E0_NS1_11comp_targetILNS1_3genE9ELNS1_11target_archE1100ELNS1_3gpuE3ELNS1_3repE0EEENS1_30default_config_static_selectorELNS0_4arch9wavefront6targetE1EEEvS14_.num_named_barrier, 0
	.set _ZN7rocprim17ROCPRIM_400000_NS6detail17trampoline_kernelINS0_14default_configENS1_22reduce_config_selectorIN6thrust23THRUST_200600_302600_NS5tupleIblNS6_9null_typeES8_S8_S8_S8_S8_S8_S8_EEEEZNS1_11reduce_implILb1ES3_NS6_12zip_iteratorINS7_INS6_11hip_rocprim26transform_input_iterator_tIbNSD_35transform_pair_of_input_iterators_tIbNS6_6detail15normal_iteratorINS6_10device_ptrIKiEEEESL_NS6_8equal_toIiEEEENSG_9not_fun_tINSD_8identityEEEEENSD_19counting_iterator_tIlEES8_S8_S8_S8_S8_S8_S8_S8_EEEEPS9_S9_NSD_9__find_if7functorIS9_EEEE10hipError_tPvRmT1_T2_T3_mT4_P12ihipStream_tbEUlT_E0_NS1_11comp_targetILNS1_3genE9ELNS1_11target_archE1100ELNS1_3gpuE3ELNS1_3repE0EEENS1_30default_config_static_selectorELNS0_4arch9wavefront6targetE1EEEvS14_.private_seg_size, 0
	.set _ZN7rocprim17ROCPRIM_400000_NS6detail17trampoline_kernelINS0_14default_configENS1_22reduce_config_selectorIN6thrust23THRUST_200600_302600_NS5tupleIblNS6_9null_typeES8_S8_S8_S8_S8_S8_S8_EEEEZNS1_11reduce_implILb1ES3_NS6_12zip_iteratorINS7_INS6_11hip_rocprim26transform_input_iterator_tIbNSD_35transform_pair_of_input_iterators_tIbNS6_6detail15normal_iteratorINS6_10device_ptrIKiEEEESL_NS6_8equal_toIiEEEENSG_9not_fun_tINSD_8identityEEEEENSD_19counting_iterator_tIlEES8_S8_S8_S8_S8_S8_S8_S8_EEEEPS9_S9_NSD_9__find_if7functorIS9_EEEE10hipError_tPvRmT1_T2_T3_mT4_P12ihipStream_tbEUlT_E0_NS1_11comp_targetILNS1_3genE9ELNS1_11target_archE1100ELNS1_3gpuE3ELNS1_3repE0EEENS1_30default_config_static_selectorELNS0_4arch9wavefront6targetE1EEEvS14_.uses_vcc, 0
	.set _ZN7rocprim17ROCPRIM_400000_NS6detail17trampoline_kernelINS0_14default_configENS1_22reduce_config_selectorIN6thrust23THRUST_200600_302600_NS5tupleIblNS6_9null_typeES8_S8_S8_S8_S8_S8_S8_EEEEZNS1_11reduce_implILb1ES3_NS6_12zip_iteratorINS7_INS6_11hip_rocprim26transform_input_iterator_tIbNSD_35transform_pair_of_input_iterators_tIbNS6_6detail15normal_iteratorINS6_10device_ptrIKiEEEESL_NS6_8equal_toIiEEEENSG_9not_fun_tINSD_8identityEEEEENSD_19counting_iterator_tIlEES8_S8_S8_S8_S8_S8_S8_S8_EEEEPS9_S9_NSD_9__find_if7functorIS9_EEEE10hipError_tPvRmT1_T2_T3_mT4_P12ihipStream_tbEUlT_E0_NS1_11comp_targetILNS1_3genE9ELNS1_11target_archE1100ELNS1_3gpuE3ELNS1_3repE0EEENS1_30default_config_static_selectorELNS0_4arch9wavefront6targetE1EEEvS14_.uses_flat_scratch, 0
	.set _ZN7rocprim17ROCPRIM_400000_NS6detail17trampoline_kernelINS0_14default_configENS1_22reduce_config_selectorIN6thrust23THRUST_200600_302600_NS5tupleIblNS6_9null_typeES8_S8_S8_S8_S8_S8_S8_EEEEZNS1_11reduce_implILb1ES3_NS6_12zip_iteratorINS7_INS6_11hip_rocprim26transform_input_iterator_tIbNSD_35transform_pair_of_input_iterators_tIbNS6_6detail15normal_iteratorINS6_10device_ptrIKiEEEESL_NS6_8equal_toIiEEEENSG_9not_fun_tINSD_8identityEEEEENSD_19counting_iterator_tIlEES8_S8_S8_S8_S8_S8_S8_S8_EEEEPS9_S9_NSD_9__find_if7functorIS9_EEEE10hipError_tPvRmT1_T2_T3_mT4_P12ihipStream_tbEUlT_E0_NS1_11comp_targetILNS1_3genE9ELNS1_11target_archE1100ELNS1_3gpuE3ELNS1_3repE0EEENS1_30default_config_static_selectorELNS0_4arch9wavefront6targetE1EEEvS14_.has_dyn_sized_stack, 0
	.set _ZN7rocprim17ROCPRIM_400000_NS6detail17trampoline_kernelINS0_14default_configENS1_22reduce_config_selectorIN6thrust23THRUST_200600_302600_NS5tupleIblNS6_9null_typeES8_S8_S8_S8_S8_S8_S8_EEEEZNS1_11reduce_implILb1ES3_NS6_12zip_iteratorINS7_INS6_11hip_rocprim26transform_input_iterator_tIbNSD_35transform_pair_of_input_iterators_tIbNS6_6detail15normal_iteratorINS6_10device_ptrIKiEEEESL_NS6_8equal_toIiEEEENSG_9not_fun_tINSD_8identityEEEEENSD_19counting_iterator_tIlEES8_S8_S8_S8_S8_S8_S8_S8_EEEEPS9_S9_NSD_9__find_if7functorIS9_EEEE10hipError_tPvRmT1_T2_T3_mT4_P12ihipStream_tbEUlT_E0_NS1_11comp_targetILNS1_3genE9ELNS1_11target_archE1100ELNS1_3gpuE3ELNS1_3repE0EEENS1_30default_config_static_selectorELNS0_4arch9wavefront6targetE1EEEvS14_.has_recursion, 0
	.set _ZN7rocprim17ROCPRIM_400000_NS6detail17trampoline_kernelINS0_14default_configENS1_22reduce_config_selectorIN6thrust23THRUST_200600_302600_NS5tupleIblNS6_9null_typeES8_S8_S8_S8_S8_S8_S8_EEEEZNS1_11reduce_implILb1ES3_NS6_12zip_iteratorINS7_INS6_11hip_rocprim26transform_input_iterator_tIbNSD_35transform_pair_of_input_iterators_tIbNS6_6detail15normal_iteratorINS6_10device_ptrIKiEEEESL_NS6_8equal_toIiEEEENSG_9not_fun_tINSD_8identityEEEEENSD_19counting_iterator_tIlEES8_S8_S8_S8_S8_S8_S8_S8_EEEEPS9_S9_NSD_9__find_if7functorIS9_EEEE10hipError_tPvRmT1_T2_T3_mT4_P12ihipStream_tbEUlT_E0_NS1_11comp_targetILNS1_3genE9ELNS1_11target_archE1100ELNS1_3gpuE3ELNS1_3repE0EEENS1_30default_config_static_selectorELNS0_4arch9wavefront6targetE1EEEvS14_.has_indirect_call, 0
	.section	.AMDGPU.csdata,"",@progbits
; Kernel info:
; codeLenInByte = 0
; TotalNumSgprs: 4
; NumVgprs: 0
; ScratchSize: 0
; MemoryBound: 0
; FloatMode: 240
; IeeeMode: 1
; LDSByteSize: 0 bytes/workgroup (compile time only)
; SGPRBlocks: 0
; VGPRBlocks: 0
; NumSGPRsForWavesPerEU: 4
; NumVGPRsForWavesPerEU: 1
; Occupancy: 10
; WaveLimiterHint : 0
; COMPUTE_PGM_RSRC2:SCRATCH_EN: 0
; COMPUTE_PGM_RSRC2:USER_SGPR: 6
; COMPUTE_PGM_RSRC2:TRAP_HANDLER: 0
; COMPUTE_PGM_RSRC2:TGID_X_EN: 1
; COMPUTE_PGM_RSRC2:TGID_Y_EN: 0
; COMPUTE_PGM_RSRC2:TGID_Z_EN: 0
; COMPUTE_PGM_RSRC2:TIDIG_COMP_CNT: 0
	.section	.text._ZN7rocprim17ROCPRIM_400000_NS6detail17trampoline_kernelINS0_14default_configENS1_22reduce_config_selectorIN6thrust23THRUST_200600_302600_NS5tupleIblNS6_9null_typeES8_S8_S8_S8_S8_S8_S8_EEEEZNS1_11reduce_implILb1ES3_NS6_12zip_iteratorINS7_INS6_11hip_rocprim26transform_input_iterator_tIbNSD_35transform_pair_of_input_iterators_tIbNS6_6detail15normal_iteratorINS6_10device_ptrIKiEEEESL_NS6_8equal_toIiEEEENSG_9not_fun_tINSD_8identityEEEEENSD_19counting_iterator_tIlEES8_S8_S8_S8_S8_S8_S8_S8_EEEEPS9_S9_NSD_9__find_if7functorIS9_EEEE10hipError_tPvRmT1_T2_T3_mT4_P12ihipStream_tbEUlT_E0_NS1_11comp_targetILNS1_3genE8ELNS1_11target_archE1030ELNS1_3gpuE2ELNS1_3repE0EEENS1_30default_config_static_selectorELNS0_4arch9wavefront6targetE1EEEvS14_,"axG",@progbits,_ZN7rocprim17ROCPRIM_400000_NS6detail17trampoline_kernelINS0_14default_configENS1_22reduce_config_selectorIN6thrust23THRUST_200600_302600_NS5tupleIblNS6_9null_typeES8_S8_S8_S8_S8_S8_S8_EEEEZNS1_11reduce_implILb1ES3_NS6_12zip_iteratorINS7_INS6_11hip_rocprim26transform_input_iterator_tIbNSD_35transform_pair_of_input_iterators_tIbNS6_6detail15normal_iteratorINS6_10device_ptrIKiEEEESL_NS6_8equal_toIiEEEENSG_9not_fun_tINSD_8identityEEEEENSD_19counting_iterator_tIlEES8_S8_S8_S8_S8_S8_S8_S8_EEEEPS9_S9_NSD_9__find_if7functorIS9_EEEE10hipError_tPvRmT1_T2_T3_mT4_P12ihipStream_tbEUlT_E0_NS1_11comp_targetILNS1_3genE8ELNS1_11target_archE1030ELNS1_3gpuE2ELNS1_3repE0EEENS1_30default_config_static_selectorELNS0_4arch9wavefront6targetE1EEEvS14_,comdat
	.protected	_ZN7rocprim17ROCPRIM_400000_NS6detail17trampoline_kernelINS0_14default_configENS1_22reduce_config_selectorIN6thrust23THRUST_200600_302600_NS5tupleIblNS6_9null_typeES8_S8_S8_S8_S8_S8_S8_EEEEZNS1_11reduce_implILb1ES3_NS6_12zip_iteratorINS7_INS6_11hip_rocprim26transform_input_iterator_tIbNSD_35transform_pair_of_input_iterators_tIbNS6_6detail15normal_iteratorINS6_10device_ptrIKiEEEESL_NS6_8equal_toIiEEEENSG_9not_fun_tINSD_8identityEEEEENSD_19counting_iterator_tIlEES8_S8_S8_S8_S8_S8_S8_S8_EEEEPS9_S9_NSD_9__find_if7functorIS9_EEEE10hipError_tPvRmT1_T2_T3_mT4_P12ihipStream_tbEUlT_E0_NS1_11comp_targetILNS1_3genE8ELNS1_11target_archE1030ELNS1_3gpuE2ELNS1_3repE0EEENS1_30default_config_static_selectorELNS0_4arch9wavefront6targetE1EEEvS14_ ; -- Begin function _ZN7rocprim17ROCPRIM_400000_NS6detail17trampoline_kernelINS0_14default_configENS1_22reduce_config_selectorIN6thrust23THRUST_200600_302600_NS5tupleIblNS6_9null_typeES8_S8_S8_S8_S8_S8_S8_EEEEZNS1_11reduce_implILb1ES3_NS6_12zip_iteratorINS7_INS6_11hip_rocprim26transform_input_iterator_tIbNSD_35transform_pair_of_input_iterators_tIbNS6_6detail15normal_iteratorINS6_10device_ptrIKiEEEESL_NS6_8equal_toIiEEEENSG_9not_fun_tINSD_8identityEEEEENSD_19counting_iterator_tIlEES8_S8_S8_S8_S8_S8_S8_S8_EEEEPS9_S9_NSD_9__find_if7functorIS9_EEEE10hipError_tPvRmT1_T2_T3_mT4_P12ihipStream_tbEUlT_E0_NS1_11comp_targetILNS1_3genE8ELNS1_11target_archE1030ELNS1_3gpuE2ELNS1_3repE0EEENS1_30default_config_static_selectorELNS0_4arch9wavefront6targetE1EEEvS14_
	.globl	_ZN7rocprim17ROCPRIM_400000_NS6detail17trampoline_kernelINS0_14default_configENS1_22reduce_config_selectorIN6thrust23THRUST_200600_302600_NS5tupleIblNS6_9null_typeES8_S8_S8_S8_S8_S8_S8_EEEEZNS1_11reduce_implILb1ES3_NS6_12zip_iteratorINS7_INS6_11hip_rocprim26transform_input_iterator_tIbNSD_35transform_pair_of_input_iterators_tIbNS6_6detail15normal_iteratorINS6_10device_ptrIKiEEEESL_NS6_8equal_toIiEEEENSG_9not_fun_tINSD_8identityEEEEENSD_19counting_iterator_tIlEES8_S8_S8_S8_S8_S8_S8_S8_EEEEPS9_S9_NSD_9__find_if7functorIS9_EEEE10hipError_tPvRmT1_T2_T3_mT4_P12ihipStream_tbEUlT_E0_NS1_11comp_targetILNS1_3genE8ELNS1_11target_archE1030ELNS1_3gpuE2ELNS1_3repE0EEENS1_30default_config_static_selectorELNS0_4arch9wavefront6targetE1EEEvS14_
	.p2align	8
	.type	_ZN7rocprim17ROCPRIM_400000_NS6detail17trampoline_kernelINS0_14default_configENS1_22reduce_config_selectorIN6thrust23THRUST_200600_302600_NS5tupleIblNS6_9null_typeES8_S8_S8_S8_S8_S8_S8_EEEEZNS1_11reduce_implILb1ES3_NS6_12zip_iteratorINS7_INS6_11hip_rocprim26transform_input_iterator_tIbNSD_35transform_pair_of_input_iterators_tIbNS6_6detail15normal_iteratorINS6_10device_ptrIKiEEEESL_NS6_8equal_toIiEEEENSG_9not_fun_tINSD_8identityEEEEENSD_19counting_iterator_tIlEES8_S8_S8_S8_S8_S8_S8_S8_EEEEPS9_S9_NSD_9__find_if7functorIS9_EEEE10hipError_tPvRmT1_T2_T3_mT4_P12ihipStream_tbEUlT_E0_NS1_11comp_targetILNS1_3genE8ELNS1_11target_archE1030ELNS1_3gpuE2ELNS1_3repE0EEENS1_30default_config_static_selectorELNS0_4arch9wavefront6targetE1EEEvS14_,@function
_ZN7rocprim17ROCPRIM_400000_NS6detail17trampoline_kernelINS0_14default_configENS1_22reduce_config_selectorIN6thrust23THRUST_200600_302600_NS5tupleIblNS6_9null_typeES8_S8_S8_S8_S8_S8_S8_EEEEZNS1_11reduce_implILb1ES3_NS6_12zip_iteratorINS7_INS6_11hip_rocprim26transform_input_iterator_tIbNSD_35transform_pair_of_input_iterators_tIbNS6_6detail15normal_iteratorINS6_10device_ptrIKiEEEESL_NS6_8equal_toIiEEEENSG_9not_fun_tINSD_8identityEEEEENSD_19counting_iterator_tIlEES8_S8_S8_S8_S8_S8_S8_S8_EEEEPS9_S9_NSD_9__find_if7functorIS9_EEEE10hipError_tPvRmT1_T2_T3_mT4_P12ihipStream_tbEUlT_E0_NS1_11comp_targetILNS1_3genE8ELNS1_11target_archE1030ELNS1_3gpuE2ELNS1_3repE0EEENS1_30default_config_static_selectorELNS0_4arch9wavefront6targetE1EEEvS14_: ; @_ZN7rocprim17ROCPRIM_400000_NS6detail17trampoline_kernelINS0_14default_configENS1_22reduce_config_selectorIN6thrust23THRUST_200600_302600_NS5tupleIblNS6_9null_typeES8_S8_S8_S8_S8_S8_S8_EEEEZNS1_11reduce_implILb1ES3_NS6_12zip_iteratorINS7_INS6_11hip_rocprim26transform_input_iterator_tIbNSD_35transform_pair_of_input_iterators_tIbNS6_6detail15normal_iteratorINS6_10device_ptrIKiEEEESL_NS6_8equal_toIiEEEENSG_9not_fun_tINSD_8identityEEEEENSD_19counting_iterator_tIlEES8_S8_S8_S8_S8_S8_S8_S8_EEEEPS9_S9_NSD_9__find_if7functorIS9_EEEE10hipError_tPvRmT1_T2_T3_mT4_P12ihipStream_tbEUlT_E0_NS1_11comp_targetILNS1_3genE8ELNS1_11target_archE1030ELNS1_3gpuE2ELNS1_3repE0EEENS1_30default_config_static_selectorELNS0_4arch9wavefront6targetE1EEEvS14_
; %bb.0:
	.section	.rodata,"a",@progbits
	.p2align	6, 0x0
	.amdhsa_kernel _ZN7rocprim17ROCPRIM_400000_NS6detail17trampoline_kernelINS0_14default_configENS1_22reduce_config_selectorIN6thrust23THRUST_200600_302600_NS5tupleIblNS6_9null_typeES8_S8_S8_S8_S8_S8_S8_EEEEZNS1_11reduce_implILb1ES3_NS6_12zip_iteratorINS7_INS6_11hip_rocprim26transform_input_iterator_tIbNSD_35transform_pair_of_input_iterators_tIbNS6_6detail15normal_iteratorINS6_10device_ptrIKiEEEESL_NS6_8equal_toIiEEEENSG_9not_fun_tINSD_8identityEEEEENSD_19counting_iterator_tIlEES8_S8_S8_S8_S8_S8_S8_S8_EEEEPS9_S9_NSD_9__find_if7functorIS9_EEEE10hipError_tPvRmT1_T2_T3_mT4_P12ihipStream_tbEUlT_E0_NS1_11comp_targetILNS1_3genE8ELNS1_11target_archE1030ELNS1_3gpuE2ELNS1_3repE0EEENS1_30default_config_static_selectorELNS0_4arch9wavefront6targetE1EEEvS14_
		.amdhsa_group_segment_fixed_size 0
		.amdhsa_private_segment_fixed_size 0
		.amdhsa_kernarg_size 104
		.amdhsa_user_sgpr_count 6
		.amdhsa_user_sgpr_private_segment_buffer 1
		.amdhsa_user_sgpr_dispatch_ptr 0
		.amdhsa_user_sgpr_queue_ptr 0
		.amdhsa_user_sgpr_kernarg_segment_ptr 1
		.amdhsa_user_sgpr_dispatch_id 0
		.amdhsa_user_sgpr_flat_scratch_init 0
		.amdhsa_user_sgpr_private_segment_size 0
		.amdhsa_uses_dynamic_stack 0
		.amdhsa_system_sgpr_private_segment_wavefront_offset 0
		.amdhsa_system_sgpr_workgroup_id_x 1
		.amdhsa_system_sgpr_workgroup_id_y 0
		.amdhsa_system_sgpr_workgroup_id_z 0
		.amdhsa_system_sgpr_workgroup_info 0
		.amdhsa_system_vgpr_workitem_id 0
		.amdhsa_next_free_vgpr 1
		.amdhsa_next_free_sgpr 0
		.amdhsa_reserve_vcc 0
		.amdhsa_reserve_flat_scratch 0
		.amdhsa_float_round_mode_32 0
		.amdhsa_float_round_mode_16_64 0
		.amdhsa_float_denorm_mode_32 3
		.amdhsa_float_denorm_mode_16_64 3
		.amdhsa_dx10_clamp 1
		.amdhsa_ieee_mode 1
		.amdhsa_fp16_overflow 0
		.amdhsa_exception_fp_ieee_invalid_op 0
		.amdhsa_exception_fp_denorm_src 0
		.amdhsa_exception_fp_ieee_div_zero 0
		.amdhsa_exception_fp_ieee_overflow 0
		.amdhsa_exception_fp_ieee_underflow 0
		.amdhsa_exception_fp_ieee_inexact 0
		.amdhsa_exception_int_div_zero 0
	.end_amdhsa_kernel
	.section	.text._ZN7rocprim17ROCPRIM_400000_NS6detail17trampoline_kernelINS0_14default_configENS1_22reduce_config_selectorIN6thrust23THRUST_200600_302600_NS5tupleIblNS6_9null_typeES8_S8_S8_S8_S8_S8_S8_EEEEZNS1_11reduce_implILb1ES3_NS6_12zip_iteratorINS7_INS6_11hip_rocprim26transform_input_iterator_tIbNSD_35transform_pair_of_input_iterators_tIbNS6_6detail15normal_iteratorINS6_10device_ptrIKiEEEESL_NS6_8equal_toIiEEEENSG_9not_fun_tINSD_8identityEEEEENSD_19counting_iterator_tIlEES8_S8_S8_S8_S8_S8_S8_S8_EEEEPS9_S9_NSD_9__find_if7functorIS9_EEEE10hipError_tPvRmT1_T2_T3_mT4_P12ihipStream_tbEUlT_E0_NS1_11comp_targetILNS1_3genE8ELNS1_11target_archE1030ELNS1_3gpuE2ELNS1_3repE0EEENS1_30default_config_static_selectorELNS0_4arch9wavefront6targetE1EEEvS14_,"axG",@progbits,_ZN7rocprim17ROCPRIM_400000_NS6detail17trampoline_kernelINS0_14default_configENS1_22reduce_config_selectorIN6thrust23THRUST_200600_302600_NS5tupleIblNS6_9null_typeES8_S8_S8_S8_S8_S8_S8_EEEEZNS1_11reduce_implILb1ES3_NS6_12zip_iteratorINS7_INS6_11hip_rocprim26transform_input_iterator_tIbNSD_35transform_pair_of_input_iterators_tIbNS6_6detail15normal_iteratorINS6_10device_ptrIKiEEEESL_NS6_8equal_toIiEEEENSG_9not_fun_tINSD_8identityEEEEENSD_19counting_iterator_tIlEES8_S8_S8_S8_S8_S8_S8_S8_EEEEPS9_S9_NSD_9__find_if7functorIS9_EEEE10hipError_tPvRmT1_T2_T3_mT4_P12ihipStream_tbEUlT_E0_NS1_11comp_targetILNS1_3genE8ELNS1_11target_archE1030ELNS1_3gpuE2ELNS1_3repE0EEENS1_30default_config_static_selectorELNS0_4arch9wavefront6targetE1EEEvS14_,comdat
.Lfunc_end545:
	.size	_ZN7rocprim17ROCPRIM_400000_NS6detail17trampoline_kernelINS0_14default_configENS1_22reduce_config_selectorIN6thrust23THRUST_200600_302600_NS5tupleIblNS6_9null_typeES8_S8_S8_S8_S8_S8_S8_EEEEZNS1_11reduce_implILb1ES3_NS6_12zip_iteratorINS7_INS6_11hip_rocprim26transform_input_iterator_tIbNSD_35transform_pair_of_input_iterators_tIbNS6_6detail15normal_iteratorINS6_10device_ptrIKiEEEESL_NS6_8equal_toIiEEEENSG_9not_fun_tINSD_8identityEEEEENSD_19counting_iterator_tIlEES8_S8_S8_S8_S8_S8_S8_S8_EEEEPS9_S9_NSD_9__find_if7functorIS9_EEEE10hipError_tPvRmT1_T2_T3_mT4_P12ihipStream_tbEUlT_E0_NS1_11comp_targetILNS1_3genE8ELNS1_11target_archE1030ELNS1_3gpuE2ELNS1_3repE0EEENS1_30default_config_static_selectorELNS0_4arch9wavefront6targetE1EEEvS14_, .Lfunc_end545-_ZN7rocprim17ROCPRIM_400000_NS6detail17trampoline_kernelINS0_14default_configENS1_22reduce_config_selectorIN6thrust23THRUST_200600_302600_NS5tupleIblNS6_9null_typeES8_S8_S8_S8_S8_S8_S8_EEEEZNS1_11reduce_implILb1ES3_NS6_12zip_iteratorINS7_INS6_11hip_rocprim26transform_input_iterator_tIbNSD_35transform_pair_of_input_iterators_tIbNS6_6detail15normal_iteratorINS6_10device_ptrIKiEEEESL_NS6_8equal_toIiEEEENSG_9not_fun_tINSD_8identityEEEEENSD_19counting_iterator_tIlEES8_S8_S8_S8_S8_S8_S8_S8_EEEEPS9_S9_NSD_9__find_if7functorIS9_EEEE10hipError_tPvRmT1_T2_T3_mT4_P12ihipStream_tbEUlT_E0_NS1_11comp_targetILNS1_3genE8ELNS1_11target_archE1030ELNS1_3gpuE2ELNS1_3repE0EEENS1_30default_config_static_selectorELNS0_4arch9wavefront6targetE1EEEvS14_
                                        ; -- End function
	.set _ZN7rocprim17ROCPRIM_400000_NS6detail17trampoline_kernelINS0_14default_configENS1_22reduce_config_selectorIN6thrust23THRUST_200600_302600_NS5tupleIblNS6_9null_typeES8_S8_S8_S8_S8_S8_S8_EEEEZNS1_11reduce_implILb1ES3_NS6_12zip_iteratorINS7_INS6_11hip_rocprim26transform_input_iterator_tIbNSD_35transform_pair_of_input_iterators_tIbNS6_6detail15normal_iteratorINS6_10device_ptrIKiEEEESL_NS6_8equal_toIiEEEENSG_9not_fun_tINSD_8identityEEEEENSD_19counting_iterator_tIlEES8_S8_S8_S8_S8_S8_S8_S8_EEEEPS9_S9_NSD_9__find_if7functorIS9_EEEE10hipError_tPvRmT1_T2_T3_mT4_P12ihipStream_tbEUlT_E0_NS1_11comp_targetILNS1_3genE8ELNS1_11target_archE1030ELNS1_3gpuE2ELNS1_3repE0EEENS1_30default_config_static_selectorELNS0_4arch9wavefront6targetE1EEEvS14_.num_vgpr, 0
	.set _ZN7rocprim17ROCPRIM_400000_NS6detail17trampoline_kernelINS0_14default_configENS1_22reduce_config_selectorIN6thrust23THRUST_200600_302600_NS5tupleIblNS6_9null_typeES8_S8_S8_S8_S8_S8_S8_EEEEZNS1_11reduce_implILb1ES3_NS6_12zip_iteratorINS7_INS6_11hip_rocprim26transform_input_iterator_tIbNSD_35transform_pair_of_input_iterators_tIbNS6_6detail15normal_iteratorINS6_10device_ptrIKiEEEESL_NS6_8equal_toIiEEEENSG_9not_fun_tINSD_8identityEEEEENSD_19counting_iterator_tIlEES8_S8_S8_S8_S8_S8_S8_S8_EEEEPS9_S9_NSD_9__find_if7functorIS9_EEEE10hipError_tPvRmT1_T2_T3_mT4_P12ihipStream_tbEUlT_E0_NS1_11comp_targetILNS1_3genE8ELNS1_11target_archE1030ELNS1_3gpuE2ELNS1_3repE0EEENS1_30default_config_static_selectorELNS0_4arch9wavefront6targetE1EEEvS14_.num_agpr, 0
	.set _ZN7rocprim17ROCPRIM_400000_NS6detail17trampoline_kernelINS0_14default_configENS1_22reduce_config_selectorIN6thrust23THRUST_200600_302600_NS5tupleIblNS6_9null_typeES8_S8_S8_S8_S8_S8_S8_EEEEZNS1_11reduce_implILb1ES3_NS6_12zip_iteratorINS7_INS6_11hip_rocprim26transform_input_iterator_tIbNSD_35transform_pair_of_input_iterators_tIbNS6_6detail15normal_iteratorINS6_10device_ptrIKiEEEESL_NS6_8equal_toIiEEEENSG_9not_fun_tINSD_8identityEEEEENSD_19counting_iterator_tIlEES8_S8_S8_S8_S8_S8_S8_S8_EEEEPS9_S9_NSD_9__find_if7functorIS9_EEEE10hipError_tPvRmT1_T2_T3_mT4_P12ihipStream_tbEUlT_E0_NS1_11comp_targetILNS1_3genE8ELNS1_11target_archE1030ELNS1_3gpuE2ELNS1_3repE0EEENS1_30default_config_static_selectorELNS0_4arch9wavefront6targetE1EEEvS14_.numbered_sgpr, 0
	.set _ZN7rocprim17ROCPRIM_400000_NS6detail17trampoline_kernelINS0_14default_configENS1_22reduce_config_selectorIN6thrust23THRUST_200600_302600_NS5tupleIblNS6_9null_typeES8_S8_S8_S8_S8_S8_S8_EEEEZNS1_11reduce_implILb1ES3_NS6_12zip_iteratorINS7_INS6_11hip_rocprim26transform_input_iterator_tIbNSD_35transform_pair_of_input_iterators_tIbNS6_6detail15normal_iteratorINS6_10device_ptrIKiEEEESL_NS6_8equal_toIiEEEENSG_9not_fun_tINSD_8identityEEEEENSD_19counting_iterator_tIlEES8_S8_S8_S8_S8_S8_S8_S8_EEEEPS9_S9_NSD_9__find_if7functorIS9_EEEE10hipError_tPvRmT1_T2_T3_mT4_P12ihipStream_tbEUlT_E0_NS1_11comp_targetILNS1_3genE8ELNS1_11target_archE1030ELNS1_3gpuE2ELNS1_3repE0EEENS1_30default_config_static_selectorELNS0_4arch9wavefront6targetE1EEEvS14_.num_named_barrier, 0
	.set _ZN7rocprim17ROCPRIM_400000_NS6detail17trampoline_kernelINS0_14default_configENS1_22reduce_config_selectorIN6thrust23THRUST_200600_302600_NS5tupleIblNS6_9null_typeES8_S8_S8_S8_S8_S8_S8_EEEEZNS1_11reduce_implILb1ES3_NS6_12zip_iteratorINS7_INS6_11hip_rocprim26transform_input_iterator_tIbNSD_35transform_pair_of_input_iterators_tIbNS6_6detail15normal_iteratorINS6_10device_ptrIKiEEEESL_NS6_8equal_toIiEEEENSG_9not_fun_tINSD_8identityEEEEENSD_19counting_iterator_tIlEES8_S8_S8_S8_S8_S8_S8_S8_EEEEPS9_S9_NSD_9__find_if7functorIS9_EEEE10hipError_tPvRmT1_T2_T3_mT4_P12ihipStream_tbEUlT_E0_NS1_11comp_targetILNS1_3genE8ELNS1_11target_archE1030ELNS1_3gpuE2ELNS1_3repE0EEENS1_30default_config_static_selectorELNS0_4arch9wavefront6targetE1EEEvS14_.private_seg_size, 0
	.set _ZN7rocprim17ROCPRIM_400000_NS6detail17trampoline_kernelINS0_14default_configENS1_22reduce_config_selectorIN6thrust23THRUST_200600_302600_NS5tupleIblNS6_9null_typeES8_S8_S8_S8_S8_S8_S8_EEEEZNS1_11reduce_implILb1ES3_NS6_12zip_iteratorINS7_INS6_11hip_rocprim26transform_input_iterator_tIbNSD_35transform_pair_of_input_iterators_tIbNS6_6detail15normal_iteratorINS6_10device_ptrIKiEEEESL_NS6_8equal_toIiEEEENSG_9not_fun_tINSD_8identityEEEEENSD_19counting_iterator_tIlEES8_S8_S8_S8_S8_S8_S8_S8_EEEEPS9_S9_NSD_9__find_if7functorIS9_EEEE10hipError_tPvRmT1_T2_T3_mT4_P12ihipStream_tbEUlT_E0_NS1_11comp_targetILNS1_3genE8ELNS1_11target_archE1030ELNS1_3gpuE2ELNS1_3repE0EEENS1_30default_config_static_selectorELNS0_4arch9wavefront6targetE1EEEvS14_.uses_vcc, 0
	.set _ZN7rocprim17ROCPRIM_400000_NS6detail17trampoline_kernelINS0_14default_configENS1_22reduce_config_selectorIN6thrust23THRUST_200600_302600_NS5tupleIblNS6_9null_typeES8_S8_S8_S8_S8_S8_S8_EEEEZNS1_11reduce_implILb1ES3_NS6_12zip_iteratorINS7_INS6_11hip_rocprim26transform_input_iterator_tIbNSD_35transform_pair_of_input_iterators_tIbNS6_6detail15normal_iteratorINS6_10device_ptrIKiEEEESL_NS6_8equal_toIiEEEENSG_9not_fun_tINSD_8identityEEEEENSD_19counting_iterator_tIlEES8_S8_S8_S8_S8_S8_S8_S8_EEEEPS9_S9_NSD_9__find_if7functorIS9_EEEE10hipError_tPvRmT1_T2_T3_mT4_P12ihipStream_tbEUlT_E0_NS1_11comp_targetILNS1_3genE8ELNS1_11target_archE1030ELNS1_3gpuE2ELNS1_3repE0EEENS1_30default_config_static_selectorELNS0_4arch9wavefront6targetE1EEEvS14_.uses_flat_scratch, 0
	.set _ZN7rocprim17ROCPRIM_400000_NS6detail17trampoline_kernelINS0_14default_configENS1_22reduce_config_selectorIN6thrust23THRUST_200600_302600_NS5tupleIblNS6_9null_typeES8_S8_S8_S8_S8_S8_S8_EEEEZNS1_11reduce_implILb1ES3_NS6_12zip_iteratorINS7_INS6_11hip_rocprim26transform_input_iterator_tIbNSD_35transform_pair_of_input_iterators_tIbNS6_6detail15normal_iteratorINS6_10device_ptrIKiEEEESL_NS6_8equal_toIiEEEENSG_9not_fun_tINSD_8identityEEEEENSD_19counting_iterator_tIlEES8_S8_S8_S8_S8_S8_S8_S8_EEEEPS9_S9_NSD_9__find_if7functorIS9_EEEE10hipError_tPvRmT1_T2_T3_mT4_P12ihipStream_tbEUlT_E0_NS1_11comp_targetILNS1_3genE8ELNS1_11target_archE1030ELNS1_3gpuE2ELNS1_3repE0EEENS1_30default_config_static_selectorELNS0_4arch9wavefront6targetE1EEEvS14_.has_dyn_sized_stack, 0
	.set _ZN7rocprim17ROCPRIM_400000_NS6detail17trampoline_kernelINS0_14default_configENS1_22reduce_config_selectorIN6thrust23THRUST_200600_302600_NS5tupleIblNS6_9null_typeES8_S8_S8_S8_S8_S8_S8_EEEEZNS1_11reduce_implILb1ES3_NS6_12zip_iteratorINS7_INS6_11hip_rocprim26transform_input_iterator_tIbNSD_35transform_pair_of_input_iterators_tIbNS6_6detail15normal_iteratorINS6_10device_ptrIKiEEEESL_NS6_8equal_toIiEEEENSG_9not_fun_tINSD_8identityEEEEENSD_19counting_iterator_tIlEES8_S8_S8_S8_S8_S8_S8_S8_EEEEPS9_S9_NSD_9__find_if7functorIS9_EEEE10hipError_tPvRmT1_T2_T3_mT4_P12ihipStream_tbEUlT_E0_NS1_11comp_targetILNS1_3genE8ELNS1_11target_archE1030ELNS1_3gpuE2ELNS1_3repE0EEENS1_30default_config_static_selectorELNS0_4arch9wavefront6targetE1EEEvS14_.has_recursion, 0
	.set _ZN7rocprim17ROCPRIM_400000_NS6detail17trampoline_kernelINS0_14default_configENS1_22reduce_config_selectorIN6thrust23THRUST_200600_302600_NS5tupleIblNS6_9null_typeES8_S8_S8_S8_S8_S8_S8_EEEEZNS1_11reduce_implILb1ES3_NS6_12zip_iteratorINS7_INS6_11hip_rocprim26transform_input_iterator_tIbNSD_35transform_pair_of_input_iterators_tIbNS6_6detail15normal_iteratorINS6_10device_ptrIKiEEEESL_NS6_8equal_toIiEEEENSG_9not_fun_tINSD_8identityEEEEENSD_19counting_iterator_tIlEES8_S8_S8_S8_S8_S8_S8_S8_EEEEPS9_S9_NSD_9__find_if7functorIS9_EEEE10hipError_tPvRmT1_T2_T3_mT4_P12ihipStream_tbEUlT_E0_NS1_11comp_targetILNS1_3genE8ELNS1_11target_archE1030ELNS1_3gpuE2ELNS1_3repE0EEENS1_30default_config_static_selectorELNS0_4arch9wavefront6targetE1EEEvS14_.has_indirect_call, 0
	.section	.AMDGPU.csdata,"",@progbits
; Kernel info:
; codeLenInByte = 0
; TotalNumSgprs: 4
; NumVgprs: 0
; ScratchSize: 0
; MemoryBound: 0
; FloatMode: 240
; IeeeMode: 1
; LDSByteSize: 0 bytes/workgroup (compile time only)
; SGPRBlocks: 0
; VGPRBlocks: 0
; NumSGPRsForWavesPerEU: 4
; NumVGPRsForWavesPerEU: 1
; Occupancy: 10
; WaveLimiterHint : 0
; COMPUTE_PGM_RSRC2:SCRATCH_EN: 0
; COMPUTE_PGM_RSRC2:USER_SGPR: 6
; COMPUTE_PGM_RSRC2:TRAP_HANDLER: 0
; COMPUTE_PGM_RSRC2:TGID_X_EN: 1
; COMPUTE_PGM_RSRC2:TGID_Y_EN: 0
; COMPUTE_PGM_RSRC2:TGID_Z_EN: 0
; COMPUTE_PGM_RSRC2:TIDIG_COMP_CNT: 0
	.section	.text._ZN7rocprim17ROCPRIM_400000_NS6detail17trampoline_kernelINS0_14default_configENS1_22reduce_config_selectorIN6thrust23THRUST_200600_302600_NS5tupleIblNS6_9null_typeES8_S8_S8_S8_S8_S8_S8_EEEEZNS1_11reduce_implILb1ES3_NS6_12zip_iteratorINS7_INS6_11hip_rocprim26transform_input_iterator_tIbNSD_35transform_pair_of_input_iterators_tIbNS6_6detail15normal_iteratorINS6_10device_ptrIKiEEEESL_NS6_8equal_toIiEEEENSG_9not_fun_tINSD_8identityEEEEENSD_19counting_iterator_tIlEES8_S8_S8_S8_S8_S8_S8_S8_EEEEPS9_S9_NSD_9__find_if7functorIS9_EEEE10hipError_tPvRmT1_T2_T3_mT4_P12ihipStream_tbEUlT_E1_NS1_11comp_targetILNS1_3genE0ELNS1_11target_archE4294967295ELNS1_3gpuE0ELNS1_3repE0EEENS1_30default_config_static_selectorELNS0_4arch9wavefront6targetE1EEEvS14_,"axG",@progbits,_ZN7rocprim17ROCPRIM_400000_NS6detail17trampoline_kernelINS0_14default_configENS1_22reduce_config_selectorIN6thrust23THRUST_200600_302600_NS5tupleIblNS6_9null_typeES8_S8_S8_S8_S8_S8_S8_EEEEZNS1_11reduce_implILb1ES3_NS6_12zip_iteratorINS7_INS6_11hip_rocprim26transform_input_iterator_tIbNSD_35transform_pair_of_input_iterators_tIbNS6_6detail15normal_iteratorINS6_10device_ptrIKiEEEESL_NS6_8equal_toIiEEEENSG_9not_fun_tINSD_8identityEEEEENSD_19counting_iterator_tIlEES8_S8_S8_S8_S8_S8_S8_S8_EEEEPS9_S9_NSD_9__find_if7functorIS9_EEEE10hipError_tPvRmT1_T2_T3_mT4_P12ihipStream_tbEUlT_E1_NS1_11comp_targetILNS1_3genE0ELNS1_11target_archE4294967295ELNS1_3gpuE0ELNS1_3repE0EEENS1_30default_config_static_selectorELNS0_4arch9wavefront6targetE1EEEvS14_,comdat
	.protected	_ZN7rocprim17ROCPRIM_400000_NS6detail17trampoline_kernelINS0_14default_configENS1_22reduce_config_selectorIN6thrust23THRUST_200600_302600_NS5tupleIblNS6_9null_typeES8_S8_S8_S8_S8_S8_S8_EEEEZNS1_11reduce_implILb1ES3_NS6_12zip_iteratorINS7_INS6_11hip_rocprim26transform_input_iterator_tIbNSD_35transform_pair_of_input_iterators_tIbNS6_6detail15normal_iteratorINS6_10device_ptrIKiEEEESL_NS6_8equal_toIiEEEENSG_9not_fun_tINSD_8identityEEEEENSD_19counting_iterator_tIlEES8_S8_S8_S8_S8_S8_S8_S8_EEEEPS9_S9_NSD_9__find_if7functorIS9_EEEE10hipError_tPvRmT1_T2_T3_mT4_P12ihipStream_tbEUlT_E1_NS1_11comp_targetILNS1_3genE0ELNS1_11target_archE4294967295ELNS1_3gpuE0ELNS1_3repE0EEENS1_30default_config_static_selectorELNS0_4arch9wavefront6targetE1EEEvS14_ ; -- Begin function _ZN7rocprim17ROCPRIM_400000_NS6detail17trampoline_kernelINS0_14default_configENS1_22reduce_config_selectorIN6thrust23THRUST_200600_302600_NS5tupleIblNS6_9null_typeES8_S8_S8_S8_S8_S8_S8_EEEEZNS1_11reduce_implILb1ES3_NS6_12zip_iteratorINS7_INS6_11hip_rocprim26transform_input_iterator_tIbNSD_35transform_pair_of_input_iterators_tIbNS6_6detail15normal_iteratorINS6_10device_ptrIKiEEEESL_NS6_8equal_toIiEEEENSG_9not_fun_tINSD_8identityEEEEENSD_19counting_iterator_tIlEES8_S8_S8_S8_S8_S8_S8_S8_EEEEPS9_S9_NSD_9__find_if7functorIS9_EEEE10hipError_tPvRmT1_T2_T3_mT4_P12ihipStream_tbEUlT_E1_NS1_11comp_targetILNS1_3genE0ELNS1_11target_archE4294967295ELNS1_3gpuE0ELNS1_3repE0EEENS1_30default_config_static_selectorELNS0_4arch9wavefront6targetE1EEEvS14_
	.globl	_ZN7rocprim17ROCPRIM_400000_NS6detail17trampoline_kernelINS0_14default_configENS1_22reduce_config_selectorIN6thrust23THRUST_200600_302600_NS5tupleIblNS6_9null_typeES8_S8_S8_S8_S8_S8_S8_EEEEZNS1_11reduce_implILb1ES3_NS6_12zip_iteratorINS7_INS6_11hip_rocprim26transform_input_iterator_tIbNSD_35transform_pair_of_input_iterators_tIbNS6_6detail15normal_iteratorINS6_10device_ptrIKiEEEESL_NS6_8equal_toIiEEEENSG_9not_fun_tINSD_8identityEEEEENSD_19counting_iterator_tIlEES8_S8_S8_S8_S8_S8_S8_S8_EEEEPS9_S9_NSD_9__find_if7functorIS9_EEEE10hipError_tPvRmT1_T2_T3_mT4_P12ihipStream_tbEUlT_E1_NS1_11comp_targetILNS1_3genE0ELNS1_11target_archE4294967295ELNS1_3gpuE0ELNS1_3repE0EEENS1_30default_config_static_selectorELNS0_4arch9wavefront6targetE1EEEvS14_
	.p2align	8
	.type	_ZN7rocprim17ROCPRIM_400000_NS6detail17trampoline_kernelINS0_14default_configENS1_22reduce_config_selectorIN6thrust23THRUST_200600_302600_NS5tupleIblNS6_9null_typeES8_S8_S8_S8_S8_S8_S8_EEEEZNS1_11reduce_implILb1ES3_NS6_12zip_iteratorINS7_INS6_11hip_rocprim26transform_input_iterator_tIbNSD_35transform_pair_of_input_iterators_tIbNS6_6detail15normal_iteratorINS6_10device_ptrIKiEEEESL_NS6_8equal_toIiEEEENSG_9not_fun_tINSD_8identityEEEEENSD_19counting_iterator_tIlEES8_S8_S8_S8_S8_S8_S8_S8_EEEEPS9_S9_NSD_9__find_if7functorIS9_EEEE10hipError_tPvRmT1_T2_T3_mT4_P12ihipStream_tbEUlT_E1_NS1_11comp_targetILNS1_3genE0ELNS1_11target_archE4294967295ELNS1_3gpuE0ELNS1_3repE0EEENS1_30default_config_static_selectorELNS0_4arch9wavefront6targetE1EEEvS14_,@function
_ZN7rocprim17ROCPRIM_400000_NS6detail17trampoline_kernelINS0_14default_configENS1_22reduce_config_selectorIN6thrust23THRUST_200600_302600_NS5tupleIblNS6_9null_typeES8_S8_S8_S8_S8_S8_S8_EEEEZNS1_11reduce_implILb1ES3_NS6_12zip_iteratorINS7_INS6_11hip_rocprim26transform_input_iterator_tIbNSD_35transform_pair_of_input_iterators_tIbNS6_6detail15normal_iteratorINS6_10device_ptrIKiEEEESL_NS6_8equal_toIiEEEENSG_9not_fun_tINSD_8identityEEEEENSD_19counting_iterator_tIlEES8_S8_S8_S8_S8_S8_S8_S8_EEEEPS9_S9_NSD_9__find_if7functorIS9_EEEE10hipError_tPvRmT1_T2_T3_mT4_P12ihipStream_tbEUlT_E1_NS1_11comp_targetILNS1_3genE0ELNS1_11target_archE4294967295ELNS1_3gpuE0ELNS1_3repE0EEENS1_30default_config_static_selectorELNS0_4arch9wavefront6targetE1EEEvS14_: ; @_ZN7rocprim17ROCPRIM_400000_NS6detail17trampoline_kernelINS0_14default_configENS1_22reduce_config_selectorIN6thrust23THRUST_200600_302600_NS5tupleIblNS6_9null_typeES8_S8_S8_S8_S8_S8_S8_EEEEZNS1_11reduce_implILb1ES3_NS6_12zip_iteratorINS7_INS6_11hip_rocprim26transform_input_iterator_tIbNSD_35transform_pair_of_input_iterators_tIbNS6_6detail15normal_iteratorINS6_10device_ptrIKiEEEESL_NS6_8equal_toIiEEEENSG_9not_fun_tINSD_8identityEEEEENSD_19counting_iterator_tIlEES8_S8_S8_S8_S8_S8_S8_S8_EEEEPS9_S9_NSD_9__find_if7functorIS9_EEEE10hipError_tPvRmT1_T2_T3_mT4_P12ihipStream_tbEUlT_E1_NS1_11comp_targetILNS1_3genE0ELNS1_11target_archE4294967295ELNS1_3gpuE0ELNS1_3repE0EEENS1_30default_config_static_selectorELNS0_4arch9wavefront6targetE1EEEvS14_
; %bb.0:
	.section	.rodata,"a",@progbits
	.p2align	6, 0x0
	.amdhsa_kernel _ZN7rocprim17ROCPRIM_400000_NS6detail17trampoline_kernelINS0_14default_configENS1_22reduce_config_selectorIN6thrust23THRUST_200600_302600_NS5tupleIblNS6_9null_typeES8_S8_S8_S8_S8_S8_S8_EEEEZNS1_11reduce_implILb1ES3_NS6_12zip_iteratorINS7_INS6_11hip_rocprim26transform_input_iterator_tIbNSD_35transform_pair_of_input_iterators_tIbNS6_6detail15normal_iteratorINS6_10device_ptrIKiEEEESL_NS6_8equal_toIiEEEENSG_9not_fun_tINSD_8identityEEEEENSD_19counting_iterator_tIlEES8_S8_S8_S8_S8_S8_S8_S8_EEEEPS9_S9_NSD_9__find_if7functorIS9_EEEE10hipError_tPvRmT1_T2_T3_mT4_P12ihipStream_tbEUlT_E1_NS1_11comp_targetILNS1_3genE0ELNS1_11target_archE4294967295ELNS1_3gpuE0ELNS1_3repE0EEENS1_30default_config_static_selectorELNS0_4arch9wavefront6targetE1EEEvS14_
		.amdhsa_group_segment_fixed_size 0
		.amdhsa_private_segment_fixed_size 0
		.amdhsa_kernarg_size 88
		.amdhsa_user_sgpr_count 6
		.amdhsa_user_sgpr_private_segment_buffer 1
		.amdhsa_user_sgpr_dispatch_ptr 0
		.amdhsa_user_sgpr_queue_ptr 0
		.amdhsa_user_sgpr_kernarg_segment_ptr 1
		.amdhsa_user_sgpr_dispatch_id 0
		.amdhsa_user_sgpr_flat_scratch_init 0
		.amdhsa_user_sgpr_private_segment_size 0
		.amdhsa_uses_dynamic_stack 0
		.amdhsa_system_sgpr_private_segment_wavefront_offset 0
		.amdhsa_system_sgpr_workgroup_id_x 1
		.amdhsa_system_sgpr_workgroup_id_y 0
		.amdhsa_system_sgpr_workgroup_id_z 0
		.amdhsa_system_sgpr_workgroup_info 0
		.amdhsa_system_vgpr_workitem_id 0
		.amdhsa_next_free_vgpr 1
		.amdhsa_next_free_sgpr 0
		.amdhsa_reserve_vcc 0
		.amdhsa_reserve_flat_scratch 0
		.amdhsa_float_round_mode_32 0
		.amdhsa_float_round_mode_16_64 0
		.amdhsa_float_denorm_mode_32 3
		.amdhsa_float_denorm_mode_16_64 3
		.amdhsa_dx10_clamp 1
		.amdhsa_ieee_mode 1
		.amdhsa_fp16_overflow 0
		.amdhsa_exception_fp_ieee_invalid_op 0
		.amdhsa_exception_fp_denorm_src 0
		.amdhsa_exception_fp_ieee_div_zero 0
		.amdhsa_exception_fp_ieee_overflow 0
		.amdhsa_exception_fp_ieee_underflow 0
		.amdhsa_exception_fp_ieee_inexact 0
		.amdhsa_exception_int_div_zero 0
	.end_amdhsa_kernel
	.section	.text._ZN7rocprim17ROCPRIM_400000_NS6detail17trampoline_kernelINS0_14default_configENS1_22reduce_config_selectorIN6thrust23THRUST_200600_302600_NS5tupleIblNS6_9null_typeES8_S8_S8_S8_S8_S8_S8_EEEEZNS1_11reduce_implILb1ES3_NS6_12zip_iteratorINS7_INS6_11hip_rocprim26transform_input_iterator_tIbNSD_35transform_pair_of_input_iterators_tIbNS6_6detail15normal_iteratorINS6_10device_ptrIKiEEEESL_NS6_8equal_toIiEEEENSG_9not_fun_tINSD_8identityEEEEENSD_19counting_iterator_tIlEES8_S8_S8_S8_S8_S8_S8_S8_EEEEPS9_S9_NSD_9__find_if7functorIS9_EEEE10hipError_tPvRmT1_T2_T3_mT4_P12ihipStream_tbEUlT_E1_NS1_11comp_targetILNS1_3genE0ELNS1_11target_archE4294967295ELNS1_3gpuE0ELNS1_3repE0EEENS1_30default_config_static_selectorELNS0_4arch9wavefront6targetE1EEEvS14_,"axG",@progbits,_ZN7rocprim17ROCPRIM_400000_NS6detail17trampoline_kernelINS0_14default_configENS1_22reduce_config_selectorIN6thrust23THRUST_200600_302600_NS5tupleIblNS6_9null_typeES8_S8_S8_S8_S8_S8_S8_EEEEZNS1_11reduce_implILb1ES3_NS6_12zip_iteratorINS7_INS6_11hip_rocprim26transform_input_iterator_tIbNSD_35transform_pair_of_input_iterators_tIbNS6_6detail15normal_iteratorINS6_10device_ptrIKiEEEESL_NS6_8equal_toIiEEEENSG_9not_fun_tINSD_8identityEEEEENSD_19counting_iterator_tIlEES8_S8_S8_S8_S8_S8_S8_S8_EEEEPS9_S9_NSD_9__find_if7functorIS9_EEEE10hipError_tPvRmT1_T2_T3_mT4_P12ihipStream_tbEUlT_E1_NS1_11comp_targetILNS1_3genE0ELNS1_11target_archE4294967295ELNS1_3gpuE0ELNS1_3repE0EEENS1_30default_config_static_selectorELNS0_4arch9wavefront6targetE1EEEvS14_,comdat
.Lfunc_end546:
	.size	_ZN7rocprim17ROCPRIM_400000_NS6detail17trampoline_kernelINS0_14default_configENS1_22reduce_config_selectorIN6thrust23THRUST_200600_302600_NS5tupleIblNS6_9null_typeES8_S8_S8_S8_S8_S8_S8_EEEEZNS1_11reduce_implILb1ES3_NS6_12zip_iteratorINS7_INS6_11hip_rocprim26transform_input_iterator_tIbNSD_35transform_pair_of_input_iterators_tIbNS6_6detail15normal_iteratorINS6_10device_ptrIKiEEEESL_NS6_8equal_toIiEEEENSG_9not_fun_tINSD_8identityEEEEENSD_19counting_iterator_tIlEES8_S8_S8_S8_S8_S8_S8_S8_EEEEPS9_S9_NSD_9__find_if7functorIS9_EEEE10hipError_tPvRmT1_T2_T3_mT4_P12ihipStream_tbEUlT_E1_NS1_11comp_targetILNS1_3genE0ELNS1_11target_archE4294967295ELNS1_3gpuE0ELNS1_3repE0EEENS1_30default_config_static_selectorELNS0_4arch9wavefront6targetE1EEEvS14_, .Lfunc_end546-_ZN7rocprim17ROCPRIM_400000_NS6detail17trampoline_kernelINS0_14default_configENS1_22reduce_config_selectorIN6thrust23THRUST_200600_302600_NS5tupleIblNS6_9null_typeES8_S8_S8_S8_S8_S8_S8_EEEEZNS1_11reduce_implILb1ES3_NS6_12zip_iteratorINS7_INS6_11hip_rocprim26transform_input_iterator_tIbNSD_35transform_pair_of_input_iterators_tIbNS6_6detail15normal_iteratorINS6_10device_ptrIKiEEEESL_NS6_8equal_toIiEEEENSG_9not_fun_tINSD_8identityEEEEENSD_19counting_iterator_tIlEES8_S8_S8_S8_S8_S8_S8_S8_EEEEPS9_S9_NSD_9__find_if7functorIS9_EEEE10hipError_tPvRmT1_T2_T3_mT4_P12ihipStream_tbEUlT_E1_NS1_11comp_targetILNS1_3genE0ELNS1_11target_archE4294967295ELNS1_3gpuE0ELNS1_3repE0EEENS1_30default_config_static_selectorELNS0_4arch9wavefront6targetE1EEEvS14_
                                        ; -- End function
	.set _ZN7rocprim17ROCPRIM_400000_NS6detail17trampoline_kernelINS0_14default_configENS1_22reduce_config_selectorIN6thrust23THRUST_200600_302600_NS5tupleIblNS6_9null_typeES8_S8_S8_S8_S8_S8_S8_EEEEZNS1_11reduce_implILb1ES3_NS6_12zip_iteratorINS7_INS6_11hip_rocprim26transform_input_iterator_tIbNSD_35transform_pair_of_input_iterators_tIbNS6_6detail15normal_iteratorINS6_10device_ptrIKiEEEESL_NS6_8equal_toIiEEEENSG_9not_fun_tINSD_8identityEEEEENSD_19counting_iterator_tIlEES8_S8_S8_S8_S8_S8_S8_S8_EEEEPS9_S9_NSD_9__find_if7functorIS9_EEEE10hipError_tPvRmT1_T2_T3_mT4_P12ihipStream_tbEUlT_E1_NS1_11comp_targetILNS1_3genE0ELNS1_11target_archE4294967295ELNS1_3gpuE0ELNS1_3repE0EEENS1_30default_config_static_selectorELNS0_4arch9wavefront6targetE1EEEvS14_.num_vgpr, 0
	.set _ZN7rocprim17ROCPRIM_400000_NS6detail17trampoline_kernelINS0_14default_configENS1_22reduce_config_selectorIN6thrust23THRUST_200600_302600_NS5tupleIblNS6_9null_typeES8_S8_S8_S8_S8_S8_S8_EEEEZNS1_11reduce_implILb1ES3_NS6_12zip_iteratorINS7_INS6_11hip_rocprim26transform_input_iterator_tIbNSD_35transform_pair_of_input_iterators_tIbNS6_6detail15normal_iteratorINS6_10device_ptrIKiEEEESL_NS6_8equal_toIiEEEENSG_9not_fun_tINSD_8identityEEEEENSD_19counting_iterator_tIlEES8_S8_S8_S8_S8_S8_S8_S8_EEEEPS9_S9_NSD_9__find_if7functorIS9_EEEE10hipError_tPvRmT1_T2_T3_mT4_P12ihipStream_tbEUlT_E1_NS1_11comp_targetILNS1_3genE0ELNS1_11target_archE4294967295ELNS1_3gpuE0ELNS1_3repE0EEENS1_30default_config_static_selectorELNS0_4arch9wavefront6targetE1EEEvS14_.num_agpr, 0
	.set _ZN7rocprim17ROCPRIM_400000_NS6detail17trampoline_kernelINS0_14default_configENS1_22reduce_config_selectorIN6thrust23THRUST_200600_302600_NS5tupleIblNS6_9null_typeES8_S8_S8_S8_S8_S8_S8_EEEEZNS1_11reduce_implILb1ES3_NS6_12zip_iteratorINS7_INS6_11hip_rocprim26transform_input_iterator_tIbNSD_35transform_pair_of_input_iterators_tIbNS6_6detail15normal_iteratorINS6_10device_ptrIKiEEEESL_NS6_8equal_toIiEEEENSG_9not_fun_tINSD_8identityEEEEENSD_19counting_iterator_tIlEES8_S8_S8_S8_S8_S8_S8_S8_EEEEPS9_S9_NSD_9__find_if7functorIS9_EEEE10hipError_tPvRmT1_T2_T3_mT4_P12ihipStream_tbEUlT_E1_NS1_11comp_targetILNS1_3genE0ELNS1_11target_archE4294967295ELNS1_3gpuE0ELNS1_3repE0EEENS1_30default_config_static_selectorELNS0_4arch9wavefront6targetE1EEEvS14_.numbered_sgpr, 0
	.set _ZN7rocprim17ROCPRIM_400000_NS6detail17trampoline_kernelINS0_14default_configENS1_22reduce_config_selectorIN6thrust23THRUST_200600_302600_NS5tupleIblNS6_9null_typeES8_S8_S8_S8_S8_S8_S8_EEEEZNS1_11reduce_implILb1ES3_NS6_12zip_iteratorINS7_INS6_11hip_rocprim26transform_input_iterator_tIbNSD_35transform_pair_of_input_iterators_tIbNS6_6detail15normal_iteratorINS6_10device_ptrIKiEEEESL_NS6_8equal_toIiEEEENSG_9not_fun_tINSD_8identityEEEEENSD_19counting_iterator_tIlEES8_S8_S8_S8_S8_S8_S8_S8_EEEEPS9_S9_NSD_9__find_if7functorIS9_EEEE10hipError_tPvRmT1_T2_T3_mT4_P12ihipStream_tbEUlT_E1_NS1_11comp_targetILNS1_3genE0ELNS1_11target_archE4294967295ELNS1_3gpuE0ELNS1_3repE0EEENS1_30default_config_static_selectorELNS0_4arch9wavefront6targetE1EEEvS14_.num_named_barrier, 0
	.set _ZN7rocprim17ROCPRIM_400000_NS6detail17trampoline_kernelINS0_14default_configENS1_22reduce_config_selectorIN6thrust23THRUST_200600_302600_NS5tupleIblNS6_9null_typeES8_S8_S8_S8_S8_S8_S8_EEEEZNS1_11reduce_implILb1ES3_NS6_12zip_iteratorINS7_INS6_11hip_rocprim26transform_input_iterator_tIbNSD_35transform_pair_of_input_iterators_tIbNS6_6detail15normal_iteratorINS6_10device_ptrIKiEEEESL_NS6_8equal_toIiEEEENSG_9not_fun_tINSD_8identityEEEEENSD_19counting_iterator_tIlEES8_S8_S8_S8_S8_S8_S8_S8_EEEEPS9_S9_NSD_9__find_if7functorIS9_EEEE10hipError_tPvRmT1_T2_T3_mT4_P12ihipStream_tbEUlT_E1_NS1_11comp_targetILNS1_3genE0ELNS1_11target_archE4294967295ELNS1_3gpuE0ELNS1_3repE0EEENS1_30default_config_static_selectorELNS0_4arch9wavefront6targetE1EEEvS14_.private_seg_size, 0
	.set _ZN7rocprim17ROCPRIM_400000_NS6detail17trampoline_kernelINS0_14default_configENS1_22reduce_config_selectorIN6thrust23THRUST_200600_302600_NS5tupleIblNS6_9null_typeES8_S8_S8_S8_S8_S8_S8_EEEEZNS1_11reduce_implILb1ES3_NS6_12zip_iteratorINS7_INS6_11hip_rocprim26transform_input_iterator_tIbNSD_35transform_pair_of_input_iterators_tIbNS6_6detail15normal_iteratorINS6_10device_ptrIKiEEEESL_NS6_8equal_toIiEEEENSG_9not_fun_tINSD_8identityEEEEENSD_19counting_iterator_tIlEES8_S8_S8_S8_S8_S8_S8_S8_EEEEPS9_S9_NSD_9__find_if7functorIS9_EEEE10hipError_tPvRmT1_T2_T3_mT4_P12ihipStream_tbEUlT_E1_NS1_11comp_targetILNS1_3genE0ELNS1_11target_archE4294967295ELNS1_3gpuE0ELNS1_3repE0EEENS1_30default_config_static_selectorELNS0_4arch9wavefront6targetE1EEEvS14_.uses_vcc, 0
	.set _ZN7rocprim17ROCPRIM_400000_NS6detail17trampoline_kernelINS0_14default_configENS1_22reduce_config_selectorIN6thrust23THRUST_200600_302600_NS5tupleIblNS6_9null_typeES8_S8_S8_S8_S8_S8_S8_EEEEZNS1_11reduce_implILb1ES3_NS6_12zip_iteratorINS7_INS6_11hip_rocprim26transform_input_iterator_tIbNSD_35transform_pair_of_input_iterators_tIbNS6_6detail15normal_iteratorINS6_10device_ptrIKiEEEESL_NS6_8equal_toIiEEEENSG_9not_fun_tINSD_8identityEEEEENSD_19counting_iterator_tIlEES8_S8_S8_S8_S8_S8_S8_S8_EEEEPS9_S9_NSD_9__find_if7functorIS9_EEEE10hipError_tPvRmT1_T2_T3_mT4_P12ihipStream_tbEUlT_E1_NS1_11comp_targetILNS1_3genE0ELNS1_11target_archE4294967295ELNS1_3gpuE0ELNS1_3repE0EEENS1_30default_config_static_selectorELNS0_4arch9wavefront6targetE1EEEvS14_.uses_flat_scratch, 0
	.set _ZN7rocprim17ROCPRIM_400000_NS6detail17trampoline_kernelINS0_14default_configENS1_22reduce_config_selectorIN6thrust23THRUST_200600_302600_NS5tupleIblNS6_9null_typeES8_S8_S8_S8_S8_S8_S8_EEEEZNS1_11reduce_implILb1ES3_NS6_12zip_iteratorINS7_INS6_11hip_rocprim26transform_input_iterator_tIbNSD_35transform_pair_of_input_iterators_tIbNS6_6detail15normal_iteratorINS6_10device_ptrIKiEEEESL_NS6_8equal_toIiEEEENSG_9not_fun_tINSD_8identityEEEEENSD_19counting_iterator_tIlEES8_S8_S8_S8_S8_S8_S8_S8_EEEEPS9_S9_NSD_9__find_if7functorIS9_EEEE10hipError_tPvRmT1_T2_T3_mT4_P12ihipStream_tbEUlT_E1_NS1_11comp_targetILNS1_3genE0ELNS1_11target_archE4294967295ELNS1_3gpuE0ELNS1_3repE0EEENS1_30default_config_static_selectorELNS0_4arch9wavefront6targetE1EEEvS14_.has_dyn_sized_stack, 0
	.set _ZN7rocprim17ROCPRIM_400000_NS6detail17trampoline_kernelINS0_14default_configENS1_22reduce_config_selectorIN6thrust23THRUST_200600_302600_NS5tupleIblNS6_9null_typeES8_S8_S8_S8_S8_S8_S8_EEEEZNS1_11reduce_implILb1ES3_NS6_12zip_iteratorINS7_INS6_11hip_rocprim26transform_input_iterator_tIbNSD_35transform_pair_of_input_iterators_tIbNS6_6detail15normal_iteratorINS6_10device_ptrIKiEEEESL_NS6_8equal_toIiEEEENSG_9not_fun_tINSD_8identityEEEEENSD_19counting_iterator_tIlEES8_S8_S8_S8_S8_S8_S8_S8_EEEEPS9_S9_NSD_9__find_if7functorIS9_EEEE10hipError_tPvRmT1_T2_T3_mT4_P12ihipStream_tbEUlT_E1_NS1_11comp_targetILNS1_3genE0ELNS1_11target_archE4294967295ELNS1_3gpuE0ELNS1_3repE0EEENS1_30default_config_static_selectorELNS0_4arch9wavefront6targetE1EEEvS14_.has_recursion, 0
	.set _ZN7rocprim17ROCPRIM_400000_NS6detail17trampoline_kernelINS0_14default_configENS1_22reduce_config_selectorIN6thrust23THRUST_200600_302600_NS5tupleIblNS6_9null_typeES8_S8_S8_S8_S8_S8_S8_EEEEZNS1_11reduce_implILb1ES3_NS6_12zip_iteratorINS7_INS6_11hip_rocprim26transform_input_iterator_tIbNSD_35transform_pair_of_input_iterators_tIbNS6_6detail15normal_iteratorINS6_10device_ptrIKiEEEESL_NS6_8equal_toIiEEEENSG_9not_fun_tINSD_8identityEEEEENSD_19counting_iterator_tIlEES8_S8_S8_S8_S8_S8_S8_S8_EEEEPS9_S9_NSD_9__find_if7functorIS9_EEEE10hipError_tPvRmT1_T2_T3_mT4_P12ihipStream_tbEUlT_E1_NS1_11comp_targetILNS1_3genE0ELNS1_11target_archE4294967295ELNS1_3gpuE0ELNS1_3repE0EEENS1_30default_config_static_selectorELNS0_4arch9wavefront6targetE1EEEvS14_.has_indirect_call, 0
	.section	.AMDGPU.csdata,"",@progbits
; Kernel info:
; codeLenInByte = 0
; TotalNumSgprs: 4
; NumVgprs: 0
; ScratchSize: 0
; MemoryBound: 0
; FloatMode: 240
; IeeeMode: 1
; LDSByteSize: 0 bytes/workgroup (compile time only)
; SGPRBlocks: 0
; VGPRBlocks: 0
; NumSGPRsForWavesPerEU: 4
; NumVGPRsForWavesPerEU: 1
; Occupancy: 10
; WaveLimiterHint : 0
; COMPUTE_PGM_RSRC2:SCRATCH_EN: 0
; COMPUTE_PGM_RSRC2:USER_SGPR: 6
; COMPUTE_PGM_RSRC2:TRAP_HANDLER: 0
; COMPUTE_PGM_RSRC2:TGID_X_EN: 1
; COMPUTE_PGM_RSRC2:TGID_Y_EN: 0
; COMPUTE_PGM_RSRC2:TGID_Z_EN: 0
; COMPUTE_PGM_RSRC2:TIDIG_COMP_CNT: 0
	.section	.text._ZN7rocprim17ROCPRIM_400000_NS6detail17trampoline_kernelINS0_14default_configENS1_22reduce_config_selectorIN6thrust23THRUST_200600_302600_NS5tupleIblNS6_9null_typeES8_S8_S8_S8_S8_S8_S8_EEEEZNS1_11reduce_implILb1ES3_NS6_12zip_iteratorINS7_INS6_11hip_rocprim26transform_input_iterator_tIbNSD_35transform_pair_of_input_iterators_tIbNS6_6detail15normal_iteratorINS6_10device_ptrIKiEEEESL_NS6_8equal_toIiEEEENSG_9not_fun_tINSD_8identityEEEEENSD_19counting_iterator_tIlEES8_S8_S8_S8_S8_S8_S8_S8_EEEEPS9_S9_NSD_9__find_if7functorIS9_EEEE10hipError_tPvRmT1_T2_T3_mT4_P12ihipStream_tbEUlT_E1_NS1_11comp_targetILNS1_3genE5ELNS1_11target_archE942ELNS1_3gpuE9ELNS1_3repE0EEENS1_30default_config_static_selectorELNS0_4arch9wavefront6targetE1EEEvS14_,"axG",@progbits,_ZN7rocprim17ROCPRIM_400000_NS6detail17trampoline_kernelINS0_14default_configENS1_22reduce_config_selectorIN6thrust23THRUST_200600_302600_NS5tupleIblNS6_9null_typeES8_S8_S8_S8_S8_S8_S8_EEEEZNS1_11reduce_implILb1ES3_NS6_12zip_iteratorINS7_INS6_11hip_rocprim26transform_input_iterator_tIbNSD_35transform_pair_of_input_iterators_tIbNS6_6detail15normal_iteratorINS6_10device_ptrIKiEEEESL_NS6_8equal_toIiEEEENSG_9not_fun_tINSD_8identityEEEEENSD_19counting_iterator_tIlEES8_S8_S8_S8_S8_S8_S8_S8_EEEEPS9_S9_NSD_9__find_if7functorIS9_EEEE10hipError_tPvRmT1_T2_T3_mT4_P12ihipStream_tbEUlT_E1_NS1_11comp_targetILNS1_3genE5ELNS1_11target_archE942ELNS1_3gpuE9ELNS1_3repE0EEENS1_30default_config_static_selectorELNS0_4arch9wavefront6targetE1EEEvS14_,comdat
	.protected	_ZN7rocprim17ROCPRIM_400000_NS6detail17trampoline_kernelINS0_14default_configENS1_22reduce_config_selectorIN6thrust23THRUST_200600_302600_NS5tupleIblNS6_9null_typeES8_S8_S8_S8_S8_S8_S8_EEEEZNS1_11reduce_implILb1ES3_NS6_12zip_iteratorINS7_INS6_11hip_rocprim26transform_input_iterator_tIbNSD_35transform_pair_of_input_iterators_tIbNS6_6detail15normal_iteratorINS6_10device_ptrIKiEEEESL_NS6_8equal_toIiEEEENSG_9not_fun_tINSD_8identityEEEEENSD_19counting_iterator_tIlEES8_S8_S8_S8_S8_S8_S8_S8_EEEEPS9_S9_NSD_9__find_if7functorIS9_EEEE10hipError_tPvRmT1_T2_T3_mT4_P12ihipStream_tbEUlT_E1_NS1_11comp_targetILNS1_3genE5ELNS1_11target_archE942ELNS1_3gpuE9ELNS1_3repE0EEENS1_30default_config_static_selectorELNS0_4arch9wavefront6targetE1EEEvS14_ ; -- Begin function _ZN7rocprim17ROCPRIM_400000_NS6detail17trampoline_kernelINS0_14default_configENS1_22reduce_config_selectorIN6thrust23THRUST_200600_302600_NS5tupleIblNS6_9null_typeES8_S8_S8_S8_S8_S8_S8_EEEEZNS1_11reduce_implILb1ES3_NS6_12zip_iteratorINS7_INS6_11hip_rocprim26transform_input_iterator_tIbNSD_35transform_pair_of_input_iterators_tIbNS6_6detail15normal_iteratorINS6_10device_ptrIKiEEEESL_NS6_8equal_toIiEEEENSG_9not_fun_tINSD_8identityEEEEENSD_19counting_iterator_tIlEES8_S8_S8_S8_S8_S8_S8_S8_EEEEPS9_S9_NSD_9__find_if7functorIS9_EEEE10hipError_tPvRmT1_T2_T3_mT4_P12ihipStream_tbEUlT_E1_NS1_11comp_targetILNS1_3genE5ELNS1_11target_archE942ELNS1_3gpuE9ELNS1_3repE0EEENS1_30default_config_static_selectorELNS0_4arch9wavefront6targetE1EEEvS14_
	.globl	_ZN7rocprim17ROCPRIM_400000_NS6detail17trampoline_kernelINS0_14default_configENS1_22reduce_config_selectorIN6thrust23THRUST_200600_302600_NS5tupleIblNS6_9null_typeES8_S8_S8_S8_S8_S8_S8_EEEEZNS1_11reduce_implILb1ES3_NS6_12zip_iteratorINS7_INS6_11hip_rocprim26transform_input_iterator_tIbNSD_35transform_pair_of_input_iterators_tIbNS6_6detail15normal_iteratorINS6_10device_ptrIKiEEEESL_NS6_8equal_toIiEEEENSG_9not_fun_tINSD_8identityEEEEENSD_19counting_iterator_tIlEES8_S8_S8_S8_S8_S8_S8_S8_EEEEPS9_S9_NSD_9__find_if7functorIS9_EEEE10hipError_tPvRmT1_T2_T3_mT4_P12ihipStream_tbEUlT_E1_NS1_11comp_targetILNS1_3genE5ELNS1_11target_archE942ELNS1_3gpuE9ELNS1_3repE0EEENS1_30default_config_static_selectorELNS0_4arch9wavefront6targetE1EEEvS14_
	.p2align	8
	.type	_ZN7rocprim17ROCPRIM_400000_NS6detail17trampoline_kernelINS0_14default_configENS1_22reduce_config_selectorIN6thrust23THRUST_200600_302600_NS5tupleIblNS6_9null_typeES8_S8_S8_S8_S8_S8_S8_EEEEZNS1_11reduce_implILb1ES3_NS6_12zip_iteratorINS7_INS6_11hip_rocprim26transform_input_iterator_tIbNSD_35transform_pair_of_input_iterators_tIbNS6_6detail15normal_iteratorINS6_10device_ptrIKiEEEESL_NS6_8equal_toIiEEEENSG_9not_fun_tINSD_8identityEEEEENSD_19counting_iterator_tIlEES8_S8_S8_S8_S8_S8_S8_S8_EEEEPS9_S9_NSD_9__find_if7functorIS9_EEEE10hipError_tPvRmT1_T2_T3_mT4_P12ihipStream_tbEUlT_E1_NS1_11comp_targetILNS1_3genE5ELNS1_11target_archE942ELNS1_3gpuE9ELNS1_3repE0EEENS1_30default_config_static_selectorELNS0_4arch9wavefront6targetE1EEEvS14_,@function
_ZN7rocprim17ROCPRIM_400000_NS6detail17trampoline_kernelINS0_14default_configENS1_22reduce_config_selectorIN6thrust23THRUST_200600_302600_NS5tupleIblNS6_9null_typeES8_S8_S8_S8_S8_S8_S8_EEEEZNS1_11reduce_implILb1ES3_NS6_12zip_iteratorINS7_INS6_11hip_rocprim26transform_input_iterator_tIbNSD_35transform_pair_of_input_iterators_tIbNS6_6detail15normal_iteratorINS6_10device_ptrIKiEEEESL_NS6_8equal_toIiEEEENSG_9not_fun_tINSD_8identityEEEEENSD_19counting_iterator_tIlEES8_S8_S8_S8_S8_S8_S8_S8_EEEEPS9_S9_NSD_9__find_if7functorIS9_EEEE10hipError_tPvRmT1_T2_T3_mT4_P12ihipStream_tbEUlT_E1_NS1_11comp_targetILNS1_3genE5ELNS1_11target_archE942ELNS1_3gpuE9ELNS1_3repE0EEENS1_30default_config_static_selectorELNS0_4arch9wavefront6targetE1EEEvS14_: ; @_ZN7rocprim17ROCPRIM_400000_NS6detail17trampoline_kernelINS0_14default_configENS1_22reduce_config_selectorIN6thrust23THRUST_200600_302600_NS5tupleIblNS6_9null_typeES8_S8_S8_S8_S8_S8_S8_EEEEZNS1_11reduce_implILb1ES3_NS6_12zip_iteratorINS7_INS6_11hip_rocprim26transform_input_iterator_tIbNSD_35transform_pair_of_input_iterators_tIbNS6_6detail15normal_iteratorINS6_10device_ptrIKiEEEESL_NS6_8equal_toIiEEEENSG_9not_fun_tINSD_8identityEEEEENSD_19counting_iterator_tIlEES8_S8_S8_S8_S8_S8_S8_S8_EEEEPS9_S9_NSD_9__find_if7functorIS9_EEEE10hipError_tPvRmT1_T2_T3_mT4_P12ihipStream_tbEUlT_E1_NS1_11comp_targetILNS1_3genE5ELNS1_11target_archE942ELNS1_3gpuE9ELNS1_3repE0EEENS1_30default_config_static_selectorELNS0_4arch9wavefront6targetE1EEEvS14_
; %bb.0:
	.section	.rodata,"a",@progbits
	.p2align	6, 0x0
	.amdhsa_kernel _ZN7rocprim17ROCPRIM_400000_NS6detail17trampoline_kernelINS0_14default_configENS1_22reduce_config_selectorIN6thrust23THRUST_200600_302600_NS5tupleIblNS6_9null_typeES8_S8_S8_S8_S8_S8_S8_EEEEZNS1_11reduce_implILb1ES3_NS6_12zip_iteratorINS7_INS6_11hip_rocprim26transform_input_iterator_tIbNSD_35transform_pair_of_input_iterators_tIbNS6_6detail15normal_iteratorINS6_10device_ptrIKiEEEESL_NS6_8equal_toIiEEEENSG_9not_fun_tINSD_8identityEEEEENSD_19counting_iterator_tIlEES8_S8_S8_S8_S8_S8_S8_S8_EEEEPS9_S9_NSD_9__find_if7functorIS9_EEEE10hipError_tPvRmT1_T2_T3_mT4_P12ihipStream_tbEUlT_E1_NS1_11comp_targetILNS1_3genE5ELNS1_11target_archE942ELNS1_3gpuE9ELNS1_3repE0EEENS1_30default_config_static_selectorELNS0_4arch9wavefront6targetE1EEEvS14_
		.amdhsa_group_segment_fixed_size 0
		.amdhsa_private_segment_fixed_size 0
		.amdhsa_kernarg_size 88
		.amdhsa_user_sgpr_count 6
		.amdhsa_user_sgpr_private_segment_buffer 1
		.amdhsa_user_sgpr_dispatch_ptr 0
		.amdhsa_user_sgpr_queue_ptr 0
		.amdhsa_user_sgpr_kernarg_segment_ptr 1
		.amdhsa_user_sgpr_dispatch_id 0
		.amdhsa_user_sgpr_flat_scratch_init 0
		.amdhsa_user_sgpr_private_segment_size 0
		.amdhsa_uses_dynamic_stack 0
		.amdhsa_system_sgpr_private_segment_wavefront_offset 0
		.amdhsa_system_sgpr_workgroup_id_x 1
		.amdhsa_system_sgpr_workgroup_id_y 0
		.amdhsa_system_sgpr_workgroup_id_z 0
		.amdhsa_system_sgpr_workgroup_info 0
		.amdhsa_system_vgpr_workitem_id 0
		.amdhsa_next_free_vgpr 1
		.amdhsa_next_free_sgpr 0
		.amdhsa_reserve_vcc 0
		.amdhsa_reserve_flat_scratch 0
		.amdhsa_float_round_mode_32 0
		.amdhsa_float_round_mode_16_64 0
		.amdhsa_float_denorm_mode_32 3
		.amdhsa_float_denorm_mode_16_64 3
		.amdhsa_dx10_clamp 1
		.amdhsa_ieee_mode 1
		.amdhsa_fp16_overflow 0
		.amdhsa_exception_fp_ieee_invalid_op 0
		.amdhsa_exception_fp_denorm_src 0
		.amdhsa_exception_fp_ieee_div_zero 0
		.amdhsa_exception_fp_ieee_overflow 0
		.amdhsa_exception_fp_ieee_underflow 0
		.amdhsa_exception_fp_ieee_inexact 0
		.amdhsa_exception_int_div_zero 0
	.end_amdhsa_kernel
	.section	.text._ZN7rocprim17ROCPRIM_400000_NS6detail17trampoline_kernelINS0_14default_configENS1_22reduce_config_selectorIN6thrust23THRUST_200600_302600_NS5tupleIblNS6_9null_typeES8_S8_S8_S8_S8_S8_S8_EEEEZNS1_11reduce_implILb1ES3_NS6_12zip_iteratorINS7_INS6_11hip_rocprim26transform_input_iterator_tIbNSD_35transform_pair_of_input_iterators_tIbNS6_6detail15normal_iteratorINS6_10device_ptrIKiEEEESL_NS6_8equal_toIiEEEENSG_9not_fun_tINSD_8identityEEEEENSD_19counting_iterator_tIlEES8_S8_S8_S8_S8_S8_S8_S8_EEEEPS9_S9_NSD_9__find_if7functorIS9_EEEE10hipError_tPvRmT1_T2_T3_mT4_P12ihipStream_tbEUlT_E1_NS1_11comp_targetILNS1_3genE5ELNS1_11target_archE942ELNS1_3gpuE9ELNS1_3repE0EEENS1_30default_config_static_selectorELNS0_4arch9wavefront6targetE1EEEvS14_,"axG",@progbits,_ZN7rocprim17ROCPRIM_400000_NS6detail17trampoline_kernelINS0_14default_configENS1_22reduce_config_selectorIN6thrust23THRUST_200600_302600_NS5tupleIblNS6_9null_typeES8_S8_S8_S8_S8_S8_S8_EEEEZNS1_11reduce_implILb1ES3_NS6_12zip_iteratorINS7_INS6_11hip_rocprim26transform_input_iterator_tIbNSD_35transform_pair_of_input_iterators_tIbNS6_6detail15normal_iteratorINS6_10device_ptrIKiEEEESL_NS6_8equal_toIiEEEENSG_9not_fun_tINSD_8identityEEEEENSD_19counting_iterator_tIlEES8_S8_S8_S8_S8_S8_S8_S8_EEEEPS9_S9_NSD_9__find_if7functorIS9_EEEE10hipError_tPvRmT1_T2_T3_mT4_P12ihipStream_tbEUlT_E1_NS1_11comp_targetILNS1_3genE5ELNS1_11target_archE942ELNS1_3gpuE9ELNS1_3repE0EEENS1_30default_config_static_selectorELNS0_4arch9wavefront6targetE1EEEvS14_,comdat
.Lfunc_end547:
	.size	_ZN7rocprim17ROCPRIM_400000_NS6detail17trampoline_kernelINS0_14default_configENS1_22reduce_config_selectorIN6thrust23THRUST_200600_302600_NS5tupleIblNS6_9null_typeES8_S8_S8_S8_S8_S8_S8_EEEEZNS1_11reduce_implILb1ES3_NS6_12zip_iteratorINS7_INS6_11hip_rocprim26transform_input_iterator_tIbNSD_35transform_pair_of_input_iterators_tIbNS6_6detail15normal_iteratorINS6_10device_ptrIKiEEEESL_NS6_8equal_toIiEEEENSG_9not_fun_tINSD_8identityEEEEENSD_19counting_iterator_tIlEES8_S8_S8_S8_S8_S8_S8_S8_EEEEPS9_S9_NSD_9__find_if7functorIS9_EEEE10hipError_tPvRmT1_T2_T3_mT4_P12ihipStream_tbEUlT_E1_NS1_11comp_targetILNS1_3genE5ELNS1_11target_archE942ELNS1_3gpuE9ELNS1_3repE0EEENS1_30default_config_static_selectorELNS0_4arch9wavefront6targetE1EEEvS14_, .Lfunc_end547-_ZN7rocprim17ROCPRIM_400000_NS6detail17trampoline_kernelINS0_14default_configENS1_22reduce_config_selectorIN6thrust23THRUST_200600_302600_NS5tupleIblNS6_9null_typeES8_S8_S8_S8_S8_S8_S8_EEEEZNS1_11reduce_implILb1ES3_NS6_12zip_iteratorINS7_INS6_11hip_rocprim26transform_input_iterator_tIbNSD_35transform_pair_of_input_iterators_tIbNS6_6detail15normal_iteratorINS6_10device_ptrIKiEEEESL_NS6_8equal_toIiEEEENSG_9not_fun_tINSD_8identityEEEEENSD_19counting_iterator_tIlEES8_S8_S8_S8_S8_S8_S8_S8_EEEEPS9_S9_NSD_9__find_if7functorIS9_EEEE10hipError_tPvRmT1_T2_T3_mT4_P12ihipStream_tbEUlT_E1_NS1_11comp_targetILNS1_3genE5ELNS1_11target_archE942ELNS1_3gpuE9ELNS1_3repE0EEENS1_30default_config_static_selectorELNS0_4arch9wavefront6targetE1EEEvS14_
                                        ; -- End function
	.set _ZN7rocprim17ROCPRIM_400000_NS6detail17trampoline_kernelINS0_14default_configENS1_22reduce_config_selectorIN6thrust23THRUST_200600_302600_NS5tupleIblNS6_9null_typeES8_S8_S8_S8_S8_S8_S8_EEEEZNS1_11reduce_implILb1ES3_NS6_12zip_iteratorINS7_INS6_11hip_rocprim26transform_input_iterator_tIbNSD_35transform_pair_of_input_iterators_tIbNS6_6detail15normal_iteratorINS6_10device_ptrIKiEEEESL_NS6_8equal_toIiEEEENSG_9not_fun_tINSD_8identityEEEEENSD_19counting_iterator_tIlEES8_S8_S8_S8_S8_S8_S8_S8_EEEEPS9_S9_NSD_9__find_if7functorIS9_EEEE10hipError_tPvRmT1_T2_T3_mT4_P12ihipStream_tbEUlT_E1_NS1_11comp_targetILNS1_3genE5ELNS1_11target_archE942ELNS1_3gpuE9ELNS1_3repE0EEENS1_30default_config_static_selectorELNS0_4arch9wavefront6targetE1EEEvS14_.num_vgpr, 0
	.set _ZN7rocprim17ROCPRIM_400000_NS6detail17trampoline_kernelINS0_14default_configENS1_22reduce_config_selectorIN6thrust23THRUST_200600_302600_NS5tupleIblNS6_9null_typeES8_S8_S8_S8_S8_S8_S8_EEEEZNS1_11reduce_implILb1ES3_NS6_12zip_iteratorINS7_INS6_11hip_rocprim26transform_input_iterator_tIbNSD_35transform_pair_of_input_iterators_tIbNS6_6detail15normal_iteratorINS6_10device_ptrIKiEEEESL_NS6_8equal_toIiEEEENSG_9not_fun_tINSD_8identityEEEEENSD_19counting_iterator_tIlEES8_S8_S8_S8_S8_S8_S8_S8_EEEEPS9_S9_NSD_9__find_if7functorIS9_EEEE10hipError_tPvRmT1_T2_T3_mT4_P12ihipStream_tbEUlT_E1_NS1_11comp_targetILNS1_3genE5ELNS1_11target_archE942ELNS1_3gpuE9ELNS1_3repE0EEENS1_30default_config_static_selectorELNS0_4arch9wavefront6targetE1EEEvS14_.num_agpr, 0
	.set _ZN7rocprim17ROCPRIM_400000_NS6detail17trampoline_kernelINS0_14default_configENS1_22reduce_config_selectorIN6thrust23THRUST_200600_302600_NS5tupleIblNS6_9null_typeES8_S8_S8_S8_S8_S8_S8_EEEEZNS1_11reduce_implILb1ES3_NS6_12zip_iteratorINS7_INS6_11hip_rocprim26transform_input_iterator_tIbNSD_35transform_pair_of_input_iterators_tIbNS6_6detail15normal_iteratorINS6_10device_ptrIKiEEEESL_NS6_8equal_toIiEEEENSG_9not_fun_tINSD_8identityEEEEENSD_19counting_iterator_tIlEES8_S8_S8_S8_S8_S8_S8_S8_EEEEPS9_S9_NSD_9__find_if7functorIS9_EEEE10hipError_tPvRmT1_T2_T3_mT4_P12ihipStream_tbEUlT_E1_NS1_11comp_targetILNS1_3genE5ELNS1_11target_archE942ELNS1_3gpuE9ELNS1_3repE0EEENS1_30default_config_static_selectorELNS0_4arch9wavefront6targetE1EEEvS14_.numbered_sgpr, 0
	.set _ZN7rocprim17ROCPRIM_400000_NS6detail17trampoline_kernelINS0_14default_configENS1_22reduce_config_selectorIN6thrust23THRUST_200600_302600_NS5tupleIblNS6_9null_typeES8_S8_S8_S8_S8_S8_S8_EEEEZNS1_11reduce_implILb1ES3_NS6_12zip_iteratorINS7_INS6_11hip_rocprim26transform_input_iterator_tIbNSD_35transform_pair_of_input_iterators_tIbNS6_6detail15normal_iteratorINS6_10device_ptrIKiEEEESL_NS6_8equal_toIiEEEENSG_9not_fun_tINSD_8identityEEEEENSD_19counting_iterator_tIlEES8_S8_S8_S8_S8_S8_S8_S8_EEEEPS9_S9_NSD_9__find_if7functorIS9_EEEE10hipError_tPvRmT1_T2_T3_mT4_P12ihipStream_tbEUlT_E1_NS1_11comp_targetILNS1_3genE5ELNS1_11target_archE942ELNS1_3gpuE9ELNS1_3repE0EEENS1_30default_config_static_selectorELNS0_4arch9wavefront6targetE1EEEvS14_.num_named_barrier, 0
	.set _ZN7rocprim17ROCPRIM_400000_NS6detail17trampoline_kernelINS0_14default_configENS1_22reduce_config_selectorIN6thrust23THRUST_200600_302600_NS5tupleIblNS6_9null_typeES8_S8_S8_S8_S8_S8_S8_EEEEZNS1_11reduce_implILb1ES3_NS6_12zip_iteratorINS7_INS6_11hip_rocprim26transform_input_iterator_tIbNSD_35transform_pair_of_input_iterators_tIbNS6_6detail15normal_iteratorINS6_10device_ptrIKiEEEESL_NS6_8equal_toIiEEEENSG_9not_fun_tINSD_8identityEEEEENSD_19counting_iterator_tIlEES8_S8_S8_S8_S8_S8_S8_S8_EEEEPS9_S9_NSD_9__find_if7functorIS9_EEEE10hipError_tPvRmT1_T2_T3_mT4_P12ihipStream_tbEUlT_E1_NS1_11comp_targetILNS1_3genE5ELNS1_11target_archE942ELNS1_3gpuE9ELNS1_3repE0EEENS1_30default_config_static_selectorELNS0_4arch9wavefront6targetE1EEEvS14_.private_seg_size, 0
	.set _ZN7rocprim17ROCPRIM_400000_NS6detail17trampoline_kernelINS0_14default_configENS1_22reduce_config_selectorIN6thrust23THRUST_200600_302600_NS5tupleIblNS6_9null_typeES8_S8_S8_S8_S8_S8_S8_EEEEZNS1_11reduce_implILb1ES3_NS6_12zip_iteratorINS7_INS6_11hip_rocprim26transform_input_iterator_tIbNSD_35transform_pair_of_input_iterators_tIbNS6_6detail15normal_iteratorINS6_10device_ptrIKiEEEESL_NS6_8equal_toIiEEEENSG_9not_fun_tINSD_8identityEEEEENSD_19counting_iterator_tIlEES8_S8_S8_S8_S8_S8_S8_S8_EEEEPS9_S9_NSD_9__find_if7functorIS9_EEEE10hipError_tPvRmT1_T2_T3_mT4_P12ihipStream_tbEUlT_E1_NS1_11comp_targetILNS1_3genE5ELNS1_11target_archE942ELNS1_3gpuE9ELNS1_3repE0EEENS1_30default_config_static_selectorELNS0_4arch9wavefront6targetE1EEEvS14_.uses_vcc, 0
	.set _ZN7rocprim17ROCPRIM_400000_NS6detail17trampoline_kernelINS0_14default_configENS1_22reduce_config_selectorIN6thrust23THRUST_200600_302600_NS5tupleIblNS6_9null_typeES8_S8_S8_S8_S8_S8_S8_EEEEZNS1_11reduce_implILb1ES3_NS6_12zip_iteratorINS7_INS6_11hip_rocprim26transform_input_iterator_tIbNSD_35transform_pair_of_input_iterators_tIbNS6_6detail15normal_iteratorINS6_10device_ptrIKiEEEESL_NS6_8equal_toIiEEEENSG_9not_fun_tINSD_8identityEEEEENSD_19counting_iterator_tIlEES8_S8_S8_S8_S8_S8_S8_S8_EEEEPS9_S9_NSD_9__find_if7functorIS9_EEEE10hipError_tPvRmT1_T2_T3_mT4_P12ihipStream_tbEUlT_E1_NS1_11comp_targetILNS1_3genE5ELNS1_11target_archE942ELNS1_3gpuE9ELNS1_3repE0EEENS1_30default_config_static_selectorELNS0_4arch9wavefront6targetE1EEEvS14_.uses_flat_scratch, 0
	.set _ZN7rocprim17ROCPRIM_400000_NS6detail17trampoline_kernelINS0_14default_configENS1_22reduce_config_selectorIN6thrust23THRUST_200600_302600_NS5tupleIblNS6_9null_typeES8_S8_S8_S8_S8_S8_S8_EEEEZNS1_11reduce_implILb1ES3_NS6_12zip_iteratorINS7_INS6_11hip_rocprim26transform_input_iterator_tIbNSD_35transform_pair_of_input_iterators_tIbNS6_6detail15normal_iteratorINS6_10device_ptrIKiEEEESL_NS6_8equal_toIiEEEENSG_9not_fun_tINSD_8identityEEEEENSD_19counting_iterator_tIlEES8_S8_S8_S8_S8_S8_S8_S8_EEEEPS9_S9_NSD_9__find_if7functorIS9_EEEE10hipError_tPvRmT1_T2_T3_mT4_P12ihipStream_tbEUlT_E1_NS1_11comp_targetILNS1_3genE5ELNS1_11target_archE942ELNS1_3gpuE9ELNS1_3repE0EEENS1_30default_config_static_selectorELNS0_4arch9wavefront6targetE1EEEvS14_.has_dyn_sized_stack, 0
	.set _ZN7rocprim17ROCPRIM_400000_NS6detail17trampoline_kernelINS0_14default_configENS1_22reduce_config_selectorIN6thrust23THRUST_200600_302600_NS5tupleIblNS6_9null_typeES8_S8_S8_S8_S8_S8_S8_EEEEZNS1_11reduce_implILb1ES3_NS6_12zip_iteratorINS7_INS6_11hip_rocprim26transform_input_iterator_tIbNSD_35transform_pair_of_input_iterators_tIbNS6_6detail15normal_iteratorINS6_10device_ptrIKiEEEESL_NS6_8equal_toIiEEEENSG_9not_fun_tINSD_8identityEEEEENSD_19counting_iterator_tIlEES8_S8_S8_S8_S8_S8_S8_S8_EEEEPS9_S9_NSD_9__find_if7functorIS9_EEEE10hipError_tPvRmT1_T2_T3_mT4_P12ihipStream_tbEUlT_E1_NS1_11comp_targetILNS1_3genE5ELNS1_11target_archE942ELNS1_3gpuE9ELNS1_3repE0EEENS1_30default_config_static_selectorELNS0_4arch9wavefront6targetE1EEEvS14_.has_recursion, 0
	.set _ZN7rocprim17ROCPRIM_400000_NS6detail17trampoline_kernelINS0_14default_configENS1_22reduce_config_selectorIN6thrust23THRUST_200600_302600_NS5tupleIblNS6_9null_typeES8_S8_S8_S8_S8_S8_S8_EEEEZNS1_11reduce_implILb1ES3_NS6_12zip_iteratorINS7_INS6_11hip_rocprim26transform_input_iterator_tIbNSD_35transform_pair_of_input_iterators_tIbNS6_6detail15normal_iteratorINS6_10device_ptrIKiEEEESL_NS6_8equal_toIiEEEENSG_9not_fun_tINSD_8identityEEEEENSD_19counting_iterator_tIlEES8_S8_S8_S8_S8_S8_S8_S8_EEEEPS9_S9_NSD_9__find_if7functorIS9_EEEE10hipError_tPvRmT1_T2_T3_mT4_P12ihipStream_tbEUlT_E1_NS1_11comp_targetILNS1_3genE5ELNS1_11target_archE942ELNS1_3gpuE9ELNS1_3repE0EEENS1_30default_config_static_selectorELNS0_4arch9wavefront6targetE1EEEvS14_.has_indirect_call, 0
	.section	.AMDGPU.csdata,"",@progbits
; Kernel info:
; codeLenInByte = 0
; TotalNumSgprs: 4
; NumVgprs: 0
; ScratchSize: 0
; MemoryBound: 0
; FloatMode: 240
; IeeeMode: 1
; LDSByteSize: 0 bytes/workgroup (compile time only)
; SGPRBlocks: 0
; VGPRBlocks: 0
; NumSGPRsForWavesPerEU: 4
; NumVGPRsForWavesPerEU: 1
; Occupancy: 10
; WaveLimiterHint : 0
; COMPUTE_PGM_RSRC2:SCRATCH_EN: 0
; COMPUTE_PGM_RSRC2:USER_SGPR: 6
; COMPUTE_PGM_RSRC2:TRAP_HANDLER: 0
; COMPUTE_PGM_RSRC2:TGID_X_EN: 1
; COMPUTE_PGM_RSRC2:TGID_Y_EN: 0
; COMPUTE_PGM_RSRC2:TGID_Z_EN: 0
; COMPUTE_PGM_RSRC2:TIDIG_COMP_CNT: 0
	.section	.text._ZN7rocprim17ROCPRIM_400000_NS6detail17trampoline_kernelINS0_14default_configENS1_22reduce_config_selectorIN6thrust23THRUST_200600_302600_NS5tupleIblNS6_9null_typeES8_S8_S8_S8_S8_S8_S8_EEEEZNS1_11reduce_implILb1ES3_NS6_12zip_iteratorINS7_INS6_11hip_rocprim26transform_input_iterator_tIbNSD_35transform_pair_of_input_iterators_tIbNS6_6detail15normal_iteratorINS6_10device_ptrIKiEEEESL_NS6_8equal_toIiEEEENSG_9not_fun_tINSD_8identityEEEEENSD_19counting_iterator_tIlEES8_S8_S8_S8_S8_S8_S8_S8_EEEEPS9_S9_NSD_9__find_if7functorIS9_EEEE10hipError_tPvRmT1_T2_T3_mT4_P12ihipStream_tbEUlT_E1_NS1_11comp_targetILNS1_3genE4ELNS1_11target_archE910ELNS1_3gpuE8ELNS1_3repE0EEENS1_30default_config_static_selectorELNS0_4arch9wavefront6targetE1EEEvS14_,"axG",@progbits,_ZN7rocprim17ROCPRIM_400000_NS6detail17trampoline_kernelINS0_14default_configENS1_22reduce_config_selectorIN6thrust23THRUST_200600_302600_NS5tupleIblNS6_9null_typeES8_S8_S8_S8_S8_S8_S8_EEEEZNS1_11reduce_implILb1ES3_NS6_12zip_iteratorINS7_INS6_11hip_rocprim26transform_input_iterator_tIbNSD_35transform_pair_of_input_iterators_tIbNS6_6detail15normal_iteratorINS6_10device_ptrIKiEEEESL_NS6_8equal_toIiEEEENSG_9not_fun_tINSD_8identityEEEEENSD_19counting_iterator_tIlEES8_S8_S8_S8_S8_S8_S8_S8_EEEEPS9_S9_NSD_9__find_if7functorIS9_EEEE10hipError_tPvRmT1_T2_T3_mT4_P12ihipStream_tbEUlT_E1_NS1_11comp_targetILNS1_3genE4ELNS1_11target_archE910ELNS1_3gpuE8ELNS1_3repE0EEENS1_30default_config_static_selectorELNS0_4arch9wavefront6targetE1EEEvS14_,comdat
	.protected	_ZN7rocprim17ROCPRIM_400000_NS6detail17trampoline_kernelINS0_14default_configENS1_22reduce_config_selectorIN6thrust23THRUST_200600_302600_NS5tupleIblNS6_9null_typeES8_S8_S8_S8_S8_S8_S8_EEEEZNS1_11reduce_implILb1ES3_NS6_12zip_iteratorINS7_INS6_11hip_rocprim26transform_input_iterator_tIbNSD_35transform_pair_of_input_iterators_tIbNS6_6detail15normal_iteratorINS6_10device_ptrIKiEEEESL_NS6_8equal_toIiEEEENSG_9not_fun_tINSD_8identityEEEEENSD_19counting_iterator_tIlEES8_S8_S8_S8_S8_S8_S8_S8_EEEEPS9_S9_NSD_9__find_if7functorIS9_EEEE10hipError_tPvRmT1_T2_T3_mT4_P12ihipStream_tbEUlT_E1_NS1_11comp_targetILNS1_3genE4ELNS1_11target_archE910ELNS1_3gpuE8ELNS1_3repE0EEENS1_30default_config_static_selectorELNS0_4arch9wavefront6targetE1EEEvS14_ ; -- Begin function _ZN7rocprim17ROCPRIM_400000_NS6detail17trampoline_kernelINS0_14default_configENS1_22reduce_config_selectorIN6thrust23THRUST_200600_302600_NS5tupleIblNS6_9null_typeES8_S8_S8_S8_S8_S8_S8_EEEEZNS1_11reduce_implILb1ES3_NS6_12zip_iteratorINS7_INS6_11hip_rocprim26transform_input_iterator_tIbNSD_35transform_pair_of_input_iterators_tIbNS6_6detail15normal_iteratorINS6_10device_ptrIKiEEEESL_NS6_8equal_toIiEEEENSG_9not_fun_tINSD_8identityEEEEENSD_19counting_iterator_tIlEES8_S8_S8_S8_S8_S8_S8_S8_EEEEPS9_S9_NSD_9__find_if7functorIS9_EEEE10hipError_tPvRmT1_T2_T3_mT4_P12ihipStream_tbEUlT_E1_NS1_11comp_targetILNS1_3genE4ELNS1_11target_archE910ELNS1_3gpuE8ELNS1_3repE0EEENS1_30default_config_static_selectorELNS0_4arch9wavefront6targetE1EEEvS14_
	.globl	_ZN7rocprim17ROCPRIM_400000_NS6detail17trampoline_kernelINS0_14default_configENS1_22reduce_config_selectorIN6thrust23THRUST_200600_302600_NS5tupleIblNS6_9null_typeES8_S8_S8_S8_S8_S8_S8_EEEEZNS1_11reduce_implILb1ES3_NS6_12zip_iteratorINS7_INS6_11hip_rocprim26transform_input_iterator_tIbNSD_35transform_pair_of_input_iterators_tIbNS6_6detail15normal_iteratorINS6_10device_ptrIKiEEEESL_NS6_8equal_toIiEEEENSG_9not_fun_tINSD_8identityEEEEENSD_19counting_iterator_tIlEES8_S8_S8_S8_S8_S8_S8_S8_EEEEPS9_S9_NSD_9__find_if7functorIS9_EEEE10hipError_tPvRmT1_T2_T3_mT4_P12ihipStream_tbEUlT_E1_NS1_11comp_targetILNS1_3genE4ELNS1_11target_archE910ELNS1_3gpuE8ELNS1_3repE0EEENS1_30default_config_static_selectorELNS0_4arch9wavefront6targetE1EEEvS14_
	.p2align	8
	.type	_ZN7rocprim17ROCPRIM_400000_NS6detail17trampoline_kernelINS0_14default_configENS1_22reduce_config_selectorIN6thrust23THRUST_200600_302600_NS5tupleIblNS6_9null_typeES8_S8_S8_S8_S8_S8_S8_EEEEZNS1_11reduce_implILb1ES3_NS6_12zip_iteratorINS7_INS6_11hip_rocprim26transform_input_iterator_tIbNSD_35transform_pair_of_input_iterators_tIbNS6_6detail15normal_iteratorINS6_10device_ptrIKiEEEESL_NS6_8equal_toIiEEEENSG_9not_fun_tINSD_8identityEEEEENSD_19counting_iterator_tIlEES8_S8_S8_S8_S8_S8_S8_S8_EEEEPS9_S9_NSD_9__find_if7functorIS9_EEEE10hipError_tPvRmT1_T2_T3_mT4_P12ihipStream_tbEUlT_E1_NS1_11comp_targetILNS1_3genE4ELNS1_11target_archE910ELNS1_3gpuE8ELNS1_3repE0EEENS1_30default_config_static_selectorELNS0_4arch9wavefront6targetE1EEEvS14_,@function
_ZN7rocprim17ROCPRIM_400000_NS6detail17trampoline_kernelINS0_14default_configENS1_22reduce_config_selectorIN6thrust23THRUST_200600_302600_NS5tupleIblNS6_9null_typeES8_S8_S8_S8_S8_S8_S8_EEEEZNS1_11reduce_implILb1ES3_NS6_12zip_iteratorINS7_INS6_11hip_rocprim26transform_input_iterator_tIbNSD_35transform_pair_of_input_iterators_tIbNS6_6detail15normal_iteratorINS6_10device_ptrIKiEEEESL_NS6_8equal_toIiEEEENSG_9not_fun_tINSD_8identityEEEEENSD_19counting_iterator_tIlEES8_S8_S8_S8_S8_S8_S8_S8_EEEEPS9_S9_NSD_9__find_if7functorIS9_EEEE10hipError_tPvRmT1_T2_T3_mT4_P12ihipStream_tbEUlT_E1_NS1_11comp_targetILNS1_3genE4ELNS1_11target_archE910ELNS1_3gpuE8ELNS1_3repE0EEENS1_30default_config_static_selectorELNS0_4arch9wavefront6targetE1EEEvS14_: ; @_ZN7rocprim17ROCPRIM_400000_NS6detail17trampoline_kernelINS0_14default_configENS1_22reduce_config_selectorIN6thrust23THRUST_200600_302600_NS5tupleIblNS6_9null_typeES8_S8_S8_S8_S8_S8_S8_EEEEZNS1_11reduce_implILb1ES3_NS6_12zip_iteratorINS7_INS6_11hip_rocprim26transform_input_iterator_tIbNSD_35transform_pair_of_input_iterators_tIbNS6_6detail15normal_iteratorINS6_10device_ptrIKiEEEESL_NS6_8equal_toIiEEEENSG_9not_fun_tINSD_8identityEEEEENSD_19counting_iterator_tIlEES8_S8_S8_S8_S8_S8_S8_S8_EEEEPS9_S9_NSD_9__find_if7functorIS9_EEEE10hipError_tPvRmT1_T2_T3_mT4_P12ihipStream_tbEUlT_E1_NS1_11comp_targetILNS1_3genE4ELNS1_11target_archE910ELNS1_3gpuE8ELNS1_3repE0EEENS1_30default_config_static_selectorELNS0_4arch9wavefront6targetE1EEEvS14_
; %bb.0:
	.section	.rodata,"a",@progbits
	.p2align	6, 0x0
	.amdhsa_kernel _ZN7rocprim17ROCPRIM_400000_NS6detail17trampoline_kernelINS0_14default_configENS1_22reduce_config_selectorIN6thrust23THRUST_200600_302600_NS5tupleIblNS6_9null_typeES8_S8_S8_S8_S8_S8_S8_EEEEZNS1_11reduce_implILb1ES3_NS6_12zip_iteratorINS7_INS6_11hip_rocprim26transform_input_iterator_tIbNSD_35transform_pair_of_input_iterators_tIbNS6_6detail15normal_iteratorINS6_10device_ptrIKiEEEESL_NS6_8equal_toIiEEEENSG_9not_fun_tINSD_8identityEEEEENSD_19counting_iterator_tIlEES8_S8_S8_S8_S8_S8_S8_S8_EEEEPS9_S9_NSD_9__find_if7functorIS9_EEEE10hipError_tPvRmT1_T2_T3_mT4_P12ihipStream_tbEUlT_E1_NS1_11comp_targetILNS1_3genE4ELNS1_11target_archE910ELNS1_3gpuE8ELNS1_3repE0EEENS1_30default_config_static_selectorELNS0_4arch9wavefront6targetE1EEEvS14_
		.amdhsa_group_segment_fixed_size 0
		.amdhsa_private_segment_fixed_size 0
		.amdhsa_kernarg_size 88
		.amdhsa_user_sgpr_count 6
		.amdhsa_user_sgpr_private_segment_buffer 1
		.amdhsa_user_sgpr_dispatch_ptr 0
		.amdhsa_user_sgpr_queue_ptr 0
		.amdhsa_user_sgpr_kernarg_segment_ptr 1
		.amdhsa_user_sgpr_dispatch_id 0
		.amdhsa_user_sgpr_flat_scratch_init 0
		.amdhsa_user_sgpr_private_segment_size 0
		.amdhsa_uses_dynamic_stack 0
		.amdhsa_system_sgpr_private_segment_wavefront_offset 0
		.amdhsa_system_sgpr_workgroup_id_x 1
		.amdhsa_system_sgpr_workgroup_id_y 0
		.amdhsa_system_sgpr_workgroup_id_z 0
		.amdhsa_system_sgpr_workgroup_info 0
		.amdhsa_system_vgpr_workitem_id 0
		.amdhsa_next_free_vgpr 1
		.amdhsa_next_free_sgpr 0
		.amdhsa_reserve_vcc 0
		.amdhsa_reserve_flat_scratch 0
		.amdhsa_float_round_mode_32 0
		.amdhsa_float_round_mode_16_64 0
		.amdhsa_float_denorm_mode_32 3
		.amdhsa_float_denorm_mode_16_64 3
		.amdhsa_dx10_clamp 1
		.amdhsa_ieee_mode 1
		.amdhsa_fp16_overflow 0
		.amdhsa_exception_fp_ieee_invalid_op 0
		.amdhsa_exception_fp_denorm_src 0
		.amdhsa_exception_fp_ieee_div_zero 0
		.amdhsa_exception_fp_ieee_overflow 0
		.amdhsa_exception_fp_ieee_underflow 0
		.amdhsa_exception_fp_ieee_inexact 0
		.amdhsa_exception_int_div_zero 0
	.end_amdhsa_kernel
	.section	.text._ZN7rocprim17ROCPRIM_400000_NS6detail17trampoline_kernelINS0_14default_configENS1_22reduce_config_selectorIN6thrust23THRUST_200600_302600_NS5tupleIblNS6_9null_typeES8_S8_S8_S8_S8_S8_S8_EEEEZNS1_11reduce_implILb1ES3_NS6_12zip_iteratorINS7_INS6_11hip_rocprim26transform_input_iterator_tIbNSD_35transform_pair_of_input_iterators_tIbNS6_6detail15normal_iteratorINS6_10device_ptrIKiEEEESL_NS6_8equal_toIiEEEENSG_9not_fun_tINSD_8identityEEEEENSD_19counting_iterator_tIlEES8_S8_S8_S8_S8_S8_S8_S8_EEEEPS9_S9_NSD_9__find_if7functorIS9_EEEE10hipError_tPvRmT1_T2_T3_mT4_P12ihipStream_tbEUlT_E1_NS1_11comp_targetILNS1_3genE4ELNS1_11target_archE910ELNS1_3gpuE8ELNS1_3repE0EEENS1_30default_config_static_selectorELNS0_4arch9wavefront6targetE1EEEvS14_,"axG",@progbits,_ZN7rocprim17ROCPRIM_400000_NS6detail17trampoline_kernelINS0_14default_configENS1_22reduce_config_selectorIN6thrust23THRUST_200600_302600_NS5tupleIblNS6_9null_typeES8_S8_S8_S8_S8_S8_S8_EEEEZNS1_11reduce_implILb1ES3_NS6_12zip_iteratorINS7_INS6_11hip_rocprim26transform_input_iterator_tIbNSD_35transform_pair_of_input_iterators_tIbNS6_6detail15normal_iteratorINS6_10device_ptrIKiEEEESL_NS6_8equal_toIiEEEENSG_9not_fun_tINSD_8identityEEEEENSD_19counting_iterator_tIlEES8_S8_S8_S8_S8_S8_S8_S8_EEEEPS9_S9_NSD_9__find_if7functorIS9_EEEE10hipError_tPvRmT1_T2_T3_mT4_P12ihipStream_tbEUlT_E1_NS1_11comp_targetILNS1_3genE4ELNS1_11target_archE910ELNS1_3gpuE8ELNS1_3repE0EEENS1_30default_config_static_selectorELNS0_4arch9wavefront6targetE1EEEvS14_,comdat
.Lfunc_end548:
	.size	_ZN7rocprim17ROCPRIM_400000_NS6detail17trampoline_kernelINS0_14default_configENS1_22reduce_config_selectorIN6thrust23THRUST_200600_302600_NS5tupleIblNS6_9null_typeES8_S8_S8_S8_S8_S8_S8_EEEEZNS1_11reduce_implILb1ES3_NS6_12zip_iteratorINS7_INS6_11hip_rocprim26transform_input_iterator_tIbNSD_35transform_pair_of_input_iterators_tIbNS6_6detail15normal_iteratorINS6_10device_ptrIKiEEEESL_NS6_8equal_toIiEEEENSG_9not_fun_tINSD_8identityEEEEENSD_19counting_iterator_tIlEES8_S8_S8_S8_S8_S8_S8_S8_EEEEPS9_S9_NSD_9__find_if7functorIS9_EEEE10hipError_tPvRmT1_T2_T3_mT4_P12ihipStream_tbEUlT_E1_NS1_11comp_targetILNS1_3genE4ELNS1_11target_archE910ELNS1_3gpuE8ELNS1_3repE0EEENS1_30default_config_static_selectorELNS0_4arch9wavefront6targetE1EEEvS14_, .Lfunc_end548-_ZN7rocprim17ROCPRIM_400000_NS6detail17trampoline_kernelINS0_14default_configENS1_22reduce_config_selectorIN6thrust23THRUST_200600_302600_NS5tupleIblNS6_9null_typeES8_S8_S8_S8_S8_S8_S8_EEEEZNS1_11reduce_implILb1ES3_NS6_12zip_iteratorINS7_INS6_11hip_rocprim26transform_input_iterator_tIbNSD_35transform_pair_of_input_iterators_tIbNS6_6detail15normal_iteratorINS6_10device_ptrIKiEEEESL_NS6_8equal_toIiEEEENSG_9not_fun_tINSD_8identityEEEEENSD_19counting_iterator_tIlEES8_S8_S8_S8_S8_S8_S8_S8_EEEEPS9_S9_NSD_9__find_if7functorIS9_EEEE10hipError_tPvRmT1_T2_T3_mT4_P12ihipStream_tbEUlT_E1_NS1_11comp_targetILNS1_3genE4ELNS1_11target_archE910ELNS1_3gpuE8ELNS1_3repE0EEENS1_30default_config_static_selectorELNS0_4arch9wavefront6targetE1EEEvS14_
                                        ; -- End function
	.set _ZN7rocprim17ROCPRIM_400000_NS6detail17trampoline_kernelINS0_14default_configENS1_22reduce_config_selectorIN6thrust23THRUST_200600_302600_NS5tupleIblNS6_9null_typeES8_S8_S8_S8_S8_S8_S8_EEEEZNS1_11reduce_implILb1ES3_NS6_12zip_iteratorINS7_INS6_11hip_rocprim26transform_input_iterator_tIbNSD_35transform_pair_of_input_iterators_tIbNS6_6detail15normal_iteratorINS6_10device_ptrIKiEEEESL_NS6_8equal_toIiEEEENSG_9not_fun_tINSD_8identityEEEEENSD_19counting_iterator_tIlEES8_S8_S8_S8_S8_S8_S8_S8_EEEEPS9_S9_NSD_9__find_if7functorIS9_EEEE10hipError_tPvRmT1_T2_T3_mT4_P12ihipStream_tbEUlT_E1_NS1_11comp_targetILNS1_3genE4ELNS1_11target_archE910ELNS1_3gpuE8ELNS1_3repE0EEENS1_30default_config_static_selectorELNS0_4arch9wavefront6targetE1EEEvS14_.num_vgpr, 0
	.set _ZN7rocprim17ROCPRIM_400000_NS6detail17trampoline_kernelINS0_14default_configENS1_22reduce_config_selectorIN6thrust23THRUST_200600_302600_NS5tupleIblNS6_9null_typeES8_S8_S8_S8_S8_S8_S8_EEEEZNS1_11reduce_implILb1ES3_NS6_12zip_iteratorINS7_INS6_11hip_rocprim26transform_input_iterator_tIbNSD_35transform_pair_of_input_iterators_tIbNS6_6detail15normal_iteratorINS6_10device_ptrIKiEEEESL_NS6_8equal_toIiEEEENSG_9not_fun_tINSD_8identityEEEEENSD_19counting_iterator_tIlEES8_S8_S8_S8_S8_S8_S8_S8_EEEEPS9_S9_NSD_9__find_if7functorIS9_EEEE10hipError_tPvRmT1_T2_T3_mT4_P12ihipStream_tbEUlT_E1_NS1_11comp_targetILNS1_3genE4ELNS1_11target_archE910ELNS1_3gpuE8ELNS1_3repE0EEENS1_30default_config_static_selectorELNS0_4arch9wavefront6targetE1EEEvS14_.num_agpr, 0
	.set _ZN7rocprim17ROCPRIM_400000_NS6detail17trampoline_kernelINS0_14default_configENS1_22reduce_config_selectorIN6thrust23THRUST_200600_302600_NS5tupleIblNS6_9null_typeES8_S8_S8_S8_S8_S8_S8_EEEEZNS1_11reduce_implILb1ES3_NS6_12zip_iteratorINS7_INS6_11hip_rocprim26transform_input_iterator_tIbNSD_35transform_pair_of_input_iterators_tIbNS6_6detail15normal_iteratorINS6_10device_ptrIKiEEEESL_NS6_8equal_toIiEEEENSG_9not_fun_tINSD_8identityEEEEENSD_19counting_iterator_tIlEES8_S8_S8_S8_S8_S8_S8_S8_EEEEPS9_S9_NSD_9__find_if7functorIS9_EEEE10hipError_tPvRmT1_T2_T3_mT4_P12ihipStream_tbEUlT_E1_NS1_11comp_targetILNS1_3genE4ELNS1_11target_archE910ELNS1_3gpuE8ELNS1_3repE0EEENS1_30default_config_static_selectorELNS0_4arch9wavefront6targetE1EEEvS14_.numbered_sgpr, 0
	.set _ZN7rocprim17ROCPRIM_400000_NS6detail17trampoline_kernelINS0_14default_configENS1_22reduce_config_selectorIN6thrust23THRUST_200600_302600_NS5tupleIblNS6_9null_typeES8_S8_S8_S8_S8_S8_S8_EEEEZNS1_11reduce_implILb1ES3_NS6_12zip_iteratorINS7_INS6_11hip_rocprim26transform_input_iterator_tIbNSD_35transform_pair_of_input_iterators_tIbNS6_6detail15normal_iteratorINS6_10device_ptrIKiEEEESL_NS6_8equal_toIiEEEENSG_9not_fun_tINSD_8identityEEEEENSD_19counting_iterator_tIlEES8_S8_S8_S8_S8_S8_S8_S8_EEEEPS9_S9_NSD_9__find_if7functorIS9_EEEE10hipError_tPvRmT1_T2_T3_mT4_P12ihipStream_tbEUlT_E1_NS1_11comp_targetILNS1_3genE4ELNS1_11target_archE910ELNS1_3gpuE8ELNS1_3repE0EEENS1_30default_config_static_selectorELNS0_4arch9wavefront6targetE1EEEvS14_.num_named_barrier, 0
	.set _ZN7rocprim17ROCPRIM_400000_NS6detail17trampoline_kernelINS0_14default_configENS1_22reduce_config_selectorIN6thrust23THRUST_200600_302600_NS5tupleIblNS6_9null_typeES8_S8_S8_S8_S8_S8_S8_EEEEZNS1_11reduce_implILb1ES3_NS6_12zip_iteratorINS7_INS6_11hip_rocprim26transform_input_iterator_tIbNSD_35transform_pair_of_input_iterators_tIbNS6_6detail15normal_iteratorINS6_10device_ptrIKiEEEESL_NS6_8equal_toIiEEEENSG_9not_fun_tINSD_8identityEEEEENSD_19counting_iterator_tIlEES8_S8_S8_S8_S8_S8_S8_S8_EEEEPS9_S9_NSD_9__find_if7functorIS9_EEEE10hipError_tPvRmT1_T2_T3_mT4_P12ihipStream_tbEUlT_E1_NS1_11comp_targetILNS1_3genE4ELNS1_11target_archE910ELNS1_3gpuE8ELNS1_3repE0EEENS1_30default_config_static_selectorELNS0_4arch9wavefront6targetE1EEEvS14_.private_seg_size, 0
	.set _ZN7rocprim17ROCPRIM_400000_NS6detail17trampoline_kernelINS0_14default_configENS1_22reduce_config_selectorIN6thrust23THRUST_200600_302600_NS5tupleIblNS6_9null_typeES8_S8_S8_S8_S8_S8_S8_EEEEZNS1_11reduce_implILb1ES3_NS6_12zip_iteratorINS7_INS6_11hip_rocprim26transform_input_iterator_tIbNSD_35transform_pair_of_input_iterators_tIbNS6_6detail15normal_iteratorINS6_10device_ptrIKiEEEESL_NS6_8equal_toIiEEEENSG_9not_fun_tINSD_8identityEEEEENSD_19counting_iterator_tIlEES8_S8_S8_S8_S8_S8_S8_S8_EEEEPS9_S9_NSD_9__find_if7functorIS9_EEEE10hipError_tPvRmT1_T2_T3_mT4_P12ihipStream_tbEUlT_E1_NS1_11comp_targetILNS1_3genE4ELNS1_11target_archE910ELNS1_3gpuE8ELNS1_3repE0EEENS1_30default_config_static_selectorELNS0_4arch9wavefront6targetE1EEEvS14_.uses_vcc, 0
	.set _ZN7rocprim17ROCPRIM_400000_NS6detail17trampoline_kernelINS0_14default_configENS1_22reduce_config_selectorIN6thrust23THRUST_200600_302600_NS5tupleIblNS6_9null_typeES8_S8_S8_S8_S8_S8_S8_EEEEZNS1_11reduce_implILb1ES3_NS6_12zip_iteratorINS7_INS6_11hip_rocprim26transform_input_iterator_tIbNSD_35transform_pair_of_input_iterators_tIbNS6_6detail15normal_iteratorINS6_10device_ptrIKiEEEESL_NS6_8equal_toIiEEEENSG_9not_fun_tINSD_8identityEEEEENSD_19counting_iterator_tIlEES8_S8_S8_S8_S8_S8_S8_S8_EEEEPS9_S9_NSD_9__find_if7functorIS9_EEEE10hipError_tPvRmT1_T2_T3_mT4_P12ihipStream_tbEUlT_E1_NS1_11comp_targetILNS1_3genE4ELNS1_11target_archE910ELNS1_3gpuE8ELNS1_3repE0EEENS1_30default_config_static_selectorELNS0_4arch9wavefront6targetE1EEEvS14_.uses_flat_scratch, 0
	.set _ZN7rocprim17ROCPRIM_400000_NS6detail17trampoline_kernelINS0_14default_configENS1_22reduce_config_selectorIN6thrust23THRUST_200600_302600_NS5tupleIblNS6_9null_typeES8_S8_S8_S8_S8_S8_S8_EEEEZNS1_11reduce_implILb1ES3_NS6_12zip_iteratorINS7_INS6_11hip_rocprim26transform_input_iterator_tIbNSD_35transform_pair_of_input_iterators_tIbNS6_6detail15normal_iteratorINS6_10device_ptrIKiEEEESL_NS6_8equal_toIiEEEENSG_9not_fun_tINSD_8identityEEEEENSD_19counting_iterator_tIlEES8_S8_S8_S8_S8_S8_S8_S8_EEEEPS9_S9_NSD_9__find_if7functorIS9_EEEE10hipError_tPvRmT1_T2_T3_mT4_P12ihipStream_tbEUlT_E1_NS1_11comp_targetILNS1_3genE4ELNS1_11target_archE910ELNS1_3gpuE8ELNS1_3repE0EEENS1_30default_config_static_selectorELNS0_4arch9wavefront6targetE1EEEvS14_.has_dyn_sized_stack, 0
	.set _ZN7rocprim17ROCPRIM_400000_NS6detail17trampoline_kernelINS0_14default_configENS1_22reduce_config_selectorIN6thrust23THRUST_200600_302600_NS5tupleIblNS6_9null_typeES8_S8_S8_S8_S8_S8_S8_EEEEZNS1_11reduce_implILb1ES3_NS6_12zip_iteratorINS7_INS6_11hip_rocprim26transform_input_iterator_tIbNSD_35transform_pair_of_input_iterators_tIbNS6_6detail15normal_iteratorINS6_10device_ptrIKiEEEESL_NS6_8equal_toIiEEEENSG_9not_fun_tINSD_8identityEEEEENSD_19counting_iterator_tIlEES8_S8_S8_S8_S8_S8_S8_S8_EEEEPS9_S9_NSD_9__find_if7functorIS9_EEEE10hipError_tPvRmT1_T2_T3_mT4_P12ihipStream_tbEUlT_E1_NS1_11comp_targetILNS1_3genE4ELNS1_11target_archE910ELNS1_3gpuE8ELNS1_3repE0EEENS1_30default_config_static_selectorELNS0_4arch9wavefront6targetE1EEEvS14_.has_recursion, 0
	.set _ZN7rocprim17ROCPRIM_400000_NS6detail17trampoline_kernelINS0_14default_configENS1_22reduce_config_selectorIN6thrust23THRUST_200600_302600_NS5tupleIblNS6_9null_typeES8_S8_S8_S8_S8_S8_S8_EEEEZNS1_11reduce_implILb1ES3_NS6_12zip_iteratorINS7_INS6_11hip_rocprim26transform_input_iterator_tIbNSD_35transform_pair_of_input_iterators_tIbNS6_6detail15normal_iteratorINS6_10device_ptrIKiEEEESL_NS6_8equal_toIiEEEENSG_9not_fun_tINSD_8identityEEEEENSD_19counting_iterator_tIlEES8_S8_S8_S8_S8_S8_S8_S8_EEEEPS9_S9_NSD_9__find_if7functorIS9_EEEE10hipError_tPvRmT1_T2_T3_mT4_P12ihipStream_tbEUlT_E1_NS1_11comp_targetILNS1_3genE4ELNS1_11target_archE910ELNS1_3gpuE8ELNS1_3repE0EEENS1_30default_config_static_selectorELNS0_4arch9wavefront6targetE1EEEvS14_.has_indirect_call, 0
	.section	.AMDGPU.csdata,"",@progbits
; Kernel info:
; codeLenInByte = 0
; TotalNumSgprs: 4
; NumVgprs: 0
; ScratchSize: 0
; MemoryBound: 0
; FloatMode: 240
; IeeeMode: 1
; LDSByteSize: 0 bytes/workgroup (compile time only)
; SGPRBlocks: 0
; VGPRBlocks: 0
; NumSGPRsForWavesPerEU: 4
; NumVGPRsForWavesPerEU: 1
; Occupancy: 10
; WaveLimiterHint : 0
; COMPUTE_PGM_RSRC2:SCRATCH_EN: 0
; COMPUTE_PGM_RSRC2:USER_SGPR: 6
; COMPUTE_PGM_RSRC2:TRAP_HANDLER: 0
; COMPUTE_PGM_RSRC2:TGID_X_EN: 1
; COMPUTE_PGM_RSRC2:TGID_Y_EN: 0
; COMPUTE_PGM_RSRC2:TGID_Z_EN: 0
; COMPUTE_PGM_RSRC2:TIDIG_COMP_CNT: 0
	.section	.text._ZN7rocprim17ROCPRIM_400000_NS6detail17trampoline_kernelINS0_14default_configENS1_22reduce_config_selectorIN6thrust23THRUST_200600_302600_NS5tupleIblNS6_9null_typeES8_S8_S8_S8_S8_S8_S8_EEEEZNS1_11reduce_implILb1ES3_NS6_12zip_iteratorINS7_INS6_11hip_rocprim26transform_input_iterator_tIbNSD_35transform_pair_of_input_iterators_tIbNS6_6detail15normal_iteratorINS6_10device_ptrIKiEEEESL_NS6_8equal_toIiEEEENSG_9not_fun_tINSD_8identityEEEEENSD_19counting_iterator_tIlEES8_S8_S8_S8_S8_S8_S8_S8_EEEEPS9_S9_NSD_9__find_if7functorIS9_EEEE10hipError_tPvRmT1_T2_T3_mT4_P12ihipStream_tbEUlT_E1_NS1_11comp_targetILNS1_3genE3ELNS1_11target_archE908ELNS1_3gpuE7ELNS1_3repE0EEENS1_30default_config_static_selectorELNS0_4arch9wavefront6targetE1EEEvS14_,"axG",@progbits,_ZN7rocprim17ROCPRIM_400000_NS6detail17trampoline_kernelINS0_14default_configENS1_22reduce_config_selectorIN6thrust23THRUST_200600_302600_NS5tupleIblNS6_9null_typeES8_S8_S8_S8_S8_S8_S8_EEEEZNS1_11reduce_implILb1ES3_NS6_12zip_iteratorINS7_INS6_11hip_rocprim26transform_input_iterator_tIbNSD_35transform_pair_of_input_iterators_tIbNS6_6detail15normal_iteratorINS6_10device_ptrIKiEEEESL_NS6_8equal_toIiEEEENSG_9not_fun_tINSD_8identityEEEEENSD_19counting_iterator_tIlEES8_S8_S8_S8_S8_S8_S8_S8_EEEEPS9_S9_NSD_9__find_if7functorIS9_EEEE10hipError_tPvRmT1_T2_T3_mT4_P12ihipStream_tbEUlT_E1_NS1_11comp_targetILNS1_3genE3ELNS1_11target_archE908ELNS1_3gpuE7ELNS1_3repE0EEENS1_30default_config_static_selectorELNS0_4arch9wavefront6targetE1EEEvS14_,comdat
	.protected	_ZN7rocprim17ROCPRIM_400000_NS6detail17trampoline_kernelINS0_14default_configENS1_22reduce_config_selectorIN6thrust23THRUST_200600_302600_NS5tupleIblNS6_9null_typeES8_S8_S8_S8_S8_S8_S8_EEEEZNS1_11reduce_implILb1ES3_NS6_12zip_iteratorINS7_INS6_11hip_rocprim26transform_input_iterator_tIbNSD_35transform_pair_of_input_iterators_tIbNS6_6detail15normal_iteratorINS6_10device_ptrIKiEEEESL_NS6_8equal_toIiEEEENSG_9not_fun_tINSD_8identityEEEEENSD_19counting_iterator_tIlEES8_S8_S8_S8_S8_S8_S8_S8_EEEEPS9_S9_NSD_9__find_if7functorIS9_EEEE10hipError_tPvRmT1_T2_T3_mT4_P12ihipStream_tbEUlT_E1_NS1_11comp_targetILNS1_3genE3ELNS1_11target_archE908ELNS1_3gpuE7ELNS1_3repE0EEENS1_30default_config_static_selectorELNS0_4arch9wavefront6targetE1EEEvS14_ ; -- Begin function _ZN7rocprim17ROCPRIM_400000_NS6detail17trampoline_kernelINS0_14default_configENS1_22reduce_config_selectorIN6thrust23THRUST_200600_302600_NS5tupleIblNS6_9null_typeES8_S8_S8_S8_S8_S8_S8_EEEEZNS1_11reduce_implILb1ES3_NS6_12zip_iteratorINS7_INS6_11hip_rocprim26transform_input_iterator_tIbNSD_35transform_pair_of_input_iterators_tIbNS6_6detail15normal_iteratorINS6_10device_ptrIKiEEEESL_NS6_8equal_toIiEEEENSG_9not_fun_tINSD_8identityEEEEENSD_19counting_iterator_tIlEES8_S8_S8_S8_S8_S8_S8_S8_EEEEPS9_S9_NSD_9__find_if7functorIS9_EEEE10hipError_tPvRmT1_T2_T3_mT4_P12ihipStream_tbEUlT_E1_NS1_11comp_targetILNS1_3genE3ELNS1_11target_archE908ELNS1_3gpuE7ELNS1_3repE0EEENS1_30default_config_static_selectorELNS0_4arch9wavefront6targetE1EEEvS14_
	.globl	_ZN7rocprim17ROCPRIM_400000_NS6detail17trampoline_kernelINS0_14default_configENS1_22reduce_config_selectorIN6thrust23THRUST_200600_302600_NS5tupleIblNS6_9null_typeES8_S8_S8_S8_S8_S8_S8_EEEEZNS1_11reduce_implILb1ES3_NS6_12zip_iteratorINS7_INS6_11hip_rocprim26transform_input_iterator_tIbNSD_35transform_pair_of_input_iterators_tIbNS6_6detail15normal_iteratorINS6_10device_ptrIKiEEEESL_NS6_8equal_toIiEEEENSG_9not_fun_tINSD_8identityEEEEENSD_19counting_iterator_tIlEES8_S8_S8_S8_S8_S8_S8_S8_EEEEPS9_S9_NSD_9__find_if7functorIS9_EEEE10hipError_tPvRmT1_T2_T3_mT4_P12ihipStream_tbEUlT_E1_NS1_11comp_targetILNS1_3genE3ELNS1_11target_archE908ELNS1_3gpuE7ELNS1_3repE0EEENS1_30default_config_static_selectorELNS0_4arch9wavefront6targetE1EEEvS14_
	.p2align	8
	.type	_ZN7rocprim17ROCPRIM_400000_NS6detail17trampoline_kernelINS0_14default_configENS1_22reduce_config_selectorIN6thrust23THRUST_200600_302600_NS5tupleIblNS6_9null_typeES8_S8_S8_S8_S8_S8_S8_EEEEZNS1_11reduce_implILb1ES3_NS6_12zip_iteratorINS7_INS6_11hip_rocprim26transform_input_iterator_tIbNSD_35transform_pair_of_input_iterators_tIbNS6_6detail15normal_iteratorINS6_10device_ptrIKiEEEESL_NS6_8equal_toIiEEEENSG_9not_fun_tINSD_8identityEEEEENSD_19counting_iterator_tIlEES8_S8_S8_S8_S8_S8_S8_S8_EEEEPS9_S9_NSD_9__find_if7functorIS9_EEEE10hipError_tPvRmT1_T2_T3_mT4_P12ihipStream_tbEUlT_E1_NS1_11comp_targetILNS1_3genE3ELNS1_11target_archE908ELNS1_3gpuE7ELNS1_3repE0EEENS1_30default_config_static_selectorELNS0_4arch9wavefront6targetE1EEEvS14_,@function
_ZN7rocprim17ROCPRIM_400000_NS6detail17trampoline_kernelINS0_14default_configENS1_22reduce_config_selectorIN6thrust23THRUST_200600_302600_NS5tupleIblNS6_9null_typeES8_S8_S8_S8_S8_S8_S8_EEEEZNS1_11reduce_implILb1ES3_NS6_12zip_iteratorINS7_INS6_11hip_rocprim26transform_input_iterator_tIbNSD_35transform_pair_of_input_iterators_tIbNS6_6detail15normal_iteratorINS6_10device_ptrIKiEEEESL_NS6_8equal_toIiEEEENSG_9not_fun_tINSD_8identityEEEEENSD_19counting_iterator_tIlEES8_S8_S8_S8_S8_S8_S8_S8_EEEEPS9_S9_NSD_9__find_if7functorIS9_EEEE10hipError_tPvRmT1_T2_T3_mT4_P12ihipStream_tbEUlT_E1_NS1_11comp_targetILNS1_3genE3ELNS1_11target_archE908ELNS1_3gpuE7ELNS1_3repE0EEENS1_30default_config_static_selectorELNS0_4arch9wavefront6targetE1EEEvS14_: ; @_ZN7rocprim17ROCPRIM_400000_NS6detail17trampoline_kernelINS0_14default_configENS1_22reduce_config_selectorIN6thrust23THRUST_200600_302600_NS5tupleIblNS6_9null_typeES8_S8_S8_S8_S8_S8_S8_EEEEZNS1_11reduce_implILb1ES3_NS6_12zip_iteratorINS7_INS6_11hip_rocprim26transform_input_iterator_tIbNSD_35transform_pair_of_input_iterators_tIbNS6_6detail15normal_iteratorINS6_10device_ptrIKiEEEESL_NS6_8equal_toIiEEEENSG_9not_fun_tINSD_8identityEEEEENSD_19counting_iterator_tIlEES8_S8_S8_S8_S8_S8_S8_S8_EEEEPS9_S9_NSD_9__find_if7functorIS9_EEEE10hipError_tPvRmT1_T2_T3_mT4_P12ihipStream_tbEUlT_E1_NS1_11comp_targetILNS1_3genE3ELNS1_11target_archE908ELNS1_3gpuE7ELNS1_3repE0EEENS1_30default_config_static_selectorELNS0_4arch9wavefront6targetE1EEEvS14_
; %bb.0:
	.section	.rodata,"a",@progbits
	.p2align	6, 0x0
	.amdhsa_kernel _ZN7rocprim17ROCPRIM_400000_NS6detail17trampoline_kernelINS0_14default_configENS1_22reduce_config_selectorIN6thrust23THRUST_200600_302600_NS5tupleIblNS6_9null_typeES8_S8_S8_S8_S8_S8_S8_EEEEZNS1_11reduce_implILb1ES3_NS6_12zip_iteratorINS7_INS6_11hip_rocprim26transform_input_iterator_tIbNSD_35transform_pair_of_input_iterators_tIbNS6_6detail15normal_iteratorINS6_10device_ptrIKiEEEESL_NS6_8equal_toIiEEEENSG_9not_fun_tINSD_8identityEEEEENSD_19counting_iterator_tIlEES8_S8_S8_S8_S8_S8_S8_S8_EEEEPS9_S9_NSD_9__find_if7functorIS9_EEEE10hipError_tPvRmT1_T2_T3_mT4_P12ihipStream_tbEUlT_E1_NS1_11comp_targetILNS1_3genE3ELNS1_11target_archE908ELNS1_3gpuE7ELNS1_3repE0EEENS1_30default_config_static_selectorELNS0_4arch9wavefront6targetE1EEEvS14_
		.amdhsa_group_segment_fixed_size 0
		.amdhsa_private_segment_fixed_size 0
		.amdhsa_kernarg_size 88
		.amdhsa_user_sgpr_count 6
		.amdhsa_user_sgpr_private_segment_buffer 1
		.amdhsa_user_sgpr_dispatch_ptr 0
		.amdhsa_user_sgpr_queue_ptr 0
		.amdhsa_user_sgpr_kernarg_segment_ptr 1
		.amdhsa_user_sgpr_dispatch_id 0
		.amdhsa_user_sgpr_flat_scratch_init 0
		.amdhsa_user_sgpr_private_segment_size 0
		.amdhsa_uses_dynamic_stack 0
		.amdhsa_system_sgpr_private_segment_wavefront_offset 0
		.amdhsa_system_sgpr_workgroup_id_x 1
		.amdhsa_system_sgpr_workgroup_id_y 0
		.amdhsa_system_sgpr_workgroup_id_z 0
		.amdhsa_system_sgpr_workgroup_info 0
		.amdhsa_system_vgpr_workitem_id 0
		.amdhsa_next_free_vgpr 1
		.amdhsa_next_free_sgpr 0
		.amdhsa_reserve_vcc 0
		.amdhsa_reserve_flat_scratch 0
		.amdhsa_float_round_mode_32 0
		.amdhsa_float_round_mode_16_64 0
		.amdhsa_float_denorm_mode_32 3
		.amdhsa_float_denorm_mode_16_64 3
		.amdhsa_dx10_clamp 1
		.amdhsa_ieee_mode 1
		.amdhsa_fp16_overflow 0
		.amdhsa_exception_fp_ieee_invalid_op 0
		.amdhsa_exception_fp_denorm_src 0
		.amdhsa_exception_fp_ieee_div_zero 0
		.amdhsa_exception_fp_ieee_overflow 0
		.amdhsa_exception_fp_ieee_underflow 0
		.amdhsa_exception_fp_ieee_inexact 0
		.amdhsa_exception_int_div_zero 0
	.end_amdhsa_kernel
	.section	.text._ZN7rocprim17ROCPRIM_400000_NS6detail17trampoline_kernelINS0_14default_configENS1_22reduce_config_selectorIN6thrust23THRUST_200600_302600_NS5tupleIblNS6_9null_typeES8_S8_S8_S8_S8_S8_S8_EEEEZNS1_11reduce_implILb1ES3_NS6_12zip_iteratorINS7_INS6_11hip_rocprim26transform_input_iterator_tIbNSD_35transform_pair_of_input_iterators_tIbNS6_6detail15normal_iteratorINS6_10device_ptrIKiEEEESL_NS6_8equal_toIiEEEENSG_9not_fun_tINSD_8identityEEEEENSD_19counting_iterator_tIlEES8_S8_S8_S8_S8_S8_S8_S8_EEEEPS9_S9_NSD_9__find_if7functorIS9_EEEE10hipError_tPvRmT1_T2_T3_mT4_P12ihipStream_tbEUlT_E1_NS1_11comp_targetILNS1_3genE3ELNS1_11target_archE908ELNS1_3gpuE7ELNS1_3repE0EEENS1_30default_config_static_selectorELNS0_4arch9wavefront6targetE1EEEvS14_,"axG",@progbits,_ZN7rocprim17ROCPRIM_400000_NS6detail17trampoline_kernelINS0_14default_configENS1_22reduce_config_selectorIN6thrust23THRUST_200600_302600_NS5tupleIblNS6_9null_typeES8_S8_S8_S8_S8_S8_S8_EEEEZNS1_11reduce_implILb1ES3_NS6_12zip_iteratorINS7_INS6_11hip_rocprim26transform_input_iterator_tIbNSD_35transform_pair_of_input_iterators_tIbNS6_6detail15normal_iteratorINS6_10device_ptrIKiEEEESL_NS6_8equal_toIiEEEENSG_9not_fun_tINSD_8identityEEEEENSD_19counting_iterator_tIlEES8_S8_S8_S8_S8_S8_S8_S8_EEEEPS9_S9_NSD_9__find_if7functorIS9_EEEE10hipError_tPvRmT1_T2_T3_mT4_P12ihipStream_tbEUlT_E1_NS1_11comp_targetILNS1_3genE3ELNS1_11target_archE908ELNS1_3gpuE7ELNS1_3repE0EEENS1_30default_config_static_selectorELNS0_4arch9wavefront6targetE1EEEvS14_,comdat
.Lfunc_end549:
	.size	_ZN7rocprim17ROCPRIM_400000_NS6detail17trampoline_kernelINS0_14default_configENS1_22reduce_config_selectorIN6thrust23THRUST_200600_302600_NS5tupleIblNS6_9null_typeES8_S8_S8_S8_S8_S8_S8_EEEEZNS1_11reduce_implILb1ES3_NS6_12zip_iteratorINS7_INS6_11hip_rocprim26transform_input_iterator_tIbNSD_35transform_pair_of_input_iterators_tIbNS6_6detail15normal_iteratorINS6_10device_ptrIKiEEEESL_NS6_8equal_toIiEEEENSG_9not_fun_tINSD_8identityEEEEENSD_19counting_iterator_tIlEES8_S8_S8_S8_S8_S8_S8_S8_EEEEPS9_S9_NSD_9__find_if7functorIS9_EEEE10hipError_tPvRmT1_T2_T3_mT4_P12ihipStream_tbEUlT_E1_NS1_11comp_targetILNS1_3genE3ELNS1_11target_archE908ELNS1_3gpuE7ELNS1_3repE0EEENS1_30default_config_static_selectorELNS0_4arch9wavefront6targetE1EEEvS14_, .Lfunc_end549-_ZN7rocprim17ROCPRIM_400000_NS6detail17trampoline_kernelINS0_14default_configENS1_22reduce_config_selectorIN6thrust23THRUST_200600_302600_NS5tupleIblNS6_9null_typeES8_S8_S8_S8_S8_S8_S8_EEEEZNS1_11reduce_implILb1ES3_NS6_12zip_iteratorINS7_INS6_11hip_rocprim26transform_input_iterator_tIbNSD_35transform_pair_of_input_iterators_tIbNS6_6detail15normal_iteratorINS6_10device_ptrIKiEEEESL_NS6_8equal_toIiEEEENSG_9not_fun_tINSD_8identityEEEEENSD_19counting_iterator_tIlEES8_S8_S8_S8_S8_S8_S8_S8_EEEEPS9_S9_NSD_9__find_if7functorIS9_EEEE10hipError_tPvRmT1_T2_T3_mT4_P12ihipStream_tbEUlT_E1_NS1_11comp_targetILNS1_3genE3ELNS1_11target_archE908ELNS1_3gpuE7ELNS1_3repE0EEENS1_30default_config_static_selectorELNS0_4arch9wavefront6targetE1EEEvS14_
                                        ; -- End function
	.set _ZN7rocprim17ROCPRIM_400000_NS6detail17trampoline_kernelINS0_14default_configENS1_22reduce_config_selectorIN6thrust23THRUST_200600_302600_NS5tupleIblNS6_9null_typeES8_S8_S8_S8_S8_S8_S8_EEEEZNS1_11reduce_implILb1ES3_NS6_12zip_iteratorINS7_INS6_11hip_rocprim26transform_input_iterator_tIbNSD_35transform_pair_of_input_iterators_tIbNS6_6detail15normal_iteratorINS6_10device_ptrIKiEEEESL_NS6_8equal_toIiEEEENSG_9not_fun_tINSD_8identityEEEEENSD_19counting_iterator_tIlEES8_S8_S8_S8_S8_S8_S8_S8_EEEEPS9_S9_NSD_9__find_if7functorIS9_EEEE10hipError_tPvRmT1_T2_T3_mT4_P12ihipStream_tbEUlT_E1_NS1_11comp_targetILNS1_3genE3ELNS1_11target_archE908ELNS1_3gpuE7ELNS1_3repE0EEENS1_30default_config_static_selectorELNS0_4arch9wavefront6targetE1EEEvS14_.num_vgpr, 0
	.set _ZN7rocprim17ROCPRIM_400000_NS6detail17trampoline_kernelINS0_14default_configENS1_22reduce_config_selectorIN6thrust23THRUST_200600_302600_NS5tupleIblNS6_9null_typeES8_S8_S8_S8_S8_S8_S8_EEEEZNS1_11reduce_implILb1ES3_NS6_12zip_iteratorINS7_INS6_11hip_rocprim26transform_input_iterator_tIbNSD_35transform_pair_of_input_iterators_tIbNS6_6detail15normal_iteratorINS6_10device_ptrIKiEEEESL_NS6_8equal_toIiEEEENSG_9not_fun_tINSD_8identityEEEEENSD_19counting_iterator_tIlEES8_S8_S8_S8_S8_S8_S8_S8_EEEEPS9_S9_NSD_9__find_if7functorIS9_EEEE10hipError_tPvRmT1_T2_T3_mT4_P12ihipStream_tbEUlT_E1_NS1_11comp_targetILNS1_3genE3ELNS1_11target_archE908ELNS1_3gpuE7ELNS1_3repE0EEENS1_30default_config_static_selectorELNS0_4arch9wavefront6targetE1EEEvS14_.num_agpr, 0
	.set _ZN7rocprim17ROCPRIM_400000_NS6detail17trampoline_kernelINS0_14default_configENS1_22reduce_config_selectorIN6thrust23THRUST_200600_302600_NS5tupleIblNS6_9null_typeES8_S8_S8_S8_S8_S8_S8_EEEEZNS1_11reduce_implILb1ES3_NS6_12zip_iteratorINS7_INS6_11hip_rocprim26transform_input_iterator_tIbNSD_35transform_pair_of_input_iterators_tIbNS6_6detail15normal_iteratorINS6_10device_ptrIKiEEEESL_NS6_8equal_toIiEEEENSG_9not_fun_tINSD_8identityEEEEENSD_19counting_iterator_tIlEES8_S8_S8_S8_S8_S8_S8_S8_EEEEPS9_S9_NSD_9__find_if7functorIS9_EEEE10hipError_tPvRmT1_T2_T3_mT4_P12ihipStream_tbEUlT_E1_NS1_11comp_targetILNS1_3genE3ELNS1_11target_archE908ELNS1_3gpuE7ELNS1_3repE0EEENS1_30default_config_static_selectorELNS0_4arch9wavefront6targetE1EEEvS14_.numbered_sgpr, 0
	.set _ZN7rocprim17ROCPRIM_400000_NS6detail17trampoline_kernelINS0_14default_configENS1_22reduce_config_selectorIN6thrust23THRUST_200600_302600_NS5tupleIblNS6_9null_typeES8_S8_S8_S8_S8_S8_S8_EEEEZNS1_11reduce_implILb1ES3_NS6_12zip_iteratorINS7_INS6_11hip_rocprim26transform_input_iterator_tIbNSD_35transform_pair_of_input_iterators_tIbNS6_6detail15normal_iteratorINS6_10device_ptrIKiEEEESL_NS6_8equal_toIiEEEENSG_9not_fun_tINSD_8identityEEEEENSD_19counting_iterator_tIlEES8_S8_S8_S8_S8_S8_S8_S8_EEEEPS9_S9_NSD_9__find_if7functorIS9_EEEE10hipError_tPvRmT1_T2_T3_mT4_P12ihipStream_tbEUlT_E1_NS1_11comp_targetILNS1_3genE3ELNS1_11target_archE908ELNS1_3gpuE7ELNS1_3repE0EEENS1_30default_config_static_selectorELNS0_4arch9wavefront6targetE1EEEvS14_.num_named_barrier, 0
	.set _ZN7rocprim17ROCPRIM_400000_NS6detail17trampoline_kernelINS0_14default_configENS1_22reduce_config_selectorIN6thrust23THRUST_200600_302600_NS5tupleIblNS6_9null_typeES8_S8_S8_S8_S8_S8_S8_EEEEZNS1_11reduce_implILb1ES3_NS6_12zip_iteratorINS7_INS6_11hip_rocprim26transform_input_iterator_tIbNSD_35transform_pair_of_input_iterators_tIbNS6_6detail15normal_iteratorINS6_10device_ptrIKiEEEESL_NS6_8equal_toIiEEEENSG_9not_fun_tINSD_8identityEEEEENSD_19counting_iterator_tIlEES8_S8_S8_S8_S8_S8_S8_S8_EEEEPS9_S9_NSD_9__find_if7functorIS9_EEEE10hipError_tPvRmT1_T2_T3_mT4_P12ihipStream_tbEUlT_E1_NS1_11comp_targetILNS1_3genE3ELNS1_11target_archE908ELNS1_3gpuE7ELNS1_3repE0EEENS1_30default_config_static_selectorELNS0_4arch9wavefront6targetE1EEEvS14_.private_seg_size, 0
	.set _ZN7rocprim17ROCPRIM_400000_NS6detail17trampoline_kernelINS0_14default_configENS1_22reduce_config_selectorIN6thrust23THRUST_200600_302600_NS5tupleIblNS6_9null_typeES8_S8_S8_S8_S8_S8_S8_EEEEZNS1_11reduce_implILb1ES3_NS6_12zip_iteratorINS7_INS6_11hip_rocprim26transform_input_iterator_tIbNSD_35transform_pair_of_input_iterators_tIbNS6_6detail15normal_iteratorINS6_10device_ptrIKiEEEESL_NS6_8equal_toIiEEEENSG_9not_fun_tINSD_8identityEEEEENSD_19counting_iterator_tIlEES8_S8_S8_S8_S8_S8_S8_S8_EEEEPS9_S9_NSD_9__find_if7functorIS9_EEEE10hipError_tPvRmT1_T2_T3_mT4_P12ihipStream_tbEUlT_E1_NS1_11comp_targetILNS1_3genE3ELNS1_11target_archE908ELNS1_3gpuE7ELNS1_3repE0EEENS1_30default_config_static_selectorELNS0_4arch9wavefront6targetE1EEEvS14_.uses_vcc, 0
	.set _ZN7rocprim17ROCPRIM_400000_NS6detail17trampoline_kernelINS0_14default_configENS1_22reduce_config_selectorIN6thrust23THRUST_200600_302600_NS5tupleIblNS6_9null_typeES8_S8_S8_S8_S8_S8_S8_EEEEZNS1_11reduce_implILb1ES3_NS6_12zip_iteratorINS7_INS6_11hip_rocprim26transform_input_iterator_tIbNSD_35transform_pair_of_input_iterators_tIbNS6_6detail15normal_iteratorINS6_10device_ptrIKiEEEESL_NS6_8equal_toIiEEEENSG_9not_fun_tINSD_8identityEEEEENSD_19counting_iterator_tIlEES8_S8_S8_S8_S8_S8_S8_S8_EEEEPS9_S9_NSD_9__find_if7functorIS9_EEEE10hipError_tPvRmT1_T2_T3_mT4_P12ihipStream_tbEUlT_E1_NS1_11comp_targetILNS1_3genE3ELNS1_11target_archE908ELNS1_3gpuE7ELNS1_3repE0EEENS1_30default_config_static_selectorELNS0_4arch9wavefront6targetE1EEEvS14_.uses_flat_scratch, 0
	.set _ZN7rocprim17ROCPRIM_400000_NS6detail17trampoline_kernelINS0_14default_configENS1_22reduce_config_selectorIN6thrust23THRUST_200600_302600_NS5tupleIblNS6_9null_typeES8_S8_S8_S8_S8_S8_S8_EEEEZNS1_11reduce_implILb1ES3_NS6_12zip_iteratorINS7_INS6_11hip_rocprim26transform_input_iterator_tIbNSD_35transform_pair_of_input_iterators_tIbNS6_6detail15normal_iteratorINS6_10device_ptrIKiEEEESL_NS6_8equal_toIiEEEENSG_9not_fun_tINSD_8identityEEEEENSD_19counting_iterator_tIlEES8_S8_S8_S8_S8_S8_S8_S8_EEEEPS9_S9_NSD_9__find_if7functorIS9_EEEE10hipError_tPvRmT1_T2_T3_mT4_P12ihipStream_tbEUlT_E1_NS1_11comp_targetILNS1_3genE3ELNS1_11target_archE908ELNS1_3gpuE7ELNS1_3repE0EEENS1_30default_config_static_selectorELNS0_4arch9wavefront6targetE1EEEvS14_.has_dyn_sized_stack, 0
	.set _ZN7rocprim17ROCPRIM_400000_NS6detail17trampoline_kernelINS0_14default_configENS1_22reduce_config_selectorIN6thrust23THRUST_200600_302600_NS5tupleIblNS6_9null_typeES8_S8_S8_S8_S8_S8_S8_EEEEZNS1_11reduce_implILb1ES3_NS6_12zip_iteratorINS7_INS6_11hip_rocprim26transform_input_iterator_tIbNSD_35transform_pair_of_input_iterators_tIbNS6_6detail15normal_iteratorINS6_10device_ptrIKiEEEESL_NS6_8equal_toIiEEEENSG_9not_fun_tINSD_8identityEEEEENSD_19counting_iterator_tIlEES8_S8_S8_S8_S8_S8_S8_S8_EEEEPS9_S9_NSD_9__find_if7functorIS9_EEEE10hipError_tPvRmT1_T2_T3_mT4_P12ihipStream_tbEUlT_E1_NS1_11comp_targetILNS1_3genE3ELNS1_11target_archE908ELNS1_3gpuE7ELNS1_3repE0EEENS1_30default_config_static_selectorELNS0_4arch9wavefront6targetE1EEEvS14_.has_recursion, 0
	.set _ZN7rocprim17ROCPRIM_400000_NS6detail17trampoline_kernelINS0_14default_configENS1_22reduce_config_selectorIN6thrust23THRUST_200600_302600_NS5tupleIblNS6_9null_typeES8_S8_S8_S8_S8_S8_S8_EEEEZNS1_11reduce_implILb1ES3_NS6_12zip_iteratorINS7_INS6_11hip_rocprim26transform_input_iterator_tIbNSD_35transform_pair_of_input_iterators_tIbNS6_6detail15normal_iteratorINS6_10device_ptrIKiEEEESL_NS6_8equal_toIiEEEENSG_9not_fun_tINSD_8identityEEEEENSD_19counting_iterator_tIlEES8_S8_S8_S8_S8_S8_S8_S8_EEEEPS9_S9_NSD_9__find_if7functorIS9_EEEE10hipError_tPvRmT1_T2_T3_mT4_P12ihipStream_tbEUlT_E1_NS1_11comp_targetILNS1_3genE3ELNS1_11target_archE908ELNS1_3gpuE7ELNS1_3repE0EEENS1_30default_config_static_selectorELNS0_4arch9wavefront6targetE1EEEvS14_.has_indirect_call, 0
	.section	.AMDGPU.csdata,"",@progbits
; Kernel info:
; codeLenInByte = 0
; TotalNumSgprs: 4
; NumVgprs: 0
; ScratchSize: 0
; MemoryBound: 0
; FloatMode: 240
; IeeeMode: 1
; LDSByteSize: 0 bytes/workgroup (compile time only)
; SGPRBlocks: 0
; VGPRBlocks: 0
; NumSGPRsForWavesPerEU: 4
; NumVGPRsForWavesPerEU: 1
; Occupancy: 10
; WaveLimiterHint : 0
; COMPUTE_PGM_RSRC2:SCRATCH_EN: 0
; COMPUTE_PGM_RSRC2:USER_SGPR: 6
; COMPUTE_PGM_RSRC2:TRAP_HANDLER: 0
; COMPUTE_PGM_RSRC2:TGID_X_EN: 1
; COMPUTE_PGM_RSRC2:TGID_Y_EN: 0
; COMPUTE_PGM_RSRC2:TGID_Z_EN: 0
; COMPUTE_PGM_RSRC2:TIDIG_COMP_CNT: 0
	.section	.text._ZN7rocprim17ROCPRIM_400000_NS6detail17trampoline_kernelINS0_14default_configENS1_22reduce_config_selectorIN6thrust23THRUST_200600_302600_NS5tupleIblNS6_9null_typeES8_S8_S8_S8_S8_S8_S8_EEEEZNS1_11reduce_implILb1ES3_NS6_12zip_iteratorINS7_INS6_11hip_rocprim26transform_input_iterator_tIbNSD_35transform_pair_of_input_iterators_tIbNS6_6detail15normal_iteratorINS6_10device_ptrIKiEEEESL_NS6_8equal_toIiEEEENSG_9not_fun_tINSD_8identityEEEEENSD_19counting_iterator_tIlEES8_S8_S8_S8_S8_S8_S8_S8_EEEEPS9_S9_NSD_9__find_if7functorIS9_EEEE10hipError_tPvRmT1_T2_T3_mT4_P12ihipStream_tbEUlT_E1_NS1_11comp_targetILNS1_3genE2ELNS1_11target_archE906ELNS1_3gpuE6ELNS1_3repE0EEENS1_30default_config_static_selectorELNS0_4arch9wavefront6targetE1EEEvS14_,"axG",@progbits,_ZN7rocprim17ROCPRIM_400000_NS6detail17trampoline_kernelINS0_14default_configENS1_22reduce_config_selectorIN6thrust23THRUST_200600_302600_NS5tupleIblNS6_9null_typeES8_S8_S8_S8_S8_S8_S8_EEEEZNS1_11reduce_implILb1ES3_NS6_12zip_iteratorINS7_INS6_11hip_rocprim26transform_input_iterator_tIbNSD_35transform_pair_of_input_iterators_tIbNS6_6detail15normal_iteratorINS6_10device_ptrIKiEEEESL_NS6_8equal_toIiEEEENSG_9not_fun_tINSD_8identityEEEEENSD_19counting_iterator_tIlEES8_S8_S8_S8_S8_S8_S8_S8_EEEEPS9_S9_NSD_9__find_if7functorIS9_EEEE10hipError_tPvRmT1_T2_T3_mT4_P12ihipStream_tbEUlT_E1_NS1_11comp_targetILNS1_3genE2ELNS1_11target_archE906ELNS1_3gpuE6ELNS1_3repE0EEENS1_30default_config_static_selectorELNS0_4arch9wavefront6targetE1EEEvS14_,comdat
	.protected	_ZN7rocprim17ROCPRIM_400000_NS6detail17trampoline_kernelINS0_14default_configENS1_22reduce_config_selectorIN6thrust23THRUST_200600_302600_NS5tupleIblNS6_9null_typeES8_S8_S8_S8_S8_S8_S8_EEEEZNS1_11reduce_implILb1ES3_NS6_12zip_iteratorINS7_INS6_11hip_rocprim26transform_input_iterator_tIbNSD_35transform_pair_of_input_iterators_tIbNS6_6detail15normal_iteratorINS6_10device_ptrIKiEEEESL_NS6_8equal_toIiEEEENSG_9not_fun_tINSD_8identityEEEEENSD_19counting_iterator_tIlEES8_S8_S8_S8_S8_S8_S8_S8_EEEEPS9_S9_NSD_9__find_if7functorIS9_EEEE10hipError_tPvRmT1_T2_T3_mT4_P12ihipStream_tbEUlT_E1_NS1_11comp_targetILNS1_3genE2ELNS1_11target_archE906ELNS1_3gpuE6ELNS1_3repE0EEENS1_30default_config_static_selectorELNS0_4arch9wavefront6targetE1EEEvS14_ ; -- Begin function _ZN7rocprim17ROCPRIM_400000_NS6detail17trampoline_kernelINS0_14default_configENS1_22reduce_config_selectorIN6thrust23THRUST_200600_302600_NS5tupleIblNS6_9null_typeES8_S8_S8_S8_S8_S8_S8_EEEEZNS1_11reduce_implILb1ES3_NS6_12zip_iteratorINS7_INS6_11hip_rocprim26transform_input_iterator_tIbNSD_35transform_pair_of_input_iterators_tIbNS6_6detail15normal_iteratorINS6_10device_ptrIKiEEEESL_NS6_8equal_toIiEEEENSG_9not_fun_tINSD_8identityEEEEENSD_19counting_iterator_tIlEES8_S8_S8_S8_S8_S8_S8_S8_EEEEPS9_S9_NSD_9__find_if7functorIS9_EEEE10hipError_tPvRmT1_T2_T3_mT4_P12ihipStream_tbEUlT_E1_NS1_11comp_targetILNS1_3genE2ELNS1_11target_archE906ELNS1_3gpuE6ELNS1_3repE0EEENS1_30default_config_static_selectorELNS0_4arch9wavefront6targetE1EEEvS14_
	.globl	_ZN7rocprim17ROCPRIM_400000_NS6detail17trampoline_kernelINS0_14default_configENS1_22reduce_config_selectorIN6thrust23THRUST_200600_302600_NS5tupleIblNS6_9null_typeES8_S8_S8_S8_S8_S8_S8_EEEEZNS1_11reduce_implILb1ES3_NS6_12zip_iteratorINS7_INS6_11hip_rocprim26transform_input_iterator_tIbNSD_35transform_pair_of_input_iterators_tIbNS6_6detail15normal_iteratorINS6_10device_ptrIKiEEEESL_NS6_8equal_toIiEEEENSG_9not_fun_tINSD_8identityEEEEENSD_19counting_iterator_tIlEES8_S8_S8_S8_S8_S8_S8_S8_EEEEPS9_S9_NSD_9__find_if7functorIS9_EEEE10hipError_tPvRmT1_T2_T3_mT4_P12ihipStream_tbEUlT_E1_NS1_11comp_targetILNS1_3genE2ELNS1_11target_archE906ELNS1_3gpuE6ELNS1_3repE0EEENS1_30default_config_static_selectorELNS0_4arch9wavefront6targetE1EEEvS14_
	.p2align	8
	.type	_ZN7rocprim17ROCPRIM_400000_NS6detail17trampoline_kernelINS0_14default_configENS1_22reduce_config_selectorIN6thrust23THRUST_200600_302600_NS5tupleIblNS6_9null_typeES8_S8_S8_S8_S8_S8_S8_EEEEZNS1_11reduce_implILb1ES3_NS6_12zip_iteratorINS7_INS6_11hip_rocprim26transform_input_iterator_tIbNSD_35transform_pair_of_input_iterators_tIbNS6_6detail15normal_iteratorINS6_10device_ptrIKiEEEESL_NS6_8equal_toIiEEEENSG_9not_fun_tINSD_8identityEEEEENSD_19counting_iterator_tIlEES8_S8_S8_S8_S8_S8_S8_S8_EEEEPS9_S9_NSD_9__find_if7functorIS9_EEEE10hipError_tPvRmT1_T2_T3_mT4_P12ihipStream_tbEUlT_E1_NS1_11comp_targetILNS1_3genE2ELNS1_11target_archE906ELNS1_3gpuE6ELNS1_3repE0EEENS1_30default_config_static_selectorELNS0_4arch9wavefront6targetE1EEEvS14_,@function
_ZN7rocprim17ROCPRIM_400000_NS6detail17trampoline_kernelINS0_14default_configENS1_22reduce_config_selectorIN6thrust23THRUST_200600_302600_NS5tupleIblNS6_9null_typeES8_S8_S8_S8_S8_S8_S8_EEEEZNS1_11reduce_implILb1ES3_NS6_12zip_iteratorINS7_INS6_11hip_rocprim26transform_input_iterator_tIbNSD_35transform_pair_of_input_iterators_tIbNS6_6detail15normal_iteratorINS6_10device_ptrIKiEEEESL_NS6_8equal_toIiEEEENSG_9not_fun_tINSD_8identityEEEEENSD_19counting_iterator_tIlEES8_S8_S8_S8_S8_S8_S8_S8_EEEEPS9_S9_NSD_9__find_if7functorIS9_EEEE10hipError_tPvRmT1_T2_T3_mT4_P12ihipStream_tbEUlT_E1_NS1_11comp_targetILNS1_3genE2ELNS1_11target_archE906ELNS1_3gpuE6ELNS1_3repE0EEENS1_30default_config_static_selectorELNS0_4arch9wavefront6targetE1EEEvS14_: ; @_ZN7rocprim17ROCPRIM_400000_NS6detail17trampoline_kernelINS0_14default_configENS1_22reduce_config_selectorIN6thrust23THRUST_200600_302600_NS5tupleIblNS6_9null_typeES8_S8_S8_S8_S8_S8_S8_EEEEZNS1_11reduce_implILb1ES3_NS6_12zip_iteratorINS7_INS6_11hip_rocprim26transform_input_iterator_tIbNSD_35transform_pair_of_input_iterators_tIbNS6_6detail15normal_iteratorINS6_10device_ptrIKiEEEESL_NS6_8equal_toIiEEEENSG_9not_fun_tINSD_8identityEEEEENSD_19counting_iterator_tIlEES8_S8_S8_S8_S8_S8_S8_S8_EEEEPS9_S9_NSD_9__find_if7functorIS9_EEEE10hipError_tPvRmT1_T2_T3_mT4_P12ihipStream_tbEUlT_E1_NS1_11comp_targetILNS1_3genE2ELNS1_11target_archE906ELNS1_3gpuE6ELNS1_3repE0EEENS1_30default_config_static_selectorELNS0_4arch9wavefront6targetE1EEEvS14_
; %bb.0:
	s_load_dword s38, s[4:5], 0x4
	s_load_dwordx4 s[24:27], s[4:5], 0x8
	s_load_dwordx4 s[20:23], s[4:5], 0x28
	s_load_dword s33, s[4:5], 0x40
	s_load_dwordx2 s[18:19], s[4:5], 0x48
	s_waitcnt lgkmcnt(0)
	s_cmp_lt_i32 s38, 4
	s_cbranch_scc1 .LBB550_13
; %bb.1:
	s_cmp_gt_i32 s38, 7
	s_cbranch_scc0 .LBB550_14
; %bb.2:
	s_cmp_eq_u32 s38, 8
	s_mov_b64 s[28:29], 0
	s_cbranch_scc0 .LBB550_15
; %bb.3:
	s_mov_b32 s7, 0
	s_lshl_b32 s36, s6, 10
	s_mov_b32 s37, s7
	s_lshr_b64 s[0:1], s[22:23], 10
	s_lshl_b64 s[2:3], s[36:37], 2
	s_add_u32 s30, s24, s2
	s_addc_u32 s31, s25, s3
	s_add_u32 s34, s26, s2
	s_addc_u32 s35, s27, s3
	;; [unrolled: 2-line block ×3, first 2 shown]
	s_cmp_lg_u64 s[0:1], s[6:7]
	s_cbranch_scc0 .LBB550_28
; %bb.4:
	v_lshlrev_b32_e32 v1, 2, v0
	global_load_dword v2, v1, s[30:31] offset:1024
	global_load_dword v3, v1, s[30:31] offset:2048
	;; [unrolled: 1-line block ×14, first 2 shown]
	global_load_dword v16, v1, s[30:31]
	s_nop 0
	global_load_dword v1, v1, s[34:35]
	v_mov_b32_e32 v18, 0x100
	v_mov_b32_e32 v19, 0x80
	;; [unrolled: 1-line block ×7, first 2 shown]
	s_waitcnt vmcnt(13)
	v_cmp_ne_u32_e32 vcc, v2, v4
	v_mbcnt_lo_u32_b32 v4, -1, 0
	s_waitcnt vmcnt(12)
	v_cmp_ne_u32_e64 s[0:1], v3, v5
	v_add_co_u32_e64 v5, s[2:3], s40, v0
	v_mbcnt_hi_u32_b32 v3, -1, v4
	v_addc_co_u32_e64 v17, s[2:3], 0, v17, s[2:3]
	s_waitcnt vmcnt(6)
	v_cmp_ne_u32_e64 s[2:3], v11, v6
	s_waitcnt vmcnt(4)
	v_cmp_ne_u32_e64 s[14:15], v13, v8
	;; [unrolled: 2-line block ×4, first 2 shown]
	v_cndmask_b32_e64 v4, v18, v19, s[10:11]
	s_waitcnt vmcnt(0)
	v_cmp_ne_u32_e64 s[16:17], v16, v1
	s_or_b64 s[10:11], s[16:17], s[10:11]
	s_or_b64 vcc, s[10:11], vcc
	v_cndmask_b32_e64 v6, v20, v21, s[12:13]
	v_cndmask_b32_e64 v1, v4, 0, s[16:17]
	s_or_b64 s[10:11], vcc, s[12:13]
	v_cndmask_b32_e32 v1, v6, v1, vcc
	s_or_b64 vcc, s[10:11], s[0:1]
	v_cmp_ne_u32_e64 s[8:9], v12, v7
	v_cndmask_b32_e64 v7, v22, v23, s[14:15]
	s_or_b64 s[0:1], vcc, s[14:15]
	v_mov_b32_e32 v2, 0x380
	v_cndmask_b32_e32 v1, v7, v1, vcc
	s_or_b64 vcc, s[0:1], s[2:3]
	v_cndmask_b32_e32 v1, v2, v1, vcc
	v_add_co_u32_e64 v1, s[0:1], v5, v1
	v_addc_co_u32_e64 v2, s[0:1], 0, v17, s[0:1]
	s_or_b64 s[0:1], vcc, s[8:9]
	v_mov_b32_dpp v4, v1 quad_perm:[1,0,3,2] row_mask:0xf bank_mask:0xf bound_ctrl:1
	v_mov_b32_dpp v5, v2 quad_perm:[1,0,3,2] row_mask:0xf bank_mask:0xf bound_ctrl:1
	v_cndmask_b32_e64 v6, 0, 1, s[0:1]
	v_cmp_lt_i64_e32 vcc, v[1:2], v[4:5]
	s_and_b64 vcc, s[0:1], vcc
	v_mov_b32_dpp v7, v6 quad_perm:[1,0,3,2] row_mask:0xf bank_mask:0xf bound_ctrl:1
	v_and_b32_e32 v7, 1, v7
	v_cndmask_b32_e32 v4, v4, v1, vcc
	v_cndmask_b32_e32 v5, v5, v2, vcc
	v_cmp_eq_u32_e32 vcc, 1, v7
	v_cndmask_b32_e32 v2, v2, v5, vcc
	v_cndmask_b32_e32 v1, v1, v4, vcc
	v_cndmask_b32_e64 v6, v6, 1, vcc
	v_mov_b32_dpp v5, v2 quad_perm:[2,3,0,1] row_mask:0xf bank_mask:0xf bound_ctrl:1
	v_mov_b32_dpp v4, v1 quad_perm:[2,3,0,1] row_mask:0xf bank_mask:0xf bound_ctrl:1
	v_and_b32_e32 v8, 1, v6
	v_cmp_lt_i64_e64 s[0:1], v[1:2], v[4:5]
	v_mov_b32_dpp v7, v6 quad_perm:[2,3,0,1] row_mask:0xf bank_mask:0xf bound_ctrl:1
	v_cmp_eq_u32_e32 vcc, 1, v8
	v_and_b32_e32 v7, 1, v7
	s_and_b64 vcc, vcc, s[0:1]
	v_cmp_eq_u32_e64 s[2:3], 1, v7
	v_cndmask_b32_e32 v4, v4, v1, vcc
	v_cndmask_b32_e32 v5, v5, v2, vcc
	v_cndmask_b32_e64 v1, v1, v4, s[2:3]
	v_cndmask_b32_e64 v2, v2, v5, s[2:3]
	;; [unrolled: 1-line block ×3, first 2 shown]
	v_mov_b32_dpp v4, v1 row_ror:4 row_mask:0xf bank_mask:0xf bound_ctrl:1
	v_mov_b32_dpp v5, v2 row_ror:4 row_mask:0xf bank_mask:0xf bound_ctrl:1
	v_and_b32_e32 v8, 1, v6
	v_cmp_lt_i64_e64 s[2:3], v[1:2], v[4:5]
	v_mov_b32_dpp v7, v6 row_ror:4 row_mask:0xf bank_mask:0xf bound_ctrl:1
	v_cmp_eq_u32_e32 vcc, 1, v8
	v_and_b32_e32 v7, 1, v7
	s_and_b64 vcc, vcc, s[2:3]
	v_cmp_eq_u32_e64 s[0:1], 1, v7
	v_cndmask_b32_e32 v4, v4, v1, vcc
	v_cndmask_b32_e32 v5, v5, v2, vcc
	v_cndmask_b32_e64 v1, v1, v4, s[0:1]
	v_cndmask_b32_e64 v2, v2, v5, s[0:1]
	;; [unrolled: 1-line block ×3, first 2 shown]
	v_mov_b32_dpp v4, v1 row_ror:8 row_mask:0xf bank_mask:0xf bound_ctrl:1
	v_mov_b32_dpp v5, v2 row_ror:8 row_mask:0xf bank_mask:0xf bound_ctrl:1
	v_and_b32_e32 v8, 1, v6
	v_cmp_lt_i64_e32 vcc, v[1:2], v[4:5]
	v_mov_b32_dpp v7, v6 row_ror:8 row_mask:0xf bank_mask:0xf bound_ctrl:1
	v_cmp_eq_u32_e64 s[8:9], 1, v8
	v_and_b32_e32 v7, 1, v7
	s_and_b64 vcc, s[8:9], vcc
	v_cmp_eq_u32_e64 s[10:11], 1, v7
	v_cndmask_b32_e32 v4, v4, v1, vcc
	v_cndmask_b32_e32 v5, v5, v2, vcc
	v_cndmask_b32_e64 v1, v1, v4, s[10:11]
	v_cndmask_b32_e64 v2, v2, v5, s[10:11]
	;; [unrolled: 1-line block ×3, first 2 shown]
	v_mov_b32_dpp v4, v1 row_bcast:15 row_mask:0xf bank_mask:0xf bound_ctrl:1
	v_mov_b32_dpp v5, v2 row_bcast:15 row_mask:0xf bank_mask:0xf bound_ctrl:1
	v_and_b32_e32 v8, 1, v6
	v_cmp_lt_i64_e64 s[0:1], v[1:2], v[4:5]
	v_mov_b32_dpp v7, v6 row_bcast:15 row_mask:0xf bank_mask:0xf bound_ctrl:1
	v_cmp_eq_u32_e32 vcc, 1, v8
	v_and_b32_e32 v7, 1, v7
	s_and_b64 vcc, vcc, s[0:1]
	v_cmp_eq_u32_e64 s[2:3], 1, v7
	v_cndmask_b32_e32 v4, v4, v1, vcc
	v_cndmask_b32_e32 v5, v5, v2, vcc
	v_cndmask_b32_e64 v2, v2, v5, s[2:3]
	v_cndmask_b32_e64 v1, v1, v4, s[2:3]
	;; [unrolled: 1-line block ×3, first 2 shown]
	v_mov_b32_dpp v5, v2 row_bcast:31 row_mask:0xf bank_mask:0xf bound_ctrl:1
	v_mov_b32_dpp v4, v1 row_bcast:31 row_mask:0xf bank_mask:0xf bound_ctrl:1
	v_and_b32_e32 v8, 1, v6
	v_cmp_lt_i64_e64 s[0:1], v[1:2], v[4:5]
	v_mov_b32_dpp v7, v6 row_bcast:31 row_mask:0xf bank_mask:0xf bound_ctrl:1
	v_cmp_eq_u32_e32 vcc, 1, v8
	v_and_b32_e32 v7, 1, v7
	s_and_b64 vcc, vcc, s[0:1]
	v_cmp_eq_u32_e64 s[2:3], 1, v7
	v_cndmask_b32_e32 v5, v5, v2, vcc
	v_cndmask_b32_e32 v4, v4, v1, vcc
	v_cndmask_b32_e64 v2, v2, v5, s[2:3]
	v_lshlrev_b32_e32 v5, 2, v3
	v_cndmask_b32_e64 v6, v6, 1, s[2:3]
	v_cndmask_b32_e64 v1, v1, v4, s[2:3]
	v_or_b32_e32 v4, 0xfc, v5
	ds_bpermute_b32 v17, v4, v6
	ds_bpermute_b32 v1, v4, v1
	ds_bpermute_b32 v2, v4, v2
	v_cmp_eq_u32_e32 vcc, 0, v3
	s_and_saveexec_b64 s[0:1], vcc
	s_cbranch_execz .LBB550_6
; %bb.5:
	v_lshrrev_b32_e32 v4, 2, v0
	v_and_b32_e32 v4, 16, v4
	s_waitcnt lgkmcnt(2)
	ds_write_b8 v4, v17 offset:96
	s_waitcnt lgkmcnt(1)
	ds_write_b64 v4, v[1:2] offset:104
.LBB550_6:
	s_or_b64 exec, exec, s[0:1]
	v_cmp_gt_u32_e32 vcc, 64, v0
	s_waitcnt lgkmcnt(0)
	s_barrier
	s_and_saveexec_b64 s[0:1], vcc
	s_cbranch_execz .LBB550_12
; %bb.7:
	v_and_b32_e32 v1, 1, v3
	v_lshlrev_b32_e32 v1, 4, v1
	ds_read_u8 v7, v1 offset:96
	ds_read_b64 v[3:4], v1 offset:104
	v_or_b32_e32 v2, 4, v5
	s_waitcnt lgkmcnt(1)
	v_and_b32_e32 v1, 0xff, v7
	ds_bpermute_b32 v8, v2, v1
	s_waitcnt lgkmcnt(1)
	ds_bpermute_b32 v5, v2, v3
	ds_bpermute_b32 v6, v2, v4
	s_waitcnt lgkmcnt(2)
	v_and_b32_e32 v1, v7, v8
	v_and_b32_e32 v1, 1, v1
	v_cmp_eq_u32_e32 vcc, 1, v1
                                        ; implicit-def: $vgpr1_vgpr2
	s_and_saveexec_b64 s[2:3], vcc
	s_xor_b64 s[2:3], exec, s[2:3]
	s_cbranch_execz .LBB550_9
; %bb.8:
	s_waitcnt lgkmcnt(0)
	v_cmp_lt_i64_e32 vcc, v[5:6], v[3:4]
                                        ; implicit-def: $vgpr7
                                        ; implicit-def: $vgpr8
	v_cndmask_b32_e32 v2, v4, v6, vcc
	v_cndmask_b32_e32 v1, v3, v5, vcc
                                        ; implicit-def: $vgpr5_vgpr6
                                        ; implicit-def: $vgpr3_vgpr4
.LBB550_9:
	s_or_saveexec_b64 s[2:3], s[2:3]
	v_mov_b32_e32 v17, 1
	s_xor_b64 exec, exec, s[2:3]
	s_cbranch_execz .LBB550_11
; %bb.10:
	v_and_b32_e32 v1, 1, v7
	v_cmp_eq_u32_e32 vcc, 1, v1
	s_waitcnt lgkmcnt(0)
	v_cndmask_b32_e32 v2, v6, v4, vcc
	v_cndmask_b32_e32 v1, v5, v3, vcc
	v_cndmask_b32_e64 v17, v8, 1, vcc
.LBB550_11:
	s_or_b64 exec, exec, s[2:3]
.LBB550_12:
	s_or_b64 exec, exec, s[0:1]
	s_branch .LBB550_145
.LBB550_13:
	s_mov_b64 s[14:15], 0
                                        ; implicit-def: $vgpr3_vgpr4
                                        ; implicit-def: $vgpr5
                                        ; implicit-def: $vgpr1_vgpr2
	s_cbranch_execnz .LBB550_219
	s_branch .LBB550_306
.LBB550_14:
	s_mov_b64 s[28:29], -1
.LBB550_15:
	s_mov_b64 s[14:15], 0
                                        ; implicit-def: $vgpr3_vgpr4
                                        ; implicit-def: $vgpr5
                                        ; implicit-def: $vgpr1_vgpr2
	s_and_b64 vcc, exec, s[28:29]
	s_cbranch_vccz .LBB550_150
.LBB550_16:
	s_cmp_eq_u32 s38, 4
	s_cbranch_scc0 .LBB550_27
; %bb.17:
	s_mov_b32 s7, 0
	s_lshl_b32 s30, s6, 9
	s_mov_b32 s31, s7
	s_lshr_b64 s[0:1], s[22:23], 9
	s_lshl_b64 s[2:3], s[30:31], 2
	s_add_u32 s16, s24, s2
	s_addc_u32 s17, s25, s3
	s_add_u32 s28, s26, s2
	s_addc_u32 s29, s27, s3
	;; [unrolled: 2-line block ×3, first 2 shown]
	s_cmp_lg_u64 s[0:1], s[6:7]
	s_cbranch_scc0 .LBB550_51
; %bb.18:
	v_lshlrev_b32_e32 v1, 2, v0
	global_load_dword v2, v1, s[28:29] offset:512
	s_waitcnt lgkmcnt(0)
	global_load_dword v4, v1, s[16:17] offset:1024
	global_load_dword v6, v1, s[28:29] offset:1024
	;; [unrolled: 1-line block ×5, first 2 shown]
	global_load_dword v10, v1, s[28:29]
	global_load_dword v11, v1, s[16:17]
	v_mov_b32_e32 v1, s34
	v_add_co_u32_e32 v15, vcc, s31, v0
	v_mov_b32_e32 v12, 0x100
	v_mov_b32_e32 v13, 0x80
	v_addc_co_u32_e32 v16, vcc, 0, v1, vcc
	v_mov_b32_e32 v14, 0x180
	v_mbcnt_lo_u32_b32 v3, -1, 0
	v_mbcnt_hi_u32_b32 v3, -1, v3
	v_lshlrev_b32_e32 v5, 2, v3
	v_or_b32_e32 v17, 0xfc, v5
	s_waitcnt vmcnt(5)
	v_cmp_ne_u32_e32 vcc, v4, v6
	s_waitcnt vmcnt(3)
	v_cmp_ne_u32_e64 s[0:1], v8, v7
	s_waitcnt vmcnt(2)
	v_cmp_ne_u32_e64 s[2:3], v9, v2
	v_cndmask_b32_e64 v1, v12, v13, s[2:3]
	s_waitcnt vmcnt(0)
	v_cmp_ne_u32_e64 s[8:9], v11, v10
	s_or_b64 s[2:3], s[8:9], s[2:3]
	v_cndmask_b32_e64 v1, v1, 0, s[8:9]
	s_or_b64 vcc, s[2:3], vcc
	v_cndmask_b32_e32 v1, v14, v1, vcc
	v_add_co_u32_e64 v1, s[2:3], v15, v1
	v_addc_co_u32_e64 v2, s[2:3], 0, v16, s[2:3]
	s_or_b64 s[0:1], vcc, s[0:1]
	v_mov_b32_dpp v6, v1 quad_perm:[1,0,3,2] row_mask:0xf bank_mask:0xf bound_ctrl:1
	v_mov_b32_dpp v7, v2 quad_perm:[1,0,3,2] row_mask:0xf bank_mask:0xf bound_ctrl:1
	v_cndmask_b32_e64 v4, 0, 1, s[0:1]
	v_cmp_lt_i64_e32 vcc, v[1:2], v[6:7]
	s_and_b64 vcc, s[0:1], vcc
	v_mov_b32_dpp v8, v4 quad_perm:[1,0,3,2] row_mask:0xf bank_mask:0xf bound_ctrl:1
	v_and_b32_e32 v8, 1, v8
	v_cndmask_b32_e32 v6, v6, v1, vcc
	v_cndmask_b32_e32 v7, v7, v2, vcc
	v_cmp_eq_u32_e32 vcc, 1, v8
	v_cndmask_b32_e32 v2, v2, v7, vcc
	v_cndmask_b32_e32 v1, v1, v6, vcc
	v_cndmask_b32_e64 v4, v4, 1, vcc
	v_mov_b32_dpp v7, v2 quad_perm:[2,3,0,1] row_mask:0xf bank_mask:0xf bound_ctrl:1
	v_mov_b32_dpp v6, v1 quad_perm:[2,3,0,1] row_mask:0xf bank_mask:0xf bound_ctrl:1
	v_and_b32_e32 v9, 1, v4
	v_cmp_lt_i64_e64 s[0:1], v[1:2], v[6:7]
	v_mov_b32_dpp v8, v4 quad_perm:[2,3,0,1] row_mask:0xf bank_mask:0xf bound_ctrl:1
	v_cmp_eq_u32_e32 vcc, 1, v9
	v_and_b32_e32 v8, 1, v8
	s_and_b64 vcc, vcc, s[0:1]
	v_cmp_eq_u32_e64 s[2:3], 1, v8
	v_cndmask_b32_e32 v6, v6, v1, vcc
	v_cndmask_b32_e32 v7, v7, v2, vcc
	v_cndmask_b32_e64 v1, v1, v6, s[2:3]
	v_cndmask_b32_e64 v2, v2, v7, s[2:3]
	;; [unrolled: 1-line block ×3, first 2 shown]
	v_mov_b32_dpp v6, v1 row_ror:4 row_mask:0xf bank_mask:0xf bound_ctrl:1
	v_mov_b32_dpp v7, v2 row_ror:4 row_mask:0xf bank_mask:0xf bound_ctrl:1
	v_and_b32_e32 v9, 1, v4
	v_cmp_lt_i64_e64 s[2:3], v[1:2], v[6:7]
	v_mov_b32_dpp v8, v4 row_ror:4 row_mask:0xf bank_mask:0xf bound_ctrl:1
	v_cmp_eq_u32_e32 vcc, 1, v9
	v_and_b32_e32 v8, 1, v8
	s_and_b64 vcc, vcc, s[2:3]
	v_cmp_eq_u32_e64 s[0:1], 1, v8
	v_cndmask_b32_e32 v6, v6, v1, vcc
	v_cndmask_b32_e32 v7, v7, v2, vcc
	v_cndmask_b32_e64 v1, v1, v6, s[0:1]
	v_cndmask_b32_e64 v2, v2, v7, s[0:1]
	;; [unrolled: 1-line block ×3, first 2 shown]
	v_mov_b32_dpp v6, v1 row_ror:8 row_mask:0xf bank_mask:0xf bound_ctrl:1
	v_mov_b32_dpp v7, v2 row_ror:8 row_mask:0xf bank_mask:0xf bound_ctrl:1
	v_and_b32_e32 v9, 1, v4
	v_cmp_lt_i64_e64 s[2:3], v[1:2], v[6:7]
	v_mov_b32_dpp v8, v4 row_ror:8 row_mask:0xf bank_mask:0xf bound_ctrl:1
	v_cmp_eq_u32_e64 s[8:9], 1, v9
	v_and_b32_e32 v8, 1, v8
	s_and_b64 s[2:3], s[8:9], s[2:3]
	v_cmp_eq_u32_e64 s[10:11], 1, v8
	v_cndmask_b32_e64 v6, v6, v1, s[2:3]
	v_cndmask_b32_e64 v7, v7, v2, s[2:3]
	;; [unrolled: 1-line block ×5, first 2 shown]
	v_mov_b32_dpp v6, v1 row_bcast:15 row_mask:0xf bank_mask:0xf bound_ctrl:1
	v_mov_b32_dpp v7, v2 row_bcast:15 row_mask:0xf bank_mask:0xf bound_ctrl:1
	v_and_b32_e32 v9, 1, v4
	v_cmp_lt_i64_e64 s[2:3], v[1:2], v[6:7]
	v_mov_b32_dpp v8, v4 row_bcast:15 row_mask:0xf bank_mask:0xf bound_ctrl:1
	v_cmp_eq_u32_e32 vcc, 1, v9
	v_and_b32_e32 v8, 1, v8
	s_and_b64 vcc, vcc, s[2:3]
	v_cmp_eq_u32_e64 s[0:1], 1, v8
	v_cndmask_b32_e32 v6, v6, v1, vcc
	v_cndmask_b32_e32 v7, v7, v2, vcc
	v_cndmask_b32_e64 v4, v4, 1, s[0:1]
	v_cndmask_b32_e64 v1, v1, v6, s[0:1]
	;; [unrolled: 1-line block ×3, first 2 shown]
	v_mov_b32_dpp v8, v4 row_bcast:31 row_mask:0xf bank_mask:0xf bound_ctrl:1
	v_mov_b32_dpp v6, v1 row_bcast:31 row_mask:0xf bank_mask:0xf bound_ctrl:1
	;; [unrolled: 1-line block ×3, first 2 shown]
	v_and_b32_e32 v9, 1, v4
	v_and_b32_e32 v8, 1, v8
	v_cmp_lt_i64_e32 vcc, v[1:2], v[6:7]
	v_cmp_eq_u32_e64 s[12:13], 1, v9
	v_cmp_eq_u32_e64 s[8:9], 1, v8
	v_cndmask_b32_e64 v4, v4, 1, s[8:9]
	s_and_b64 vcc, s[12:13], vcc
	ds_bpermute_b32 v9, v17, v4
	v_cndmask_b32_e32 v4, v6, v1, vcc
	v_cndmask_b32_e32 v6, v7, v2, vcc
	v_cndmask_b32_e64 v1, v1, v4, s[8:9]
	v_cndmask_b32_e64 v2, v2, v6, s[8:9]
	ds_bpermute_b32 v1, v17, v1
	ds_bpermute_b32 v2, v17, v2
	v_cmp_eq_u32_e32 vcc, 0, v3
	s_and_saveexec_b64 s[0:1], vcc
	s_cbranch_execz .LBB550_20
; %bb.19:
	v_lshrrev_b32_e32 v4, 2, v0
	v_and_b32_e32 v4, 16, v4
	s_waitcnt lgkmcnt(2)
	ds_write_b8 v4, v9 offset:64
	s_waitcnt lgkmcnt(1)
	ds_write_b64 v4, v[1:2] offset:72
.LBB550_20:
	s_or_b64 exec, exec, s[0:1]
	v_cmp_gt_u32_e32 vcc, 64, v0
	s_waitcnt lgkmcnt(0)
	s_barrier
	s_and_saveexec_b64 s[0:1], vcc
	s_cbranch_execz .LBB550_26
; %bb.21:
	v_and_b32_e32 v1, 1, v3
	v_lshlrev_b32_e32 v1, 4, v1
	ds_read_u8 v7, v1 offset:64
	ds_read_b64 v[3:4], v1 offset:72
	v_or_b32_e32 v2, 4, v5
	s_waitcnt lgkmcnt(1)
	v_and_b32_e32 v1, 0xff, v7
	ds_bpermute_b32 v8, v2, v1
	s_waitcnt lgkmcnt(1)
	ds_bpermute_b32 v5, v2, v3
	ds_bpermute_b32 v6, v2, v4
	s_waitcnt lgkmcnt(2)
	v_and_b32_e32 v1, v7, v8
	v_and_b32_e32 v1, 1, v1
	v_cmp_eq_u32_e32 vcc, 1, v1
                                        ; implicit-def: $vgpr1_vgpr2
	s_and_saveexec_b64 s[2:3], vcc
	s_xor_b64 s[2:3], exec, s[2:3]
	s_cbranch_execz .LBB550_23
; %bb.22:
	s_waitcnt lgkmcnt(0)
	v_cmp_lt_i64_e32 vcc, v[5:6], v[3:4]
                                        ; implicit-def: $vgpr7
                                        ; implicit-def: $vgpr8
	v_cndmask_b32_e32 v2, v4, v6, vcc
	v_cndmask_b32_e32 v1, v3, v5, vcc
                                        ; implicit-def: $vgpr5_vgpr6
                                        ; implicit-def: $vgpr3_vgpr4
.LBB550_23:
	s_or_saveexec_b64 s[2:3], s[2:3]
	v_mov_b32_e32 v9, 1
	s_xor_b64 exec, exec, s[2:3]
	s_cbranch_execz .LBB550_25
; %bb.24:
	v_and_b32_e32 v1, 1, v7
	v_cmp_eq_u32_e32 vcc, 1, v1
	s_waitcnt lgkmcnt(0)
	v_cndmask_b32_e32 v2, v6, v4, vcc
	v_cndmask_b32_e32 v1, v5, v3, vcc
	v_cndmask_b32_e64 v9, v8, 1, vcc
.LBB550_25:
	s_or_b64 exec, exec, s[2:3]
.LBB550_26:
	s_or_b64 exec, exec, s[0:1]
	s_branch .LBB550_214
.LBB550_27:
                                        ; implicit-def: $vgpr3_vgpr4
                                        ; implicit-def: $vgpr5
                                        ; implicit-def: $vgpr1_vgpr2
	s_branch .LBB550_306
.LBB550_28:
                                        ; implicit-def: $vgpr1_vgpr2
                                        ; implicit-def: $vgpr17
	s_cbranch_execz .LBB550_145
; %bb.29:
	s_sub_i32 s39, s22, s36
	v_mov_b32_e32 v15, 0
	v_mov_b32_e32 v1, 0
	v_cmp_gt_u32_e32 vcc, s39, v0
	v_mov_b32_e32 v24, 0
	v_mov_b32_e32 v16, 0
	;; [unrolled: 1-line block ×4, first 2 shown]
	s_and_saveexec_b64 s[0:1], vcc
	s_cbranch_execz .LBB550_31
; %bb.30:
	v_lshlrev_b32_e32 v1, 2, v0
	global_load_dword v3, v1, s[30:31]
	global_load_dword v4, v1, s[34:35]
	v_mov_b32_e32 v2, s41
	v_add_co_u32_e32 v1, vcc, s40, v0
	v_addc_co_u32_e32 v2, vcc, 0, v2, vcc
	s_waitcnt vmcnt(0)
	v_cmp_ne_u32_e32 vcc, v3, v4
	v_cndmask_b32_e64 v17, 0, 1, vcc
.LBB550_31:
	s_or_b64 exec, exec, s[0:1]
	v_or_b32_e32 v3, 0x80, v0
	v_cmp_gt_u32_e64 s[14:15], s39, v3
	s_and_saveexec_b64 s[0:1], s[14:15]
	s_cbranch_execz .LBB550_33
; %bb.32:
	v_lshlrev_b32_e32 v4, 2, v0
	s_waitcnt lgkmcnt(1)
	global_load_dword v5, v4, s[30:31] offset:512
	s_waitcnt lgkmcnt(0)
	global_load_dword v6, v4, s[34:35] offset:512
	v_mov_b32_e32 v4, s41
	v_add_co_u32_e32 v15, vcc, s40, v3
	v_addc_co_u32_e32 v16, vcc, 0, v4, vcc
	s_waitcnt vmcnt(0)
	v_cmp_ne_u32_e32 vcc, v5, v6
	v_cndmask_b32_e64 v24, 0, 1, vcc
.LBB550_33:
	s_or_b64 exec, exec, s[0:1]
	v_or_b32_e32 v3, 0x100, v0
	v_mov_b32_e32 v11, 0
	v_mov_b32_e32 v13, 0
	v_cmp_gt_u32_e64 s[12:13], s39, v3
	v_mov_b32_e32 v22, 0
	v_mov_b32_e32 v12, 0
	;; [unrolled: 1-line block ×4, first 2 shown]
	s_and_saveexec_b64 s[0:1], s[12:13]
	s_cbranch_execz .LBB550_35
; %bb.34:
	v_lshlrev_b32_e32 v4, 2, v0
	s_waitcnt lgkmcnt(1)
	global_load_dword v5, v4, s[30:31] offset:1024
	s_waitcnt lgkmcnt(0)
	global_load_dword v6, v4, s[34:35] offset:1024
	v_mov_b32_e32 v4, s41
	v_add_co_u32_e32 v13, vcc, s40, v3
	v_addc_co_u32_e32 v14, vcc, 0, v4, vcc
	s_waitcnt vmcnt(0)
	v_cmp_ne_u32_e32 vcc, v5, v6
	v_cndmask_b32_e64 v23, 0, 1, vcc
.LBB550_35:
	s_or_b64 exec, exec, s[0:1]
	v_or_b32_e32 v3, 0x180, v0
	v_cmp_gt_u32_e64 s[10:11], s39, v3
	s_and_saveexec_b64 s[0:1], s[10:11]
	s_cbranch_execz .LBB550_37
; %bb.36:
	v_lshlrev_b32_e32 v4, 2, v0
	s_waitcnt lgkmcnt(1)
	global_load_dword v5, v4, s[30:31] offset:1536
	s_waitcnt lgkmcnt(0)
	global_load_dword v6, v4, s[34:35] offset:1536
	v_mov_b32_e32 v4, s41
	v_add_co_u32_e32 v11, vcc, s40, v3
	v_addc_co_u32_e32 v12, vcc, 0, v4, vcc
	s_waitcnt vmcnt(0)
	v_cmp_ne_u32_e32 vcc, v5, v6
	v_cndmask_b32_e64 v22, 0, 1, vcc
.LBB550_37:
	s_or_b64 exec, exec, s[0:1]
	v_or_b32_e32 v3, 0x200, v0
	v_mov_b32_e32 v7, 0
	v_mov_b32_e32 v9, 0
	v_cmp_gt_u32_e64 s[8:9], s39, v3
	v_mov_b32_e32 v20, 0
	v_mov_b32_e32 v8, 0
	;; [unrolled: 1-line block ×4, first 2 shown]
	s_and_saveexec_b64 s[0:1], s[8:9]
	s_cbranch_execz .LBB550_39
; %bb.38:
	v_lshlrev_b32_e32 v4, 2, v0
	s_waitcnt lgkmcnt(1)
	global_load_dword v5, v4, s[30:31] offset:2048
	s_waitcnt lgkmcnt(0)
	global_load_dword v6, v4, s[34:35] offset:2048
	v_mov_b32_e32 v4, s41
	v_add_co_u32_e32 v9, vcc, s40, v3
	v_addc_co_u32_e32 v10, vcc, 0, v4, vcc
	s_waitcnt vmcnt(0)
	v_cmp_ne_u32_e32 vcc, v5, v6
	v_cndmask_b32_e64 v21, 0, 1, vcc
.LBB550_39:
	s_or_b64 exec, exec, s[0:1]
	v_or_b32_e32 v3, 0x280, v0
	v_cmp_gt_u32_e64 s[2:3], s39, v3
	s_and_saveexec_b64 s[0:1], s[2:3]
	s_cbranch_execz .LBB550_41
; %bb.40:
	v_lshlrev_b32_e32 v4, 2, v0
	s_waitcnt lgkmcnt(1)
	global_load_dword v5, v4, s[30:31] offset:2560
	s_waitcnt lgkmcnt(0)
	global_load_dword v6, v4, s[34:35] offset:2560
	v_mov_b32_e32 v4, s41
	v_add_co_u32_e32 v7, vcc, s40, v3
	v_addc_co_u32_e32 v8, vcc, 0, v4, vcc
	s_waitcnt vmcnt(0)
	v_cmp_ne_u32_e32 vcc, v5, v6
	v_cndmask_b32_e64 v20, 0, 1, vcc
.LBB550_41:
	s_or_b64 exec, exec, s[0:1]
	v_or_b32_e32 v25, 0x300, v0
	v_mov_b32_e32 v3, 0
	s_waitcnt lgkmcnt(0)
	v_mov_b32_e32 v5, 0
	v_cmp_gt_u32_e64 s[0:1], s39, v25
	v_mov_b32_e32 v4, 0
	v_mov_b32_e32 v18, 0
	;; [unrolled: 1-line block ×4, first 2 shown]
	s_and_saveexec_b64 s[16:17], s[0:1]
	s_cbranch_execz .LBB550_43
; %bb.42:
	v_lshlrev_b32_e32 v5, 2, v0
	global_load_dword v19, v5, s[30:31] offset:3072
	global_load_dword v26, v5, s[34:35] offset:3072
	v_mov_b32_e32 v6, s41
	v_add_co_u32_e32 v5, vcc, s40, v25
	v_addc_co_u32_e32 v6, vcc, 0, v6, vcc
	s_waitcnt vmcnt(0)
	v_cmp_ne_u32_e32 vcc, v19, v26
	v_cndmask_b32_e64 v19, 0, 1, vcc
.LBB550_43:
	s_or_b64 exec, exec, s[16:17]
	v_or_b32_e32 v25, 0x380, v0
	v_cmp_gt_u32_e32 vcc, s39, v25
	s_and_saveexec_b64 s[36:37], vcc
	s_cbranch_execnz .LBB550_62
; %bb.44:
	s_or_b64 exec, exec, s[36:37]
	s_and_saveexec_b64 s[30:31], s[14:15]
	s_cbranch_execnz .LBB550_63
.LBB550_45:
	s_or_b64 exec, exec, s[30:31]
	s_and_saveexec_b64 s[16:17], s[12:13]
	s_cbranch_execnz .LBB550_68
.LBB550_46:
	s_or_b64 exec, exec, s[16:17]
	s_and_saveexec_b64 s[14:15], s[10:11]
	s_cbranch_execnz .LBB550_73
.LBB550_47:
	s_or_b64 exec, exec, s[14:15]
	s_and_saveexec_b64 s[12:13], s[8:9]
	s_cbranch_execnz .LBB550_78
.LBB550_48:
	s_or_b64 exec, exec, s[12:13]
	s_and_saveexec_b64 s[10:11], s[2:3]
	s_cbranch_execnz .LBB550_83
.LBB550_49:
	s_or_b64 exec, exec, s[10:11]
	s_and_saveexec_b64 s[8:9], s[0:1]
	s_cbranch_execnz .LBB550_88
.LBB550_50:
	s_or_b64 exec, exec, s[8:9]
	s_and_saveexec_b64 s[2:3], vcc
	s_cbranch_execnz .LBB550_93
	s_branch .LBB550_98
.LBB550_51:
                                        ; implicit-def: $vgpr1_vgpr2
                                        ; implicit-def: $vgpr9
	s_cbranch_execz .LBB550_214
; %bb.52:
	s_sub_i32 s12, s22, s30
	s_waitcnt lgkmcnt(1)
	v_mov_b32_e32 v7, 0
	v_mov_b32_e32 v1, 0
	v_cmp_gt_u32_e32 vcc, s12, v0
	v_mov_b32_e32 v12, 0
	v_mov_b32_e32 v8, 0
	;; [unrolled: 1-line block ×4, first 2 shown]
	s_and_saveexec_b64 s[0:1], vcc
	s_cbranch_execz .LBB550_54
; %bb.53:
	v_lshlrev_b32_e32 v1, 2, v0
	global_load_dword v3, v1, s[16:17]
	s_waitcnt lgkmcnt(0)
	global_load_dword v4, v1, s[28:29]
	v_mov_b32_e32 v2, s34
	v_add_co_u32_e32 v1, vcc, s31, v0
	v_addc_co_u32_e32 v2, vcc, 0, v2, vcc
	s_waitcnt vmcnt(0)
	v_cmp_ne_u32_e32 vcc, v3, v4
	v_cndmask_b32_e64 v9, 0, 1, vcc
.LBB550_54:
	s_or_b64 exec, exec, s[0:1]
	v_or_b32_e32 v3, 0x80, v0
	v_cmp_gt_u32_e64 s[2:3], s12, v3
	s_and_saveexec_b64 s[0:1], s[2:3]
	s_cbranch_execz .LBB550_56
; %bb.55:
	s_waitcnt lgkmcnt(0)
	v_lshlrev_b32_e32 v4, 2, v0
	global_load_dword v5, v4, s[16:17] offset:512
	global_load_dword v6, v4, s[28:29] offset:512
	v_mov_b32_e32 v4, s34
	v_add_co_u32_e32 v7, vcc, s31, v3
	v_addc_co_u32_e32 v8, vcc, 0, v4, vcc
	s_waitcnt vmcnt(0)
	v_cmp_ne_u32_e32 vcc, v5, v6
	v_cndmask_b32_e64 v12, 0, 1, vcc
.LBB550_56:
	s_or_b64 exec, exec, s[0:1]
	v_or_b32_e32 v13, 0x100, v0
	s_waitcnt lgkmcnt(0)
	v_mov_b32_e32 v3, 0
	v_mov_b32_e32 v5, 0
	v_cmp_gt_u32_e64 s[0:1], s12, v13
	v_mov_b32_e32 v10, 0
	v_mov_b32_e32 v4, 0
	;; [unrolled: 1-line block ×4, first 2 shown]
	s_and_saveexec_b64 s[8:9], s[0:1]
	s_cbranch_execz .LBB550_58
; %bb.57:
	v_lshlrev_b32_e32 v5, 2, v0
	global_load_dword v11, v5, s[16:17] offset:1024
	global_load_dword v14, v5, s[28:29] offset:1024
	v_mov_b32_e32 v6, s34
	v_add_co_u32_e32 v5, vcc, s31, v13
	v_addc_co_u32_e32 v6, vcc, 0, v6, vcc
	s_waitcnt vmcnt(0)
	v_cmp_ne_u32_e32 vcc, v11, v14
	v_cndmask_b32_e64 v11, 0, 1, vcc
.LBB550_58:
	s_or_b64 exec, exec, s[8:9]
	v_or_b32_e32 v13, 0x180, v0
	v_cmp_gt_u32_e32 vcc, s12, v13
	s_and_saveexec_b64 s[10:11], vcc
	s_cbranch_execnz .LBB550_151
; %bb.59:
	s_or_b64 exec, exec, s[10:11]
	s_and_saveexec_b64 s[10:11], s[2:3]
	s_cbranch_execnz .LBB550_152
.LBB550_60:
	s_or_b64 exec, exec, s[10:11]
	s_and_saveexec_b64 s[8:9], s[0:1]
	s_cbranch_execnz .LBB550_157
.LBB550_61:
	s_or_b64 exec, exec, s[8:9]
	s_and_saveexec_b64 s[2:3], vcc
	s_cbranch_execnz .LBB550_162
	s_branch .LBB550_167
.LBB550_62:
	v_lshlrev_b32_e32 v3, 2, v0
	global_load_dword v18, v3, s[30:31] offset:3584
	global_load_dword v26, v3, s[34:35] offset:3584
	v_mov_b32_e32 v4, s41
	v_add_co_u32_e64 v3, s[16:17], s40, v25
	v_addc_co_u32_e64 v4, s[16:17], 0, v4, s[16:17]
	s_waitcnt vmcnt(0)
	v_cmp_ne_u32_e64 s[16:17], v18, v26
	v_cndmask_b32_e64 v18, 0, 1, s[16:17]
	s_or_b64 exec, exec, s[36:37]
	s_and_saveexec_b64 s[30:31], s[14:15]
	s_cbranch_execz .LBB550_45
.LBB550_63:
	v_and_b32_e32 v17, 1, v17
	v_cmp_eq_u32_e64 s[14:15], 1, v17
	v_and_b32_e32 v17, 1, v24
	v_cmp_eq_u32_e64 s[16:17], 1, v17
	s_and_b64 s[16:17], s[14:15], s[16:17]
	s_xor_b64 s[16:17], s[16:17], -1
                                        ; implicit-def: $vgpr17
	s_and_saveexec_b64 s[34:35], s[16:17]
	s_xor_b64 s[16:17], exec, s[34:35]
; %bb.64:
	v_and_b32_e32 v17, 0xffff, v24
	v_cndmask_b32_e64 v17, v17, 1, s[14:15]
	v_cndmask_b32_e64 v2, v16, v2, s[14:15]
	;; [unrolled: 1-line block ×3, first 2 shown]
                                        ; implicit-def: $vgpr15_vgpr16
; %bb.65:
	s_andn2_saveexec_b64 s[16:17], s[16:17]
; %bb.66:
	v_cmp_lt_i64_e64 s[14:15], v[15:16], v[1:2]
	v_mov_b32_e32 v17, 1
	v_cndmask_b32_e64 v2, v2, v16, s[14:15]
	v_cndmask_b32_e64 v1, v1, v15, s[14:15]
; %bb.67:
	s_or_b64 exec, exec, s[16:17]
	s_or_b64 exec, exec, s[30:31]
	s_and_saveexec_b64 s[16:17], s[12:13]
	s_cbranch_execz .LBB550_46
.LBB550_68:
	v_and_b32_e32 v15, 1, v17
	v_cmp_eq_u32_e64 s[12:13], 1, v15
	v_and_b32_e32 v15, 1, v23
	v_cmp_eq_u32_e64 s[14:15], 1, v15
	s_and_b64 s[14:15], s[12:13], s[14:15]
	s_xor_b64 s[14:15], s[14:15], -1
                                        ; implicit-def: $vgpr17
	s_and_saveexec_b64 s[30:31], s[14:15]
	s_xor_b64 s[14:15], exec, s[30:31]
; %bb.69:
	v_and_b32_e32 v15, 0xffff, v23
	v_cndmask_b32_e64 v17, v15, 1, s[12:13]
	v_cndmask_b32_e64 v2, v14, v2, s[12:13]
	;; [unrolled: 1-line block ×3, first 2 shown]
                                        ; implicit-def: $vgpr13_vgpr14
; %bb.70:
	s_andn2_saveexec_b64 s[14:15], s[14:15]
; %bb.71:
	v_cmp_lt_i64_e64 s[12:13], v[13:14], v[1:2]
	v_mov_b32_e32 v17, 1
	v_cndmask_b32_e64 v2, v2, v14, s[12:13]
	v_cndmask_b32_e64 v1, v1, v13, s[12:13]
; %bb.72:
	s_or_b64 exec, exec, s[14:15]
	s_or_b64 exec, exec, s[16:17]
	s_and_saveexec_b64 s[14:15], s[10:11]
	s_cbranch_execz .LBB550_47
.LBB550_73:
	v_and_b32_e32 v13, 1, v17
	v_cmp_eq_u32_e64 s[10:11], 1, v13
	v_and_b32_e32 v13, 1, v22
	v_cmp_eq_u32_e64 s[12:13], 1, v13
	s_and_b64 s[12:13], s[10:11], s[12:13]
	s_xor_b64 s[12:13], s[12:13], -1
                                        ; implicit-def: $vgpr17
	s_and_saveexec_b64 s[16:17], s[12:13]
	s_xor_b64 s[12:13], exec, s[16:17]
; %bb.74:
	v_and_b32_e32 v13, 0xffff, v22
	v_cndmask_b32_e64 v17, v13, 1, s[10:11]
	v_cndmask_b32_e64 v2, v12, v2, s[10:11]
	;; [unrolled: 1-line block ×3, first 2 shown]
                                        ; implicit-def: $vgpr11_vgpr12
; %bb.75:
	s_andn2_saveexec_b64 s[12:13], s[12:13]
; %bb.76:
	v_cmp_lt_i64_e64 s[10:11], v[11:12], v[1:2]
	v_mov_b32_e32 v17, 1
	v_cndmask_b32_e64 v2, v2, v12, s[10:11]
	v_cndmask_b32_e64 v1, v1, v11, s[10:11]
; %bb.77:
	s_or_b64 exec, exec, s[12:13]
	s_or_b64 exec, exec, s[14:15]
	s_and_saveexec_b64 s[12:13], s[8:9]
	s_cbranch_execz .LBB550_48
.LBB550_78:
	v_and_b32_e32 v11, 1, v17
	v_cmp_eq_u32_e64 s[8:9], 1, v11
	v_and_b32_e32 v11, 1, v21
	v_cmp_eq_u32_e64 s[10:11], 1, v11
	s_and_b64 s[10:11], s[8:9], s[10:11]
	s_xor_b64 s[10:11], s[10:11], -1
                                        ; implicit-def: $vgpr17
	s_and_saveexec_b64 s[14:15], s[10:11]
	s_xor_b64 s[10:11], exec, s[14:15]
; %bb.79:
	v_and_b32_e32 v11, 0xffff, v21
	v_cndmask_b32_e64 v17, v11, 1, s[8:9]
	v_cndmask_b32_e64 v2, v10, v2, s[8:9]
	;; [unrolled: 1-line block ×3, first 2 shown]
                                        ; implicit-def: $vgpr9_vgpr10
; %bb.80:
	s_andn2_saveexec_b64 s[10:11], s[10:11]
; %bb.81:
	v_cmp_lt_i64_e64 s[8:9], v[9:10], v[1:2]
	v_mov_b32_e32 v17, 1
	v_cndmask_b32_e64 v2, v2, v10, s[8:9]
	v_cndmask_b32_e64 v1, v1, v9, s[8:9]
; %bb.82:
	s_or_b64 exec, exec, s[10:11]
	s_or_b64 exec, exec, s[12:13]
	s_and_saveexec_b64 s[10:11], s[2:3]
	s_cbranch_execz .LBB550_49
.LBB550_83:
	v_and_b32_e32 v9, 1, v17
	v_cmp_eq_u32_e64 s[2:3], 1, v9
	v_and_b32_e32 v9, 1, v20
	v_cmp_eq_u32_e64 s[8:9], 1, v9
	s_and_b64 s[8:9], s[2:3], s[8:9]
	s_xor_b64 s[8:9], s[8:9], -1
                                        ; implicit-def: $vgpr17
	s_and_saveexec_b64 s[12:13], s[8:9]
	s_xor_b64 s[8:9], exec, s[12:13]
; %bb.84:
	v_and_b32_e32 v9, 0xffff, v20
	v_cndmask_b32_e64 v17, v9, 1, s[2:3]
	v_cndmask_b32_e64 v2, v8, v2, s[2:3]
	;; [unrolled: 1-line block ×3, first 2 shown]
                                        ; implicit-def: $vgpr7_vgpr8
; %bb.85:
	s_andn2_saveexec_b64 s[8:9], s[8:9]
; %bb.86:
	v_cmp_lt_i64_e64 s[2:3], v[7:8], v[1:2]
	v_mov_b32_e32 v17, 1
	v_cndmask_b32_e64 v2, v2, v8, s[2:3]
	v_cndmask_b32_e64 v1, v1, v7, s[2:3]
; %bb.87:
	s_or_b64 exec, exec, s[8:9]
	s_or_b64 exec, exec, s[10:11]
	s_and_saveexec_b64 s[8:9], s[0:1]
	s_cbranch_execz .LBB550_50
.LBB550_88:
	v_and_b32_e32 v7, 1, v17
	v_cmp_eq_u32_e64 s[0:1], 1, v7
	v_and_b32_e32 v7, 1, v19
	v_cmp_eq_u32_e64 s[2:3], 1, v7
	s_and_b64 s[2:3], s[0:1], s[2:3]
	s_xor_b64 s[2:3], s[2:3], -1
                                        ; implicit-def: $vgpr17
	s_and_saveexec_b64 s[10:11], s[2:3]
	s_xor_b64 s[2:3], exec, s[10:11]
; %bb.89:
	v_and_b32_e32 v7, 0xffff, v19
	v_cndmask_b32_e64 v17, v7, 1, s[0:1]
	v_cndmask_b32_e64 v2, v6, v2, s[0:1]
	;; [unrolled: 1-line block ×3, first 2 shown]
                                        ; implicit-def: $vgpr5_vgpr6
; %bb.90:
	s_andn2_saveexec_b64 s[2:3], s[2:3]
; %bb.91:
	v_cmp_lt_i64_e64 s[0:1], v[5:6], v[1:2]
	v_mov_b32_e32 v17, 1
	v_cndmask_b32_e64 v2, v2, v6, s[0:1]
	v_cndmask_b32_e64 v1, v1, v5, s[0:1]
; %bb.92:
	s_or_b64 exec, exec, s[2:3]
	s_or_b64 exec, exec, s[8:9]
	s_and_saveexec_b64 s[2:3], vcc
	s_cbranch_execz .LBB550_98
.LBB550_93:
	v_and_b32_e32 v5, 1, v17
	v_cmp_eq_u32_e32 vcc, 1, v5
	v_and_b32_e32 v5, 1, v18
	v_cmp_eq_u32_e64 s[0:1], 1, v5
	s_and_b64 s[0:1], vcc, s[0:1]
	s_xor_b64 s[0:1], s[0:1], -1
                                        ; implicit-def: $vgpr17
	s_and_saveexec_b64 s[8:9], s[0:1]
	s_xor_b64 s[0:1], exec, s[8:9]
; %bb.94:
	v_and_b32_e32 v5, 0xffff, v18
	v_cndmask_b32_e64 v17, v5, 1, vcc
	v_cndmask_b32_e32 v2, v4, v2, vcc
	v_cndmask_b32_e32 v1, v3, v1, vcc
                                        ; implicit-def: $vgpr3_vgpr4
; %bb.95:
	s_andn2_saveexec_b64 s[0:1], s[0:1]
; %bb.96:
	v_cmp_lt_i64_e32 vcc, v[3:4], v[1:2]
	v_mov_b32_e32 v17, 1
	v_cndmask_b32_e32 v2, v2, v4, vcc
	v_cndmask_b32_e32 v1, v1, v3, vcc
; %bb.97:
	s_or_b64 exec, exec, s[0:1]
.LBB550_98:
	s_or_b64 exec, exec, s[2:3]
	v_mbcnt_lo_u32_b32 v3, -1, 0
	v_mbcnt_hi_u32_b32 v5, -1, v3
	v_and_b32_e32 v6, 63, v5
	v_cmp_ne_u32_e32 vcc, 63, v6
	v_addc_co_u32_e32 v3, vcc, 0, v5, vcc
	v_lshlrev_b32_e32 v4, 2, v3
	ds_bpermute_b32 v8, v4, v17
	ds_bpermute_b32 v3, v4, v1
	;; [unrolled: 1-line block ×3, first 2 shown]
	s_min_u32 s8, s39, 0x80
	v_and_b32_e32 v7, 64, v0
	v_sub_u32_e64 v7, s8, v7 clamp
	v_add_u32_e32 v9, 1, v6
	v_cmp_lt_u32_e32 vcc, v9, v7
	s_and_saveexec_b64 s[0:1], vcc
	s_xor_b64 s[0:1], exec, s[0:1]
	s_cbranch_execz .LBB550_104
; %bb.99:
	s_waitcnt lgkmcnt(2)
	v_and_b32_e32 v9, v8, v17
	v_cmp_ne_u32_e32 vcc, 0, v9
	s_and_saveexec_b64 s[2:3], vcc
	s_xor_b64 s[2:3], exec, s[2:3]
	s_cbranch_execz .LBB550_101
; %bb.100:
	s_waitcnt lgkmcnt(0)
	v_cmp_lt_i64_e32 vcc, v[3:4], v[1:2]
                                        ; implicit-def: $vgpr17
                                        ; implicit-def: $vgpr8
	v_cndmask_b32_e32 v2, v2, v4, vcc
	v_cndmask_b32_e32 v1, v1, v3, vcc
                                        ; implicit-def: $vgpr3_vgpr4
.LBB550_101:
	s_or_saveexec_b64 s[2:3], s[2:3]
	v_mov_b32_e32 v9, 1
	s_xor_b64 exec, exec, s[2:3]
	s_cbranch_execz .LBB550_103
; %bb.102:
	v_and_b32_e32 v9, 1, v17
	v_cmp_eq_u32_e32 vcc, 1, v9
	s_waitcnt lgkmcnt(1)
	v_cndmask_b32_e32 v1, v3, v1, vcc
	v_and_b32_e32 v3, 0xff, v8
	s_waitcnt lgkmcnt(0)
	v_cndmask_b32_e32 v2, v4, v2, vcc
	v_cndmask_b32_e64 v9, v3, 1, vcc
.LBB550_103:
	s_or_b64 exec, exec, s[2:3]
	v_mov_b32_e32 v17, v9
.LBB550_104:
	s_or_b64 exec, exec, s[0:1]
	v_cmp_gt_u32_e32 vcc, 62, v6
	s_waitcnt lgkmcnt(1)
	v_cndmask_b32_e64 v3, 0, 2, vcc
	s_waitcnt lgkmcnt(0)
	v_add_lshl_u32 v4, v3, v5, 2
	ds_bpermute_b32 v8, v4, v17
	ds_bpermute_b32 v3, v4, v1
	ds_bpermute_b32 v4, v4, v2
	v_add_u32_e32 v9, 2, v6
	v_cmp_lt_u32_e32 vcc, v9, v7
	s_and_saveexec_b64 s[0:1], vcc
	s_cbranch_execz .LBB550_110
; %bb.105:
	s_waitcnt lgkmcnt(2)
	v_and_b32_e32 v9, v17, v8
	v_and_b32_e32 v9, 1, v9
	v_cmp_eq_u32_e32 vcc, 1, v9
	s_and_saveexec_b64 s[2:3], vcc
	s_xor_b64 s[2:3], exec, s[2:3]
	s_cbranch_execz .LBB550_107
; %bb.106:
	s_waitcnt lgkmcnt(0)
	v_cmp_lt_i64_e32 vcc, v[3:4], v[1:2]
                                        ; implicit-def: $vgpr17
                                        ; implicit-def: $vgpr8
	v_cndmask_b32_e32 v2, v2, v4, vcc
	v_cndmask_b32_e32 v1, v1, v3, vcc
                                        ; implicit-def: $vgpr3_vgpr4
.LBB550_107:
	s_or_saveexec_b64 s[2:3], s[2:3]
	v_mov_b32_e32 v9, 1
	s_xor_b64 exec, exec, s[2:3]
	s_cbranch_execz .LBB550_109
; %bb.108:
	v_and_b32_e32 v9, 1, v17
	v_cmp_eq_u32_e32 vcc, 1, v9
	s_waitcnt lgkmcnt(1)
	v_cndmask_b32_e32 v1, v3, v1, vcc
	v_and_b32_e32 v3, 0xff, v8
	s_waitcnt lgkmcnt(0)
	v_cndmask_b32_e32 v2, v4, v2, vcc
	v_cndmask_b32_e64 v9, v3, 1, vcc
.LBB550_109:
	s_or_b64 exec, exec, s[2:3]
	v_mov_b32_e32 v17, v9
.LBB550_110:
	s_or_b64 exec, exec, s[0:1]
	v_cmp_gt_u32_e32 vcc, 60, v6
	s_waitcnt lgkmcnt(1)
	v_cndmask_b32_e64 v3, 0, 4, vcc
	s_waitcnt lgkmcnt(0)
	v_add_lshl_u32 v4, v3, v5, 2
	ds_bpermute_b32 v8, v4, v17
	ds_bpermute_b32 v3, v4, v1
	ds_bpermute_b32 v4, v4, v2
	v_add_u32_e32 v9, 4, v6
	v_cmp_lt_u32_e32 vcc, v9, v7
	s_and_saveexec_b64 s[0:1], vcc
	s_cbranch_execz .LBB550_116
; %bb.111:
	s_waitcnt lgkmcnt(2)
	v_and_b32_e32 v9, v17, v8
	v_and_b32_e32 v9, 1, v9
	v_cmp_eq_u32_e32 vcc, 1, v9
	s_and_saveexec_b64 s[2:3], vcc
	s_xor_b64 s[2:3], exec, s[2:3]
	s_cbranch_execz .LBB550_113
; %bb.112:
	s_waitcnt lgkmcnt(0)
	v_cmp_lt_i64_e32 vcc, v[3:4], v[1:2]
                                        ; implicit-def: $vgpr17
                                        ; implicit-def: $vgpr8
	v_cndmask_b32_e32 v2, v2, v4, vcc
	v_cndmask_b32_e32 v1, v1, v3, vcc
                                        ; implicit-def: $vgpr3_vgpr4
.LBB550_113:
	s_or_saveexec_b64 s[2:3], s[2:3]
	v_mov_b32_e32 v9, 1
	s_xor_b64 exec, exec, s[2:3]
	s_cbranch_execz .LBB550_115
; %bb.114:
	v_and_b32_e32 v9, 1, v17
	v_cmp_eq_u32_e32 vcc, 1, v9
	s_waitcnt lgkmcnt(1)
	v_cndmask_b32_e32 v1, v3, v1, vcc
	v_and_b32_e32 v3, 0xff, v8
	s_waitcnt lgkmcnt(0)
	v_cndmask_b32_e32 v2, v4, v2, vcc
	v_cndmask_b32_e64 v9, v3, 1, vcc
.LBB550_115:
	s_or_b64 exec, exec, s[2:3]
	v_mov_b32_e32 v17, v9
.LBB550_116:
	;; [unrolled: 47-line block ×4, first 2 shown]
	s_or_b64 exec, exec, s[0:1]
	s_waitcnt lgkmcnt(2)
	v_lshlrev_b32_e32 v8, 2, v5
	s_waitcnt lgkmcnt(0)
	v_or_b32_e32 v4, 0x80, v8
	ds_bpermute_b32 v9, v4, v17
	ds_bpermute_b32 v3, v4, v1
	ds_bpermute_b32 v4, v4, v2
	v_add_u32_e32 v6, 32, v6
	v_cmp_lt_u32_e32 vcc, v6, v7
	v_mov_b32_e32 v6, v17
	s_and_saveexec_b64 s[0:1], vcc
	s_cbranch_execz .LBB550_134
; %bb.129:
	s_waitcnt lgkmcnt(2)
	v_and_b32_e32 v6, v17, v9
	v_and_b32_e32 v6, 1, v6
	v_cmp_eq_u32_e32 vcc, 1, v6
	s_and_saveexec_b64 s[2:3], vcc
	s_xor_b64 s[2:3], exec, s[2:3]
	s_cbranch_execz .LBB550_131
; %bb.130:
	s_waitcnt lgkmcnt(0)
	v_cmp_lt_i64_e32 vcc, v[3:4], v[1:2]
                                        ; implicit-def: $vgpr17
                                        ; implicit-def: $vgpr9
	v_cndmask_b32_e32 v2, v2, v4, vcc
	v_cndmask_b32_e32 v1, v1, v3, vcc
                                        ; implicit-def: $vgpr3_vgpr4
.LBB550_131:
	s_or_saveexec_b64 s[2:3], s[2:3]
	v_mov_b32_e32 v6, 1
	s_xor_b64 exec, exec, s[2:3]
	s_cbranch_execz .LBB550_133
; %bb.132:
	v_and_b32_e32 v6, 1, v17
	v_cmp_eq_u32_e32 vcc, 1, v6
	v_cndmask_b32_e64 v6, v9, 1, vcc
	s_waitcnt lgkmcnt(0)
	v_cndmask_b32_e32 v2, v4, v2, vcc
	v_cndmask_b32_e32 v1, v3, v1, vcc
.LBB550_133:
	s_or_b64 exec, exec, s[2:3]
	v_and_b32_e32 v17, 0xff, v6
.LBB550_134:
	s_or_b64 exec, exec, s[0:1]
	v_cmp_eq_u32_e32 vcc, 0, v5
	s_and_saveexec_b64 s[0:1], vcc
	s_cbranch_execz .LBB550_136
; %bb.135:
	s_waitcnt lgkmcnt(1)
	v_lshrrev_b32_e32 v3, 2, v0
	v_and_b32_e32 v3, 16, v3
	ds_write_b8 v3, v6 offset:128
	ds_write_b64 v3, v[1:2] offset:136
.LBB550_136:
	s_or_b64 exec, exec, s[0:1]
	v_cmp_gt_u32_e32 vcc, 2, v0
	s_waitcnt lgkmcnt(0)
	s_barrier
	s_and_saveexec_b64 s[0:1], vcc
	s_cbranch_execz .LBB550_144
; %bb.137:
	v_lshlrev_b32_e32 v1, 4, v5
	ds_read_u8 v6, v1 offset:128
	ds_read_b64 v[1:2], v1 offset:136
	v_or_b32_e32 v4, 4, v8
	s_add_i32 s8, s8, 63
	v_and_b32_e32 v5, 1, v5
	s_waitcnt lgkmcnt(1)
	v_and_b32_e32 v17, 0xff, v6
	s_waitcnt lgkmcnt(0)
	ds_bpermute_b32 v3, v4, v1
	ds_bpermute_b32 v7, v4, v17
	;; [unrolled: 1-line block ×3, first 2 shown]
	s_lshr_b32 s2, s8, 6
	v_add_u32_e32 v5, 1, v5
	v_cmp_gt_u32_e32 vcc, s2, v5
	s_and_saveexec_b64 s[2:3], vcc
	s_cbranch_execz .LBB550_143
; %bb.138:
	s_waitcnt lgkmcnt(1)
	v_and_b32_e32 v5, v17, v7
	v_and_b32_e32 v5, 1, v5
	v_cmp_eq_u32_e32 vcc, 1, v5
	s_and_saveexec_b64 s[8:9], vcc
	s_xor_b64 s[8:9], exec, s[8:9]
	s_cbranch_execz .LBB550_140
; %bb.139:
	s_waitcnt lgkmcnt(0)
	v_cmp_lt_i64_e32 vcc, v[3:4], v[1:2]
                                        ; implicit-def: $vgpr6
                                        ; implicit-def: $vgpr7
	v_cndmask_b32_e32 v2, v2, v4, vcc
	v_cndmask_b32_e32 v1, v1, v3, vcc
                                        ; implicit-def: $vgpr3_vgpr4
.LBB550_140:
	s_or_saveexec_b64 s[8:9], s[8:9]
	v_mov_b32_e32 v17, 1
	s_xor_b64 exec, exec, s[8:9]
	s_cbranch_execz .LBB550_142
; %bb.141:
	v_and_b32_e32 v5, 1, v6
	v_cmp_eq_u32_e32 vcc, 1, v5
	s_waitcnt lgkmcnt(0)
	v_cndmask_b32_e32 v2, v4, v2, vcc
	v_cndmask_b32_e32 v1, v3, v1, vcc
	v_cndmask_b32_e64 v17, v7, 1, vcc
.LBB550_142:
	s_or_b64 exec, exec, s[8:9]
.LBB550_143:
	s_or_b64 exec, exec, s[2:3]
.LBB550_144:
	s_or_b64 exec, exec, s[0:1]
.LBB550_145:
	v_cmp_eq_u32_e32 vcc, 0, v0
	s_mov_b64 s[14:15], 0
                                        ; implicit-def: $vgpr3_vgpr4
                                        ; implicit-def: $vgpr5
	s_and_saveexec_b64 s[0:1], vcc
	s_xor_b64 s[8:9], exec, s[0:1]
	s_cbranch_execz .LBB550_149
; %bb.146:
	s_waitcnt lgkmcnt(0)
	v_mov_b32_e32 v3, s18
	s_cmp_eq_u64 s[22:23], 0
	v_mov_b32_e32 v4, s19
	v_mov_b32_e32 v5, s33
	s_cbranch_scc1 .LBB550_148
; %bb.147:
	v_and_b32_e32 v3, 1, v17
	v_cmp_gt_i64_e64 s[0:1], s[18:19], v[1:2]
	s_bitcmp1_b32 s33, 0
	v_cmp_eq_u32_e32 vcc, 1, v3
	s_cselect_b64 s[2:3], -1, 0
	v_mov_b32_e32 v3, s18
	s_and_b64 vcc, vcc, s[0:1]
	v_mov_b32_e32 v4, s19
	v_cndmask_b32_e32 v3, v3, v1, vcc
	v_cndmask_b32_e32 v4, v4, v2, vcc
	v_cndmask_b32_e64 v5, v17, 1, s[2:3]
	v_cndmask_b32_e64 v4, v2, v4, s[2:3]
	;; [unrolled: 1-line block ×3, first 2 shown]
.LBB550_148:
	s_mov_b64 s[14:15], exec
.LBB550_149:
	s_or_b64 exec, exec, s[8:9]
	v_mov_b32_e32 v1, s6
	v_mov_b32_e32 v2, s7
	s_and_b64 vcc, exec, s[28:29]
	s_cbranch_vccnz .LBB550_16
.LBB550_150:
	s_branch .LBB550_306
.LBB550_151:
	v_lshlrev_b32_e32 v3, 2, v0
	global_load_dword v10, v3, s[16:17] offset:1536
	global_load_dword v14, v3, s[28:29] offset:1536
	v_mov_b32_e32 v4, s34
	v_add_co_u32_e64 v3, s[8:9], s31, v13
	v_addc_co_u32_e64 v4, s[8:9], 0, v4, s[8:9]
	s_waitcnt vmcnt(0)
	v_cmp_ne_u32_e64 s[8:9], v10, v14
	v_cndmask_b32_e64 v10, 0, 1, s[8:9]
	s_or_b64 exec, exec, s[10:11]
	s_and_saveexec_b64 s[10:11], s[2:3]
	s_cbranch_execz .LBB550_60
.LBB550_152:
	v_and_b32_e32 v9, 1, v9
	v_cmp_eq_u32_e64 s[2:3], 1, v9
	v_and_b32_e32 v9, 1, v12
	v_cmp_eq_u32_e64 s[8:9], 1, v9
	s_and_b64 s[8:9], s[2:3], s[8:9]
	s_xor_b64 s[8:9], s[8:9], -1
                                        ; implicit-def: $vgpr9
	s_and_saveexec_b64 s[16:17], s[8:9]
	s_xor_b64 s[8:9], exec, s[16:17]
; %bb.153:
	v_and_b32_e32 v9, 0xffff, v12
	v_cndmask_b32_e64 v9, v9, 1, s[2:3]
	v_cndmask_b32_e64 v2, v8, v2, s[2:3]
	;; [unrolled: 1-line block ×3, first 2 shown]
                                        ; implicit-def: $vgpr7_vgpr8
; %bb.154:
	s_andn2_saveexec_b64 s[8:9], s[8:9]
; %bb.155:
	v_cmp_lt_i64_e64 s[2:3], v[7:8], v[1:2]
	v_mov_b32_e32 v9, 1
	v_cndmask_b32_e64 v2, v2, v8, s[2:3]
	v_cndmask_b32_e64 v1, v1, v7, s[2:3]
; %bb.156:
	s_or_b64 exec, exec, s[8:9]
	s_or_b64 exec, exec, s[10:11]
	s_and_saveexec_b64 s[8:9], s[0:1]
	s_cbranch_execz .LBB550_61
.LBB550_157:
	v_and_b32_e32 v7, 1, v9
	v_cmp_eq_u32_e64 s[0:1], 1, v7
	v_and_b32_e32 v7, 1, v11
	v_cmp_eq_u32_e64 s[2:3], 1, v7
	s_and_b64 s[2:3], s[0:1], s[2:3]
	s_xor_b64 s[2:3], s[2:3], -1
                                        ; implicit-def: $vgpr9
	s_and_saveexec_b64 s[10:11], s[2:3]
	s_xor_b64 s[2:3], exec, s[10:11]
; %bb.158:
	v_and_b32_e32 v7, 0xffff, v11
	v_cndmask_b32_e64 v9, v7, 1, s[0:1]
	v_cndmask_b32_e64 v2, v6, v2, s[0:1]
	;; [unrolled: 1-line block ×3, first 2 shown]
                                        ; implicit-def: $vgpr5_vgpr6
; %bb.159:
	s_andn2_saveexec_b64 s[2:3], s[2:3]
; %bb.160:
	v_cmp_lt_i64_e64 s[0:1], v[5:6], v[1:2]
	v_mov_b32_e32 v9, 1
	v_cndmask_b32_e64 v2, v2, v6, s[0:1]
	v_cndmask_b32_e64 v1, v1, v5, s[0:1]
; %bb.161:
	s_or_b64 exec, exec, s[2:3]
	s_or_b64 exec, exec, s[8:9]
	s_and_saveexec_b64 s[2:3], vcc
	s_cbranch_execz .LBB550_167
.LBB550_162:
	v_and_b32_e32 v5, 1, v9
	v_cmp_eq_u32_e32 vcc, 1, v5
	v_and_b32_e32 v5, 1, v10
	v_cmp_eq_u32_e64 s[0:1], 1, v5
	s_and_b64 s[0:1], vcc, s[0:1]
	s_xor_b64 s[0:1], s[0:1], -1
                                        ; implicit-def: $vgpr9
	s_and_saveexec_b64 s[8:9], s[0:1]
	s_xor_b64 s[0:1], exec, s[8:9]
; %bb.163:
	v_and_b32_e32 v5, 0xffff, v10
	v_cndmask_b32_e64 v9, v5, 1, vcc
	v_cndmask_b32_e32 v2, v4, v2, vcc
	v_cndmask_b32_e32 v1, v3, v1, vcc
                                        ; implicit-def: $vgpr3_vgpr4
; %bb.164:
	s_andn2_saveexec_b64 s[0:1], s[0:1]
; %bb.165:
	v_cmp_lt_i64_e32 vcc, v[3:4], v[1:2]
	v_mov_b32_e32 v9, 1
	v_cndmask_b32_e32 v2, v2, v4, vcc
	v_cndmask_b32_e32 v1, v1, v3, vcc
; %bb.166:
	s_or_b64 exec, exec, s[0:1]
.LBB550_167:
	s_or_b64 exec, exec, s[2:3]
	v_mbcnt_lo_u32_b32 v3, -1, 0
	v_mbcnt_hi_u32_b32 v5, -1, v3
	v_and_b32_e32 v6, 63, v5
	v_cmp_ne_u32_e32 vcc, 63, v6
	v_addc_co_u32_e32 v3, vcc, 0, v5, vcc
	v_lshlrev_b32_e32 v4, 2, v3
	ds_bpermute_b32 v8, v4, v9
	ds_bpermute_b32 v3, v4, v1
	;; [unrolled: 1-line block ×3, first 2 shown]
	s_min_u32 s8, s12, 0x80
	v_and_b32_e32 v7, 64, v0
	v_sub_u32_e64 v7, s8, v7 clamp
	v_add_u32_e32 v10, 1, v6
	v_cmp_lt_u32_e32 vcc, v10, v7
	s_and_saveexec_b64 s[0:1], vcc
	s_xor_b64 s[0:1], exec, s[0:1]
	s_cbranch_execz .LBB550_173
; %bb.168:
	s_waitcnt lgkmcnt(2)
	v_and_b32_e32 v10, v8, v9
	v_cmp_ne_u32_e32 vcc, 0, v10
	s_and_saveexec_b64 s[2:3], vcc
	s_xor_b64 s[2:3], exec, s[2:3]
	s_cbranch_execz .LBB550_170
; %bb.169:
	s_waitcnt lgkmcnt(0)
	v_cmp_lt_i64_e32 vcc, v[3:4], v[1:2]
                                        ; implicit-def: $vgpr9
                                        ; implicit-def: $vgpr8
	v_cndmask_b32_e32 v2, v2, v4, vcc
	v_cndmask_b32_e32 v1, v1, v3, vcc
                                        ; implicit-def: $vgpr3_vgpr4
.LBB550_170:
	s_or_saveexec_b64 s[2:3], s[2:3]
	v_mov_b32_e32 v10, 1
	s_xor_b64 exec, exec, s[2:3]
	s_cbranch_execz .LBB550_172
; %bb.171:
	v_and_b32_e32 v9, 1, v9
	v_cmp_eq_u32_e32 vcc, 1, v9
	s_waitcnt lgkmcnt(1)
	v_cndmask_b32_e32 v1, v3, v1, vcc
	v_and_b32_e32 v3, 0xff, v8
	s_waitcnt lgkmcnt(0)
	v_cndmask_b32_e32 v2, v4, v2, vcc
	v_cndmask_b32_e64 v10, v3, 1, vcc
.LBB550_172:
	s_or_b64 exec, exec, s[2:3]
	v_mov_b32_e32 v9, v10
.LBB550_173:
	s_or_b64 exec, exec, s[0:1]
	v_cmp_gt_u32_e32 vcc, 62, v6
	s_waitcnt lgkmcnt(1)
	v_cndmask_b32_e64 v3, 0, 2, vcc
	s_waitcnt lgkmcnt(0)
	v_add_lshl_u32 v4, v3, v5, 2
	ds_bpermute_b32 v8, v4, v9
	ds_bpermute_b32 v3, v4, v1
	ds_bpermute_b32 v4, v4, v2
	v_add_u32_e32 v10, 2, v6
	v_cmp_lt_u32_e32 vcc, v10, v7
	s_and_saveexec_b64 s[0:1], vcc
	s_cbranch_execz .LBB550_179
; %bb.174:
	s_waitcnt lgkmcnt(2)
	v_and_b32_e32 v10, v9, v8
	v_and_b32_e32 v10, 1, v10
	v_cmp_eq_u32_e32 vcc, 1, v10
	s_and_saveexec_b64 s[2:3], vcc
	s_xor_b64 s[2:3], exec, s[2:3]
	s_cbranch_execz .LBB550_176
; %bb.175:
	s_waitcnt lgkmcnt(0)
	v_cmp_lt_i64_e32 vcc, v[3:4], v[1:2]
                                        ; implicit-def: $vgpr9
                                        ; implicit-def: $vgpr8
	v_cndmask_b32_e32 v2, v2, v4, vcc
	v_cndmask_b32_e32 v1, v1, v3, vcc
                                        ; implicit-def: $vgpr3_vgpr4
.LBB550_176:
	s_or_saveexec_b64 s[2:3], s[2:3]
	v_mov_b32_e32 v10, 1
	s_xor_b64 exec, exec, s[2:3]
	s_cbranch_execz .LBB550_178
; %bb.177:
	v_and_b32_e32 v9, 1, v9
	v_cmp_eq_u32_e32 vcc, 1, v9
	s_waitcnt lgkmcnt(1)
	v_cndmask_b32_e32 v1, v3, v1, vcc
	v_and_b32_e32 v3, 0xff, v8
	s_waitcnt lgkmcnt(0)
	v_cndmask_b32_e32 v2, v4, v2, vcc
	v_cndmask_b32_e64 v10, v3, 1, vcc
.LBB550_178:
	s_or_b64 exec, exec, s[2:3]
	v_mov_b32_e32 v9, v10
.LBB550_179:
	s_or_b64 exec, exec, s[0:1]
	v_cmp_gt_u32_e32 vcc, 60, v6
	s_waitcnt lgkmcnt(1)
	v_cndmask_b32_e64 v3, 0, 4, vcc
	s_waitcnt lgkmcnt(0)
	v_add_lshl_u32 v4, v3, v5, 2
	ds_bpermute_b32 v8, v4, v9
	ds_bpermute_b32 v3, v4, v1
	ds_bpermute_b32 v4, v4, v2
	v_add_u32_e32 v10, 4, v6
	v_cmp_lt_u32_e32 vcc, v10, v7
	s_and_saveexec_b64 s[0:1], vcc
	s_cbranch_execz .LBB550_185
; %bb.180:
	s_waitcnt lgkmcnt(2)
	v_and_b32_e32 v10, v9, v8
	v_and_b32_e32 v10, 1, v10
	v_cmp_eq_u32_e32 vcc, 1, v10
	s_and_saveexec_b64 s[2:3], vcc
	s_xor_b64 s[2:3], exec, s[2:3]
	s_cbranch_execz .LBB550_182
; %bb.181:
	s_waitcnt lgkmcnt(0)
	v_cmp_lt_i64_e32 vcc, v[3:4], v[1:2]
                                        ; implicit-def: $vgpr9
                                        ; implicit-def: $vgpr8
	v_cndmask_b32_e32 v2, v2, v4, vcc
	v_cndmask_b32_e32 v1, v1, v3, vcc
                                        ; implicit-def: $vgpr3_vgpr4
.LBB550_182:
	s_or_saveexec_b64 s[2:3], s[2:3]
	v_mov_b32_e32 v10, 1
	s_xor_b64 exec, exec, s[2:3]
	s_cbranch_execz .LBB550_184
; %bb.183:
	v_and_b32_e32 v9, 1, v9
	v_cmp_eq_u32_e32 vcc, 1, v9
	s_waitcnt lgkmcnt(1)
	v_cndmask_b32_e32 v1, v3, v1, vcc
	v_and_b32_e32 v3, 0xff, v8
	s_waitcnt lgkmcnt(0)
	v_cndmask_b32_e32 v2, v4, v2, vcc
	v_cndmask_b32_e64 v10, v3, 1, vcc
.LBB550_184:
	s_or_b64 exec, exec, s[2:3]
	v_mov_b32_e32 v9, v10
.LBB550_185:
	;; [unrolled: 47-line block ×4, first 2 shown]
	s_or_b64 exec, exec, s[0:1]
	s_waitcnt lgkmcnt(2)
	v_lshlrev_b32_e32 v8, 2, v5
	s_waitcnt lgkmcnt(0)
	v_or_b32_e32 v4, 0x80, v8
	ds_bpermute_b32 v10, v4, v9
	ds_bpermute_b32 v3, v4, v1
	;; [unrolled: 1-line block ×3, first 2 shown]
	v_add_u32_e32 v6, 32, v6
	v_cmp_lt_u32_e32 vcc, v6, v7
	v_mov_b32_e32 v6, v9
	s_and_saveexec_b64 s[0:1], vcc
	s_cbranch_execz .LBB550_203
; %bb.198:
	s_waitcnt lgkmcnt(2)
	v_and_b32_e32 v6, v9, v10
	v_and_b32_e32 v6, 1, v6
	v_cmp_eq_u32_e32 vcc, 1, v6
	s_and_saveexec_b64 s[2:3], vcc
	s_xor_b64 s[2:3], exec, s[2:3]
	s_cbranch_execz .LBB550_200
; %bb.199:
	s_waitcnt lgkmcnt(0)
	v_cmp_lt_i64_e32 vcc, v[3:4], v[1:2]
                                        ; implicit-def: $vgpr9
                                        ; implicit-def: $vgpr10
	v_cndmask_b32_e32 v2, v2, v4, vcc
	v_cndmask_b32_e32 v1, v1, v3, vcc
                                        ; implicit-def: $vgpr3_vgpr4
.LBB550_200:
	s_or_saveexec_b64 s[2:3], s[2:3]
	v_mov_b32_e32 v6, 1
	s_xor_b64 exec, exec, s[2:3]
	s_cbranch_execz .LBB550_202
; %bb.201:
	v_and_b32_e32 v6, 1, v9
	v_cmp_eq_u32_e32 vcc, 1, v6
	v_cndmask_b32_e64 v6, v10, 1, vcc
	s_waitcnt lgkmcnt(0)
	v_cndmask_b32_e32 v2, v4, v2, vcc
	v_cndmask_b32_e32 v1, v3, v1, vcc
.LBB550_202:
	s_or_b64 exec, exec, s[2:3]
	v_and_b32_e32 v9, 0xff, v6
.LBB550_203:
	s_or_b64 exec, exec, s[0:1]
	v_cmp_eq_u32_e32 vcc, 0, v5
	s_and_saveexec_b64 s[0:1], vcc
	s_cbranch_execz .LBB550_205
; %bb.204:
	s_waitcnt lgkmcnt(1)
	v_lshrrev_b32_e32 v3, 2, v0
	v_and_b32_e32 v3, 16, v3
	ds_write_b8 v3, v6 offset:128
	ds_write_b64 v3, v[1:2] offset:136
.LBB550_205:
	s_or_b64 exec, exec, s[0:1]
	v_cmp_gt_u32_e32 vcc, 2, v0
	s_waitcnt lgkmcnt(0)
	s_barrier
	s_and_saveexec_b64 s[0:1], vcc
	s_cbranch_execz .LBB550_213
; %bb.206:
	v_lshlrev_b32_e32 v1, 4, v5
	ds_read_u8 v6, v1 offset:128
	ds_read_b64 v[1:2], v1 offset:136
	v_or_b32_e32 v4, 4, v8
	s_add_i32 s8, s8, 63
	v_and_b32_e32 v5, 1, v5
	s_waitcnt lgkmcnt(1)
	v_and_b32_e32 v9, 0xff, v6
	s_waitcnt lgkmcnt(0)
	ds_bpermute_b32 v3, v4, v1
	ds_bpermute_b32 v7, v4, v9
	;; [unrolled: 1-line block ×3, first 2 shown]
	s_lshr_b32 s2, s8, 6
	v_add_u32_e32 v5, 1, v5
	v_cmp_gt_u32_e32 vcc, s2, v5
	s_and_saveexec_b64 s[2:3], vcc
	s_cbranch_execz .LBB550_212
; %bb.207:
	s_waitcnt lgkmcnt(1)
	v_and_b32_e32 v5, v9, v7
	v_and_b32_e32 v5, 1, v5
	v_cmp_eq_u32_e32 vcc, 1, v5
	s_and_saveexec_b64 s[8:9], vcc
	s_xor_b64 s[8:9], exec, s[8:9]
	s_cbranch_execz .LBB550_209
; %bb.208:
	s_waitcnt lgkmcnt(0)
	v_cmp_lt_i64_e32 vcc, v[3:4], v[1:2]
                                        ; implicit-def: $vgpr6
                                        ; implicit-def: $vgpr7
	v_cndmask_b32_e32 v2, v2, v4, vcc
	v_cndmask_b32_e32 v1, v1, v3, vcc
                                        ; implicit-def: $vgpr3_vgpr4
.LBB550_209:
	s_or_saveexec_b64 s[8:9], s[8:9]
	v_mov_b32_e32 v9, 1
	s_xor_b64 exec, exec, s[8:9]
	s_cbranch_execz .LBB550_211
; %bb.210:
	v_and_b32_e32 v5, 1, v6
	v_cmp_eq_u32_e32 vcc, 1, v5
	s_waitcnt lgkmcnt(0)
	v_cndmask_b32_e32 v2, v4, v2, vcc
	v_cndmask_b32_e32 v1, v3, v1, vcc
	v_cndmask_b32_e64 v9, v7, 1, vcc
.LBB550_211:
	s_or_b64 exec, exec, s[8:9]
.LBB550_212:
	s_or_b64 exec, exec, s[2:3]
.LBB550_213:
	s_or_b64 exec, exec, s[0:1]
.LBB550_214:
	v_cmp_eq_u32_e32 vcc, 0, v0
                                        ; implicit-def: $vgpr3_vgpr4
                                        ; implicit-def: $vgpr5
	s_and_saveexec_b64 s[0:1], vcc
	s_xor_b64 s[8:9], exec, s[0:1]
	s_cbranch_execz .LBB550_218
; %bb.215:
	s_waitcnt lgkmcnt(0)
	v_mov_b32_e32 v3, s18
	s_cmp_eq_u64 s[22:23], 0
	v_mov_b32_e32 v4, s19
	v_mov_b32_e32 v5, s33
	s_cbranch_scc1 .LBB550_217
; %bb.216:
	v_and_b32_e32 v3, 1, v9
	v_cmp_gt_i64_e64 s[0:1], s[18:19], v[1:2]
	s_bitcmp1_b32 s33, 0
	v_cmp_eq_u32_e32 vcc, 1, v3
	s_cselect_b64 s[2:3], -1, 0
	v_mov_b32_e32 v3, s18
	s_and_b64 vcc, vcc, s[0:1]
	v_mov_b32_e32 v4, s19
	v_cndmask_b32_e32 v3, v3, v1, vcc
	v_cndmask_b32_e32 v4, v4, v2, vcc
	v_cndmask_b32_e64 v5, v9, 1, s[2:3]
	v_cndmask_b32_e64 v4, v2, v4, s[2:3]
	;; [unrolled: 1-line block ×3, first 2 shown]
.LBB550_217:
	s_or_b64 s[14:15], s[14:15], exec
.LBB550_218:
	s_or_b64 exec, exec, s[8:9]
	v_mov_b32_e32 v1, s6
	v_mov_b32_e32 v2, s7
	s_branch .LBB550_306
.LBB550_219:
	s_cmp_gt_i32 s38, 1
	s_cbranch_scc0 .LBB550_231
; %bb.220:
	s_cmp_eq_u32 s38, 2
	s_cbranch_scc0 .LBB550_232
; %bb.221:
	s_mov_b32 s7, 0
	s_lshl_b32 s30, s6, 8
	s_mov_b32 s31, s7
	s_lshr_b64 s[0:1], s[22:23], 8
	s_lshl_b64 s[2:3], s[30:31], 2
	s_add_u32 s16, s24, s2
	s_addc_u32 s17, s25, s3
	s_add_u32 s28, s26, s2
	s_addc_u32 s29, s27, s3
	s_add_u32 s31, s20, s30
	s_addc_u32 s34, s21, 0
	s_cmp_lg_u64 s[0:1], s[6:7]
	s_cbranch_scc0 .LBB550_233
; %bb.222:
	v_lshlrev_b32_e32 v1, 2, v0
	global_load_dword v2, v1, s[28:29]
	s_waitcnt lgkmcnt(0)
	global_load_dword v4, v1, s[28:29] offset:512
	global_load_dword v6, v1, s[16:17] offset:512
	global_load_dword v7, v1, s[16:17]
	v_mov_b32_e32 v1, s34
	v_add_co_u32_e32 v8, vcc, s31, v0
	v_addc_co_u32_e32 v1, vcc, 0, v1, vcc
	v_add_co_u32_e32 v9, vcc, 0x80, v8
	v_addc_co_u32_e32 v10, vcc, 0, v1, vcc
	v_mbcnt_lo_u32_b32 v3, -1, 0
	v_mbcnt_hi_u32_b32 v3, -1, v3
	v_lshlrev_b32_e32 v5, 2, v3
	v_or_b32_e32 v11, 0xfc, v5
	s_waitcnt vmcnt(1)
	v_cmp_ne_u32_e32 vcc, v6, v4
	s_waitcnt vmcnt(0)
	v_cmp_ne_u32_e64 s[0:1], v7, v2
	v_cndmask_b32_e64 v2, v10, v1, s[0:1]
	v_cndmask_b32_e64 v1, v9, v8, s[0:1]
	s_or_b64 s[0:1], s[0:1], vcc
	v_mov_b32_dpp v7, v2 quad_perm:[1,0,3,2] row_mask:0xf bank_mask:0xf bound_ctrl:1
	v_mov_b32_dpp v6, v1 quad_perm:[1,0,3,2] row_mask:0xf bank_mask:0xf bound_ctrl:1
	v_cndmask_b32_e64 v4, 0, 1, s[0:1]
	v_cmp_lt_i64_e32 vcc, v[1:2], v[6:7]
	s_and_b64 vcc, s[0:1], vcc
	v_mov_b32_dpp v8, v4 quad_perm:[1,0,3,2] row_mask:0xf bank_mask:0xf bound_ctrl:1
	v_and_b32_e32 v8, 1, v8
	v_cndmask_b32_e32 v6, v6, v1, vcc
	v_cndmask_b32_e32 v7, v7, v2, vcc
	v_cmp_eq_u32_e32 vcc, 1, v8
	v_cndmask_b32_e32 v2, v2, v7, vcc
	v_cndmask_b32_e32 v1, v1, v6, vcc
	v_cndmask_b32_e64 v4, v4, 1, vcc
	v_mov_b32_dpp v7, v2 quad_perm:[2,3,0,1] row_mask:0xf bank_mask:0xf bound_ctrl:1
	v_mov_b32_dpp v6, v1 quad_perm:[2,3,0,1] row_mask:0xf bank_mask:0xf bound_ctrl:1
	v_and_b32_e32 v9, 1, v4
	v_cmp_lt_i64_e64 s[0:1], v[1:2], v[6:7]
	v_mov_b32_dpp v8, v4 quad_perm:[2,3,0,1] row_mask:0xf bank_mask:0xf bound_ctrl:1
	v_cmp_eq_u32_e32 vcc, 1, v9
	v_and_b32_e32 v8, 1, v8
	s_and_b64 vcc, vcc, s[0:1]
	v_cmp_eq_u32_e64 s[2:3], 1, v8
	v_cndmask_b32_e32 v6, v6, v1, vcc
	v_cndmask_b32_e32 v7, v7, v2, vcc
	v_cndmask_b32_e64 v1, v1, v6, s[2:3]
	v_cndmask_b32_e64 v2, v2, v7, s[2:3]
	;; [unrolled: 1-line block ×3, first 2 shown]
	v_mov_b32_dpp v6, v1 row_ror:4 row_mask:0xf bank_mask:0xf bound_ctrl:1
	v_mov_b32_dpp v7, v2 row_ror:4 row_mask:0xf bank_mask:0xf bound_ctrl:1
	v_and_b32_e32 v9, 1, v4
	v_cmp_lt_i64_e64 s[2:3], v[1:2], v[6:7]
	v_mov_b32_dpp v8, v4 row_ror:4 row_mask:0xf bank_mask:0xf bound_ctrl:1
	v_cmp_eq_u32_e32 vcc, 1, v9
	v_and_b32_e32 v8, 1, v8
	s_and_b64 vcc, vcc, s[2:3]
	v_cmp_eq_u32_e64 s[0:1], 1, v8
	v_cndmask_b32_e32 v6, v6, v1, vcc
	v_cndmask_b32_e32 v7, v7, v2, vcc
	v_cndmask_b32_e64 v1, v1, v6, s[0:1]
	v_cndmask_b32_e64 v2, v2, v7, s[0:1]
	;; [unrolled: 1-line block ×3, first 2 shown]
	v_mov_b32_dpp v6, v1 row_ror:8 row_mask:0xf bank_mask:0xf bound_ctrl:1
	v_mov_b32_dpp v7, v2 row_ror:8 row_mask:0xf bank_mask:0xf bound_ctrl:1
	v_and_b32_e32 v9, 1, v4
	v_cmp_lt_i64_e64 s[2:3], v[1:2], v[6:7]
	v_mov_b32_dpp v8, v4 row_ror:8 row_mask:0xf bank_mask:0xf bound_ctrl:1
	v_cmp_eq_u32_e64 s[8:9], 1, v9
	v_and_b32_e32 v8, 1, v8
	s_and_b64 s[2:3], s[8:9], s[2:3]
	v_cmp_eq_u32_e64 s[10:11], 1, v8
	v_cndmask_b32_e64 v6, v6, v1, s[2:3]
	v_cndmask_b32_e64 v7, v7, v2, s[2:3]
	v_cndmask_b32_e64 v4, v4, 1, s[10:11]
	v_cndmask_b32_e64 v1, v1, v6, s[10:11]
	v_cndmask_b32_e64 v2, v2, v7, s[10:11]
	v_mov_b32_dpp v8, v4 row_bcast:15 row_mask:0xf bank_mask:0xf bound_ctrl:1
	v_mov_b32_dpp v6, v1 row_bcast:15 row_mask:0xf bank_mask:0xf bound_ctrl:1
	;; [unrolled: 1-line block ×3, first 2 shown]
	v_and_b32_e32 v9, 1, v4
	v_and_b32_e32 v8, 1, v8
	v_cmp_lt_i64_e64 s[2:3], v[1:2], v[6:7]
	v_cmp_eq_u32_e32 vcc, 1, v9
	v_cmp_eq_u32_e64 s[0:1], 1, v8
	v_cndmask_b32_e64 v4, v4, 1, s[0:1]
	s_and_b64 vcc, vcc, s[2:3]
	v_cndmask_b32_e32 v6, v6, v1, vcc
	v_mov_b32_dpp v8, v4 row_bcast:31 row_mask:0xf bank_mask:0xf bound_ctrl:1
	v_cndmask_b32_e32 v7, v7, v2, vcc
	v_and_b32_e32 v9, 1, v4
	v_and_b32_e32 v8, 1, v8
	v_cndmask_b32_e64 v1, v1, v6, s[0:1]
	v_cndmask_b32_e64 v2, v2, v7, s[0:1]
	v_cmp_eq_u32_e64 s[12:13], 1, v9
	v_cmp_eq_u32_e64 s[8:9], 1, v8
	v_mov_b32_dpp v8, v1 row_bcast:31 row_mask:0xf bank_mask:0xf bound_ctrl:1
	v_mov_b32_dpp v9, v2 row_bcast:31 row_mask:0xf bank_mask:0xf bound_ctrl:1
	v_cmp_lt_i64_e32 vcc, v[1:2], v[8:9]
	v_cndmask_b32_e64 v4, v4, 1, s[8:9]
	s_and_b64 vcc, s[12:13], vcc
	ds_bpermute_b32 v7, v11, v4
	v_cndmask_b32_e32 v4, v8, v1, vcc
	v_cndmask_b32_e32 v6, v9, v2, vcc
	v_cndmask_b32_e64 v1, v1, v4, s[8:9]
	v_cndmask_b32_e64 v2, v2, v6, s[8:9]
	ds_bpermute_b32 v1, v11, v1
	ds_bpermute_b32 v2, v11, v2
	v_cmp_eq_u32_e32 vcc, 0, v3
	s_and_saveexec_b64 s[0:1], vcc
	s_cbranch_execz .LBB550_224
; %bb.223:
	v_lshrrev_b32_e32 v4, 2, v0
	v_and_b32_e32 v4, 16, v4
	s_waitcnt lgkmcnt(2)
	ds_write_b8 v4, v7 offset:32
	s_waitcnt lgkmcnt(1)
	ds_write_b64 v4, v[1:2] offset:40
.LBB550_224:
	s_or_b64 exec, exec, s[0:1]
	v_cmp_gt_u32_e32 vcc, 64, v0
	s_waitcnt lgkmcnt(0)
	s_barrier
	s_and_saveexec_b64 s[0:1], vcc
	s_cbranch_execz .LBB550_230
; %bb.225:
	v_and_b32_e32 v1, 1, v3
	v_lshlrev_b32_e32 v1, 4, v1
	ds_read_u8 v8, v1 offset:32
	ds_read_b64 v[3:4], v1 offset:40
	v_or_b32_e32 v2, 4, v5
	s_waitcnt lgkmcnt(1)
	v_and_b32_e32 v1, 0xff, v8
	ds_bpermute_b32 v9, v2, v1
	s_waitcnt lgkmcnt(1)
	ds_bpermute_b32 v5, v2, v3
	ds_bpermute_b32 v6, v2, v4
	s_waitcnt lgkmcnt(2)
	v_and_b32_e32 v1, v8, v9
	v_and_b32_e32 v1, 1, v1
	v_cmp_eq_u32_e32 vcc, 1, v1
                                        ; implicit-def: $vgpr1_vgpr2
	s_and_saveexec_b64 s[2:3], vcc
	s_xor_b64 s[2:3], exec, s[2:3]
	s_cbranch_execz .LBB550_227
; %bb.226:
	s_waitcnt lgkmcnt(0)
	v_cmp_lt_i64_e32 vcc, v[5:6], v[3:4]
                                        ; implicit-def: $vgpr8
                                        ; implicit-def: $vgpr9
	v_cndmask_b32_e32 v2, v4, v6, vcc
	v_cndmask_b32_e32 v1, v3, v5, vcc
                                        ; implicit-def: $vgpr5_vgpr6
                                        ; implicit-def: $vgpr3_vgpr4
.LBB550_227:
	s_or_saveexec_b64 s[2:3], s[2:3]
	v_mov_b32_e32 v7, 1
	s_xor_b64 exec, exec, s[2:3]
	s_cbranch_execz .LBB550_229
; %bb.228:
	v_and_b32_e32 v1, 1, v8
	v_cmp_eq_u32_e32 vcc, 1, v1
	s_waitcnt lgkmcnt(0)
	v_cndmask_b32_e32 v2, v6, v4, vcc
	v_cndmask_b32_e32 v1, v5, v3, vcc
	v_cndmask_b32_e64 v7, v9, 1, vcc
.LBB550_229:
	s_or_b64 exec, exec, s[2:3]
.LBB550_230:
	s_or_b64 exec, exec, s[0:1]
	s_branch .LBB550_285
.LBB550_231:
                                        ; implicit-def: $vgpr3_vgpr4
                                        ; implicit-def: $vgpr5
                                        ; implicit-def: $vgpr1_vgpr2
	s_cbranch_execnz .LBB550_290
	s_branch .LBB550_306
.LBB550_232:
                                        ; implicit-def: $vgpr3_vgpr4
                                        ; implicit-def: $vgpr5
                                        ; implicit-def: $vgpr1_vgpr2
	s_branch .LBB550_306
.LBB550_233:
                                        ; implicit-def: $vgpr1_vgpr2
                                        ; implicit-def: $vgpr7
	s_cbranch_execz .LBB550_285
; %bb.234:
	s_sub_i32 s10, s22, s30
	s_waitcnt lgkmcnt(0)
	v_mov_b32_e32 v3, 0
	v_mov_b32_e32 v1, 0
	v_cmp_gt_u32_e32 vcc, s10, v0
	v_mov_b32_e32 v6, 0
	v_mov_b32_e32 v4, 0
	;; [unrolled: 1-line block ×4, first 2 shown]
	s_and_saveexec_b64 s[0:1], vcc
	s_cbranch_execz .LBB550_236
; %bb.235:
	v_lshlrev_b32_e32 v1, 2, v0
	global_load_dword v5, v1, s[16:17]
	global_load_dword v7, v1, s[28:29]
	v_mov_b32_e32 v2, s34
	v_add_co_u32_e32 v1, vcc, s31, v0
	v_addc_co_u32_e32 v2, vcc, 0, v2, vcc
	s_waitcnt vmcnt(0)
	v_cmp_ne_u32_e32 vcc, v5, v7
	v_cndmask_b32_e64 v5, 0, 1, vcc
.LBB550_236:
	s_or_b64 exec, exec, s[0:1]
	v_or_b32_e32 v7, 0x80, v0
	v_cmp_gt_u32_e32 vcc, s10, v7
	s_and_saveexec_b64 s[2:3], vcc
	s_cbranch_execz .LBB550_238
; %bb.237:
	v_lshlrev_b32_e32 v3, 2, v0
	global_load_dword v6, v3, s[16:17] offset:512
	global_load_dword v8, v3, s[28:29] offset:512
	v_mov_b32_e32 v4, s34
	v_add_co_u32_e64 v3, s[0:1], s31, v7
	v_addc_co_u32_e64 v4, s[0:1], 0, v4, s[0:1]
	s_waitcnt vmcnt(0)
	v_cmp_ne_u32_e64 s[0:1], v6, v8
	v_cndmask_b32_e64 v6, 0, 1, s[0:1]
.LBB550_238:
	s_or_b64 exec, exec, s[2:3]
	v_and_b32_e32 v8, 0xffff, v6
	v_and_b32_e32 v6, 1, v6
	v_cmp_lt_i64_e64 s[2:3], v[3:4], v[1:2]
	v_and_b32_e32 v7, 0xffff, v5
	v_cmp_eq_u32_e64 s[0:1], 1, v6
	v_and_b32_e32 v5, 1, v5
	v_cmp_eq_u32_e64 s[8:9], 1, v5
	s_and_b64 s[0:1], s[0:1], s[2:3]
	v_cndmask_b32_e64 v5, v8, 1, s[8:9]
	v_cndmask_b32_e64 v8, v1, v3, s[0:1]
	;; [unrolled: 1-line block ×3, first 2 shown]
	v_cndmask_b32_e32 v1, v1, v3, vcc
	v_mbcnt_lo_u32_b32 v3, -1, 0
	v_cndmask_b32_e64 v6, v2, v4, s[0:1]
	v_cndmask_b32_e32 v7, v7, v5, vcc
	v_mbcnt_hi_u32_b32 v5, -1, v3
	v_cndmask_b32_e64 v4, v4, v6, s[8:9]
	v_and_b32_e32 v6, 63, v5
	v_cndmask_b32_e32 v2, v2, v4, vcc
	v_cmp_ne_u32_e32 vcc, 63, v6
	v_addc_co_u32_e32 v3, vcc, 0, v5, vcc
	v_lshlrev_b32_e32 v4, 2, v3
	ds_bpermute_b32 v9, v4, v7
	ds_bpermute_b32 v3, v4, v1
	;; [unrolled: 1-line block ×3, first 2 shown]
	s_min_u32 s8, s10, 0x80
	v_and_b32_e32 v8, 64, v0
	v_sub_u32_e64 v8, s8, v8 clamp
	v_add_u32_e32 v10, 1, v6
	v_cmp_lt_u32_e32 vcc, v10, v8
	s_and_saveexec_b64 s[0:1], vcc
	s_cbranch_execz .LBB550_244
; %bb.239:
	s_waitcnt lgkmcnt(2)
	v_and_b32_e32 v10, v9, v7
	v_cmp_ne_u32_e32 vcc, 0, v10
	s_and_saveexec_b64 s[2:3], vcc
	s_xor_b64 s[2:3], exec, s[2:3]
	s_cbranch_execz .LBB550_241
; %bb.240:
	s_waitcnt lgkmcnt(0)
	v_cmp_lt_i64_e32 vcc, v[3:4], v[1:2]
                                        ; implicit-def: $vgpr7
                                        ; implicit-def: $vgpr9
	v_cndmask_b32_e32 v2, v2, v4, vcc
	v_cndmask_b32_e32 v1, v1, v3, vcc
                                        ; implicit-def: $vgpr3_vgpr4
.LBB550_241:
	s_or_saveexec_b64 s[2:3], s[2:3]
	v_mov_b32_e32 v10, 1
	s_xor_b64 exec, exec, s[2:3]
	s_cbranch_execz .LBB550_243
; %bb.242:
	v_and_b32_e32 v7, 1, v7
	v_cmp_eq_u32_e32 vcc, 1, v7
	s_waitcnt lgkmcnt(1)
	v_cndmask_b32_e32 v1, v3, v1, vcc
	v_and_b32_e32 v3, 0xff, v9
	s_waitcnt lgkmcnt(0)
	v_cndmask_b32_e32 v2, v4, v2, vcc
	v_cndmask_b32_e64 v10, v3, 1, vcc
.LBB550_243:
	s_or_b64 exec, exec, s[2:3]
	v_mov_b32_e32 v7, v10
.LBB550_244:
	s_or_b64 exec, exec, s[0:1]
	v_cmp_gt_u32_e32 vcc, 62, v6
	s_waitcnt lgkmcnt(1)
	v_cndmask_b32_e64 v3, 0, 2, vcc
	s_waitcnt lgkmcnt(0)
	v_add_lshl_u32 v4, v3, v5, 2
	ds_bpermute_b32 v9, v4, v7
	ds_bpermute_b32 v3, v4, v1
	ds_bpermute_b32 v4, v4, v2
	v_add_u32_e32 v10, 2, v6
	v_cmp_lt_u32_e32 vcc, v10, v8
	s_and_saveexec_b64 s[0:1], vcc
	s_cbranch_execz .LBB550_250
; %bb.245:
	s_waitcnt lgkmcnt(2)
	v_and_b32_e32 v10, v7, v9
	v_and_b32_e32 v10, 1, v10
	v_cmp_eq_u32_e32 vcc, 1, v10
	s_and_saveexec_b64 s[2:3], vcc
	s_xor_b64 s[2:3], exec, s[2:3]
	s_cbranch_execz .LBB550_247
; %bb.246:
	s_waitcnt lgkmcnt(0)
	v_cmp_lt_i64_e32 vcc, v[3:4], v[1:2]
                                        ; implicit-def: $vgpr7
                                        ; implicit-def: $vgpr9
	v_cndmask_b32_e32 v2, v2, v4, vcc
	v_cndmask_b32_e32 v1, v1, v3, vcc
                                        ; implicit-def: $vgpr3_vgpr4
.LBB550_247:
	s_or_saveexec_b64 s[2:3], s[2:3]
	v_mov_b32_e32 v10, 1
	s_xor_b64 exec, exec, s[2:3]
	s_cbranch_execz .LBB550_249
; %bb.248:
	v_and_b32_e32 v7, 1, v7
	v_cmp_eq_u32_e32 vcc, 1, v7
	s_waitcnt lgkmcnt(1)
	v_cndmask_b32_e32 v1, v3, v1, vcc
	v_and_b32_e32 v3, 0xff, v9
	s_waitcnt lgkmcnt(0)
	v_cndmask_b32_e32 v2, v4, v2, vcc
	v_cndmask_b32_e64 v10, v3, 1, vcc
.LBB550_249:
	s_or_b64 exec, exec, s[2:3]
	v_mov_b32_e32 v7, v10
.LBB550_250:
	s_or_b64 exec, exec, s[0:1]
	v_cmp_gt_u32_e32 vcc, 60, v6
	s_waitcnt lgkmcnt(1)
	v_cndmask_b32_e64 v3, 0, 4, vcc
	s_waitcnt lgkmcnt(0)
	v_add_lshl_u32 v4, v3, v5, 2
	ds_bpermute_b32 v9, v4, v7
	ds_bpermute_b32 v3, v4, v1
	ds_bpermute_b32 v4, v4, v2
	v_add_u32_e32 v10, 4, v6
	v_cmp_lt_u32_e32 vcc, v10, v8
	s_and_saveexec_b64 s[0:1], vcc
	s_cbranch_execz .LBB550_256
; %bb.251:
	s_waitcnt lgkmcnt(2)
	v_and_b32_e32 v10, v7, v9
	v_and_b32_e32 v10, 1, v10
	v_cmp_eq_u32_e32 vcc, 1, v10
	s_and_saveexec_b64 s[2:3], vcc
	s_xor_b64 s[2:3], exec, s[2:3]
	s_cbranch_execz .LBB550_253
; %bb.252:
	s_waitcnt lgkmcnt(0)
	v_cmp_lt_i64_e32 vcc, v[3:4], v[1:2]
                                        ; implicit-def: $vgpr7
                                        ; implicit-def: $vgpr9
	v_cndmask_b32_e32 v2, v2, v4, vcc
	v_cndmask_b32_e32 v1, v1, v3, vcc
                                        ; implicit-def: $vgpr3_vgpr4
.LBB550_253:
	s_or_saveexec_b64 s[2:3], s[2:3]
	v_mov_b32_e32 v10, 1
	s_xor_b64 exec, exec, s[2:3]
	s_cbranch_execz .LBB550_255
; %bb.254:
	v_and_b32_e32 v7, 1, v7
	v_cmp_eq_u32_e32 vcc, 1, v7
	s_waitcnt lgkmcnt(1)
	v_cndmask_b32_e32 v1, v3, v1, vcc
	v_and_b32_e32 v3, 0xff, v9
	s_waitcnt lgkmcnt(0)
	v_cndmask_b32_e32 v2, v4, v2, vcc
	v_cndmask_b32_e64 v10, v3, 1, vcc
.LBB550_255:
	s_or_b64 exec, exec, s[2:3]
	v_mov_b32_e32 v7, v10
.LBB550_256:
	;; [unrolled: 47-line block ×4, first 2 shown]
	s_or_b64 exec, exec, s[0:1]
	s_waitcnt lgkmcnt(2)
	v_lshlrev_b32_e32 v9, 2, v5
	s_waitcnt lgkmcnt(0)
	v_or_b32_e32 v4, 0x80, v9
	ds_bpermute_b32 v10, v4, v7
	ds_bpermute_b32 v3, v4, v1
	;; [unrolled: 1-line block ×3, first 2 shown]
	v_add_u32_e32 v6, 32, v6
	v_cmp_lt_u32_e32 vcc, v6, v8
	v_mov_b32_e32 v6, v7
	s_and_saveexec_b64 s[0:1], vcc
	s_cbranch_execz .LBB550_274
; %bb.269:
	s_waitcnt lgkmcnt(2)
	v_and_b32_e32 v6, v7, v10
	v_and_b32_e32 v6, 1, v6
	v_cmp_eq_u32_e32 vcc, 1, v6
	s_and_saveexec_b64 s[2:3], vcc
	s_xor_b64 s[2:3], exec, s[2:3]
	s_cbranch_execz .LBB550_271
; %bb.270:
	s_waitcnt lgkmcnt(0)
	v_cmp_lt_i64_e32 vcc, v[3:4], v[1:2]
                                        ; implicit-def: $vgpr7
                                        ; implicit-def: $vgpr10
	v_cndmask_b32_e32 v2, v2, v4, vcc
	v_cndmask_b32_e32 v1, v1, v3, vcc
                                        ; implicit-def: $vgpr3_vgpr4
.LBB550_271:
	s_or_saveexec_b64 s[2:3], s[2:3]
	v_mov_b32_e32 v6, 1
	s_xor_b64 exec, exec, s[2:3]
	s_cbranch_execz .LBB550_273
; %bb.272:
	v_and_b32_e32 v6, 1, v7
	v_cmp_eq_u32_e32 vcc, 1, v6
	v_cndmask_b32_e64 v6, v10, 1, vcc
	s_waitcnt lgkmcnt(0)
	v_cndmask_b32_e32 v2, v4, v2, vcc
	v_cndmask_b32_e32 v1, v3, v1, vcc
.LBB550_273:
	s_or_b64 exec, exec, s[2:3]
	v_and_b32_e32 v7, 0xff, v6
.LBB550_274:
	s_or_b64 exec, exec, s[0:1]
	v_cmp_eq_u32_e32 vcc, 0, v5
	s_and_saveexec_b64 s[0:1], vcc
	s_cbranch_execz .LBB550_276
; %bb.275:
	s_waitcnt lgkmcnt(1)
	v_lshrrev_b32_e32 v3, 2, v0
	v_and_b32_e32 v3, 16, v3
	ds_write_b8 v3, v6 offset:128
	ds_write_b64 v3, v[1:2] offset:136
.LBB550_276:
	s_or_b64 exec, exec, s[0:1]
	v_cmp_gt_u32_e32 vcc, 2, v0
	s_waitcnt lgkmcnt(0)
	s_barrier
	s_and_saveexec_b64 s[0:1], vcc
	s_cbranch_execz .LBB550_284
; %bb.277:
	v_lshlrev_b32_e32 v1, 4, v5
	ds_read_u8 v6, v1 offset:128
	ds_read_b64 v[1:2], v1 offset:136
	v_or_b32_e32 v4, 4, v9
	s_add_i32 s8, s8, 63
	v_and_b32_e32 v5, 1, v5
	s_waitcnt lgkmcnt(1)
	v_and_b32_e32 v7, 0xff, v6
	s_waitcnt lgkmcnt(0)
	ds_bpermute_b32 v3, v4, v1
	ds_bpermute_b32 v8, v4, v7
	;; [unrolled: 1-line block ×3, first 2 shown]
	s_lshr_b32 s2, s8, 6
	v_add_u32_e32 v5, 1, v5
	v_cmp_gt_u32_e32 vcc, s2, v5
	s_and_saveexec_b64 s[2:3], vcc
	s_cbranch_execz .LBB550_283
; %bb.278:
	s_waitcnt lgkmcnt(1)
	v_and_b32_e32 v5, v7, v8
	v_and_b32_e32 v5, 1, v5
	v_cmp_eq_u32_e32 vcc, 1, v5
	s_and_saveexec_b64 s[8:9], vcc
	s_xor_b64 s[8:9], exec, s[8:9]
	s_cbranch_execz .LBB550_280
; %bb.279:
	s_waitcnt lgkmcnt(0)
	v_cmp_lt_i64_e32 vcc, v[3:4], v[1:2]
                                        ; implicit-def: $vgpr6
                                        ; implicit-def: $vgpr8
	v_cndmask_b32_e32 v2, v2, v4, vcc
	v_cndmask_b32_e32 v1, v1, v3, vcc
                                        ; implicit-def: $vgpr3_vgpr4
.LBB550_280:
	s_or_saveexec_b64 s[8:9], s[8:9]
	v_mov_b32_e32 v7, 1
	s_xor_b64 exec, exec, s[8:9]
	s_cbranch_execz .LBB550_282
; %bb.281:
	v_and_b32_e32 v5, 1, v6
	v_cmp_eq_u32_e32 vcc, 1, v5
	s_waitcnt lgkmcnt(0)
	v_cndmask_b32_e32 v2, v4, v2, vcc
	v_cndmask_b32_e32 v1, v3, v1, vcc
	v_cndmask_b32_e64 v7, v8, 1, vcc
.LBB550_282:
	s_or_b64 exec, exec, s[8:9]
.LBB550_283:
	s_or_b64 exec, exec, s[2:3]
.LBB550_284:
	s_or_b64 exec, exec, s[0:1]
.LBB550_285:
	v_cmp_eq_u32_e32 vcc, 0, v0
                                        ; implicit-def: $vgpr3_vgpr4
                                        ; implicit-def: $vgpr5
	s_and_saveexec_b64 s[0:1], vcc
	s_xor_b64 s[8:9], exec, s[0:1]
	s_cbranch_execz .LBB550_289
; %bb.286:
	s_waitcnt lgkmcnt(0)
	v_mov_b32_e32 v3, s18
	s_cmp_eq_u64 s[22:23], 0
	v_mov_b32_e32 v4, s19
	v_mov_b32_e32 v5, s33
	s_cbranch_scc1 .LBB550_288
; %bb.287:
	v_and_b32_e32 v3, 1, v7
	v_cmp_gt_i64_e64 s[0:1], s[18:19], v[1:2]
	s_bitcmp1_b32 s33, 0
	v_cmp_eq_u32_e32 vcc, 1, v3
	s_cselect_b64 s[2:3], -1, 0
	v_mov_b32_e32 v3, s18
	s_and_b64 vcc, vcc, s[0:1]
	v_mov_b32_e32 v4, s19
	v_cndmask_b32_e32 v3, v3, v1, vcc
	v_cndmask_b32_e32 v4, v4, v2, vcc
	v_cndmask_b32_e64 v5, v7, 1, s[2:3]
	v_cndmask_b32_e64 v4, v2, v4, s[2:3]
	v_cndmask_b32_e64 v3, v1, v3, s[2:3]
.LBB550_288:
	s_or_b64 s[14:15], s[14:15], exec
.LBB550_289:
	s_or_b64 exec, exec, s[8:9]
	v_mov_b32_e32 v1, s6
	v_mov_b32_e32 v2, s7
	s_branch .LBB550_306
.LBB550_290:
	s_cmp_eq_u32 s38, 1
	s_cbranch_scc0 .LBB550_305
; %bb.291:
	s_mov_b32 s9, 0
	s_lshl_b32 s8, s6, 7
	s_mov_b32 s7, s9
	s_lshr_b64 s[0:1], s[22:23], 7
	s_cmp_lg_u64 s[0:1], s[6:7]
	s_cbranch_scc0 .LBB550_309
; %bb.292:
	s_lshl_b64 s[0:1], s[8:9], 2
	s_add_u32 s2, s24, s0
	s_addc_u32 s3, s25, s1
	s_add_u32 s0, s26, s0
	v_lshlrev_b32_e32 v1, 2, v0
	s_addc_u32 s1, s27, s1
	s_waitcnt lgkmcnt(1)
	global_load_dword v5, v1, s[2:3]
	s_waitcnt lgkmcnt(0)
	global_load_dword v6, v1, s[0:1]
	s_add_u32 s0, s20, s8
	s_addc_u32 s1, s21, 0
	v_mov_b32_e32 v2, s1
	v_add_co_u32_e32 v1, vcc, s0, v0
	v_addc_co_u32_e32 v2, vcc, 0, v2, vcc
	s_nop 0
	v_mov_b32_dpp v3, v1 quad_perm:[1,0,3,2] row_mask:0xf bank_mask:0xf bound_ctrl:1
	v_mov_b32_dpp v4, v2 quad_perm:[1,0,3,2] row_mask:0xf bank_mask:0xf bound_ctrl:1
	v_cmp_lt_i64_e32 vcc, v[1:2], v[3:4]
                                        ; implicit-def: $vgpr7
	s_waitcnt vmcnt(0)
	v_cmp_ne_u32_e64 s[0:1], v5, v6
	v_cndmask_b32_e64 v5, 0, 1, s[0:1]
	s_and_b64 vcc, s[0:1], vcc
	v_cndmask_b32_e32 v3, v3, v1, vcc
	v_mov_b32_dpp v5, v5 quad_perm:[1,0,3,2] row_mask:0xf bank_mask:0xf bound_ctrl:1
	v_and_b32_e32 v5, 1, v5
	v_cndmask_b32_e32 v4, v4, v2, vcc
	v_cmp_eq_u32_e32 vcc, 1, v5
	s_or_b64 s[0:1], vcc, s[0:1]
	v_cndmask_b32_e32 v3, v1, v3, vcc
	v_cndmask_b32_e64 v1, 0, 1, s[0:1]
	v_cndmask_b32_e32 v4, v2, v4, vcc
	v_mov_b32_dpp v5, v3 quad_perm:[2,3,0,1] row_mask:0xf bank_mask:0xf bound_ctrl:1
	v_mov_b32_dpp v1, v1 quad_perm:[2,3,0,1] row_mask:0xf bank_mask:0xf bound_ctrl:1
	v_and_b32_e32 v1, 1, v1
	v_cmp_eq_u32_e32 vcc, 1, v1
	s_and_b64 s[2:3], vcc, s[0:1]
	v_mov_b32_dpp v6, v4 quad_perm:[2,3,0,1] row_mask:0xf bank_mask:0xf bound_ctrl:1
	s_xor_b64 s[2:3], s[2:3], -1
                                        ; implicit-def: $vgpr1_vgpr2
	s_and_saveexec_b64 s[10:11], s[2:3]
	s_xor_b64 s[2:3], exec, s[10:11]
; %bb.293:
	s_or_b64 s[0:1], vcc, s[0:1]
	v_cndmask_b32_e32 v2, v4, v6, vcc
	v_cndmask_b32_e32 v1, v3, v5, vcc
	v_cndmask_b32_e64 v7, 0, 1, s[0:1]
                                        ; implicit-def: $vgpr3_vgpr4
                                        ; implicit-def: $vgpr5_vgpr6
; %bb.294:
	s_andn2_saveexec_b64 s[0:1], s[2:3]
; %bb.295:
	v_cmp_lt_i64_e32 vcc, v[3:4], v[5:6]
	v_mov_b32_e32 v7, 1
	v_cndmask_b32_e32 v2, v6, v4, vcc
	v_cndmask_b32_e32 v1, v5, v3, vcc
; %bb.296:
	s_or_b64 exec, exec, s[0:1]
	s_nop 0
	v_mov_b32_dpp v4, v1 row_ror:4 row_mask:0xf bank_mask:0xf bound_ctrl:1
	v_mov_b32_dpp v5, v2 row_ror:4 row_mask:0xf bank_mask:0xf bound_ctrl:1
	v_and_b32_e32 v8, 1, v7
	v_cmp_lt_i64_e64 s[0:1], v[1:2], v[4:5]
	v_mov_b32_dpp v6, v7 row_ror:4 row_mask:0xf bank_mask:0xf bound_ctrl:1
	v_cmp_eq_u32_e32 vcc, 1, v8
	v_and_b32_e32 v6, 1, v6
	s_and_b64 vcc, vcc, s[0:1]
	v_cmp_eq_u32_e64 s[2:3], 1, v6
	v_cndmask_b32_e32 v4, v4, v1, vcc
	v_cndmask_b32_e32 v5, v5, v2, vcc
	v_cndmask_b32_e64 v2, v2, v5, s[2:3]
	v_cndmask_b32_e64 v1, v1, v4, s[2:3]
	;; [unrolled: 1-line block ×3, first 2 shown]
	v_mov_b32_dpp v5, v2 row_ror:8 row_mask:0xf bank_mask:0xf bound_ctrl:1
	v_mov_b32_dpp v4, v1 row_ror:8 row_mask:0xf bank_mask:0xf bound_ctrl:1
	v_and_b32_e32 v8, 1, v6
	v_cmp_lt_i64_e64 s[0:1], v[1:2], v[4:5]
	v_mov_b32_dpp v7, v6 row_ror:8 row_mask:0xf bank_mask:0xf bound_ctrl:1
	v_cmp_eq_u32_e32 vcc, 1, v8
	v_and_b32_e32 v7, 1, v7
	s_and_b64 vcc, vcc, s[0:1]
	v_cmp_eq_u32_e64 s[2:3], 1, v7
	v_cndmask_b32_e32 v4, v4, v1, vcc
	v_cndmask_b32_e32 v5, v5, v2, vcc
	v_cndmask_b32_e64 v2, v2, v5, s[2:3]
	v_cndmask_b32_e64 v1, v1, v4, s[2:3]
	v_cndmask_b32_e64 v6, v6, 1, s[2:3]
	v_mov_b32_dpp v5, v2 row_bcast:15 row_mask:0xf bank_mask:0xf bound_ctrl:1
	v_mov_b32_dpp v4, v1 row_bcast:15 row_mask:0xf bank_mask:0xf bound_ctrl:1
	v_and_b32_e32 v8, 1, v6
	v_cmp_lt_i64_e64 s[0:1], v[1:2], v[4:5]
	v_mov_b32_dpp v7, v6 row_bcast:15 row_mask:0xf bank_mask:0xf bound_ctrl:1
	v_cmp_eq_u32_e32 vcc, 1, v8
	v_and_b32_e32 v7, 1, v7
	s_and_b64 vcc, vcc, s[0:1]
	v_cmp_eq_u32_e64 s[2:3], 1, v7
	v_cndmask_b32_e32 v4, v4, v1, vcc
	v_cndmask_b32_e32 v5, v5, v2, vcc
	v_cndmask_b32_e64 v2, v2, v5, s[2:3]
	v_cndmask_b32_e64 v1, v1, v4, s[2:3]
	;; [unrolled: 1-line block ×3, first 2 shown]
	v_mov_b32_dpp v5, v2 row_bcast:31 row_mask:0xf bank_mask:0xf bound_ctrl:1
	v_mov_b32_dpp v4, v1 row_bcast:31 row_mask:0xf bank_mask:0xf bound_ctrl:1
	v_and_b32_e32 v8, 1, v6
	v_cmp_lt_i64_e64 s[0:1], v[1:2], v[4:5]
	v_mov_b32_dpp v7, v6 row_bcast:31 row_mask:0xf bank_mask:0xf bound_ctrl:1
	v_cmp_eq_u32_e32 vcc, 1, v8
	v_mbcnt_lo_u32_b32 v3, -1, 0
	v_and_b32_e32 v7, 1, v7
	s_and_b64 vcc, vcc, s[0:1]
	v_mbcnt_hi_u32_b32 v3, -1, v3
	v_cmp_eq_u32_e64 s[2:3], 1, v7
	v_cndmask_b32_e32 v5, v5, v2, vcc
	v_cndmask_b32_e32 v4, v4, v1, vcc
	v_cndmask_b32_e64 v2, v2, v5, s[2:3]
	v_lshlrev_b32_e32 v5, 2, v3
	v_cndmask_b32_e64 v6, v6, 1, s[2:3]
	v_cndmask_b32_e64 v1, v1, v4, s[2:3]
	v_or_b32_e32 v4, 0xfc, v5
	ds_bpermute_b32 v7, v4, v6
	ds_bpermute_b32 v1, v4, v1
	;; [unrolled: 1-line block ×3, first 2 shown]
	v_cmp_eq_u32_e32 vcc, 0, v3
	s_and_saveexec_b64 s[0:1], vcc
	s_cbranch_execz .LBB550_298
; %bb.297:
	v_lshrrev_b32_e32 v4, 2, v0
	v_and_b32_e32 v4, 16, v4
	s_waitcnt lgkmcnt(2)
	ds_write_b8 v4, v7
	s_waitcnt lgkmcnt(1)
	ds_write_b64 v4, v[1:2] offset:8
.LBB550_298:
	s_or_b64 exec, exec, s[0:1]
	v_cmp_gt_u32_e32 vcc, 64, v0
	s_waitcnt lgkmcnt(0)
	s_barrier
	s_and_saveexec_b64 s[0:1], vcc
	s_cbranch_execz .LBB550_304
; %bb.299:
	v_and_b32_e32 v1, 1, v3
	v_lshlrev_b32_e32 v1, 4, v1
	ds_read_u8 v8, v1
	ds_read_b64 v[3:4], v1 offset:8
	v_or_b32_e32 v2, 4, v5
	s_waitcnt lgkmcnt(1)
	v_and_b32_e32 v1, 0xff, v8
	ds_bpermute_b32 v9, v2, v1
	s_waitcnt lgkmcnt(1)
	ds_bpermute_b32 v5, v2, v3
	ds_bpermute_b32 v6, v2, v4
	s_waitcnt lgkmcnt(2)
	v_and_b32_e32 v1, v8, v9
	v_and_b32_e32 v1, 1, v1
	v_cmp_eq_u32_e32 vcc, 1, v1
                                        ; implicit-def: $vgpr1_vgpr2
	s_and_saveexec_b64 s[2:3], vcc
	s_xor_b64 s[2:3], exec, s[2:3]
	s_cbranch_execz .LBB550_301
; %bb.300:
	s_waitcnt lgkmcnt(0)
	v_cmp_lt_i64_e32 vcc, v[5:6], v[3:4]
                                        ; implicit-def: $vgpr8
                                        ; implicit-def: $vgpr9
	v_cndmask_b32_e32 v2, v4, v6, vcc
	v_cndmask_b32_e32 v1, v3, v5, vcc
                                        ; implicit-def: $vgpr5_vgpr6
                                        ; implicit-def: $vgpr3_vgpr4
.LBB550_301:
	s_or_saveexec_b64 s[2:3], s[2:3]
	v_mov_b32_e32 v7, 1
	s_xor_b64 exec, exec, s[2:3]
	s_cbranch_execz .LBB550_303
; %bb.302:
	v_and_b32_e32 v1, 1, v8
	v_cmp_eq_u32_e32 vcc, 1, v1
	s_waitcnt lgkmcnt(0)
	v_cndmask_b32_e32 v2, v6, v4, vcc
	v_cndmask_b32_e32 v1, v5, v3, vcc
	v_cndmask_b32_e64 v7, v9, 1, vcc
.LBB550_303:
	s_or_b64 exec, exec, s[2:3]
.LBB550_304:
	s_or_b64 exec, exec, s[0:1]
	s_branch .LBB550_359
.LBB550_305:
                                        ; implicit-def: $vgpr3_vgpr4
                                        ; implicit-def: $vgpr5
                                        ; implicit-def: $vgpr1_vgpr2
.LBB550_306:
	s_and_saveexec_b64 s[0:1], s[14:15]
	s_cbranch_execz .LBB550_308
.LBB550_307:
	s_load_dwordx2 s[0:1], s[4:5], 0x38
	v_lshlrev_b64 v[0:1], 4, v[1:2]
	s_waitcnt lgkmcnt(0)
	v_mov_b32_e32 v2, s1
	v_add_co_u32_e32 v0, vcc, s0, v0
	v_addc_co_u32_e32 v1, vcc, v2, v1, vcc
	global_store_byte v[0:1], v5, off
	global_store_dwordx2 v[0:1], v[3:4], off offset:8
.LBB550_308:
	s_endpgm
.LBB550_309:
                                        ; implicit-def: $vgpr1_vgpr2
                                        ; implicit-def: $vgpr7
	s_cbranch_execz .LBB550_359
; %bb.310:
	s_sub_i32 s2, s22, s8
	v_mov_b32_e32 v1, 0
	v_cmp_gt_u32_e32 vcc, s2, v0
	v_mov_b32_e32 v2, 0
	v_mov_b32_e32 v9, 0
	s_and_saveexec_b64 s[0:1], vcc
	s_cbranch_execz .LBB550_312
; %bb.311:
	s_lshl_b64 s[10:11], s[8:9], 2
	s_add_u32 s12, s26, s10
	s_addc_u32 s13, s27, s11
	s_add_u32 s10, s24, s10
	s_addc_u32 s11, s25, s11
	v_lshlrev_b32_e32 v1, 2, v0
	s_waitcnt lgkmcnt(2)
	global_load_dword v3, v1, s[10:11]
	s_waitcnt lgkmcnt(0)
	global_load_dword v4, v1, s[12:13]
	s_add_u32 s3, s20, s8
	s_addc_u32 s8, s21, 0
	v_mov_b32_e32 v2, s8
	v_add_co_u32_e32 v1, vcc, s3, v0
	v_addc_co_u32_e32 v2, vcc, 0, v2, vcc
	s_waitcnt vmcnt(0)
	v_cmp_ne_u32_e32 vcc, v3, v4
	v_cndmask_b32_e64 v9, 0, 1, vcc
.LBB550_312:
	s_or_b64 exec, exec, s[0:1]
	s_waitcnt lgkmcnt(2)
	v_mbcnt_lo_u32_b32 v3, -1, 0
	s_waitcnt lgkmcnt(1)
	v_mbcnt_hi_u32_b32 v5, -1, v3
	s_waitcnt lgkmcnt(0)
	v_and_b32_e32 v6, 63, v5
	v_cmp_ne_u32_e32 vcc, 63, v6
	v_addc_co_u32_e32 v3, vcc, 0, v5, vcc
	v_and_b32_e32 v7, 0xffff, v9
	v_lshlrev_b32_e32 v4, 2, v3
	ds_bpermute_b32 v10, v4, v7
	ds_bpermute_b32 v3, v4, v1
	;; [unrolled: 1-line block ×3, first 2 shown]
	s_min_u32 s8, s2, 0x80
	v_and_b32_e32 v8, 64, v0
	v_sub_u32_e64 v8, s8, v8 clamp
	v_add_u32_e32 v11, 1, v6
	v_cmp_lt_u32_e32 vcc, v11, v8
	s_and_saveexec_b64 s[0:1], vcc
	s_cbranch_execz .LBB550_318
; %bb.313:
	s_waitcnt lgkmcnt(2)
	v_and_b32_e32 v7, v10, v7
	v_and_b32_e32 v7, 1, v7
	v_cmp_eq_u32_e32 vcc, 1, v7
	s_and_saveexec_b64 s[2:3], vcc
	s_xor_b64 s[2:3], exec, s[2:3]
	s_cbranch_execz .LBB550_315
; %bb.314:
	s_waitcnt lgkmcnt(0)
	v_cmp_lt_i64_e32 vcc, v[3:4], v[1:2]
                                        ; implicit-def: $vgpr9
                                        ; implicit-def: $vgpr10
	v_cndmask_b32_e32 v2, v2, v4, vcc
	v_cndmask_b32_e32 v1, v1, v3, vcc
                                        ; implicit-def: $vgpr3_vgpr4
.LBB550_315:
	s_or_saveexec_b64 s[2:3], s[2:3]
	v_mov_b32_e32 v7, 1
	s_xor_b64 exec, exec, s[2:3]
	s_cbranch_execz .LBB550_317
; %bb.316:
	v_and_b32_e32 v7, 1, v9
	v_cmp_eq_u32_e32 vcc, 1, v7
	s_waitcnt lgkmcnt(1)
	v_cndmask_b32_e32 v1, v3, v1, vcc
	v_and_b32_e32 v3, 0xff, v10
	s_waitcnt lgkmcnt(0)
	v_cndmask_b32_e32 v2, v4, v2, vcc
	v_cndmask_b32_e64 v7, v3, 1, vcc
.LBB550_317:
	s_or_b64 exec, exec, s[2:3]
.LBB550_318:
	s_or_b64 exec, exec, s[0:1]
	v_cmp_gt_u32_e32 vcc, 62, v6
	s_waitcnt lgkmcnt(1)
	v_cndmask_b32_e64 v3, 0, 2, vcc
	s_waitcnt lgkmcnt(0)
	v_add_lshl_u32 v4, v3, v5, 2
	ds_bpermute_b32 v9, v4, v7
	ds_bpermute_b32 v3, v4, v1
	ds_bpermute_b32 v4, v4, v2
	v_add_u32_e32 v10, 2, v6
	v_cmp_lt_u32_e32 vcc, v10, v8
	s_and_saveexec_b64 s[0:1], vcc
	s_cbranch_execz .LBB550_324
; %bb.319:
	s_waitcnt lgkmcnt(2)
	v_and_b32_e32 v10, v7, v9
	v_and_b32_e32 v10, 1, v10
	v_cmp_eq_u32_e32 vcc, 1, v10
	s_and_saveexec_b64 s[2:3], vcc
	s_xor_b64 s[2:3], exec, s[2:3]
	s_cbranch_execz .LBB550_321
; %bb.320:
	s_waitcnt lgkmcnt(0)
	v_cmp_lt_i64_e32 vcc, v[3:4], v[1:2]
                                        ; implicit-def: $vgpr7
                                        ; implicit-def: $vgpr9
	v_cndmask_b32_e32 v2, v2, v4, vcc
	v_cndmask_b32_e32 v1, v1, v3, vcc
                                        ; implicit-def: $vgpr3_vgpr4
.LBB550_321:
	s_or_saveexec_b64 s[2:3], s[2:3]
	v_mov_b32_e32 v10, 1
	s_xor_b64 exec, exec, s[2:3]
	s_cbranch_execz .LBB550_323
; %bb.322:
	v_and_b32_e32 v7, 1, v7
	v_cmp_eq_u32_e32 vcc, 1, v7
	s_waitcnt lgkmcnt(1)
	v_cndmask_b32_e32 v1, v3, v1, vcc
	v_and_b32_e32 v3, 0xff, v9
	s_waitcnt lgkmcnt(0)
	v_cndmask_b32_e32 v2, v4, v2, vcc
	v_cndmask_b32_e64 v10, v3, 1, vcc
.LBB550_323:
	s_or_b64 exec, exec, s[2:3]
	v_mov_b32_e32 v7, v10
.LBB550_324:
	s_or_b64 exec, exec, s[0:1]
	v_cmp_gt_u32_e32 vcc, 60, v6
	s_waitcnt lgkmcnt(1)
	v_cndmask_b32_e64 v3, 0, 4, vcc
	s_waitcnt lgkmcnt(0)
	v_add_lshl_u32 v4, v3, v5, 2
	ds_bpermute_b32 v9, v4, v7
	ds_bpermute_b32 v3, v4, v1
	ds_bpermute_b32 v4, v4, v2
	v_add_u32_e32 v10, 4, v6
	v_cmp_lt_u32_e32 vcc, v10, v8
	s_and_saveexec_b64 s[0:1], vcc
	s_cbranch_execz .LBB550_330
; %bb.325:
	s_waitcnt lgkmcnt(2)
	v_and_b32_e32 v10, v7, v9
	v_and_b32_e32 v10, 1, v10
	v_cmp_eq_u32_e32 vcc, 1, v10
	s_and_saveexec_b64 s[2:3], vcc
	s_xor_b64 s[2:3], exec, s[2:3]
	s_cbranch_execz .LBB550_327
; %bb.326:
	s_waitcnt lgkmcnt(0)
	v_cmp_lt_i64_e32 vcc, v[3:4], v[1:2]
                                        ; implicit-def: $vgpr7
                                        ; implicit-def: $vgpr9
	v_cndmask_b32_e32 v2, v2, v4, vcc
	v_cndmask_b32_e32 v1, v1, v3, vcc
                                        ; implicit-def: $vgpr3_vgpr4
.LBB550_327:
	s_or_saveexec_b64 s[2:3], s[2:3]
	v_mov_b32_e32 v10, 1
	s_xor_b64 exec, exec, s[2:3]
	s_cbranch_execz .LBB550_329
; %bb.328:
	v_and_b32_e32 v7, 1, v7
	v_cmp_eq_u32_e32 vcc, 1, v7
	s_waitcnt lgkmcnt(1)
	v_cndmask_b32_e32 v1, v3, v1, vcc
	v_and_b32_e32 v3, 0xff, v9
	s_waitcnt lgkmcnt(0)
	v_cndmask_b32_e32 v2, v4, v2, vcc
	v_cndmask_b32_e64 v10, v3, 1, vcc
.LBB550_329:
	s_or_b64 exec, exec, s[2:3]
	v_mov_b32_e32 v7, v10
.LBB550_330:
	;; [unrolled: 47-line block ×4, first 2 shown]
	s_or_b64 exec, exec, s[0:1]
	s_waitcnt lgkmcnt(2)
	v_lshlrev_b32_e32 v9, 2, v5
	s_waitcnt lgkmcnt(0)
	v_or_b32_e32 v4, 0x80, v9
	ds_bpermute_b32 v10, v4, v7
	ds_bpermute_b32 v3, v4, v1
	;; [unrolled: 1-line block ×3, first 2 shown]
	v_add_u32_e32 v6, 32, v6
	v_cmp_lt_u32_e32 vcc, v6, v8
	v_mov_b32_e32 v6, v7
	s_and_saveexec_b64 s[0:1], vcc
	s_cbranch_execz .LBB550_348
; %bb.343:
	s_waitcnt lgkmcnt(2)
	v_and_b32_e32 v6, v7, v10
	v_and_b32_e32 v6, 1, v6
	v_cmp_eq_u32_e32 vcc, 1, v6
	s_and_saveexec_b64 s[2:3], vcc
	s_xor_b64 s[2:3], exec, s[2:3]
	s_cbranch_execz .LBB550_345
; %bb.344:
	s_waitcnt lgkmcnt(0)
	v_cmp_lt_i64_e32 vcc, v[3:4], v[1:2]
                                        ; implicit-def: $vgpr7
                                        ; implicit-def: $vgpr10
	v_cndmask_b32_e32 v2, v2, v4, vcc
	v_cndmask_b32_e32 v1, v1, v3, vcc
                                        ; implicit-def: $vgpr3_vgpr4
.LBB550_345:
	s_or_saveexec_b64 s[2:3], s[2:3]
	v_mov_b32_e32 v6, 1
	s_xor_b64 exec, exec, s[2:3]
	s_cbranch_execz .LBB550_347
; %bb.346:
	v_and_b32_e32 v6, 1, v7
	v_cmp_eq_u32_e32 vcc, 1, v6
	v_cndmask_b32_e64 v6, v10, 1, vcc
	s_waitcnt lgkmcnt(0)
	v_cndmask_b32_e32 v2, v4, v2, vcc
	v_cndmask_b32_e32 v1, v3, v1, vcc
.LBB550_347:
	s_or_b64 exec, exec, s[2:3]
	v_and_b32_e32 v7, 0xff, v6
.LBB550_348:
	s_or_b64 exec, exec, s[0:1]
	v_cmp_eq_u32_e32 vcc, 0, v5
	s_and_saveexec_b64 s[0:1], vcc
	s_cbranch_execz .LBB550_350
; %bb.349:
	s_waitcnt lgkmcnt(1)
	v_lshrrev_b32_e32 v3, 2, v0
	v_and_b32_e32 v3, 16, v3
	ds_write_b8 v3, v6 offset:128
	ds_write_b64 v3, v[1:2] offset:136
.LBB550_350:
	s_or_b64 exec, exec, s[0:1]
	v_cmp_gt_u32_e32 vcc, 2, v0
	s_waitcnt lgkmcnt(0)
	s_barrier
	s_and_saveexec_b64 s[0:1], vcc
	s_cbranch_execz .LBB550_358
; %bb.351:
	v_lshlrev_b32_e32 v1, 4, v5
	ds_read_u8 v6, v1 offset:128
	ds_read_b64 v[1:2], v1 offset:136
	v_or_b32_e32 v4, 4, v9
	s_add_i32 s8, s8, 63
	v_and_b32_e32 v5, 1, v5
	s_waitcnt lgkmcnt(1)
	v_and_b32_e32 v7, 0xff, v6
	s_waitcnt lgkmcnt(0)
	ds_bpermute_b32 v3, v4, v1
	ds_bpermute_b32 v8, v4, v7
	;; [unrolled: 1-line block ×3, first 2 shown]
	s_lshr_b32 s2, s8, 6
	v_add_u32_e32 v5, 1, v5
	v_cmp_gt_u32_e32 vcc, s2, v5
	s_and_saveexec_b64 s[2:3], vcc
	s_cbranch_execz .LBB550_357
; %bb.352:
	s_waitcnt lgkmcnt(1)
	v_and_b32_e32 v5, v7, v8
	v_and_b32_e32 v5, 1, v5
	v_cmp_eq_u32_e32 vcc, 1, v5
	s_and_saveexec_b64 s[8:9], vcc
	s_xor_b64 s[8:9], exec, s[8:9]
	s_cbranch_execz .LBB550_354
; %bb.353:
	s_waitcnt lgkmcnt(0)
	v_cmp_lt_i64_e32 vcc, v[3:4], v[1:2]
                                        ; implicit-def: $vgpr6
                                        ; implicit-def: $vgpr8
	v_cndmask_b32_e32 v2, v2, v4, vcc
	v_cndmask_b32_e32 v1, v1, v3, vcc
                                        ; implicit-def: $vgpr3_vgpr4
.LBB550_354:
	s_or_saveexec_b64 s[8:9], s[8:9]
	v_mov_b32_e32 v7, 1
	s_xor_b64 exec, exec, s[8:9]
	s_cbranch_execz .LBB550_356
; %bb.355:
	v_and_b32_e32 v5, 1, v6
	v_cmp_eq_u32_e32 vcc, 1, v5
	s_waitcnt lgkmcnt(0)
	v_cndmask_b32_e32 v2, v4, v2, vcc
	v_cndmask_b32_e32 v1, v3, v1, vcc
	v_cndmask_b32_e64 v7, v8, 1, vcc
.LBB550_356:
	s_or_b64 exec, exec, s[8:9]
.LBB550_357:
	s_or_b64 exec, exec, s[2:3]
.LBB550_358:
	s_or_b64 exec, exec, s[0:1]
.LBB550_359:
	v_cmp_eq_u32_e32 vcc, 0, v0
                                        ; implicit-def: $vgpr3_vgpr4
                                        ; implicit-def: $vgpr5
	s_and_saveexec_b64 s[8:9], vcc
	s_cbranch_execz .LBB550_363
; %bb.360:
	s_waitcnt lgkmcnt(0)
	v_mov_b32_e32 v3, s18
	s_cmp_eq_u64 s[22:23], 0
	v_mov_b32_e32 v4, s19
	v_mov_b32_e32 v5, s33
	s_cbranch_scc1 .LBB550_362
; %bb.361:
	v_and_b32_e32 v0, 1, v7
	v_cmp_gt_i64_e64 s[0:1], s[18:19], v[1:2]
	s_bitcmp1_b32 s33, 0
	v_cmp_eq_u32_e32 vcc, 1, v0
	s_cselect_b64 s[2:3], -1, 0
	v_mov_b32_e32 v0, s18
	s_and_b64 vcc, vcc, s[0:1]
	v_mov_b32_e32 v3, s19
	v_cndmask_b32_e32 v0, v0, v1, vcc
	v_cndmask_b32_e32 v3, v3, v2, vcc
	v_cndmask_b32_e64 v5, v7, 1, s[2:3]
	v_cndmask_b32_e64 v4, v2, v3, s[2:3]
	;; [unrolled: 1-line block ×3, first 2 shown]
.LBB550_362:
	s_or_b64 s[14:15], s[14:15], exec
.LBB550_363:
	s_or_b64 exec, exec, s[8:9]
	v_mov_b32_e32 v1, s6
	v_mov_b32_e32 v2, s7
	s_and_saveexec_b64 s[0:1], s[14:15]
	s_cbranch_execnz .LBB550_307
	s_branch .LBB550_308
	.section	.rodata,"a",@progbits
	.p2align	6, 0x0
	.amdhsa_kernel _ZN7rocprim17ROCPRIM_400000_NS6detail17trampoline_kernelINS0_14default_configENS1_22reduce_config_selectorIN6thrust23THRUST_200600_302600_NS5tupleIblNS6_9null_typeES8_S8_S8_S8_S8_S8_S8_EEEEZNS1_11reduce_implILb1ES3_NS6_12zip_iteratorINS7_INS6_11hip_rocprim26transform_input_iterator_tIbNSD_35transform_pair_of_input_iterators_tIbNS6_6detail15normal_iteratorINS6_10device_ptrIKiEEEESL_NS6_8equal_toIiEEEENSG_9not_fun_tINSD_8identityEEEEENSD_19counting_iterator_tIlEES8_S8_S8_S8_S8_S8_S8_S8_EEEEPS9_S9_NSD_9__find_if7functorIS9_EEEE10hipError_tPvRmT1_T2_T3_mT4_P12ihipStream_tbEUlT_E1_NS1_11comp_targetILNS1_3genE2ELNS1_11target_archE906ELNS1_3gpuE6ELNS1_3repE0EEENS1_30default_config_static_selectorELNS0_4arch9wavefront6targetE1EEEvS14_
		.amdhsa_group_segment_fixed_size 160
		.amdhsa_private_segment_fixed_size 0
		.amdhsa_kernarg_size 88
		.amdhsa_user_sgpr_count 6
		.amdhsa_user_sgpr_private_segment_buffer 1
		.amdhsa_user_sgpr_dispatch_ptr 0
		.amdhsa_user_sgpr_queue_ptr 0
		.amdhsa_user_sgpr_kernarg_segment_ptr 1
		.amdhsa_user_sgpr_dispatch_id 0
		.amdhsa_user_sgpr_flat_scratch_init 0
		.amdhsa_user_sgpr_private_segment_size 0
		.amdhsa_uses_dynamic_stack 0
		.amdhsa_system_sgpr_private_segment_wavefront_offset 0
		.amdhsa_system_sgpr_workgroup_id_x 1
		.amdhsa_system_sgpr_workgroup_id_y 0
		.amdhsa_system_sgpr_workgroup_id_z 0
		.amdhsa_system_sgpr_workgroup_info 0
		.amdhsa_system_vgpr_workitem_id 0
		.amdhsa_next_free_vgpr 27
		.amdhsa_next_free_sgpr 42
		.amdhsa_reserve_vcc 1
		.amdhsa_reserve_flat_scratch 0
		.amdhsa_float_round_mode_32 0
		.amdhsa_float_round_mode_16_64 0
		.amdhsa_float_denorm_mode_32 3
		.amdhsa_float_denorm_mode_16_64 3
		.amdhsa_dx10_clamp 1
		.amdhsa_ieee_mode 1
		.amdhsa_fp16_overflow 0
		.amdhsa_exception_fp_ieee_invalid_op 0
		.amdhsa_exception_fp_denorm_src 0
		.amdhsa_exception_fp_ieee_div_zero 0
		.amdhsa_exception_fp_ieee_overflow 0
		.amdhsa_exception_fp_ieee_underflow 0
		.amdhsa_exception_fp_ieee_inexact 0
		.amdhsa_exception_int_div_zero 0
	.end_amdhsa_kernel
	.section	.text._ZN7rocprim17ROCPRIM_400000_NS6detail17trampoline_kernelINS0_14default_configENS1_22reduce_config_selectorIN6thrust23THRUST_200600_302600_NS5tupleIblNS6_9null_typeES8_S8_S8_S8_S8_S8_S8_EEEEZNS1_11reduce_implILb1ES3_NS6_12zip_iteratorINS7_INS6_11hip_rocprim26transform_input_iterator_tIbNSD_35transform_pair_of_input_iterators_tIbNS6_6detail15normal_iteratorINS6_10device_ptrIKiEEEESL_NS6_8equal_toIiEEEENSG_9not_fun_tINSD_8identityEEEEENSD_19counting_iterator_tIlEES8_S8_S8_S8_S8_S8_S8_S8_EEEEPS9_S9_NSD_9__find_if7functorIS9_EEEE10hipError_tPvRmT1_T2_T3_mT4_P12ihipStream_tbEUlT_E1_NS1_11comp_targetILNS1_3genE2ELNS1_11target_archE906ELNS1_3gpuE6ELNS1_3repE0EEENS1_30default_config_static_selectorELNS0_4arch9wavefront6targetE1EEEvS14_,"axG",@progbits,_ZN7rocprim17ROCPRIM_400000_NS6detail17trampoline_kernelINS0_14default_configENS1_22reduce_config_selectorIN6thrust23THRUST_200600_302600_NS5tupleIblNS6_9null_typeES8_S8_S8_S8_S8_S8_S8_EEEEZNS1_11reduce_implILb1ES3_NS6_12zip_iteratorINS7_INS6_11hip_rocprim26transform_input_iterator_tIbNSD_35transform_pair_of_input_iterators_tIbNS6_6detail15normal_iteratorINS6_10device_ptrIKiEEEESL_NS6_8equal_toIiEEEENSG_9not_fun_tINSD_8identityEEEEENSD_19counting_iterator_tIlEES8_S8_S8_S8_S8_S8_S8_S8_EEEEPS9_S9_NSD_9__find_if7functorIS9_EEEE10hipError_tPvRmT1_T2_T3_mT4_P12ihipStream_tbEUlT_E1_NS1_11comp_targetILNS1_3genE2ELNS1_11target_archE906ELNS1_3gpuE6ELNS1_3repE0EEENS1_30default_config_static_selectorELNS0_4arch9wavefront6targetE1EEEvS14_,comdat
.Lfunc_end550:
	.size	_ZN7rocprim17ROCPRIM_400000_NS6detail17trampoline_kernelINS0_14default_configENS1_22reduce_config_selectorIN6thrust23THRUST_200600_302600_NS5tupleIblNS6_9null_typeES8_S8_S8_S8_S8_S8_S8_EEEEZNS1_11reduce_implILb1ES3_NS6_12zip_iteratorINS7_INS6_11hip_rocprim26transform_input_iterator_tIbNSD_35transform_pair_of_input_iterators_tIbNS6_6detail15normal_iteratorINS6_10device_ptrIKiEEEESL_NS6_8equal_toIiEEEENSG_9not_fun_tINSD_8identityEEEEENSD_19counting_iterator_tIlEES8_S8_S8_S8_S8_S8_S8_S8_EEEEPS9_S9_NSD_9__find_if7functorIS9_EEEE10hipError_tPvRmT1_T2_T3_mT4_P12ihipStream_tbEUlT_E1_NS1_11comp_targetILNS1_3genE2ELNS1_11target_archE906ELNS1_3gpuE6ELNS1_3repE0EEENS1_30default_config_static_selectorELNS0_4arch9wavefront6targetE1EEEvS14_, .Lfunc_end550-_ZN7rocprim17ROCPRIM_400000_NS6detail17trampoline_kernelINS0_14default_configENS1_22reduce_config_selectorIN6thrust23THRUST_200600_302600_NS5tupleIblNS6_9null_typeES8_S8_S8_S8_S8_S8_S8_EEEEZNS1_11reduce_implILb1ES3_NS6_12zip_iteratorINS7_INS6_11hip_rocprim26transform_input_iterator_tIbNSD_35transform_pair_of_input_iterators_tIbNS6_6detail15normal_iteratorINS6_10device_ptrIKiEEEESL_NS6_8equal_toIiEEEENSG_9not_fun_tINSD_8identityEEEEENSD_19counting_iterator_tIlEES8_S8_S8_S8_S8_S8_S8_S8_EEEEPS9_S9_NSD_9__find_if7functorIS9_EEEE10hipError_tPvRmT1_T2_T3_mT4_P12ihipStream_tbEUlT_E1_NS1_11comp_targetILNS1_3genE2ELNS1_11target_archE906ELNS1_3gpuE6ELNS1_3repE0EEENS1_30default_config_static_selectorELNS0_4arch9wavefront6targetE1EEEvS14_
                                        ; -- End function
	.set _ZN7rocprim17ROCPRIM_400000_NS6detail17trampoline_kernelINS0_14default_configENS1_22reduce_config_selectorIN6thrust23THRUST_200600_302600_NS5tupleIblNS6_9null_typeES8_S8_S8_S8_S8_S8_S8_EEEEZNS1_11reduce_implILb1ES3_NS6_12zip_iteratorINS7_INS6_11hip_rocprim26transform_input_iterator_tIbNSD_35transform_pair_of_input_iterators_tIbNS6_6detail15normal_iteratorINS6_10device_ptrIKiEEEESL_NS6_8equal_toIiEEEENSG_9not_fun_tINSD_8identityEEEEENSD_19counting_iterator_tIlEES8_S8_S8_S8_S8_S8_S8_S8_EEEEPS9_S9_NSD_9__find_if7functorIS9_EEEE10hipError_tPvRmT1_T2_T3_mT4_P12ihipStream_tbEUlT_E1_NS1_11comp_targetILNS1_3genE2ELNS1_11target_archE906ELNS1_3gpuE6ELNS1_3repE0EEENS1_30default_config_static_selectorELNS0_4arch9wavefront6targetE1EEEvS14_.num_vgpr, 27
	.set _ZN7rocprim17ROCPRIM_400000_NS6detail17trampoline_kernelINS0_14default_configENS1_22reduce_config_selectorIN6thrust23THRUST_200600_302600_NS5tupleIblNS6_9null_typeES8_S8_S8_S8_S8_S8_S8_EEEEZNS1_11reduce_implILb1ES3_NS6_12zip_iteratorINS7_INS6_11hip_rocprim26transform_input_iterator_tIbNSD_35transform_pair_of_input_iterators_tIbNS6_6detail15normal_iteratorINS6_10device_ptrIKiEEEESL_NS6_8equal_toIiEEEENSG_9not_fun_tINSD_8identityEEEEENSD_19counting_iterator_tIlEES8_S8_S8_S8_S8_S8_S8_S8_EEEEPS9_S9_NSD_9__find_if7functorIS9_EEEE10hipError_tPvRmT1_T2_T3_mT4_P12ihipStream_tbEUlT_E1_NS1_11comp_targetILNS1_3genE2ELNS1_11target_archE906ELNS1_3gpuE6ELNS1_3repE0EEENS1_30default_config_static_selectorELNS0_4arch9wavefront6targetE1EEEvS14_.num_agpr, 0
	.set _ZN7rocprim17ROCPRIM_400000_NS6detail17trampoline_kernelINS0_14default_configENS1_22reduce_config_selectorIN6thrust23THRUST_200600_302600_NS5tupleIblNS6_9null_typeES8_S8_S8_S8_S8_S8_S8_EEEEZNS1_11reduce_implILb1ES3_NS6_12zip_iteratorINS7_INS6_11hip_rocprim26transform_input_iterator_tIbNSD_35transform_pair_of_input_iterators_tIbNS6_6detail15normal_iteratorINS6_10device_ptrIKiEEEESL_NS6_8equal_toIiEEEENSG_9not_fun_tINSD_8identityEEEEENSD_19counting_iterator_tIlEES8_S8_S8_S8_S8_S8_S8_S8_EEEEPS9_S9_NSD_9__find_if7functorIS9_EEEE10hipError_tPvRmT1_T2_T3_mT4_P12ihipStream_tbEUlT_E1_NS1_11comp_targetILNS1_3genE2ELNS1_11target_archE906ELNS1_3gpuE6ELNS1_3repE0EEENS1_30default_config_static_selectorELNS0_4arch9wavefront6targetE1EEEvS14_.numbered_sgpr, 42
	.set _ZN7rocprim17ROCPRIM_400000_NS6detail17trampoline_kernelINS0_14default_configENS1_22reduce_config_selectorIN6thrust23THRUST_200600_302600_NS5tupleIblNS6_9null_typeES8_S8_S8_S8_S8_S8_S8_EEEEZNS1_11reduce_implILb1ES3_NS6_12zip_iteratorINS7_INS6_11hip_rocprim26transform_input_iterator_tIbNSD_35transform_pair_of_input_iterators_tIbNS6_6detail15normal_iteratorINS6_10device_ptrIKiEEEESL_NS6_8equal_toIiEEEENSG_9not_fun_tINSD_8identityEEEEENSD_19counting_iterator_tIlEES8_S8_S8_S8_S8_S8_S8_S8_EEEEPS9_S9_NSD_9__find_if7functorIS9_EEEE10hipError_tPvRmT1_T2_T3_mT4_P12ihipStream_tbEUlT_E1_NS1_11comp_targetILNS1_3genE2ELNS1_11target_archE906ELNS1_3gpuE6ELNS1_3repE0EEENS1_30default_config_static_selectorELNS0_4arch9wavefront6targetE1EEEvS14_.num_named_barrier, 0
	.set _ZN7rocprim17ROCPRIM_400000_NS6detail17trampoline_kernelINS0_14default_configENS1_22reduce_config_selectorIN6thrust23THRUST_200600_302600_NS5tupleIblNS6_9null_typeES8_S8_S8_S8_S8_S8_S8_EEEEZNS1_11reduce_implILb1ES3_NS6_12zip_iteratorINS7_INS6_11hip_rocprim26transform_input_iterator_tIbNSD_35transform_pair_of_input_iterators_tIbNS6_6detail15normal_iteratorINS6_10device_ptrIKiEEEESL_NS6_8equal_toIiEEEENSG_9not_fun_tINSD_8identityEEEEENSD_19counting_iterator_tIlEES8_S8_S8_S8_S8_S8_S8_S8_EEEEPS9_S9_NSD_9__find_if7functorIS9_EEEE10hipError_tPvRmT1_T2_T3_mT4_P12ihipStream_tbEUlT_E1_NS1_11comp_targetILNS1_3genE2ELNS1_11target_archE906ELNS1_3gpuE6ELNS1_3repE0EEENS1_30default_config_static_selectorELNS0_4arch9wavefront6targetE1EEEvS14_.private_seg_size, 0
	.set _ZN7rocprim17ROCPRIM_400000_NS6detail17trampoline_kernelINS0_14default_configENS1_22reduce_config_selectorIN6thrust23THRUST_200600_302600_NS5tupleIblNS6_9null_typeES8_S8_S8_S8_S8_S8_S8_EEEEZNS1_11reduce_implILb1ES3_NS6_12zip_iteratorINS7_INS6_11hip_rocprim26transform_input_iterator_tIbNSD_35transform_pair_of_input_iterators_tIbNS6_6detail15normal_iteratorINS6_10device_ptrIKiEEEESL_NS6_8equal_toIiEEEENSG_9not_fun_tINSD_8identityEEEEENSD_19counting_iterator_tIlEES8_S8_S8_S8_S8_S8_S8_S8_EEEEPS9_S9_NSD_9__find_if7functorIS9_EEEE10hipError_tPvRmT1_T2_T3_mT4_P12ihipStream_tbEUlT_E1_NS1_11comp_targetILNS1_3genE2ELNS1_11target_archE906ELNS1_3gpuE6ELNS1_3repE0EEENS1_30default_config_static_selectorELNS0_4arch9wavefront6targetE1EEEvS14_.uses_vcc, 1
	.set _ZN7rocprim17ROCPRIM_400000_NS6detail17trampoline_kernelINS0_14default_configENS1_22reduce_config_selectorIN6thrust23THRUST_200600_302600_NS5tupleIblNS6_9null_typeES8_S8_S8_S8_S8_S8_S8_EEEEZNS1_11reduce_implILb1ES3_NS6_12zip_iteratorINS7_INS6_11hip_rocprim26transform_input_iterator_tIbNSD_35transform_pair_of_input_iterators_tIbNS6_6detail15normal_iteratorINS6_10device_ptrIKiEEEESL_NS6_8equal_toIiEEEENSG_9not_fun_tINSD_8identityEEEEENSD_19counting_iterator_tIlEES8_S8_S8_S8_S8_S8_S8_S8_EEEEPS9_S9_NSD_9__find_if7functorIS9_EEEE10hipError_tPvRmT1_T2_T3_mT4_P12ihipStream_tbEUlT_E1_NS1_11comp_targetILNS1_3genE2ELNS1_11target_archE906ELNS1_3gpuE6ELNS1_3repE0EEENS1_30default_config_static_selectorELNS0_4arch9wavefront6targetE1EEEvS14_.uses_flat_scratch, 0
	.set _ZN7rocprim17ROCPRIM_400000_NS6detail17trampoline_kernelINS0_14default_configENS1_22reduce_config_selectorIN6thrust23THRUST_200600_302600_NS5tupleIblNS6_9null_typeES8_S8_S8_S8_S8_S8_S8_EEEEZNS1_11reduce_implILb1ES3_NS6_12zip_iteratorINS7_INS6_11hip_rocprim26transform_input_iterator_tIbNSD_35transform_pair_of_input_iterators_tIbNS6_6detail15normal_iteratorINS6_10device_ptrIKiEEEESL_NS6_8equal_toIiEEEENSG_9not_fun_tINSD_8identityEEEEENSD_19counting_iterator_tIlEES8_S8_S8_S8_S8_S8_S8_S8_EEEEPS9_S9_NSD_9__find_if7functorIS9_EEEE10hipError_tPvRmT1_T2_T3_mT4_P12ihipStream_tbEUlT_E1_NS1_11comp_targetILNS1_3genE2ELNS1_11target_archE906ELNS1_3gpuE6ELNS1_3repE0EEENS1_30default_config_static_selectorELNS0_4arch9wavefront6targetE1EEEvS14_.has_dyn_sized_stack, 0
	.set _ZN7rocprim17ROCPRIM_400000_NS6detail17trampoline_kernelINS0_14default_configENS1_22reduce_config_selectorIN6thrust23THRUST_200600_302600_NS5tupleIblNS6_9null_typeES8_S8_S8_S8_S8_S8_S8_EEEEZNS1_11reduce_implILb1ES3_NS6_12zip_iteratorINS7_INS6_11hip_rocprim26transform_input_iterator_tIbNSD_35transform_pair_of_input_iterators_tIbNS6_6detail15normal_iteratorINS6_10device_ptrIKiEEEESL_NS6_8equal_toIiEEEENSG_9not_fun_tINSD_8identityEEEEENSD_19counting_iterator_tIlEES8_S8_S8_S8_S8_S8_S8_S8_EEEEPS9_S9_NSD_9__find_if7functorIS9_EEEE10hipError_tPvRmT1_T2_T3_mT4_P12ihipStream_tbEUlT_E1_NS1_11comp_targetILNS1_3genE2ELNS1_11target_archE906ELNS1_3gpuE6ELNS1_3repE0EEENS1_30default_config_static_selectorELNS0_4arch9wavefront6targetE1EEEvS14_.has_recursion, 0
	.set _ZN7rocprim17ROCPRIM_400000_NS6detail17trampoline_kernelINS0_14default_configENS1_22reduce_config_selectorIN6thrust23THRUST_200600_302600_NS5tupleIblNS6_9null_typeES8_S8_S8_S8_S8_S8_S8_EEEEZNS1_11reduce_implILb1ES3_NS6_12zip_iteratorINS7_INS6_11hip_rocprim26transform_input_iterator_tIbNSD_35transform_pair_of_input_iterators_tIbNS6_6detail15normal_iteratorINS6_10device_ptrIKiEEEESL_NS6_8equal_toIiEEEENSG_9not_fun_tINSD_8identityEEEEENSD_19counting_iterator_tIlEES8_S8_S8_S8_S8_S8_S8_S8_EEEEPS9_S9_NSD_9__find_if7functorIS9_EEEE10hipError_tPvRmT1_T2_T3_mT4_P12ihipStream_tbEUlT_E1_NS1_11comp_targetILNS1_3genE2ELNS1_11target_archE906ELNS1_3gpuE6ELNS1_3repE0EEENS1_30default_config_static_selectorELNS0_4arch9wavefront6targetE1EEEvS14_.has_indirect_call, 0
	.section	.AMDGPU.csdata,"",@progbits
; Kernel info:
; codeLenInByte = 13144
; TotalNumSgprs: 46
; NumVgprs: 27
; ScratchSize: 0
; MemoryBound: 0
; FloatMode: 240
; IeeeMode: 1
; LDSByteSize: 160 bytes/workgroup (compile time only)
; SGPRBlocks: 5
; VGPRBlocks: 6
; NumSGPRsForWavesPerEU: 46
; NumVGPRsForWavesPerEU: 27
; Occupancy: 9
; WaveLimiterHint : 0
; COMPUTE_PGM_RSRC2:SCRATCH_EN: 0
; COMPUTE_PGM_RSRC2:USER_SGPR: 6
; COMPUTE_PGM_RSRC2:TRAP_HANDLER: 0
; COMPUTE_PGM_RSRC2:TGID_X_EN: 1
; COMPUTE_PGM_RSRC2:TGID_Y_EN: 0
; COMPUTE_PGM_RSRC2:TGID_Z_EN: 0
; COMPUTE_PGM_RSRC2:TIDIG_COMP_CNT: 0
	.section	.text._ZN7rocprim17ROCPRIM_400000_NS6detail17trampoline_kernelINS0_14default_configENS1_22reduce_config_selectorIN6thrust23THRUST_200600_302600_NS5tupleIblNS6_9null_typeES8_S8_S8_S8_S8_S8_S8_EEEEZNS1_11reduce_implILb1ES3_NS6_12zip_iteratorINS7_INS6_11hip_rocprim26transform_input_iterator_tIbNSD_35transform_pair_of_input_iterators_tIbNS6_6detail15normal_iteratorINS6_10device_ptrIKiEEEESL_NS6_8equal_toIiEEEENSG_9not_fun_tINSD_8identityEEEEENSD_19counting_iterator_tIlEES8_S8_S8_S8_S8_S8_S8_S8_EEEEPS9_S9_NSD_9__find_if7functorIS9_EEEE10hipError_tPvRmT1_T2_T3_mT4_P12ihipStream_tbEUlT_E1_NS1_11comp_targetILNS1_3genE10ELNS1_11target_archE1201ELNS1_3gpuE5ELNS1_3repE0EEENS1_30default_config_static_selectorELNS0_4arch9wavefront6targetE1EEEvS14_,"axG",@progbits,_ZN7rocprim17ROCPRIM_400000_NS6detail17trampoline_kernelINS0_14default_configENS1_22reduce_config_selectorIN6thrust23THRUST_200600_302600_NS5tupleIblNS6_9null_typeES8_S8_S8_S8_S8_S8_S8_EEEEZNS1_11reduce_implILb1ES3_NS6_12zip_iteratorINS7_INS6_11hip_rocprim26transform_input_iterator_tIbNSD_35transform_pair_of_input_iterators_tIbNS6_6detail15normal_iteratorINS6_10device_ptrIKiEEEESL_NS6_8equal_toIiEEEENSG_9not_fun_tINSD_8identityEEEEENSD_19counting_iterator_tIlEES8_S8_S8_S8_S8_S8_S8_S8_EEEEPS9_S9_NSD_9__find_if7functorIS9_EEEE10hipError_tPvRmT1_T2_T3_mT4_P12ihipStream_tbEUlT_E1_NS1_11comp_targetILNS1_3genE10ELNS1_11target_archE1201ELNS1_3gpuE5ELNS1_3repE0EEENS1_30default_config_static_selectorELNS0_4arch9wavefront6targetE1EEEvS14_,comdat
	.protected	_ZN7rocprim17ROCPRIM_400000_NS6detail17trampoline_kernelINS0_14default_configENS1_22reduce_config_selectorIN6thrust23THRUST_200600_302600_NS5tupleIblNS6_9null_typeES8_S8_S8_S8_S8_S8_S8_EEEEZNS1_11reduce_implILb1ES3_NS6_12zip_iteratorINS7_INS6_11hip_rocprim26transform_input_iterator_tIbNSD_35transform_pair_of_input_iterators_tIbNS6_6detail15normal_iteratorINS6_10device_ptrIKiEEEESL_NS6_8equal_toIiEEEENSG_9not_fun_tINSD_8identityEEEEENSD_19counting_iterator_tIlEES8_S8_S8_S8_S8_S8_S8_S8_EEEEPS9_S9_NSD_9__find_if7functorIS9_EEEE10hipError_tPvRmT1_T2_T3_mT4_P12ihipStream_tbEUlT_E1_NS1_11comp_targetILNS1_3genE10ELNS1_11target_archE1201ELNS1_3gpuE5ELNS1_3repE0EEENS1_30default_config_static_selectorELNS0_4arch9wavefront6targetE1EEEvS14_ ; -- Begin function _ZN7rocprim17ROCPRIM_400000_NS6detail17trampoline_kernelINS0_14default_configENS1_22reduce_config_selectorIN6thrust23THRUST_200600_302600_NS5tupleIblNS6_9null_typeES8_S8_S8_S8_S8_S8_S8_EEEEZNS1_11reduce_implILb1ES3_NS6_12zip_iteratorINS7_INS6_11hip_rocprim26transform_input_iterator_tIbNSD_35transform_pair_of_input_iterators_tIbNS6_6detail15normal_iteratorINS6_10device_ptrIKiEEEESL_NS6_8equal_toIiEEEENSG_9not_fun_tINSD_8identityEEEEENSD_19counting_iterator_tIlEES8_S8_S8_S8_S8_S8_S8_S8_EEEEPS9_S9_NSD_9__find_if7functorIS9_EEEE10hipError_tPvRmT1_T2_T3_mT4_P12ihipStream_tbEUlT_E1_NS1_11comp_targetILNS1_3genE10ELNS1_11target_archE1201ELNS1_3gpuE5ELNS1_3repE0EEENS1_30default_config_static_selectorELNS0_4arch9wavefront6targetE1EEEvS14_
	.globl	_ZN7rocprim17ROCPRIM_400000_NS6detail17trampoline_kernelINS0_14default_configENS1_22reduce_config_selectorIN6thrust23THRUST_200600_302600_NS5tupleIblNS6_9null_typeES8_S8_S8_S8_S8_S8_S8_EEEEZNS1_11reduce_implILb1ES3_NS6_12zip_iteratorINS7_INS6_11hip_rocprim26transform_input_iterator_tIbNSD_35transform_pair_of_input_iterators_tIbNS6_6detail15normal_iteratorINS6_10device_ptrIKiEEEESL_NS6_8equal_toIiEEEENSG_9not_fun_tINSD_8identityEEEEENSD_19counting_iterator_tIlEES8_S8_S8_S8_S8_S8_S8_S8_EEEEPS9_S9_NSD_9__find_if7functorIS9_EEEE10hipError_tPvRmT1_T2_T3_mT4_P12ihipStream_tbEUlT_E1_NS1_11comp_targetILNS1_3genE10ELNS1_11target_archE1201ELNS1_3gpuE5ELNS1_3repE0EEENS1_30default_config_static_selectorELNS0_4arch9wavefront6targetE1EEEvS14_
	.p2align	8
	.type	_ZN7rocprim17ROCPRIM_400000_NS6detail17trampoline_kernelINS0_14default_configENS1_22reduce_config_selectorIN6thrust23THRUST_200600_302600_NS5tupleIblNS6_9null_typeES8_S8_S8_S8_S8_S8_S8_EEEEZNS1_11reduce_implILb1ES3_NS6_12zip_iteratorINS7_INS6_11hip_rocprim26transform_input_iterator_tIbNSD_35transform_pair_of_input_iterators_tIbNS6_6detail15normal_iteratorINS6_10device_ptrIKiEEEESL_NS6_8equal_toIiEEEENSG_9not_fun_tINSD_8identityEEEEENSD_19counting_iterator_tIlEES8_S8_S8_S8_S8_S8_S8_S8_EEEEPS9_S9_NSD_9__find_if7functorIS9_EEEE10hipError_tPvRmT1_T2_T3_mT4_P12ihipStream_tbEUlT_E1_NS1_11comp_targetILNS1_3genE10ELNS1_11target_archE1201ELNS1_3gpuE5ELNS1_3repE0EEENS1_30default_config_static_selectorELNS0_4arch9wavefront6targetE1EEEvS14_,@function
_ZN7rocprim17ROCPRIM_400000_NS6detail17trampoline_kernelINS0_14default_configENS1_22reduce_config_selectorIN6thrust23THRUST_200600_302600_NS5tupleIblNS6_9null_typeES8_S8_S8_S8_S8_S8_S8_EEEEZNS1_11reduce_implILb1ES3_NS6_12zip_iteratorINS7_INS6_11hip_rocprim26transform_input_iterator_tIbNSD_35transform_pair_of_input_iterators_tIbNS6_6detail15normal_iteratorINS6_10device_ptrIKiEEEESL_NS6_8equal_toIiEEEENSG_9not_fun_tINSD_8identityEEEEENSD_19counting_iterator_tIlEES8_S8_S8_S8_S8_S8_S8_S8_EEEEPS9_S9_NSD_9__find_if7functorIS9_EEEE10hipError_tPvRmT1_T2_T3_mT4_P12ihipStream_tbEUlT_E1_NS1_11comp_targetILNS1_3genE10ELNS1_11target_archE1201ELNS1_3gpuE5ELNS1_3repE0EEENS1_30default_config_static_selectorELNS0_4arch9wavefront6targetE1EEEvS14_: ; @_ZN7rocprim17ROCPRIM_400000_NS6detail17trampoline_kernelINS0_14default_configENS1_22reduce_config_selectorIN6thrust23THRUST_200600_302600_NS5tupleIblNS6_9null_typeES8_S8_S8_S8_S8_S8_S8_EEEEZNS1_11reduce_implILb1ES3_NS6_12zip_iteratorINS7_INS6_11hip_rocprim26transform_input_iterator_tIbNSD_35transform_pair_of_input_iterators_tIbNS6_6detail15normal_iteratorINS6_10device_ptrIKiEEEESL_NS6_8equal_toIiEEEENSG_9not_fun_tINSD_8identityEEEEENSD_19counting_iterator_tIlEES8_S8_S8_S8_S8_S8_S8_S8_EEEEPS9_S9_NSD_9__find_if7functorIS9_EEEE10hipError_tPvRmT1_T2_T3_mT4_P12ihipStream_tbEUlT_E1_NS1_11comp_targetILNS1_3genE10ELNS1_11target_archE1201ELNS1_3gpuE5ELNS1_3repE0EEENS1_30default_config_static_selectorELNS0_4arch9wavefront6targetE1EEEvS14_
; %bb.0:
	.section	.rodata,"a",@progbits
	.p2align	6, 0x0
	.amdhsa_kernel _ZN7rocprim17ROCPRIM_400000_NS6detail17trampoline_kernelINS0_14default_configENS1_22reduce_config_selectorIN6thrust23THRUST_200600_302600_NS5tupleIblNS6_9null_typeES8_S8_S8_S8_S8_S8_S8_EEEEZNS1_11reduce_implILb1ES3_NS6_12zip_iteratorINS7_INS6_11hip_rocprim26transform_input_iterator_tIbNSD_35transform_pair_of_input_iterators_tIbNS6_6detail15normal_iteratorINS6_10device_ptrIKiEEEESL_NS6_8equal_toIiEEEENSG_9not_fun_tINSD_8identityEEEEENSD_19counting_iterator_tIlEES8_S8_S8_S8_S8_S8_S8_S8_EEEEPS9_S9_NSD_9__find_if7functorIS9_EEEE10hipError_tPvRmT1_T2_T3_mT4_P12ihipStream_tbEUlT_E1_NS1_11comp_targetILNS1_3genE10ELNS1_11target_archE1201ELNS1_3gpuE5ELNS1_3repE0EEENS1_30default_config_static_selectorELNS0_4arch9wavefront6targetE1EEEvS14_
		.amdhsa_group_segment_fixed_size 0
		.amdhsa_private_segment_fixed_size 0
		.amdhsa_kernarg_size 88
		.amdhsa_user_sgpr_count 6
		.amdhsa_user_sgpr_private_segment_buffer 1
		.amdhsa_user_sgpr_dispatch_ptr 0
		.amdhsa_user_sgpr_queue_ptr 0
		.amdhsa_user_sgpr_kernarg_segment_ptr 1
		.amdhsa_user_sgpr_dispatch_id 0
		.amdhsa_user_sgpr_flat_scratch_init 0
		.amdhsa_user_sgpr_private_segment_size 0
		.amdhsa_uses_dynamic_stack 0
		.amdhsa_system_sgpr_private_segment_wavefront_offset 0
		.amdhsa_system_sgpr_workgroup_id_x 1
		.amdhsa_system_sgpr_workgroup_id_y 0
		.amdhsa_system_sgpr_workgroup_id_z 0
		.amdhsa_system_sgpr_workgroup_info 0
		.amdhsa_system_vgpr_workitem_id 0
		.amdhsa_next_free_vgpr 1
		.amdhsa_next_free_sgpr 0
		.amdhsa_reserve_vcc 0
		.amdhsa_reserve_flat_scratch 0
		.amdhsa_float_round_mode_32 0
		.amdhsa_float_round_mode_16_64 0
		.amdhsa_float_denorm_mode_32 3
		.amdhsa_float_denorm_mode_16_64 3
		.amdhsa_dx10_clamp 1
		.amdhsa_ieee_mode 1
		.amdhsa_fp16_overflow 0
		.amdhsa_exception_fp_ieee_invalid_op 0
		.amdhsa_exception_fp_denorm_src 0
		.amdhsa_exception_fp_ieee_div_zero 0
		.amdhsa_exception_fp_ieee_overflow 0
		.amdhsa_exception_fp_ieee_underflow 0
		.amdhsa_exception_fp_ieee_inexact 0
		.amdhsa_exception_int_div_zero 0
	.end_amdhsa_kernel
	.section	.text._ZN7rocprim17ROCPRIM_400000_NS6detail17trampoline_kernelINS0_14default_configENS1_22reduce_config_selectorIN6thrust23THRUST_200600_302600_NS5tupleIblNS6_9null_typeES8_S8_S8_S8_S8_S8_S8_EEEEZNS1_11reduce_implILb1ES3_NS6_12zip_iteratorINS7_INS6_11hip_rocprim26transform_input_iterator_tIbNSD_35transform_pair_of_input_iterators_tIbNS6_6detail15normal_iteratorINS6_10device_ptrIKiEEEESL_NS6_8equal_toIiEEEENSG_9not_fun_tINSD_8identityEEEEENSD_19counting_iterator_tIlEES8_S8_S8_S8_S8_S8_S8_S8_EEEEPS9_S9_NSD_9__find_if7functorIS9_EEEE10hipError_tPvRmT1_T2_T3_mT4_P12ihipStream_tbEUlT_E1_NS1_11comp_targetILNS1_3genE10ELNS1_11target_archE1201ELNS1_3gpuE5ELNS1_3repE0EEENS1_30default_config_static_selectorELNS0_4arch9wavefront6targetE1EEEvS14_,"axG",@progbits,_ZN7rocprim17ROCPRIM_400000_NS6detail17trampoline_kernelINS0_14default_configENS1_22reduce_config_selectorIN6thrust23THRUST_200600_302600_NS5tupleIblNS6_9null_typeES8_S8_S8_S8_S8_S8_S8_EEEEZNS1_11reduce_implILb1ES3_NS6_12zip_iteratorINS7_INS6_11hip_rocprim26transform_input_iterator_tIbNSD_35transform_pair_of_input_iterators_tIbNS6_6detail15normal_iteratorINS6_10device_ptrIKiEEEESL_NS6_8equal_toIiEEEENSG_9not_fun_tINSD_8identityEEEEENSD_19counting_iterator_tIlEES8_S8_S8_S8_S8_S8_S8_S8_EEEEPS9_S9_NSD_9__find_if7functorIS9_EEEE10hipError_tPvRmT1_T2_T3_mT4_P12ihipStream_tbEUlT_E1_NS1_11comp_targetILNS1_3genE10ELNS1_11target_archE1201ELNS1_3gpuE5ELNS1_3repE0EEENS1_30default_config_static_selectorELNS0_4arch9wavefront6targetE1EEEvS14_,comdat
.Lfunc_end551:
	.size	_ZN7rocprim17ROCPRIM_400000_NS6detail17trampoline_kernelINS0_14default_configENS1_22reduce_config_selectorIN6thrust23THRUST_200600_302600_NS5tupleIblNS6_9null_typeES8_S8_S8_S8_S8_S8_S8_EEEEZNS1_11reduce_implILb1ES3_NS6_12zip_iteratorINS7_INS6_11hip_rocprim26transform_input_iterator_tIbNSD_35transform_pair_of_input_iterators_tIbNS6_6detail15normal_iteratorINS6_10device_ptrIKiEEEESL_NS6_8equal_toIiEEEENSG_9not_fun_tINSD_8identityEEEEENSD_19counting_iterator_tIlEES8_S8_S8_S8_S8_S8_S8_S8_EEEEPS9_S9_NSD_9__find_if7functorIS9_EEEE10hipError_tPvRmT1_T2_T3_mT4_P12ihipStream_tbEUlT_E1_NS1_11comp_targetILNS1_3genE10ELNS1_11target_archE1201ELNS1_3gpuE5ELNS1_3repE0EEENS1_30default_config_static_selectorELNS0_4arch9wavefront6targetE1EEEvS14_, .Lfunc_end551-_ZN7rocprim17ROCPRIM_400000_NS6detail17trampoline_kernelINS0_14default_configENS1_22reduce_config_selectorIN6thrust23THRUST_200600_302600_NS5tupleIblNS6_9null_typeES8_S8_S8_S8_S8_S8_S8_EEEEZNS1_11reduce_implILb1ES3_NS6_12zip_iteratorINS7_INS6_11hip_rocprim26transform_input_iterator_tIbNSD_35transform_pair_of_input_iterators_tIbNS6_6detail15normal_iteratorINS6_10device_ptrIKiEEEESL_NS6_8equal_toIiEEEENSG_9not_fun_tINSD_8identityEEEEENSD_19counting_iterator_tIlEES8_S8_S8_S8_S8_S8_S8_S8_EEEEPS9_S9_NSD_9__find_if7functorIS9_EEEE10hipError_tPvRmT1_T2_T3_mT4_P12ihipStream_tbEUlT_E1_NS1_11comp_targetILNS1_3genE10ELNS1_11target_archE1201ELNS1_3gpuE5ELNS1_3repE0EEENS1_30default_config_static_selectorELNS0_4arch9wavefront6targetE1EEEvS14_
                                        ; -- End function
	.set _ZN7rocprim17ROCPRIM_400000_NS6detail17trampoline_kernelINS0_14default_configENS1_22reduce_config_selectorIN6thrust23THRUST_200600_302600_NS5tupleIblNS6_9null_typeES8_S8_S8_S8_S8_S8_S8_EEEEZNS1_11reduce_implILb1ES3_NS6_12zip_iteratorINS7_INS6_11hip_rocprim26transform_input_iterator_tIbNSD_35transform_pair_of_input_iterators_tIbNS6_6detail15normal_iteratorINS6_10device_ptrIKiEEEESL_NS6_8equal_toIiEEEENSG_9not_fun_tINSD_8identityEEEEENSD_19counting_iterator_tIlEES8_S8_S8_S8_S8_S8_S8_S8_EEEEPS9_S9_NSD_9__find_if7functorIS9_EEEE10hipError_tPvRmT1_T2_T3_mT4_P12ihipStream_tbEUlT_E1_NS1_11comp_targetILNS1_3genE10ELNS1_11target_archE1201ELNS1_3gpuE5ELNS1_3repE0EEENS1_30default_config_static_selectorELNS0_4arch9wavefront6targetE1EEEvS14_.num_vgpr, 0
	.set _ZN7rocprim17ROCPRIM_400000_NS6detail17trampoline_kernelINS0_14default_configENS1_22reduce_config_selectorIN6thrust23THRUST_200600_302600_NS5tupleIblNS6_9null_typeES8_S8_S8_S8_S8_S8_S8_EEEEZNS1_11reduce_implILb1ES3_NS6_12zip_iteratorINS7_INS6_11hip_rocprim26transform_input_iterator_tIbNSD_35transform_pair_of_input_iterators_tIbNS6_6detail15normal_iteratorINS6_10device_ptrIKiEEEESL_NS6_8equal_toIiEEEENSG_9not_fun_tINSD_8identityEEEEENSD_19counting_iterator_tIlEES8_S8_S8_S8_S8_S8_S8_S8_EEEEPS9_S9_NSD_9__find_if7functorIS9_EEEE10hipError_tPvRmT1_T2_T3_mT4_P12ihipStream_tbEUlT_E1_NS1_11comp_targetILNS1_3genE10ELNS1_11target_archE1201ELNS1_3gpuE5ELNS1_3repE0EEENS1_30default_config_static_selectorELNS0_4arch9wavefront6targetE1EEEvS14_.num_agpr, 0
	.set _ZN7rocprim17ROCPRIM_400000_NS6detail17trampoline_kernelINS0_14default_configENS1_22reduce_config_selectorIN6thrust23THRUST_200600_302600_NS5tupleIblNS6_9null_typeES8_S8_S8_S8_S8_S8_S8_EEEEZNS1_11reduce_implILb1ES3_NS6_12zip_iteratorINS7_INS6_11hip_rocprim26transform_input_iterator_tIbNSD_35transform_pair_of_input_iterators_tIbNS6_6detail15normal_iteratorINS6_10device_ptrIKiEEEESL_NS6_8equal_toIiEEEENSG_9not_fun_tINSD_8identityEEEEENSD_19counting_iterator_tIlEES8_S8_S8_S8_S8_S8_S8_S8_EEEEPS9_S9_NSD_9__find_if7functorIS9_EEEE10hipError_tPvRmT1_T2_T3_mT4_P12ihipStream_tbEUlT_E1_NS1_11comp_targetILNS1_3genE10ELNS1_11target_archE1201ELNS1_3gpuE5ELNS1_3repE0EEENS1_30default_config_static_selectorELNS0_4arch9wavefront6targetE1EEEvS14_.numbered_sgpr, 0
	.set _ZN7rocprim17ROCPRIM_400000_NS6detail17trampoline_kernelINS0_14default_configENS1_22reduce_config_selectorIN6thrust23THRUST_200600_302600_NS5tupleIblNS6_9null_typeES8_S8_S8_S8_S8_S8_S8_EEEEZNS1_11reduce_implILb1ES3_NS6_12zip_iteratorINS7_INS6_11hip_rocprim26transform_input_iterator_tIbNSD_35transform_pair_of_input_iterators_tIbNS6_6detail15normal_iteratorINS6_10device_ptrIKiEEEESL_NS6_8equal_toIiEEEENSG_9not_fun_tINSD_8identityEEEEENSD_19counting_iterator_tIlEES8_S8_S8_S8_S8_S8_S8_S8_EEEEPS9_S9_NSD_9__find_if7functorIS9_EEEE10hipError_tPvRmT1_T2_T3_mT4_P12ihipStream_tbEUlT_E1_NS1_11comp_targetILNS1_3genE10ELNS1_11target_archE1201ELNS1_3gpuE5ELNS1_3repE0EEENS1_30default_config_static_selectorELNS0_4arch9wavefront6targetE1EEEvS14_.num_named_barrier, 0
	.set _ZN7rocprim17ROCPRIM_400000_NS6detail17trampoline_kernelINS0_14default_configENS1_22reduce_config_selectorIN6thrust23THRUST_200600_302600_NS5tupleIblNS6_9null_typeES8_S8_S8_S8_S8_S8_S8_EEEEZNS1_11reduce_implILb1ES3_NS6_12zip_iteratorINS7_INS6_11hip_rocprim26transform_input_iterator_tIbNSD_35transform_pair_of_input_iterators_tIbNS6_6detail15normal_iteratorINS6_10device_ptrIKiEEEESL_NS6_8equal_toIiEEEENSG_9not_fun_tINSD_8identityEEEEENSD_19counting_iterator_tIlEES8_S8_S8_S8_S8_S8_S8_S8_EEEEPS9_S9_NSD_9__find_if7functorIS9_EEEE10hipError_tPvRmT1_T2_T3_mT4_P12ihipStream_tbEUlT_E1_NS1_11comp_targetILNS1_3genE10ELNS1_11target_archE1201ELNS1_3gpuE5ELNS1_3repE0EEENS1_30default_config_static_selectorELNS0_4arch9wavefront6targetE1EEEvS14_.private_seg_size, 0
	.set _ZN7rocprim17ROCPRIM_400000_NS6detail17trampoline_kernelINS0_14default_configENS1_22reduce_config_selectorIN6thrust23THRUST_200600_302600_NS5tupleIblNS6_9null_typeES8_S8_S8_S8_S8_S8_S8_EEEEZNS1_11reduce_implILb1ES3_NS6_12zip_iteratorINS7_INS6_11hip_rocprim26transform_input_iterator_tIbNSD_35transform_pair_of_input_iterators_tIbNS6_6detail15normal_iteratorINS6_10device_ptrIKiEEEESL_NS6_8equal_toIiEEEENSG_9not_fun_tINSD_8identityEEEEENSD_19counting_iterator_tIlEES8_S8_S8_S8_S8_S8_S8_S8_EEEEPS9_S9_NSD_9__find_if7functorIS9_EEEE10hipError_tPvRmT1_T2_T3_mT4_P12ihipStream_tbEUlT_E1_NS1_11comp_targetILNS1_3genE10ELNS1_11target_archE1201ELNS1_3gpuE5ELNS1_3repE0EEENS1_30default_config_static_selectorELNS0_4arch9wavefront6targetE1EEEvS14_.uses_vcc, 0
	.set _ZN7rocprim17ROCPRIM_400000_NS6detail17trampoline_kernelINS0_14default_configENS1_22reduce_config_selectorIN6thrust23THRUST_200600_302600_NS5tupleIblNS6_9null_typeES8_S8_S8_S8_S8_S8_S8_EEEEZNS1_11reduce_implILb1ES3_NS6_12zip_iteratorINS7_INS6_11hip_rocprim26transform_input_iterator_tIbNSD_35transform_pair_of_input_iterators_tIbNS6_6detail15normal_iteratorINS6_10device_ptrIKiEEEESL_NS6_8equal_toIiEEEENSG_9not_fun_tINSD_8identityEEEEENSD_19counting_iterator_tIlEES8_S8_S8_S8_S8_S8_S8_S8_EEEEPS9_S9_NSD_9__find_if7functorIS9_EEEE10hipError_tPvRmT1_T2_T3_mT4_P12ihipStream_tbEUlT_E1_NS1_11comp_targetILNS1_3genE10ELNS1_11target_archE1201ELNS1_3gpuE5ELNS1_3repE0EEENS1_30default_config_static_selectorELNS0_4arch9wavefront6targetE1EEEvS14_.uses_flat_scratch, 0
	.set _ZN7rocprim17ROCPRIM_400000_NS6detail17trampoline_kernelINS0_14default_configENS1_22reduce_config_selectorIN6thrust23THRUST_200600_302600_NS5tupleIblNS6_9null_typeES8_S8_S8_S8_S8_S8_S8_EEEEZNS1_11reduce_implILb1ES3_NS6_12zip_iteratorINS7_INS6_11hip_rocprim26transform_input_iterator_tIbNSD_35transform_pair_of_input_iterators_tIbNS6_6detail15normal_iteratorINS6_10device_ptrIKiEEEESL_NS6_8equal_toIiEEEENSG_9not_fun_tINSD_8identityEEEEENSD_19counting_iterator_tIlEES8_S8_S8_S8_S8_S8_S8_S8_EEEEPS9_S9_NSD_9__find_if7functorIS9_EEEE10hipError_tPvRmT1_T2_T3_mT4_P12ihipStream_tbEUlT_E1_NS1_11comp_targetILNS1_3genE10ELNS1_11target_archE1201ELNS1_3gpuE5ELNS1_3repE0EEENS1_30default_config_static_selectorELNS0_4arch9wavefront6targetE1EEEvS14_.has_dyn_sized_stack, 0
	.set _ZN7rocprim17ROCPRIM_400000_NS6detail17trampoline_kernelINS0_14default_configENS1_22reduce_config_selectorIN6thrust23THRUST_200600_302600_NS5tupleIblNS6_9null_typeES8_S8_S8_S8_S8_S8_S8_EEEEZNS1_11reduce_implILb1ES3_NS6_12zip_iteratorINS7_INS6_11hip_rocprim26transform_input_iterator_tIbNSD_35transform_pair_of_input_iterators_tIbNS6_6detail15normal_iteratorINS6_10device_ptrIKiEEEESL_NS6_8equal_toIiEEEENSG_9not_fun_tINSD_8identityEEEEENSD_19counting_iterator_tIlEES8_S8_S8_S8_S8_S8_S8_S8_EEEEPS9_S9_NSD_9__find_if7functorIS9_EEEE10hipError_tPvRmT1_T2_T3_mT4_P12ihipStream_tbEUlT_E1_NS1_11comp_targetILNS1_3genE10ELNS1_11target_archE1201ELNS1_3gpuE5ELNS1_3repE0EEENS1_30default_config_static_selectorELNS0_4arch9wavefront6targetE1EEEvS14_.has_recursion, 0
	.set _ZN7rocprim17ROCPRIM_400000_NS6detail17trampoline_kernelINS0_14default_configENS1_22reduce_config_selectorIN6thrust23THRUST_200600_302600_NS5tupleIblNS6_9null_typeES8_S8_S8_S8_S8_S8_S8_EEEEZNS1_11reduce_implILb1ES3_NS6_12zip_iteratorINS7_INS6_11hip_rocprim26transform_input_iterator_tIbNSD_35transform_pair_of_input_iterators_tIbNS6_6detail15normal_iteratorINS6_10device_ptrIKiEEEESL_NS6_8equal_toIiEEEENSG_9not_fun_tINSD_8identityEEEEENSD_19counting_iterator_tIlEES8_S8_S8_S8_S8_S8_S8_S8_EEEEPS9_S9_NSD_9__find_if7functorIS9_EEEE10hipError_tPvRmT1_T2_T3_mT4_P12ihipStream_tbEUlT_E1_NS1_11comp_targetILNS1_3genE10ELNS1_11target_archE1201ELNS1_3gpuE5ELNS1_3repE0EEENS1_30default_config_static_selectorELNS0_4arch9wavefront6targetE1EEEvS14_.has_indirect_call, 0
	.section	.AMDGPU.csdata,"",@progbits
; Kernel info:
; codeLenInByte = 0
; TotalNumSgprs: 4
; NumVgprs: 0
; ScratchSize: 0
; MemoryBound: 0
; FloatMode: 240
; IeeeMode: 1
; LDSByteSize: 0 bytes/workgroup (compile time only)
; SGPRBlocks: 0
; VGPRBlocks: 0
; NumSGPRsForWavesPerEU: 4
; NumVGPRsForWavesPerEU: 1
; Occupancy: 10
; WaveLimiterHint : 0
; COMPUTE_PGM_RSRC2:SCRATCH_EN: 0
; COMPUTE_PGM_RSRC2:USER_SGPR: 6
; COMPUTE_PGM_RSRC2:TRAP_HANDLER: 0
; COMPUTE_PGM_RSRC2:TGID_X_EN: 1
; COMPUTE_PGM_RSRC2:TGID_Y_EN: 0
; COMPUTE_PGM_RSRC2:TGID_Z_EN: 0
; COMPUTE_PGM_RSRC2:TIDIG_COMP_CNT: 0
	.section	.text._ZN7rocprim17ROCPRIM_400000_NS6detail17trampoline_kernelINS0_14default_configENS1_22reduce_config_selectorIN6thrust23THRUST_200600_302600_NS5tupleIblNS6_9null_typeES8_S8_S8_S8_S8_S8_S8_EEEEZNS1_11reduce_implILb1ES3_NS6_12zip_iteratorINS7_INS6_11hip_rocprim26transform_input_iterator_tIbNSD_35transform_pair_of_input_iterators_tIbNS6_6detail15normal_iteratorINS6_10device_ptrIKiEEEESL_NS6_8equal_toIiEEEENSG_9not_fun_tINSD_8identityEEEEENSD_19counting_iterator_tIlEES8_S8_S8_S8_S8_S8_S8_S8_EEEEPS9_S9_NSD_9__find_if7functorIS9_EEEE10hipError_tPvRmT1_T2_T3_mT4_P12ihipStream_tbEUlT_E1_NS1_11comp_targetILNS1_3genE10ELNS1_11target_archE1200ELNS1_3gpuE4ELNS1_3repE0EEENS1_30default_config_static_selectorELNS0_4arch9wavefront6targetE1EEEvS14_,"axG",@progbits,_ZN7rocprim17ROCPRIM_400000_NS6detail17trampoline_kernelINS0_14default_configENS1_22reduce_config_selectorIN6thrust23THRUST_200600_302600_NS5tupleIblNS6_9null_typeES8_S8_S8_S8_S8_S8_S8_EEEEZNS1_11reduce_implILb1ES3_NS6_12zip_iteratorINS7_INS6_11hip_rocprim26transform_input_iterator_tIbNSD_35transform_pair_of_input_iterators_tIbNS6_6detail15normal_iteratorINS6_10device_ptrIKiEEEESL_NS6_8equal_toIiEEEENSG_9not_fun_tINSD_8identityEEEEENSD_19counting_iterator_tIlEES8_S8_S8_S8_S8_S8_S8_S8_EEEEPS9_S9_NSD_9__find_if7functorIS9_EEEE10hipError_tPvRmT1_T2_T3_mT4_P12ihipStream_tbEUlT_E1_NS1_11comp_targetILNS1_3genE10ELNS1_11target_archE1200ELNS1_3gpuE4ELNS1_3repE0EEENS1_30default_config_static_selectorELNS0_4arch9wavefront6targetE1EEEvS14_,comdat
	.protected	_ZN7rocprim17ROCPRIM_400000_NS6detail17trampoline_kernelINS0_14default_configENS1_22reduce_config_selectorIN6thrust23THRUST_200600_302600_NS5tupleIblNS6_9null_typeES8_S8_S8_S8_S8_S8_S8_EEEEZNS1_11reduce_implILb1ES3_NS6_12zip_iteratorINS7_INS6_11hip_rocprim26transform_input_iterator_tIbNSD_35transform_pair_of_input_iterators_tIbNS6_6detail15normal_iteratorINS6_10device_ptrIKiEEEESL_NS6_8equal_toIiEEEENSG_9not_fun_tINSD_8identityEEEEENSD_19counting_iterator_tIlEES8_S8_S8_S8_S8_S8_S8_S8_EEEEPS9_S9_NSD_9__find_if7functorIS9_EEEE10hipError_tPvRmT1_T2_T3_mT4_P12ihipStream_tbEUlT_E1_NS1_11comp_targetILNS1_3genE10ELNS1_11target_archE1200ELNS1_3gpuE4ELNS1_3repE0EEENS1_30default_config_static_selectorELNS0_4arch9wavefront6targetE1EEEvS14_ ; -- Begin function _ZN7rocprim17ROCPRIM_400000_NS6detail17trampoline_kernelINS0_14default_configENS1_22reduce_config_selectorIN6thrust23THRUST_200600_302600_NS5tupleIblNS6_9null_typeES8_S8_S8_S8_S8_S8_S8_EEEEZNS1_11reduce_implILb1ES3_NS6_12zip_iteratorINS7_INS6_11hip_rocprim26transform_input_iterator_tIbNSD_35transform_pair_of_input_iterators_tIbNS6_6detail15normal_iteratorINS6_10device_ptrIKiEEEESL_NS6_8equal_toIiEEEENSG_9not_fun_tINSD_8identityEEEEENSD_19counting_iterator_tIlEES8_S8_S8_S8_S8_S8_S8_S8_EEEEPS9_S9_NSD_9__find_if7functorIS9_EEEE10hipError_tPvRmT1_T2_T3_mT4_P12ihipStream_tbEUlT_E1_NS1_11comp_targetILNS1_3genE10ELNS1_11target_archE1200ELNS1_3gpuE4ELNS1_3repE0EEENS1_30default_config_static_selectorELNS0_4arch9wavefront6targetE1EEEvS14_
	.globl	_ZN7rocprim17ROCPRIM_400000_NS6detail17trampoline_kernelINS0_14default_configENS1_22reduce_config_selectorIN6thrust23THRUST_200600_302600_NS5tupleIblNS6_9null_typeES8_S8_S8_S8_S8_S8_S8_EEEEZNS1_11reduce_implILb1ES3_NS6_12zip_iteratorINS7_INS6_11hip_rocprim26transform_input_iterator_tIbNSD_35transform_pair_of_input_iterators_tIbNS6_6detail15normal_iteratorINS6_10device_ptrIKiEEEESL_NS6_8equal_toIiEEEENSG_9not_fun_tINSD_8identityEEEEENSD_19counting_iterator_tIlEES8_S8_S8_S8_S8_S8_S8_S8_EEEEPS9_S9_NSD_9__find_if7functorIS9_EEEE10hipError_tPvRmT1_T2_T3_mT4_P12ihipStream_tbEUlT_E1_NS1_11comp_targetILNS1_3genE10ELNS1_11target_archE1200ELNS1_3gpuE4ELNS1_3repE0EEENS1_30default_config_static_selectorELNS0_4arch9wavefront6targetE1EEEvS14_
	.p2align	8
	.type	_ZN7rocprim17ROCPRIM_400000_NS6detail17trampoline_kernelINS0_14default_configENS1_22reduce_config_selectorIN6thrust23THRUST_200600_302600_NS5tupleIblNS6_9null_typeES8_S8_S8_S8_S8_S8_S8_EEEEZNS1_11reduce_implILb1ES3_NS6_12zip_iteratorINS7_INS6_11hip_rocprim26transform_input_iterator_tIbNSD_35transform_pair_of_input_iterators_tIbNS6_6detail15normal_iteratorINS6_10device_ptrIKiEEEESL_NS6_8equal_toIiEEEENSG_9not_fun_tINSD_8identityEEEEENSD_19counting_iterator_tIlEES8_S8_S8_S8_S8_S8_S8_S8_EEEEPS9_S9_NSD_9__find_if7functorIS9_EEEE10hipError_tPvRmT1_T2_T3_mT4_P12ihipStream_tbEUlT_E1_NS1_11comp_targetILNS1_3genE10ELNS1_11target_archE1200ELNS1_3gpuE4ELNS1_3repE0EEENS1_30default_config_static_selectorELNS0_4arch9wavefront6targetE1EEEvS14_,@function
_ZN7rocprim17ROCPRIM_400000_NS6detail17trampoline_kernelINS0_14default_configENS1_22reduce_config_selectorIN6thrust23THRUST_200600_302600_NS5tupleIblNS6_9null_typeES8_S8_S8_S8_S8_S8_S8_EEEEZNS1_11reduce_implILb1ES3_NS6_12zip_iteratorINS7_INS6_11hip_rocprim26transform_input_iterator_tIbNSD_35transform_pair_of_input_iterators_tIbNS6_6detail15normal_iteratorINS6_10device_ptrIKiEEEESL_NS6_8equal_toIiEEEENSG_9not_fun_tINSD_8identityEEEEENSD_19counting_iterator_tIlEES8_S8_S8_S8_S8_S8_S8_S8_EEEEPS9_S9_NSD_9__find_if7functorIS9_EEEE10hipError_tPvRmT1_T2_T3_mT4_P12ihipStream_tbEUlT_E1_NS1_11comp_targetILNS1_3genE10ELNS1_11target_archE1200ELNS1_3gpuE4ELNS1_3repE0EEENS1_30default_config_static_selectorELNS0_4arch9wavefront6targetE1EEEvS14_: ; @_ZN7rocprim17ROCPRIM_400000_NS6detail17trampoline_kernelINS0_14default_configENS1_22reduce_config_selectorIN6thrust23THRUST_200600_302600_NS5tupleIblNS6_9null_typeES8_S8_S8_S8_S8_S8_S8_EEEEZNS1_11reduce_implILb1ES3_NS6_12zip_iteratorINS7_INS6_11hip_rocprim26transform_input_iterator_tIbNSD_35transform_pair_of_input_iterators_tIbNS6_6detail15normal_iteratorINS6_10device_ptrIKiEEEESL_NS6_8equal_toIiEEEENSG_9not_fun_tINSD_8identityEEEEENSD_19counting_iterator_tIlEES8_S8_S8_S8_S8_S8_S8_S8_EEEEPS9_S9_NSD_9__find_if7functorIS9_EEEE10hipError_tPvRmT1_T2_T3_mT4_P12ihipStream_tbEUlT_E1_NS1_11comp_targetILNS1_3genE10ELNS1_11target_archE1200ELNS1_3gpuE4ELNS1_3repE0EEENS1_30default_config_static_selectorELNS0_4arch9wavefront6targetE1EEEvS14_
; %bb.0:
	.section	.rodata,"a",@progbits
	.p2align	6, 0x0
	.amdhsa_kernel _ZN7rocprim17ROCPRIM_400000_NS6detail17trampoline_kernelINS0_14default_configENS1_22reduce_config_selectorIN6thrust23THRUST_200600_302600_NS5tupleIblNS6_9null_typeES8_S8_S8_S8_S8_S8_S8_EEEEZNS1_11reduce_implILb1ES3_NS6_12zip_iteratorINS7_INS6_11hip_rocprim26transform_input_iterator_tIbNSD_35transform_pair_of_input_iterators_tIbNS6_6detail15normal_iteratorINS6_10device_ptrIKiEEEESL_NS6_8equal_toIiEEEENSG_9not_fun_tINSD_8identityEEEEENSD_19counting_iterator_tIlEES8_S8_S8_S8_S8_S8_S8_S8_EEEEPS9_S9_NSD_9__find_if7functorIS9_EEEE10hipError_tPvRmT1_T2_T3_mT4_P12ihipStream_tbEUlT_E1_NS1_11comp_targetILNS1_3genE10ELNS1_11target_archE1200ELNS1_3gpuE4ELNS1_3repE0EEENS1_30default_config_static_selectorELNS0_4arch9wavefront6targetE1EEEvS14_
		.amdhsa_group_segment_fixed_size 0
		.amdhsa_private_segment_fixed_size 0
		.amdhsa_kernarg_size 88
		.amdhsa_user_sgpr_count 6
		.amdhsa_user_sgpr_private_segment_buffer 1
		.amdhsa_user_sgpr_dispatch_ptr 0
		.amdhsa_user_sgpr_queue_ptr 0
		.amdhsa_user_sgpr_kernarg_segment_ptr 1
		.amdhsa_user_sgpr_dispatch_id 0
		.amdhsa_user_sgpr_flat_scratch_init 0
		.amdhsa_user_sgpr_private_segment_size 0
		.amdhsa_uses_dynamic_stack 0
		.amdhsa_system_sgpr_private_segment_wavefront_offset 0
		.amdhsa_system_sgpr_workgroup_id_x 1
		.amdhsa_system_sgpr_workgroup_id_y 0
		.amdhsa_system_sgpr_workgroup_id_z 0
		.amdhsa_system_sgpr_workgroup_info 0
		.amdhsa_system_vgpr_workitem_id 0
		.amdhsa_next_free_vgpr 1
		.amdhsa_next_free_sgpr 0
		.amdhsa_reserve_vcc 0
		.amdhsa_reserve_flat_scratch 0
		.amdhsa_float_round_mode_32 0
		.amdhsa_float_round_mode_16_64 0
		.amdhsa_float_denorm_mode_32 3
		.amdhsa_float_denorm_mode_16_64 3
		.amdhsa_dx10_clamp 1
		.amdhsa_ieee_mode 1
		.amdhsa_fp16_overflow 0
		.amdhsa_exception_fp_ieee_invalid_op 0
		.amdhsa_exception_fp_denorm_src 0
		.amdhsa_exception_fp_ieee_div_zero 0
		.amdhsa_exception_fp_ieee_overflow 0
		.amdhsa_exception_fp_ieee_underflow 0
		.amdhsa_exception_fp_ieee_inexact 0
		.amdhsa_exception_int_div_zero 0
	.end_amdhsa_kernel
	.section	.text._ZN7rocprim17ROCPRIM_400000_NS6detail17trampoline_kernelINS0_14default_configENS1_22reduce_config_selectorIN6thrust23THRUST_200600_302600_NS5tupleIblNS6_9null_typeES8_S8_S8_S8_S8_S8_S8_EEEEZNS1_11reduce_implILb1ES3_NS6_12zip_iteratorINS7_INS6_11hip_rocprim26transform_input_iterator_tIbNSD_35transform_pair_of_input_iterators_tIbNS6_6detail15normal_iteratorINS6_10device_ptrIKiEEEESL_NS6_8equal_toIiEEEENSG_9not_fun_tINSD_8identityEEEEENSD_19counting_iterator_tIlEES8_S8_S8_S8_S8_S8_S8_S8_EEEEPS9_S9_NSD_9__find_if7functorIS9_EEEE10hipError_tPvRmT1_T2_T3_mT4_P12ihipStream_tbEUlT_E1_NS1_11comp_targetILNS1_3genE10ELNS1_11target_archE1200ELNS1_3gpuE4ELNS1_3repE0EEENS1_30default_config_static_selectorELNS0_4arch9wavefront6targetE1EEEvS14_,"axG",@progbits,_ZN7rocprim17ROCPRIM_400000_NS6detail17trampoline_kernelINS0_14default_configENS1_22reduce_config_selectorIN6thrust23THRUST_200600_302600_NS5tupleIblNS6_9null_typeES8_S8_S8_S8_S8_S8_S8_EEEEZNS1_11reduce_implILb1ES3_NS6_12zip_iteratorINS7_INS6_11hip_rocprim26transform_input_iterator_tIbNSD_35transform_pair_of_input_iterators_tIbNS6_6detail15normal_iteratorINS6_10device_ptrIKiEEEESL_NS6_8equal_toIiEEEENSG_9not_fun_tINSD_8identityEEEEENSD_19counting_iterator_tIlEES8_S8_S8_S8_S8_S8_S8_S8_EEEEPS9_S9_NSD_9__find_if7functorIS9_EEEE10hipError_tPvRmT1_T2_T3_mT4_P12ihipStream_tbEUlT_E1_NS1_11comp_targetILNS1_3genE10ELNS1_11target_archE1200ELNS1_3gpuE4ELNS1_3repE0EEENS1_30default_config_static_selectorELNS0_4arch9wavefront6targetE1EEEvS14_,comdat
.Lfunc_end552:
	.size	_ZN7rocprim17ROCPRIM_400000_NS6detail17trampoline_kernelINS0_14default_configENS1_22reduce_config_selectorIN6thrust23THRUST_200600_302600_NS5tupleIblNS6_9null_typeES8_S8_S8_S8_S8_S8_S8_EEEEZNS1_11reduce_implILb1ES3_NS6_12zip_iteratorINS7_INS6_11hip_rocprim26transform_input_iterator_tIbNSD_35transform_pair_of_input_iterators_tIbNS6_6detail15normal_iteratorINS6_10device_ptrIKiEEEESL_NS6_8equal_toIiEEEENSG_9not_fun_tINSD_8identityEEEEENSD_19counting_iterator_tIlEES8_S8_S8_S8_S8_S8_S8_S8_EEEEPS9_S9_NSD_9__find_if7functorIS9_EEEE10hipError_tPvRmT1_T2_T3_mT4_P12ihipStream_tbEUlT_E1_NS1_11comp_targetILNS1_3genE10ELNS1_11target_archE1200ELNS1_3gpuE4ELNS1_3repE0EEENS1_30default_config_static_selectorELNS0_4arch9wavefront6targetE1EEEvS14_, .Lfunc_end552-_ZN7rocprim17ROCPRIM_400000_NS6detail17trampoline_kernelINS0_14default_configENS1_22reduce_config_selectorIN6thrust23THRUST_200600_302600_NS5tupleIblNS6_9null_typeES8_S8_S8_S8_S8_S8_S8_EEEEZNS1_11reduce_implILb1ES3_NS6_12zip_iteratorINS7_INS6_11hip_rocprim26transform_input_iterator_tIbNSD_35transform_pair_of_input_iterators_tIbNS6_6detail15normal_iteratorINS6_10device_ptrIKiEEEESL_NS6_8equal_toIiEEEENSG_9not_fun_tINSD_8identityEEEEENSD_19counting_iterator_tIlEES8_S8_S8_S8_S8_S8_S8_S8_EEEEPS9_S9_NSD_9__find_if7functorIS9_EEEE10hipError_tPvRmT1_T2_T3_mT4_P12ihipStream_tbEUlT_E1_NS1_11comp_targetILNS1_3genE10ELNS1_11target_archE1200ELNS1_3gpuE4ELNS1_3repE0EEENS1_30default_config_static_selectorELNS0_4arch9wavefront6targetE1EEEvS14_
                                        ; -- End function
	.set _ZN7rocprim17ROCPRIM_400000_NS6detail17trampoline_kernelINS0_14default_configENS1_22reduce_config_selectorIN6thrust23THRUST_200600_302600_NS5tupleIblNS6_9null_typeES8_S8_S8_S8_S8_S8_S8_EEEEZNS1_11reduce_implILb1ES3_NS6_12zip_iteratorINS7_INS6_11hip_rocprim26transform_input_iterator_tIbNSD_35transform_pair_of_input_iterators_tIbNS6_6detail15normal_iteratorINS6_10device_ptrIKiEEEESL_NS6_8equal_toIiEEEENSG_9not_fun_tINSD_8identityEEEEENSD_19counting_iterator_tIlEES8_S8_S8_S8_S8_S8_S8_S8_EEEEPS9_S9_NSD_9__find_if7functorIS9_EEEE10hipError_tPvRmT1_T2_T3_mT4_P12ihipStream_tbEUlT_E1_NS1_11comp_targetILNS1_3genE10ELNS1_11target_archE1200ELNS1_3gpuE4ELNS1_3repE0EEENS1_30default_config_static_selectorELNS0_4arch9wavefront6targetE1EEEvS14_.num_vgpr, 0
	.set _ZN7rocprim17ROCPRIM_400000_NS6detail17trampoline_kernelINS0_14default_configENS1_22reduce_config_selectorIN6thrust23THRUST_200600_302600_NS5tupleIblNS6_9null_typeES8_S8_S8_S8_S8_S8_S8_EEEEZNS1_11reduce_implILb1ES3_NS6_12zip_iteratorINS7_INS6_11hip_rocprim26transform_input_iterator_tIbNSD_35transform_pair_of_input_iterators_tIbNS6_6detail15normal_iteratorINS6_10device_ptrIKiEEEESL_NS6_8equal_toIiEEEENSG_9not_fun_tINSD_8identityEEEEENSD_19counting_iterator_tIlEES8_S8_S8_S8_S8_S8_S8_S8_EEEEPS9_S9_NSD_9__find_if7functorIS9_EEEE10hipError_tPvRmT1_T2_T3_mT4_P12ihipStream_tbEUlT_E1_NS1_11comp_targetILNS1_3genE10ELNS1_11target_archE1200ELNS1_3gpuE4ELNS1_3repE0EEENS1_30default_config_static_selectorELNS0_4arch9wavefront6targetE1EEEvS14_.num_agpr, 0
	.set _ZN7rocprim17ROCPRIM_400000_NS6detail17trampoline_kernelINS0_14default_configENS1_22reduce_config_selectorIN6thrust23THRUST_200600_302600_NS5tupleIblNS6_9null_typeES8_S8_S8_S8_S8_S8_S8_EEEEZNS1_11reduce_implILb1ES3_NS6_12zip_iteratorINS7_INS6_11hip_rocprim26transform_input_iterator_tIbNSD_35transform_pair_of_input_iterators_tIbNS6_6detail15normal_iteratorINS6_10device_ptrIKiEEEESL_NS6_8equal_toIiEEEENSG_9not_fun_tINSD_8identityEEEEENSD_19counting_iterator_tIlEES8_S8_S8_S8_S8_S8_S8_S8_EEEEPS9_S9_NSD_9__find_if7functorIS9_EEEE10hipError_tPvRmT1_T2_T3_mT4_P12ihipStream_tbEUlT_E1_NS1_11comp_targetILNS1_3genE10ELNS1_11target_archE1200ELNS1_3gpuE4ELNS1_3repE0EEENS1_30default_config_static_selectorELNS0_4arch9wavefront6targetE1EEEvS14_.numbered_sgpr, 0
	.set _ZN7rocprim17ROCPRIM_400000_NS6detail17trampoline_kernelINS0_14default_configENS1_22reduce_config_selectorIN6thrust23THRUST_200600_302600_NS5tupleIblNS6_9null_typeES8_S8_S8_S8_S8_S8_S8_EEEEZNS1_11reduce_implILb1ES3_NS6_12zip_iteratorINS7_INS6_11hip_rocprim26transform_input_iterator_tIbNSD_35transform_pair_of_input_iterators_tIbNS6_6detail15normal_iteratorINS6_10device_ptrIKiEEEESL_NS6_8equal_toIiEEEENSG_9not_fun_tINSD_8identityEEEEENSD_19counting_iterator_tIlEES8_S8_S8_S8_S8_S8_S8_S8_EEEEPS9_S9_NSD_9__find_if7functorIS9_EEEE10hipError_tPvRmT1_T2_T3_mT4_P12ihipStream_tbEUlT_E1_NS1_11comp_targetILNS1_3genE10ELNS1_11target_archE1200ELNS1_3gpuE4ELNS1_3repE0EEENS1_30default_config_static_selectorELNS0_4arch9wavefront6targetE1EEEvS14_.num_named_barrier, 0
	.set _ZN7rocprim17ROCPRIM_400000_NS6detail17trampoline_kernelINS0_14default_configENS1_22reduce_config_selectorIN6thrust23THRUST_200600_302600_NS5tupleIblNS6_9null_typeES8_S8_S8_S8_S8_S8_S8_EEEEZNS1_11reduce_implILb1ES3_NS6_12zip_iteratorINS7_INS6_11hip_rocprim26transform_input_iterator_tIbNSD_35transform_pair_of_input_iterators_tIbNS6_6detail15normal_iteratorINS6_10device_ptrIKiEEEESL_NS6_8equal_toIiEEEENSG_9not_fun_tINSD_8identityEEEEENSD_19counting_iterator_tIlEES8_S8_S8_S8_S8_S8_S8_S8_EEEEPS9_S9_NSD_9__find_if7functorIS9_EEEE10hipError_tPvRmT1_T2_T3_mT4_P12ihipStream_tbEUlT_E1_NS1_11comp_targetILNS1_3genE10ELNS1_11target_archE1200ELNS1_3gpuE4ELNS1_3repE0EEENS1_30default_config_static_selectorELNS0_4arch9wavefront6targetE1EEEvS14_.private_seg_size, 0
	.set _ZN7rocprim17ROCPRIM_400000_NS6detail17trampoline_kernelINS0_14default_configENS1_22reduce_config_selectorIN6thrust23THRUST_200600_302600_NS5tupleIblNS6_9null_typeES8_S8_S8_S8_S8_S8_S8_EEEEZNS1_11reduce_implILb1ES3_NS6_12zip_iteratorINS7_INS6_11hip_rocprim26transform_input_iterator_tIbNSD_35transform_pair_of_input_iterators_tIbNS6_6detail15normal_iteratorINS6_10device_ptrIKiEEEESL_NS6_8equal_toIiEEEENSG_9not_fun_tINSD_8identityEEEEENSD_19counting_iterator_tIlEES8_S8_S8_S8_S8_S8_S8_S8_EEEEPS9_S9_NSD_9__find_if7functorIS9_EEEE10hipError_tPvRmT1_T2_T3_mT4_P12ihipStream_tbEUlT_E1_NS1_11comp_targetILNS1_3genE10ELNS1_11target_archE1200ELNS1_3gpuE4ELNS1_3repE0EEENS1_30default_config_static_selectorELNS0_4arch9wavefront6targetE1EEEvS14_.uses_vcc, 0
	.set _ZN7rocprim17ROCPRIM_400000_NS6detail17trampoline_kernelINS0_14default_configENS1_22reduce_config_selectorIN6thrust23THRUST_200600_302600_NS5tupleIblNS6_9null_typeES8_S8_S8_S8_S8_S8_S8_EEEEZNS1_11reduce_implILb1ES3_NS6_12zip_iteratorINS7_INS6_11hip_rocprim26transform_input_iterator_tIbNSD_35transform_pair_of_input_iterators_tIbNS6_6detail15normal_iteratorINS6_10device_ptrIKiEEEESL_NS6_8equal_toIiEEEENSG_9not_fun_tINSD_8identityEEEEENSD_19counting_iterator_tIlEES8_S8_S8_S8_S8_S8_S8_S8_EEEEPS9_S9_NSD_9__find_if7functorIS9_EEEE10hipError_tPvRmT1_T2_T3_mT4_P12ihipStream_tbEUlT_E1_NS1_11comp_targetILNS1_3genE10ELNS1_11target_archE1200ELNS1_3gpuE4ELNS1_3repE0EEENS1_30default_config_static_selectorELNS0_4arch9wavefront6targetE1EEEvS14_.uses_flat_scratch, 0
	.set _ZN7rocprim17ROCPRIM_400000_NS6detail17trampoline_kernelINS0_14default_configENS1_22reduce_config_selectorIN6thrust23THRUST_200600_302600_NS5tupleIblNS6_9null_typeES8_S8_S8_S8_S8_S8_S8_EEEEZNS1_11reduce_implILb1ES3_NS6_12zip_iteratorINS7_INS6_11hip_rocprim26transform_input_iterator_tIbNSD_35transform_pair_of_input_iterators_tIbNS6_6detail15normal_iteratorINS6_10device_ptrIKiEEEESL_NS6_8equal_toIiEEEENSG_9not_fun_tINSD_8identityEEEEENSD_19counting_iterator_tIlEES8_S8_S8_S8_S8_S8_S8_S8_EEEEPS9_S9_NSD_9__find_if7functorIS9_EEEE10hipError_tPvRmT1_T2_T3_mT4_P12ihipStream_tbEUlT_E1_NS1_11comp_targetILNS1_3genE10ELNS1_11target_archE1200ELNS1_3gpuE4ELNS1_3repE0EEENS1_30default_config_static_selectorELNS0_4arch9wavefront6targetE1EEEvS14_.has_dyn_sized_stack, 0
	.set _ZN7rocprim17ROCPRIM_400000_NS6detail17trampoline_kernelINS0_14default_configENS1_22reduce_config_selectorIN6thrust23THRUST_200600_302600_NS5tupleIblNS6_9null_typeES8_S8_S8_S8_S8_S8_S8_EEEEZNS1_11reduce_implILb1ES3_NS6_12zip_iteratorINS7_INS6_11hip_rocprim26transform_input_iterator_tIbNSD_35transform_pair_of_input_iterators_tIbNS6_6detail15normal_iteratorINS6_10device_ptrIKiEEEESL_NS6_8equal_toIiEEEENSG_9not_fun_tINSD_8identityEEEEENSD_19counting_iterator_tIlEES8_S8_S8_S8_S8_S8_S8_S8_EEEEPS9_S9_NSD_9__find_if7functorIS9_EEEE10hipError_tPvRmT1_T2_T3_mT4_P12ihipStream_tbEUlT_E1_NS1_11comp_targetILNS1_3genE10ELNS1_11target_archE1200ELNS1_3gpuE4ELNS1_3repE0EEENS1_30default_config_static_selectorELNS0_4arch9wavefront6targetE1EEEvS14_.has_recursion, 0
	.set _ZN7rocprim17ROCPRIM_400000_NS6detail17trampoline_kernelINS0_14default_configENS1_22reduce_config_selectorIN6thrust23THRUST_200600_302600_NS5tupleIblNS6_9null_typeES8_S8_S8_S8_S8_S8_S8_EEEEZNS1_11reduce_implILb1ES3_NS6_12zip_iteratorINS7_INS6_11hip_rocprim26transform_input_iterator_tIbNSD_35transform_pair_of_input_iterators_tIbNS6_6detail15normal_iteratorINS6_10device_ptrIKiEEEESL_NS6_8equal_toIiEEEENSG_9not_fun_tINSD_8identityEEEEENSD_19counting_iterator_tIlEES8_S8_S8_S8_S8_S8_S8_S8_EEEEPS9_S9_NSD_9__find_if7functorIS9_EEEE10hipError_tPvRmT1_T2_T3_mT4_P12ihipStream_tbEUlT_E1_NS1_11comp_targetILNS1_3genE10ELNS1_11target_archE1200ELNS1_3gpuE4ELNS1_3repE0EEENS1_30default_config_static_selectorELNS0_4arch9wavefront6targetE1EEEvS14_.has_indirect_call, 0
	.section	.AMDGPU.csdata,"",@progbits
; Kernel info:
; codeLenInByte = 0
; TotalNumSgprs: 4
; NumVgprs: 0
; ScratchSize: 0
; MemoryBound: 0
; FloatMode: 240
; IeeeMode: 1
; LDSByteSize: 0 bytes/workgroup (compile time only)
; SGPRBlocks: 0
; VGPRBlocks: 0
; NumSGPRsForWavesPerEU: 4
; NumVGPRsForWavesPerEU: 1
; Occupancy: 10
; WaveLimiterHint : 0
; COMPUTE_PGM_RSRC2:SCRATCH_EN: 0
; COMPUTE_PGM_RSRC2:USER_SGPR: 6
; COMPUTE_PGM_RSRC2:TRAP_HANDLER: 0
; COMPUTE_PGM_RSRC2:TGID_X_EN: 1
; COMPUTE_PGM_RSRC2:TGID_Y_EN: 0
; COMPUTE_PGM_RSRC2:TGID_Z_EN: 0
; COMPUTE_PGM_RSRC2:TIDIG_COMP_CNT: 0
	.section	.text._ZN7rocprim17ROCPRIM_400000_NS6detail17trampoline_kernelINS0_14default_configENS1_22reduce_config_selectorIN6thrust23THRUST_200600_302600_NS5tupleIblNS6_9null_typeES8_S8_S8_S8_S8_S8_S8_EEEEZNS1_11reduce_implILb1ES3_NS6_12zip_iteratorINS7_INS6_11hip_rocprim26transform_input_iterator_tIbNSD_35transform_pair_of_input_iterators_tIbNS6_6detail15normal_iteratorINS6_10device_ptrIKiEEEESL_NS6_8equal_toIiEEEENSG_9not_fun_tINSD_8identityEEEEENSD_19counting_iterator_tIlEES8_S8_S8_S8_S8_S8_S8_S8_EEEEPS9_S9_NSD_9__find_if7functorIS9_EEEE10hipError_tPvRmT1_T2_T3_mT4_P12ihipStream_tbEUlT_E1_NS1_11comp_targetILNS1_3genE9ELNS1_11target_archE1100ELNS1_3gpuE3ELNS1_3repE0EEENS1_30default_config_static_selectorELNS0_4arch9wavefront6targetE1EEEvS14_,"axG",@progbits,_ZN7rocprim17ROCPRIM_400000_NS6detail17trampoline_kernelINS0_14default_configENS1_22reduce_config_selectorIN6thrust23THRUST_200600_302600_NS5tupleIblNS6_9null_typeES8_S8_S8_S8_S8_S8_S8_EEEEZNS1_11reduce_implILb1ES3_NS6_12zip_iteratorINS7_INS6_11hip_rocprim26transform_input_iterator_tIbNSD_35transform_pair_of_input_iterators_tIbNS6_6detail15normal_iteratorINS6_10device_ptrIKiEEEESL_NS6_8equal_toIiEEEENSG_9not_fun_tINSD_8identityEEEEENSD_19counting_iterator_tIlEES8_S8_S8_S8_S8_S8_S8_S8_EEEEPS9_S9_NSD_9__find_if7functorIS9_EEEE10hipError_tPvRmT1_T2_T3_mT4_P12ihipStream_tbEUlT_E1_NS1_11comp_targetILNS1_3genE9ELNS1_11target_archE1100ELNS1_3gpuE3ELNS1_3repE0EEENS1_30default_config_static_selectorELNS0_4arch9wavefront6targetE1EEEvS14_,comdat
	.protected	_ZN7rocprim17ROCPRIM_400000_NS6detail17trampoline_kernelINS0_14default_configENS1_22reduce_config_selectorIN6thrust23THRUST_200600_302600_NS5tupleIblNS6_9null_typeES8_S8_S8_S8_S8_S8_S8_EEEEZNS1_11reduce_implILb1ES3_NS6_12zip_iteratorINS7_INS6_11hip_rocprim26transform_input_iterator_tIbNSD_35transform_pair_of_input_iterators_tIbNS6_6detail15normal_iteratorINS6_10device_ptrIKiEEEESL_NS6_8equal_toIiEEEENSG_9not_fun_tINSD_8identityEEEEENSD_19counting_iterator_tIlEES8_S8_S8_S8_S8_S8_S8_S8_EEEEPS9_S9_NSD_9__find_if7functorIS9_EEEE10hipError_tPvRmT1_T2_T3_mT4_P12ihipStream_tbEUlT_E1_NS1_11comp_targetILNS1_3genE9ELNS1_11target_archE1100ELNS1_3gpuE3ELNS1_3repE0EEENS1_30default_config_static_selectorELNS0_4arch9wavefront6targetE1EEEvS14_ ; -- Begin function _ZN7rocprim17ROCPRIM_400000_NS6detail17trampoline_kernelINS0_14default_configENS1_22reduce_config_selectorIN6thrust23THRUST_200600_302600_NS5tupleIblNS6_9null_typeES8_S8_S8_S8_S8_S8_S8_EEEEZNS1_11reduce_implILb1ES3_NS6_12zip_iteratorINS7_INS6_11hip_rocprim26transform_input_iterator_tIbNSD_35transform_pair_of_input_iterators_tIbNS6_6detail15normal_iteratorINS6_10device_ptrIKiEEEESL_NS6_8equal_toIiEEEENSG_9not_fun_tINSD_8identityEEEEENSD_19counting_iterator_tIlEES8_S8_S8_S8_S8_S8_S8_S8_EEEEPS9_S9_NSD_9__find_if7functorIS9_EEEE10hipError_tPvRmT1_T2_T3_mT4_P12ihipStream_tbEUlT_E1_NS1_11comp_targetILNS1_3genE9ELNS1_11target_archE1100ELNS1_3gpuE3ELNS1_3repE0EEENS1_30default_config_static_selectorELNS0_4arch9wavefront6targetE1EEEvS14_
	.globl	_ZN7rocprim17ROCPRIM_400000_NS6detail17trampoline_kernelINS0_14default_configENS1_22reduce_config_selectorIN6thrust23THRUST_200600_302600_NS5tupleIblNS6_9null_typeES8_S8_S8_S8_S8_S8_S8_EEEEZNS1_11reduce_implILb1ES3_NS6_12zip_iteratorINS7_INS6_11hip_rocprim26transform_input_iterator_tIbNSD_35transform_pair_of_input_iterators_tIbNS6_6detail15normal_iteratorINS6_10device_ptrIKiEEEESL_NS6_8equal_toIiEEEENSG_9not_fun_tINSD_8identityEEEEENSD_19counting_iterator_tIlEES8_S8_S8_S8_S8_S8_S8_S8_EEEEPS9_S9_NSD_9__find_if7functorIS9_EEEE10hipError_tPvRmT1_T2_T3_mT4_P12ihipStream_tbEUlT_E1_NS1_11comp_targetILNS1_3genE9ELNS1_11target_archE1100ELNS1_3gpuE3ELNS1_3repE0EEENS1_30default_config_static_selectorELNS0_4arch9wavefront6targetE1EEEvS14_
	.p2align	8
	.type	_ZN7rocprim17ROCPRIM_400000_NS6detail17trampoline_kernelINS0_14default_configENS1_22reduce_config_selectorIN6thrust23THRUST_200600_302600_NS5tupleIblNS6_9null_typeES8_S8_S8_S8_S8_S8_S8_EEEEZNS1_11reduce_implILb1ES3_NS6_12zip_iteratorINS7_INS6_11hip_rocprim26transform_input_iterator_tIbNSD_35transform_pair_of_input_iterators_tIbNS6_6detail15normal_iteratorINS6_10device_ptrIKiEEEESL_NS6_8equal_toIiEEEENSG_9not_fun_tINSD_8identityEEEEENSD_19counting_iterator_tIlEES8_S8_S8_S8_S8_S8_S8_S8_EEEEPS9_S9_NSD_9__find_if7functorIS9_EEEE10hipError_tPvRmT1_T2_T3_mT4_P12ihipStream_tbEUlT_E1_NS1_11comp_targetILNS1_3genE9ELNS1_11target_archE1100ELNS1_3gpuE3ELNS1_3repE0EEENS1_30default_config_static_selectorELNS0_4arch9wavefront6targetE1EEEvS14_,@function
_ZN7rocprim17ROCPRIM_400000_NS6detail17trampoline_kernelINS0_14default_configENS1_22reduce_config_selectorIN6thrust23THRUST_200600_302600_NS5tupleIblNS6_9null_typeES8_S8_S8_S8_S8_S8_S8_EEEEZNS1_11reduce_implILb1ES3_NS6_12zip_iteratorINS7_INS6_11hip_rocprim26transform_input_iterator_tIbNSD_35transform_pair_of_input_iterators_tIbNS6_6detail15normal_iteratorINS6_10device_ptrIKiEEEESL_NS6_8equal_toIiEEEENSG_9not_fun_tINSD_8identityEEEEENSD_19counting_iterator_tIlEES8_S8_S8_S8_S8_S8_S8_S8_EEEEPS9_S9_NSD_9__find_if7functorIS9_EEEE10hipError_tPvRmT1_T2_T3_mT4_P12ihipStream_tbEUlT_E1_NS1_11comp_targetILNS1_3genE9ELNS1_11target_archE1100ELNS1_3gpuE3ELNS1_3repE0EEENS1_30default_config_static_selectorELNS0_4arch9wavefront6targetE1EEEvS14_: ; @_ZN7rocprim17ROCPRIM_400000_NS6detail17trampoline_kernelINS0_14default_configENS1_22reduce_config_selectorIN6thrust23THRUST_200600_302600_NS5tupleIblNS6_9null_typeES8_S8_S8_S8_S8_S8_S8_EEEEZNS1_11reduce_implILb1ES3_NS6_12zip_iteratorINS7_INS6_11hip_rocprim26transform_input_iterator_tIbNSD_35transform_pair_of_input_iterators_tIbNS6_6detail15normal_iteratorINS6_10device_ptrIKiEEEESL_NS6_8equal_toIiEEEENSG_9not_fun_tINSD_8identityEEEEENSD_19counting_iterator_tIlEES8_S8_S8_S8_S8_S8_S8_S8_EEEEPS9_S9_NSD_9__find_if7functorIS9_EEEE10hipError_tPvRmT1_T2_T3_mT4_P12ihipStream_tbEUlT_E1_NS1_11comp_targetILNS1_3genE9ELNS1_11target_archE1100ELNS1_3gpuE3ELNS1_3repE0EEENS1_30default_config_static_selectorELNS0_4arch9wavefront6targetE1EEEvS14_
; %bb.0:
	.section	.rodata,"a",@progbits
	.p2align	6, 0x0
	.amdhsa_kernel _ZN7rocprim17ROCPRIM_400000_NS6detail17trampoline_kernelINS0_14default_configENS1_22reduce_config_selectorIN6thrust23THRUST_200600_302600_NS5tupleIblNS6_9null_typeES8_S8_S8_S8_S8_S8_S8_EEEEZNS1_11reduce_implILb1ES3_NS6_12zip_iteratorINS7_INS6_11hip_rocprim26transform_input_iterator_tIbNSD_35transform_pair_of_input_iterators_tIbNS6_6detail15normal_iteratorINS6_10device_ptrIKiEEEESL_NS6_8equal_toIiEEEENSG_9not_fun_tINSD_8identityEEEEENSD_19counting_iterator_tIlEES8_S8_S8_S8_S8_S8_S8_S8_EEEEPS9_S9_NSD_9__find_if7functorIS9_EEEE10hipError_tPvRmT1_T2_T3_mT4_P12ihipStream_tbEUlT_E1_NS1_11comp_targetILNS1_3genE9ELNS1_11target_archE1100ELNS1_3gpuE3ELNS1_3repE0EEENS1_30default_config_static_selectorELNS0_4arch9wavefront6targetE1EEEvS14_
		.amdhsa_group_segment_fixed_size 0
		.amdhsa_private_segment_fixed_size 0
		.amdhsa_kernarg_size 88
		.amdhsa_user_sgpr_count 6
		.amdhsa_user_sgpr_private_segment_buffer 1
		.amdhsa_user_sgpr_dispatch_ptr 0
		.amdhsa_user_sgpr_queue_ptr 0
		.amdhsa_user_sgpr_kernarg_segment_ptr 1
		.amdhsa_user_sgpr_dispatch_id 0
		.amdhsa_user_sgpr_flat_scratch_init 0
		.amdhsa_user_sgpr_private_segment_size 0
		.amdhsa_uses_dynamic_stack 0
		.amdhsa_system_sgpr_private_segment_wavefront_offset 0
		.amdhsa_system_sgpr_workgroup_id_x 1
		.amdhsa_system_sgpr_workgroup_id_y 0
		.amdhsa_system_sgpr_workgroup_id_z 0
		.amdhsa_system_sgpr_workgroup_info 0
		.amdhsa_system_vgpr_workitem_id 0
		.amdhsa_next_free_vgpr 1
		.amdhsa_next_free_sgpr 0
		.amdhsa_reserve_vcc 0
		.amdhsa_reserve_flat_scratch 0
		.amdhsa_float_round_mode_32 0
		.amdhsa_float_round_mode_16_64 0
		.amdhsa_float_denorm_mode_32 3
		.amdhsa_float_denorm_mode_16_64 3
		.amdhsa_dx10_clamp 1
		.amdhsa_ieee_mode 1
		.amdhsa_fp16_overflow 0
		.amdhsa_exception_fp_ieee_invalid_op 0
		.amdhsa_exception_fp_denorm_src 0
		.amdhsa_exception_fp_ieee_div_zero 0
		.amdhsa_exception_fp_ieee_overflow 0
		.amdhsa_exception_fp_ieee_underflow 0
		.amdhsa_exception_fp_ieee_inexact 0
		.amdhsa_exception_int_div_zero 0
	.end_amdhsa_kernel
	.section	.text._ZN7rocprim17ROCPRIM_400000_NS6detail17trampoline_kernelINS0_14default_configENS1_22reduce_config_selectorIN6thrust23THRUST_200600_302600_NS5tupleIblNS6_9null_typeES8_S8_S8_S8_S8_S8_S8_EEEEZNS1_11reduce_implILb1ES3_NS6_12zip_iteratorINS7_INS6_11hip_rocprim26transform_input_iterator_tIbNSD_35transform_pair_of_input_iterators_tIbNS6_6detail15normal_iteratorINS6_10device_ptrIKiEEEESL_NS6_8equal_toIiEEEENSG_9not_fun_tINSD_8identityEEEEENSD_19counting_iterator_tIlEES8_S8_S8_S8_S8_S8_S8_S8_EEEEPS9_S9_NSD_9__find_if7functorIS9_EEEE10hipError_tPvRmT1_T2_T3_mT4_P12ihipStream_tbEUlT_E1_NS1_11comp_targetILNS1_3genE9ELNS1_11target_archE1100ELNS1_3gpuE3ELNS1_3repE0EEENS1_30default_config_static_selectorELNS0_4arch9wavefront6targetE1EEEvS14_,"axG",@progbits,_ZN7rocprim17ROCPRIM_400000_NS6detail17trampoline_kernelINS0_14default_configENS1_22reduce_config_selectorIN6thrust23THRUST_200600_302600_NS5tupleIblNS6_9null_typeES8_S8_S8_S8_S8_S8_S8_EEEEZNS1_11reduce_implILb1ES3_NS6_12zip_iteratorINS7_INS6_11hip_rocprim26transform_input_iterator_tIbNSD_35transform_pair_of_input_iterators_tIbNS6_6detail15normal_iteratorINS6_10device_ptrIKiEEEESL_NS6_8equal_toIiEEEENSG_9not_fun_tINSD_8identityEEEEENSD_19counting_iterator_tIlEES8_S8_S8_S8_S8_S8_S8_S8_EEEEPS9_S9_NSD_9__find_if7functorIS9_EEEE10hipError_tPvRmT1_T2_T3_mT4_P12ihipStream_tbEUlT_E1_NS1_11comp_targetILNS1_3genE9ELNS1_11target_archE1100ELNS1_3gpuE3ELNS1_3repE0EEENS1_30default_config_static_selectorELNS0_4arch9wavefront6targetE1EEEvS14_,comdat
.Lfunc_end553:
	.size	_ZN7rocprim17ROCPRIM_400000_NS6detail17trampoline_kernelINS0_14default_configENS1_22reduce_config_selectorIN6thrust23THRUST_200600_302600_NS5tupleIblNS6_9null_typeES8_S8_S8_S8_S8_S8_S8_EEEEZNS1_11reduce_implILb1ES3_NS6_12zip_iteratorINS7_INS6_11hip_rocprim26transform_input_iterator_tIbNSD_35transform_pair_of_input_iterators_tIbNS6_6detail15normal_iteratorINS6_10device_ptrIKiEEEESL_NS6_8equal_toIiEEEENSG_9not_fun_tINSD_8identityEEEEENSD_19counting_iterator_tIlEES8_S8_S8_S8_S8_S8_S8_S8_EEEEPS9_S9_NSD_9__find_if7functorIS9_EEEE10hipError_tPvRmT1_T2_T3_mT4_P12ihipStream_tbEUlT_E1_NS1_11comp_targetILNS1_3genE9ELNS1_11target_archE1100ELNS1_3gpuE3ELNS1_3repE0EEENS1_30default_config_static_selectorELNS0_4arch9wavefront6targetE1EEEvS14_, .Lfunc_end553-_ZN7rocprim17ROCPRIM_400000_NS6detail17trampoline_kernelINS0_14default_configENS1_22reduce_config_selectorIN6thrust23THRUST_200600_302600_NS5tupleIblNS6_9null_typeES8_S8_S8_S8_S8_S8_S8_EEEEZNS1_11reduce_implILb1ES3_NS6_12zip_iteratorINS7_INS6_11hip_rocprim26transform_input_iterator_tIbNSD_35transform_pair_of_input_iterators_tIbNS6_6detail15normal_iteratorINS6_10device_ptrIKiEEEESL_NS6_8equal_toIiEEEENSG_9not_fun_tINSD_8identityEEEEENSD_19counting_iterator_tIlEES8_S8_S8_S8_S8_S8_S8_S8_EEEEPS9_S9_NSD_9__find_if7functorIS9_EEEE10hipError_tPvRmT1_T2_T3_mT4_P12ihipStream_tbEUlT_E1_NS1_11comp_targetILNS1_3genE9ELNS1_11target_archE1100ELNS1_3gpuE3ELNS1_3repE0EEENS1_30default_config_static_selectorELNS0_4arch9wavefront6targetE1EEEvS14_
                                        ; -- End function
	.set _ZN7rocprim17ROCPRIM_400000_NS6detail17trampoline_kernelINS0_14default_configENS1_22reduce_config_selectorIN6thrust23THRUST_200600_302600_NS5tupleIblNS6_9null_typeES8_S8_S8_S8_S8_S8_S8_EEEEZNS1_11reduce_implILb1ES3_NS6_12zip_iteratorINS7_INS6_11hip_rocprim26transform_input_iterator_tIbNSD_35transform_pair_of_input_iterators_tIbNS6_6detail15normal_iteratorINS6_10device_ptrIKiEEEESL_NS6_8equal_toIiEEEENSG_9not_fun_tINSD_8identityEEEEENSD_19counting_iterator_tIlEES8_S8_S8_S8_S8_S8_S8_S8_EEEEPS9_S9_NSD_9__find_if7functorIS9_EEEE10hipError_tPvRmT1_T2_T3_mT4_P12ihipStream_tbEUlT_E1_NS1_11comp_targetILNS1_3genE9ELNS1_11target_archE1100ELNS1_3gpuE3ELNS1_3repE0EEENS1_30default_config_static_selectorELNS0_4arch9wavefront6targetE1EEEvS14_.num_vgpr, 0
	.set _ZN7rocprim17ROCPRIM_400000_NS6detail17trampoline_kernelINS0_14default_configENS1_22reduce_config_selectorIN6thrust23THRUST_200600_302600_NS5tupleIblNS6_9null_typeES8_S8_S8_S8_S8_S8_S8_EEEEZNS1_11reduce_implILb1ES3_NS6_12zip_iteratorINS7_INS6_11hip_rocprim26transform_input_iterator_tIbNSD_35transform_pair_of_input_iterators_tIbNS6_6detail15normal_iteratorINS6_10device_ptrIKiEEEESL_NS6_8equal_toIiEEEENSG_9not_fun_tINSD_8identityEEEEENSD_19counting_iterator_tIlEES8_S8_S8_S8_S8_S8_S8_S8_EEEEPS9_S9_NSD_9__find_if7functorIS9_EEEE10hipError_tPvRmT1_T2_T3_mT4_P12ihipStream_tbEUlT_E1_NS1_11comp_targetILNS1_3genE9ELNS1_11target_archE1100ELNS1_3gpuE3ELNS1_3repE0EEENS1_30default_config_static_selectorELNS0_4arch9wavefront6targetE1EEEvS14_.num_agpr, 0
	.set _ZN7rocprim17ROCPRIM_400000_NS6detail17trampoline_kernelINS0_14default_configENS1_22reduce_config_selectorIN6thrust23THRUST_200600_302600_NS5tupleIblNS6_9null_typeES8_S8_S8_S8_S8_S8_S8_EEEEZNS1_11reduce_implILb1ES3_NS6_12zip_iteratorINS7_INS6_11hip_rocprim26transform_input_iterator_tIbNSD_35transform_pair_of_input_iterators_tIbNS6_6detail15normal_iteratorINS6_10device_ptrIKiEEEESL_NS6_8equal_toIiEEEENSG_9not_fun_tINSD_8identityEEEEENSD_19counting_iterator_tIlEES8_S8_S8_S8_S8_S8_S8_S8_EEEEPS9_S9_NSD_9__find_if7functorIS9_EEEE10hipError_tPvRmT1_T2_T3_mT4_P12ihipStream_tbEUlT_E1_NS1_11comp_targetILNS1_3genE9ELNS1_11target_archE1100ELNS1_3gpuE3ELNS1_3repE0EEENS1_30default_config_static_selectorELNS0_4arch9wavefront6targetE1EEEvS14_.numbered_sgpr, 0
	.set _ZN7rocprim17ROCPRIM_400000_NS6detail17trampoline_kernelINS0_14default_configENS1_22reduce_config_selectorIN6thrust23THRUST_200600_302600_NS5tupleIblNS6_9null_typeES8_S8_S8_S8_S8_S8_S8_EEEEZNS1_11reduce_implILb1ES3_NS6_12zip_iteratorINS7_INS6_11hip_rocprim26transform_input_iterator_tIbNSD_35transform_pair_of_input_iterators_tIbNS6_6detail15normal_iteratorINS6_10device_ptrIKiEEEESL_NS6_8equal_toIiEEEENSG_9not_fun_tINSD_8identityEEEEENSD_19counting_iterator_tIlEES8_S8_S8_S8_S8_S8_S8_S8_EEEEPS9_S9_NSD_9__find_if7functorIS9_EEEE10hipError_tPvRmT1_T2_T3_mT4_P12ihipStream_tbEUlT_E1_NS1_11comp_targetILNS1_3genE9ELNS1_11target_archE1100ELNS1_3gpuE3ELNS1_3repE0EEENS1_30default_config_static_selectorELNS0_4arch9wavefront6targetE1EEEvS14_.num_named_barrier, 0
	.set _ZN7rocprim17ROCPRIM_400000_NS6detail17trampoline_kernelINS0_14default_configENS1_22reduce_config_selectorIN6thrust23THRUST_200600_302600_NS5tupleIblNS6_9null_typeES8_S8_S8_S8_S8_S8_S8_EEEEZNS1_11reduce_implILb1ES3_NS6_12zip_iteratorINS7_INS6_11hip_rocprim26transform_input_iterator_tIbNSD_35transform_pair_of_input_iterators_tIbNS6_6detail15normal_iteratorINS6_10device_ptrIKiEEEESL_NS6_8equal_toIiEEEENSG_9not_fun_tINSD_8identityEEEEENSD_19counting_iterator_tIlEES8_S8_S8_S8_S8_S8_S8_S8_EEEEPS9_S9_NSD_9__find_if7functorIS9_EEEE10hipError_tPvRmT1_T2_T3_mT4_P12ihipStream_tbEUlT_E1_NS1_11comp_targetILNS1_3genE9ELNS1_11target_archE1100ELNS1_3gpuE3ELNS1_3repE0EEENS1_30default_config_static_selectorELNS0_4arch9wavefront6targetE1EEEvS14_.private_seg_size, 0
	.set _ZN7rocprim17ROCPRIM_400000_NS6detail17trampoline_kernelINS0_14default_configENS1_22reduce_config_selectorIN6thrust23THRUST_200600_302600_NS5tupleIblNS6_9null_typeES8_S8_S8_S8_S8_S8_S8_EEEEZNS1_11reduce_implILb1ES3_NS6_12zip_iteratorINS7_INS6_11hip_rocprim26transform_input_iterator_tIbNSD_35transform_pair_of_input_iterators_tIbNS6_6detail15normal_iteratorINS6_10device_ptrIKiEEEESL_NS6_8equal_toIiEEEENSG_9not_fun_tINSD_8identityEEEEENSD_19counting_iterator_tIlEES8_S8_S8_S8_S8_S8_S8_S8_EEEEPS9_S9_NSD_9__find_if7functorIS9_EEEE10hipError_tPvRmT1_T2_T3_mT4_P12ihipStream_tbEUlT_E1_NS1_11comp_targetILNS1_3genE9ELNS1_11target_archE1100ELNS1_3gpuE3ELNS1_3repE0EEENS1_30default_config_static_selectorELNS0_4arch9wavefront6targetE1EEEvS14_.uses_vcc, 0
	.set _ZN7rocprim17ROCPRIM_400000_NS6detail17trampoline_kernelINS0_14default_configENS1_22reduce_config_selectorIN6thrust23THRUST_200600_302600_NS5tupleIblNS6_9null_typeES8_S8_S8_S8_S8_S8_S8_EEEEZNS1_11reduce_implILb1ES3_NS6_12zip_iteratorINS7_INS6_11hip_rocprim26transform_input_iterator_tIbNSD_35transform_pair_of_input_iterators_tIbNS6_6detail15normal_iteratorINS6_10device_ptrIKiEEEESL_NS6_8equal_toIiEEEENSG_9not_fun_tINSD_8identityEEEEENSD_19counting_iterator_tIlEES8_S8_S8_S8_S8_S8_S8_S8_EEEEPS9_S9_NSD_9__find_if7functorIS9_EEEE10hipError_tPvRmT1_T2_T3_mT4_P12ihipStream_tbEUlT_E1_NS1_11comp_targetILNS1_3genE9ELNS1_11target_archE1100ELNS1_3gpuE3ELNS1_3repE0EEENS1_30default_config_static_selectorELNS0_4arch9wavefront6targetE1EEEvS14_.uses_flat_scratch, 0
	.set _ZN7rocprim17ROCPRIM_400000_NS6detail17trampoline_kernelINS0_14default_configENS1_22reduce_config_selectorIN6thrust23THRUST_200600_302600_NS5tupleIblNS6_9null_typeES8_S8_S8_S8_S8_S8_S8_EEEEZNS1_11reduce_implILb1ES3_NS6_12zip_iteratorINS7_INS6_11hip_rocprim26transform_input_iterator_tIbNSD_35transform_pair_of_input_iterators_tIbNS6_6detail15normal_iteratorINS6_10device_ptrIKiEEEESL_NS6_8equal_toIiEEEENSG_9not_fun_tINSD_8identityEEEEENSD_19counting_iterator_tIlEES8_S8_S8_S8_S8_S8_S8_S8_EEEEPS9_S9_NSD_9__find_if7functorIS9_EEEE10hipError_tPvRmT1_T2_T3_mT4_P12ihipStream_tbEUlT_E1_NS1_11comp_targetILNS1_3genE9ELNS1_11target_archE1100ELNS1_3gpuE3ELNS1_3repE0EEENS1_30default_config_static_selectorELNS0_4arch9wavefront6targetE1EEEvS14_.has_dyn_sized_stack, 0
	.set _ZN7rocprim17ROCPRIM_400000_NS6detail17trampoline_kernelINS0_14default_configENS1_22reduce_config_selectorIN6thrust23THRUST_200600_302600_NS5tupleIblNS6_9null_typeES8_S8_S8_S8_S8_S8_S8_EEEEZNS1_11reduce_implILb1ES3_NS6_12zip_iteratorINS7_INS6_11hip_rocprim26transform_input_iterator_tIbNSD_35transform_pair_of_input_iterators_tIbNS6_6detail15normal_iteratorINS6_10device_ptrIKiEEEESL_NS6_8equal_toIiEEEENSG_9not_fun_tINSD_8identityEEEEENSD_19counting_iterator_tIlEES8_S8_S8_S8_S8_S8_S8_S8_EEEEPS9_S9_NSD_9__find_if7functorIS9_EEEE10hipError_tPvRmT1_T2_T3_mT4_P12ihipStream_tbEUlT_E1_NS1_11comp_targetILNS1_3genE9ELNS1_11target_archE1100ELNS1_3gpuE3ELNS1_3repE0EEENS1_30default_config_static_selectorELNS0_4arch9wavefront6targetE1EEEvS14_.has_recursion, 0
	.set _ZN7rocprim17ROCPRIM_400000_NS6detail17trampoline_kernelINS0_14default_configENS1_22reduce_config_selectorIN6thrust23THRUST_200600_302600_NS5tupleIblNS6_9null_typeES8_S8_S8_S8_S8_S8_S8_EEEEZNS1_11reduce_implILb1ES3_NS6_12zip_iteratorINS7_INS6_11hip_rocprim26transform_input_iterator_tIbNSD_35transform_pair_of_input_iterators_tIbNS6_6detail15normal_iteratorINS6_10device_ptrIKiEEEESL_NS6_8equal_toIiEEEENSG_9not_fun_tINSD_8identityEEEEENSD_19counting_iterator_tIlEES8_S8_S8_S8_S8_S8_S8_S8_EEEEPS9_S9_NSD_9__find_if7functorIS9_EEEE10hipError_tPvRmT1_T2_T3_mT4_P12ihipStream_tbEUlT_E1_NS1_11comp_targetILNS1_3genE9ELNS1_11target_archE1100ELNS1_3gpuE3ELNS1_3repE0EEENS1_30default_config_static_selectorELNS0_4arch9wavefront6targetE1EEEvS14_.has_indirect_call, 0
	.section	.AMDGPU.csdata,"",@progbits
; Kernel info:
; codeLenInByte = 0
; TotalNumSgprs: 4
; NumVgprs: 0
; ScratchSize: 0
; MemoryBound: 0
; FloatMode: 240
; IeeeMode: 1
; LDSByteSize: 0 bytes/workgroup (compile time only)
; SGPRBlocks: 0
; VGPRBlocks: 0
; NumSGPRsForWavesPerEU: 4
; NumVGPRsForWavesPerEU: 1
; Occupancy: 10
; WaveLimiterHint : 0
; COMPUTE_PGM_RSRC2:SCRATCH_EN: 0
; COMPUTE_PGM_RSRC2:USER_SGPR: 6
; COMPUTE_PGM_RSRC2:TRAP_HANDLER: 0
; COMPUTE_PGM_RSRC2:TGID_X_EN: 1
; COMPUTE_PGM_RSRC2:TGID_Y_EN: 0
; COMPUTE_PGM_RSRC2:TGID_Z_EN: 0
; COMPUTE_PGM_RSRC2:TIDIG_COMP_CNT: 0
	.section	.text._ZN7rocprim17ROCPRIM_400000_NS6detail17trampoline_kernelINS0_14default_configENS1_22reduce_config_selectorIN6thrust23THRUST_200600_302600_NS5tupleIblNS6_9null_typeES8_S8_S8_S8_S8_S8_S8_EEEEZNS1_11reduce_implILb1ES3_NS6_12zip_iteratorINS7_INS6_11hip_rocprim26transform_input_iterator_tIbNSD_35transform_pair_of_input_iterators_tIbNS6_6detail15normal_iteratorINS6_10device_ptrIKiEEEESL_NS6_8equal_toIiEEEENSG_9not_fun_tINSD_8identityEEEEENSD_19counting_iterator_tIlEES8_S8_S8_S8_S8_S8_S8_S8_EEEEPS9_S9_NSD_9__find_if7functorIS9_EEEE10hipError_tPvRmT1_T2_T3_mT4_P12ihipStream_tbEUlT_E1_NS1_11comp_targetILNS1_3genE8ELNS1_11target_archE1030ELNS1_3gpuE2ELNS1_3repE0EEENS1_30default_config_static_selectorELNS0_4arch9wavefront6targetE1EEEvS14_,"axG",@progbits,_ZN7rocprim17ROCPRIM_400000_NS6detail17trampoline_kernelINS0_14default_configENS1_22reduce_config_selectorIN6thrust23THRUST_200600_302600_NS5tupleIblNS6_9null_typeES8_S8_S8_S8_S8_S8_S8_EEEEZNS1_11reduce_implILb1ES3_NS6_12zip_iteratorINS7_INS6_11hip_rocprim26transform_input_iterator_tIbNSD_35transform_pair_of_input_iterators_tIbNS6_6detail15normal_iteratorINS6_10device_ptrIKiEEEESL_NS6_8equal_toIiEEEENSG_9not_fun_tINSD_8identityEEEEENSD_19counting_iterator_tIlEES8_S8_S8_S8_S8_S8_S8_S8_EEEEPS9_S9_NSD_9__find_if7functorIS9_EEEE10hipError_tPvRmT1_T2_T3_mT4_P12ihipStream_tbEUlT_E1_NS1_11comp_targetILNS1_3genE8ELNS1_11target_archE1030ELNS1_3gpuE2ELNS1_3repE0EEENS1_30default_config_static_selectorELNS0_4arch9wavefront6targetE1EEEvS14_,comdat
	.protected	_ZN7rocprim17ROCPRIM_400000_NS6detail17trampoline_kernelINS0_14default_configENS1_22reduce_config_selectorIN6thrust23THRUST_200600_302600_NS5tupleIblNS6_9null_typeES8_S8_S8_S8_S8_S8_S8_EEEEZNS1_11reduce_implILb1ES3_NS6_12zip_iteratorINS7_INS6_11hip_rocprim26transform_input_iterator_tIbNSD_35transform_pair_of_input_iterators_tIbNS6_6detail15normal_iteratorINS6_10device_ptrIKiEEEESL_NS6_8equal_toIiEEEENSG_9not_fun_tINSD_8identityEEEEENSD_19counting_iterator_tIlEES8_S8_S8_S8_S8_S8_S8_S8_EEEEPS9_S9_NSD_9__find_if7functorIS9_EEEE10hipError_tPvRmT1_T2_T3_mT4_P12ihipStream_tbEUlT_E1_NS1_11comp_targetILNS1_3genE8ELNS1_11target_archE1030ELNS1_3gpuE2ELNS1_3repE0EEENS1_30default_config_static_selectorELNS0_4arch9wavefront6targetE1EEEvS14_ ; -- Begin function _ZN7rocprim17ROCPRIM_400000_NS6detail17trampoline_kernelINS0_14default_configENS1_22reduce_config_selectorIN6thrust23THRUST_200600_302600_NS5tupleIblNS6_9null_typeES8_S8_S8_S8_S8_S8_S8_EEEEZNS1_11reduce_implILb1ES3_NS6_12zip_iteratorINS7_INS6_11hip_rocprim26transform_input_iterator_tIbNSD_35transform_pair_of_input_iterators_tIbNS6_6detail15normal_iteratorINS6_10device_ptrIKiEEEESL_NS6_8equal_toIiEEEENSG_9not_fun_tINSD_8identityEEEEENSD_19counting_iterator_tIlEES8_S8_S8_S8_S8_S8_S8_S8_EEEEPS9_S9_NSD_9__find_if7functorIS9_EEEE10hipError_tPvRmT1_T2_T3_mT4_P12ihipStream_tbEUlT_E1_NS1_11comp_targetILNS1_3genE8ELNS1_11target_archE1030ELNS1_3gpuE2ELNS1_3repE0EEENS1_30default_config_static_selectorELNS0_4arch9wavefront6targetE1EEEvS14_
	.globl	_ZN7rocprim17ROCPRIM_400000_NS6detail17trampoline_kernelINS0_14default_configENS1_22reduce_config_selectorIN6thrust23THRUST_200600_302600_NS5tupleIblNS6_9null_typeES8_S8_S8_S8_S8_S8_S8_EEEEZNS1_11reduce_implILb1ES3_NS6_12zip_iteratorINS7_INS6_11hip_rocprim26transform_input_iterator_tIbNSD_35transform_pair_of_input_iterators_tIbNS6_6detail15normal_iteratorINS6_10device_ptrIKiEEEESL_NS6_8equal_toIiEEEENSG_9not_fun_tINSD_8identityEEEEENSD_19counting_iterator_tIlEES8_S8_S8_S8_S8_S8_S8_S8_EEEEPS9_S9_NSD_9__find_if7functorIS9_EEEE10hipError_tPvRmT1_T2_T3_mT4_P12ihipStream_tbEUlT_E1_NS1_11comp_targetILNS1_3genE8ELNS1_11target_archE1030ELNS1_3gpuE2ELNS1_3repE0EEENS1_30default_config_static_selectorELNS0_4arch9wavefront6targetE1EEEvS14_
	.p2align	8
	.type	_ZN7rocprim17ROCPRIM_400000_NS6detail17trampoline_kernelINS0_14default_configENS1_22reduce_config_selectorIN6thrust23THRUST_200600_302600_NS5tupleIblNS6_9null_typeES8_S8_S8_S8_S8_S8_S8_EEEEZNS1_11reduce_implILb1ES3_NS6_12zip_iteratorINS7_INS6_11hip_rocprim26transform_input_iterator_tIbNSD_35transform_pair_of_input_iterators_tIbNS6_6detail15normal_iteratorINS6_10device_ptrIKiEEEESL_NS6_8equal_toIiEEEENSG_9not_fun_tINSD_8identityEEEEENSD_19counting_iterator_tIlEES8_S8_S8_S8_S8_S8_S8_S8_EEEEPS9_S9_NSD_9__find_if7functorIS9_EEEE10hipError_tPvRmT1_T2_T3_mT4_P12ihipStream_tbEUlT_E1_NS1_11comp_targetILNS1_3genE8ELNS1_11target_archE1030ELNS1_3gpuE2ELNS1_3repE0EEENS1_30default_config_static_selectorELNS0_4arch9wavefront6targetE1EEEvS14_,@function
_ZN7rocprim17ROCPRIM_400000_NS6detail17trampoline_kernelINS0_14default_configENS1_22reduce_config_selectorIN6thrust23THRUST_200600_302600_NS5tupleIblNS6_9null_typeES8_S8_S8_S8_S8_S8_S8_EEEEZNS1_11reduce_implILb1ES3_NS6_12zip_iteratorINS7_INS6_11hip_rocprim26transform_input_iterator_tIbNSD_35transform_pair_of_input_iterators_tIbNS6_6detail15normal_iteratorINS6_10device_ptrIKiEEEESL_NS6_8equal_toIiEEEENSG_9not_fun_tINSD_8identityEEEEENSD_19counting_iterator_tIlEES8_S8_S8_S8_S8_S8_S8_S8_EEEEPS9_S9_NSD_9__find_if7functorIS9_EEEE10hipError_tPvRmT1_T2_T3_mT4_P12ihipStream_tbEUlT_E1_NS1_11comp_targetILNS1_3genE8ELNS1_11target_archE1030ELNS1_3gpuE2ELNS1_3repE0EEENS1_30default_config_static_selectorELNS0_4arch9wavefront6targetE1EEEvS14_: ; @_ZN7rocprim17ROCPRIM_400000_NS6detail17trampoline_kernelINS0_14default_configENS1_22reduce_config_selectorIN6thrust23THRUST_200600_302600_NS5tupleIblNS6_9null_typeES8_S8_S8_S8_S8_S8_S8_EEEEZNS1_11reduce_implILb1ES3_NS6_12zip_iteratorINS7_INS6_11hip_rocprim26transform_input_iterator_tIbNSD_35transform_pair_of_input_iterators_tIbNS6_6detail15normal_iteratorINS6_10device_ptrIKiEEEESL_NS6_8equal_toIiEEEENSG_9not_fun_tINSD_8identityEEEEENSD_19counting_iterator_tIlEES8_S8_S8_S8_S8_S8_S8_S8_EEEEPS9_S9_NSD_9__find_if7functorIS9_EEEE10hipError_tPvRmT1_T2_T3_mT4_P12ihipStream_tbEUlT_E1_NS1_11comp_targetILNS1_3genE8ELNS1_11target_archE1030ELNS1_3gpuE2ELNS1_3repE0EEENS1_30default_config_static_selectorELNS0_4arch9wavefront6targetE1EEEvS14_
; %bb.0:
	.section	.rodata,"a",@progbits
	.p2align	6, 0x0
	.amdhsa_kernel _ZN7rocprim17ROCPRIM_400000_NS6detail17trampoline_kernelINS0_14default_configENS1_22reduce_config_selectorIN6thrust23THRUST_200600_302600_NS5tupleIblNS6_9null_typeES8_S8_S8_S8_S8_S8_S8_EEEEZNS1_11reduce_implILb1ES3_NS6_12zip_iteratorINS7_INS6_11hip_rocprim26transform_input_iterator_tIbNSD_35transform_pair_of_input_iterators_tIbNS6_6detail15normal_iteratorINS6_10device_ptrIKiEEEESL_NS6_8equal_toIiEEEENSG_9not_fun_tINSD_8identityEEEEENSD_19counting_iterator_tIlEES8_S8_S8_S8_S8_S8_S8_S8_EEEEPS9_S9_NSD_9__find_if7functorIS9_EEEE10hipError_tPvRmT1_T2_T3_mT4_P12ihipStream_tbEUlT_E1_NS1_11comp_targetILNS1_3genE8ELNS1_11target_archE1030ELNS1_3gpuE2ELNS1_3repE0EEENS1_30default_config_static_selectorELNS0_4arch9wavefront6targetE1EEEvS14_
		.amdhsa_group_segment_fixed_size 0
		.amdhsa_private_segment_fixed_size 0
		.amdhsa_kernarg_size 88
		.amdhsa_user_sgpr_count 6
		.amdhsa_user_sgpr_private_segment_buffer 1
		.amdhsa_user_sgpr_dispatch_ptr 0
		.amdhsa_user_sgpr_queue_ptr 0
		.amdhsa_user_sgpr_kernarg_segment_ptr 1
		.amdhsa_user_sgpr_dispatch_id 0
		.amdhsa_user_sgpr_flat_scratch_init 0
		.amdhsa_user_sgpr_private_segment_size 0
		.amdhsa_uses_dynamic_stack 0
		.amdhsa_system_sgpr_private_segment_wavefront_offset 0
		.amdhsa_system_sgpr_workgroup_id_x 1
		.amdhsa_system_sgpr_workgroup_id_y 0
		.amdhsa_system_sgpr_workgroup_id_z 0
		.amdhsa_system_sgpr_workgroup_info 0
		.amdhsa_system_vgpr_workitem_id 0
		.amdhsa_next_free_vgpr 1
		.amdhsa_next_free_sgpr 0
		.amdhsa_reserve_vcc 0
		.amdhsa_reserve_flat_scratch 0
		.amdhsa_float_round_mode_32 0
		.amdhsa_float_round_mode_16_64 0
		.amdhsa_float_denorm_mode_32 3
		.amdhsa_float_denorm_mode_16_64 3
		.amdhsa_dx10_clamp 1
		.amdhsa_ieee_mode 1
		.amdhsa_fp16_overflow 0
		.amdhsa_exception_fp_ieee_invalid_op 0
		.amdhsa_exception_fp_denorm_src 0
		.amdhsa_exception_fp_ieee_div_zero 0
		.amdhsa_exception_fp_ieee_overflow 0
		.amdhsa_exception_fp_ieee_underflow 0
		.amdhsa_exception_fp_ieee_inexact 0
		.amdhsa_exception_int_div_zero 0
	.end_amdhsa_kernel
	.section	.text._ZN7rocprim17ROCPRIM_400000_NS6detail17trampoline_kernelINS0_14default_configENS1_22reduce_config_selectorIN6thrust23THRUST_200600_302600_NS5tupleIblNS6_9null_typeES8_S8_S8_S8_S8_S8_S8_EEEEZNS1_11reduce_implILb1ES3_NS6_12zip_iteratorINS7_INS6_11hip_rocprim26transform_input_iterator_tIbNSD_35transform_pair_of_input_iterators_tIbNS6_6detail15normal_iteratorINS6_10device_ptrIKiEEEESL_NS6_8equal_toIiEEEENSG_9not_fun_tINSD_8identityEEEEENSD_19counting_iterator_tIlEES8_S8_S8_S8_S8_S8_S8_S8_EEEEPS9_S9_NSD_9__find_if7functorIS9_EEEE10hipError_tPvRmT1_T2_T3_mT4_P12ihipStream_tbEUlT_E1_NS1_11comp_targetILNS1_3genE8ELNS1_11target_archE1030ELNS1_3gpuE2ELNS1_3repE0EEENS1_30default_config_static_selectorELNS0_4arch9wavefront6targetE1EEEvS14_,"axG",@progbits,_ZN7rocprim17ROCPRIM_400000_NS6detail17trampoline_kernelINS0_14default_configENS1_22reduce_config_selectorIN6thrust23THRUST_200600_302600_NS5tupleIblNS6_9null_typeES8_S8_S8_S8_S8_S8_S8_EEEEZNS1_11reduce_implILb1ES3_NS6_12zip_iteratorINS7_INS6_11hip_rocprim26transform_input_iterator_tIbNSD_35transform_pair_of_input_iterators_tIbNS6_6detail15normal_iteratorINS6_10device_ptrIKiEEEESL_NS6_8equal_toIiEEEENSG_9not_fun_tINSD_8identityEEEEENSD_19counting_iterator_tIlEES8_S8_S8_S8_S8_S8_S8_S8_EEEEPS9_S9_NSD_9__find_if7functorIS9_EEEE10hipError_tPvRmT1_T2_T3_mT4_P12ihipStream_tbEUlT_E1_NS1_11comp_targetILNS1_3genE8ELNS1_11target_archE1030ELNS1_3gpuE2ELNS1_3repE0EEENS1_30default_config_static_selectorELNS0_4arch9wavefront6targetE1EEEvS14_,comdat
.Lfunc_end554:
	.size	_ZN7rocprim17ROCPRIM_400000_NS6detail17trampoline_kernelINS0_14default_configENS1_22reduce_config_selectorIN6thrust23THRUST_200600_302600_NS5tupleIblNS6_9null_typeES8_S8_S8_S8_S8_S8_S8_EEEEZNS1_11reduce_implILb1ES3_NS6_12zip_iteratorINS7_INS6_11hip_rocprim26transform_input_iterator_tIbNSD_35transform_pair_of_input_iterators_tIbNS6_6detail15normal_iteratorINS6_10device_ptrIKiEEEESL_NS6_8equal_toIiEEEENSG_9not_fun_tINSD_8identityEEEEENSD_19counting_iterator_tIlEES8_S8_S8_S8_S8_S8_S8_S8_EEEEPS9_S9_NSD_9__find_if7functorIS9_EEEE10hipError_tPvRmT1_T2_T3_mT4_P12ihipStream_tbEUlT_E1_NS1_11comp_targetILNS1_3genE8ELNS1_11target_archE1030ELNS1_3gpuE2ELNS1_3repE0EEENS1_30default_config_static_selectorELNS0_4arch9wavefront6targetE1EEEvS14_, .Lfunc_end554-_ZN7rocprim17ROCPRIM_400000_NS6detail17trampoline_kernelINS0_14default_configENS1_22reduce_config_selectorIN6thrust23THRUST_200600_302600_NS5tupleIblNS6_9null_typeES8_S8_S8_S8_S8_S8_S8_EEEEZNS1_11reduce_implILb1ES3_NS6_12zip_iteratorINS7_INS6_11hip_rocprim26transform_input_iterator_tIbNSD_35transform_pair_of_input_iterators_tIbNS6_6detail15normal_iteratorINS6_10device_ptrIKiEEEESL_NS6_8equal_toIiEEEENSG_9not_fun_tINSD_8identityEEEEENSD_19counting_iterator_tIlEES8_S8_S8_S8_S8_S8_S8_S8_EEEEPS9_S9_NSD_9__find_if7functorIS9_EEEE10hipError_tPvRmT1_T2_T3_mT4_P12ihipStream_tbEUlT_E1_NS1_11comp_targetILNS1_3genE8ELNS1_11target_archE1030ELNS1_3gpuE2ELNS1_3repE0EEENS1_30default_config_static_selectorELNS0_4arch9wavefront6targetE1EEEvS14_
                                        ; -- End function
	.set _ZN7rocprim17ROCPRIM_400000_NS6detail17trampoline_kernelINS0_14default_configENS1_22reduce_config_selectorIN6thrust23THRUST_200600_302600_NS5tupleIblNS6_9null_typeES8_S8_S8_S8_S8_S8_S8_EEEEZNS1_11reduce_implILb1ES3_NS6_12zip_iteratorINS7_INS6_11hip_rocprim26transform_input_iterator_tIbNSD_35transform_pair_of_input_iterators_tIbNS6_6detail15normal_iteratorINS6_10device_ptrIKiEEEESL_NS6_8equal_toIiEEEENSG_9not_fun_tINSD_8identityEEEEENSD_19counting_iterator_tIlEES8_S8_S8_S8_S8_S8_S8_S8_EEEEPS9_S9_NSD_9__find_if7functorIS9_EEEE10hipError_tPvRmT1_T2_T3_mT4_P12ihipStream_tbEUlT_E1_NS1_11comp_targetILNS1_3genE8ELNS1_11target_archE1030ELNS1_3gpuE2ELNS1_3repE0EEENS1_30default_config_static_selectorELNS0_4arch9wavefront6targetE1EEEvS14_.num_vgpr, 0
	.set _ZN7rocprim17ROCPRIM_400000_NS6detail17trampoline_kernelINS0_14default_configENS1_22reduce_config_selectorIN6thrust23THRUST_200600_302600_NS5tupleIblNS6_9null_typeES8_S8_S8_S8_S8_S8_S8_EEEEZNS1_11reduce_implILb1ES3_NS6_12zip_iteratorINS7_INS6_11hip_rocprim26transform_input_iterator_tIbNSD_35transform_pair_of_input_iterators_tIbNS6_6detail15normal_iteratorINS6_10device_ptrIKiEEEESL_NS6_8equal_toIiEEEENSG_9not_fun_tINSD_8identityEEEEENSD_19counting_iterator_tIlEES8_S8_S8_S8_S8_S8_S8_S8_EEEEPS9_S9_NSD_9__find_if7functorIS9_EEEE10hipError_tPvRmT1_T2_T3_mT4_P12ihipStream_tbEUlT_E1_NS1_11comp_targetILNS1_3genE8ELNS1_11target_archE1030ELNS1_3gpuE2ELNS1_3repE0EEENS1_30default_config_static_selectorELNS0_4arch9wavefront6targetE1EEEvS14_.num_agpr, 0
	.set _ZN7rocprim17ROCPRIM_400000_NS6detail17trampoline_kernelINS0_14default_configENS1_22reduce_config_selectorIN6thrust23THRUST_200600_302600_NS5tupleIblNS6_9null_typeES8_S8_S8_S8_S8_S8_S8_EEEEZNS1_11reduce_implILb1ES3_NS6_12zip_iteratorINS7_INS6_11hip_rocprim26transform_input_iterator_tIbNSD_35transform_pair_of_input_iterators_tIbNS6_6detail15normal_iteratorINS6_10device_ptrIKiEEEESL_NS6_8equal_toIiEEEENSG_9not_fun_tINSD_8identityEEEEENSD_19counting_iterator_tIlEES8_S8_S8_S8_S8_S8_S8_S8_EEEEPS9_S9_NSD_9__find_if7functorIS9_EEEE10hipError_tPvRmT1_T2_T3_mT4_P12ihipStream_tbEUlT_E1_NS1_11comp_targetILNS1_3genE8ELNS1_11target_archE1030ELNS1_3gpuE2ELNS1_3repE0EEENS1_30default_config_static_selectorELNS0_4arch9wavefront6targetE1EEEvS14_.numbered_sgpr, 0
	.set _ZN7rocprim17ROCPRIM_400000_NS6detail17trampoline_kernelINS0_14default_configENS1_22reduce_config_selectorIN6thrust23THRUST_200600_302600_NS5tupleIblNS6_9null_typeES8_S8_S8_S8_S8_S8_S8_EEEEZNS1_11reduce_implILb1ES3_NS6_12zip_iteratorINS7_INS6_11hip_rocprim26transform_input_iterator_tIbNSD_35transform_pair_of_input_iterators_tIbNS6_6detail15normal_iteratorINS6_10device_ptrIKiEEEESL_NS6_8equal_toIiEEEENSG_9not_fun_tINSD_8identityEEEEENSD_19counting_iterator_tIlEES8_S8_S8_S8_S8_S8_S8_S8_EEEEPS9_S9_NSD_9__find_if7functorIS9_EEEE10hipError_tPvRmT1_T2_T3_mT4_P12ihipStream_tbEUlT_E1_NS1_11comp_targetILNS1_3genE8ELNS1_11target_archE1030ELNS1_3gpuE2ELNS1_3repE0EEENS1_30default_config_static_selectorELNS0_4arch9wavefront6targetE1EEEvS14_.num_named_barrier, 0
	.set _ZN7rocprim17ROCPRIM_400000_NS6detail17trampoline_kernelINS0_14default_configENS1_22reduce_config_selectorIN6thrust23THRUST_200600_302600_NS5tupleIblNS6_9null_typeES8_S8_S8_S8_S8_S8_S8_EEEEZNS1_11reduce_implILb1ES3_NS6_12zip_iteratorINS7_INS6_11hip_rocprim26transform_input_iterator_tIbNSD_35transform_pair_of_input_iterators_tIbNS6_6detail15normal_iteratorINS6_10device_ptrIKiEEEESL_NS6_8equal_toIiEEEENSG_9not_fun_tINSD_8identityEEEEENSD_19counting_iterator_tIlEES8_S8_S8_S8_S8_S8_S8_S8_EEEEPS9_S9_NSD_9__find_if7functorIS9_EEEE10hipError_tPvRmT1_T2_T3_mT4_P12ihipStream_tbEUlT_E1_NS1_11comp_targetILNS1_3genE8ELNS1_11target_archE1030ELNS1_3gpuE2ELNS1_3repE0EEENS1_30default_config_static_selectorELNS0_4arch9wavefront6targetE1EEEvS14_.private_seg_size, 0
	.set _ZN7rocprim17ROCPRIM_400000_NS6detail17trampoline_kernelINS0_14default_configENS1_22reduce_config_selectorIN6thrust23THRUST_200600_302600_NS5tupleIblNS6_9null_typeES8_S8_S8_S8_S8_S8_S8_EEEEZNS1_11reduce_implILb1ES3_NS6_12zip_iteratorINS7_INS6_11hip_rocprim26transform_input_iterator_tIbNSD_35transform_pair_of_input_iterators_tIbNS6_6detail15normal_iteratorINS6_10device_ptrIKiEEEESL_NS6_8equal_toIiEEEENSG_9not_fun_tINSD_8identityEEEEENSD_19counting_iterator_tIlEES8_S8_S8_S8_S8_S8_S8_S8_EEEEPS9_S9_NSD_9__find_if7functorIS9_EEEE10hipError_tPvRmT1_T2_T3_mT4_P12ihipStream_tbEUlT_E1_NS1_11comp_targetILNS1_3genE8ELNS1_11target_archE1030ELNS1_3gpuE2ELNS1_3repE0EEENS1_30default_config_static_selectorELNS0_4arch9wavefront6targetE1EEEvS14_.uses_vcc, 0
	.set _ZN7rocprim17ROCPRIM_400000_NS6detail17trampoline_kernelINS0_14default_configENS1_22reduce_config_selectorIN6thrust23THRUST_200600_302600_NS5tupleIblNS6_9null_typeES8_S8_S8_S8_S8_S8_S8_EEEEZNS1_11reduce_implILb1ES3_NS6_12zip_iteratorINS7_INS6_11hip_rocprim26transform_input_iterator_tIbNSD_35transform_pair_of_input_iterators_tIbNS6_6detail15normal_iteratorINS6_10device_ptrIKiEEEESL_NS6_8equal_toIiEEEENSG_9not_fun_tINSD_8identityEEEEENSD_19counting_iterator_tIlEES8_S8_S8_S8_S8_S8_S8_S8_EEEEPS9_S9_NSD_9__find_if7functorIS9_EEEE10hipError_tPvRmT1_T2_T3_mT4_P12ihipStream_tbEUlT_E1_NS1_11comp_targetILNS1_3genE8ELNS1_11target_archE1030ELNS1_3gpuE2ELNS1_3repE0EEENS1_30default_config_static_selectorELNS0_4arch9wavefront6targetE1EEEvS14_.uses_flat_scratch, 0
	.set _ZN7rocprim17ROCPRIM_400000_NS6detail17trampoline_kernelINS0_14default_configENS1_22reduce_config_selectorIN6thrust23THRUST_200600_302600_NS5tupleIblNS6_9null_typeES8_S8_S8_S8_S8_S8_S8_EEEEZNS1_11reduce_implILb1ES3_NS6_12zip_iteratorINS7_INS6_11hip_rocprim26transform_input_iterator_tIbNSD_35transform_pair_of_input_iterators_tIbNS6_6detail15normal_iteratorINS6_10device_ptrIKiEEEESL_NS6_8equal_toIiEEEENSG_9not_fun_tINSD_8identityEEEEENSD_19counting_iterator_tIlEES8_S8_S8_S8_S8_S8_S8_S8_EEEEPS9_S9_NSD_9__find_if7functorIS9_EEEE10hipError_tPvRmT1_T2_T3_mT4_P12ihipStream_tbEUlT_E1_NS1_11comp_targetILNS1_3genE8ELNS1_11target_archE1030ELNS1_3gpuE2ELNS1_3repE0EEENS1_30default_config_static_selectorELNS0_4arch9wavefront6targetE1EEEvS14_.has_dyn_sized_stack, 0
	.set _ZN7rocprim17ROCPRIM_400000_NS6detail17trampoline_kernelINS0_14default_configENS1_22reduce_config_selectorIN6thrust23THRUST_200600_302600_NS5tupleIblNS6_9null_typeES8_S8_S8_S8_S8_S8_S8_EEEEZNS1_11reduce_implILb1ES3_NS6_12zip_iteratorINS7_INS6_11hip_rocprim26transform_input_iterator_tIbNSD_35transform_pair_of_input_iterators_tIbNS6_6detail15normal_iteratorINS6_10device_ptrIKiEEEESL_NS6_8equal_toIiEEEENSG_9not_fun_tINSD_8identityEEEEENSD_19counting_iterator_tIlEES8_S8_S8_S8_S8_S8_S8_S8_EEEEPS9_S9_NSD_9__find_if7functorIS9_EEEE10hipError_tPvRmT1_T2_T3_mT4_P12ihipStream_tbEUlT_E1_NS1_11comp_targetILNS1_3genE8ELNS1_11target_archE1030ELNS1_3gpuE2ELNS1_3repE0EEENS1_30default_config_static_selectorELNS0_4arch9wavefront6targetE1EEEvS14_.has_recursion, 0
	.set _ZN7rocprim17ROCPRIM_400000_NS6detail17trampoline_kernelINS0_14default_configENS1_22reduce_config_selectorIN6thrust23THRUST_200600_302600_NS5tupleIblNS6_9null_typeES8_S8_S8_S8_S8_S8_S8_EEEEZNS1_11reduce_implILb1ES3_NS6_12zip_iteratorINS7_INS6_11hip_rocprim26transform_input_iterator_tIbNSD_35transform_pair_of_input_iterators_tIbNS6_6detail15normal_iteratorINS6_10device_ptrIKiEEEESL_NS6_8equal_toIiEEEENSG_9not_fun_tINSD_8identityEEEEENSD_19counting_iterator_tIlEES8_S8_S8_S8_S8_S8_S8_S8_EEEEPS9_S9_NSD_9__find_if7functorIS9_EEEE10hipError_tPvRmT1_T2_T3_mT4_P12ihipStream_tbEUlT_E1_NS1_11comp_targetILNS1_3genE8ELNS1_11target_archE1030ELNS1_3gpuE2ELNS1_3repE0EEENS1_30default_config_static_selectorELNS0_4arch9wavefront6targetE1EEEvS14_.has_indirect_call, 0
	.section	.AMDGPU.csdata,"",@progbits
; Kernel info:
; codeLenInByte = 0
; TotalNumSgprs: 4
; NumVgprs: 0
; ScratchSize: 0
; MemoryBound: 0
; FloatMode: 240
; IeeeMode: 1
; LDSByteSize: 0 bytes/workgroup (compile time only)
; SGPRBlocks: 0
; VGPRBlocks: 0
; NumSGPRsForWavesPerEU: 4
; NumVGPRsForWavesPerEU: 1
; Occupancy: 10
; WaveLimiterHint : 0
; COMPUTE_PGM_RSRC2:SCRATCH_EN: 0
; COMPUTE_PGM_RSRC2:USER_SGPR: 6
; COMPUTE_PGM_RSRC2:TRAP_HANDLER: 0
; COMPUTE_PGM_RSRC2:TGID_X_EN: 1
; COMPUTE_PGM_RSRC2:TGID_Y_EN: 0
; COMPUTE_PGM_RSRC2:TGID_Z_EN: 0
; COMPUTE_PGM_RSRC2:TIDIG_COMP_CNT: 0
	.section	.text._ZN7rocprim17ROCPRIM_400000_NS6detail17trampoline_kernelINS0_14default_configENS1_22reduce_config_selectorIN6thrust23THRUST_200600_302600_NS5tupleIblNS6_9null_typeES8_S8_S8_S8_S8_S8_S8_EEEEZNS1_11reduce_implILb1ES3_NS6_12zip_iteratorINS7_INS6_11hip_rocprim26transform_input_iterator_tIbNSD_35transform_pair_of_input_iterators_tIbNS6_6detail15normal_iteratorINS6_10device_ptrIKsEEEESL_NS6_8equal_toIsEEEENSG_9not_fun_tINSD_8identityEEEEENSD_19counting_iterator_tIlEES8_S8_S8_S8_S8_S8_S8_S8_EEEEPS9_S9_NSD_9__find_if7functorIS9_EEEE10hipError_tPvRmT1_T2_T3_mT4_P12ihipStream_tbEUlT_E0_NS1_11comp_targetILNS1_3genE0ELNS1_11target_archE4294967295ELNS1_3gpuE0ELNS1_3repE0EEENS1_30default_config_static_selectorELNS0_4arch9wavefront6targetE1EEEvS14_,"axG",@progbits,_ZN7rocprim17ROCPRIM_400000_NS6detail17trampoline_kernelINS0_14default_configENS1_22reduce_config_selectorIN6thrust23THRUST_200600_302600_NS5tupleIblNS6_9null_typeES8_S8_S8_S8_S8_S8_S8_EEEEZNS1_11reduce_implILb1ES3_NS6_12zip_iteratorINS7_INS6_11hip_rocprim26transform_input_iterator_tIbNSD_35transform_pair_of_input_iterators_tIbNS6_6detail15normal_iteratorINS6_10device_ptrIKsEEEESL_NS6_8equal_toIsEEEENSG_9not_fun_tINSD_8identityEEEEENSD_19counting_iterator_tIlEES8_S8_S8_S8_S8_S8_S8_S8_EEEEPS9_S9_NSD_9__find_if7functorIS9_EEEE10hipError_tPvRmT1_T2_T3_mT4_P12ihipStream_tbEUlT_E0_NS1_11comp_targetILNS1_3genE0ELNS1_11target_archE4294967295ELNS1_3gpuE0ELNS1_3repE0EEENS1_30default_config_static_selectorELNS0_4arch9wavefront6targetE1EEEvS14_,comdat
	.protected	_ZN7rocprim17ROCPRIM_400000_NS6detail17trampoline_kernelINS0_14default_configENS1_22reduce_config_selectorIN6thrust23THRUST_200600_302600_NS5tupleIblNS6_9null_typeES8_S8_S8_S8_S8_S8_S8_EEEEZNS1_11reduce_implILb1ES3_NS6_12zip_iteratorINS7_INS6_11hip_rocprim26transform_input_iterator_tIbNSD_35transform_pair_of_input_iterators_tIbNS6_6detail15normal_iteratorINS6_10device_ptrIKsEEEESL_NS6_8equal_toIsEEEENSG_9not_fun_tINSD_8identityEEEEENSD_19counting_iterator_tIlEES8_S8_S8_S8_S8_S8_S8_S8_EEEEPS9_S9_NSD_9__find_if7functorIS9_EEEE10hipError_tPvRmT1_T2_T3_mT4_P12ihipStream_tbEUlT_E0_NS1_11comp_targetILNS1_3genE0ELNS1_11target_archE4294967295ELNS1_3gpuE0ELNS1_3repE0EEENS1_30default_config_static_selectorELNS0_4arch9wavefront6targetE1EEEvS14_ ; -- Begin function _ZN7rocprim17ROCPRIM_400000_NS6detail17trampoline_kernelINS0_14default_configENS1_22reduce_config_selectorIN6thrust23THRUST_200600_302600_NS5tupleIblNS6_9null_typeES8_S8_S8_S8_S8_S8_S8_EEEEZNS1_11reduce_implILb1ES3_NS6_12zip_iteratorINS7_INS6_11hip_rocprim26transform_input_iterator_tIbNSD_35transform_pair_of_input_iterators_tIbNS6_6detail15normal_iteratorINS6_10device_ptrIKsEEEESL_NS6_8equal_toIsEEEENSG_9not_fun_tINSD_8identityEEEEENSD_19counting_iterator_tIlEES8_S8_S8_S8_S8_S8_S8_S8_EEEEPS9_S9_NSD_9__find_if7functorIS9_EEEE10hipError_tPvRmT1_T2_T3_mT4_P12ihipStream_tbEUlT_E0_NS1_11comp_targetILNS1_3genE0ELNS1_11target_archE4294967295ELNS1_3gpuE0ELNS1_3repE0EEENS1_30default_config_static_selectorELNS0_4arch9wavefront6targetE1EEEvS14_
	.globl	_ZN7rocprim17ROCPRIM_400000_NS6detail17trampoline_kernelINS0_14default_configENS1_22reduce_config_selectorIN6thrust23THRUST_200600_302600_NS5tupleIblNS6_9null_typeES8_S8_S8_S8_S8_S8_S8_EEEEZNS1_11reduce_implILb1ES3_NS6_12zip_iteratorINS7_INS6_11hip_rocprim26transform_input_iterator_tIbNSD_35transform_pair_of_input_iterators_tIbNS6_6detail15normal_iteratorINS6_10device_ptrIKsEEEESL_NS6_8equal_toIsEEEENSG_9not_fun_tINSD_8identityEEEEENSD_19counting_iterator_tIlEES8_S8_S8_S8_S8_S8_S8_S8_EEEEPS9_S9_NSD_9__find_if7functorIS9_EEEE10hipError_tPvRmT1_T2_T3_mT4_P12ihipStream_tbEUlT_E0_NS1_11comp_targetILNS1_3genE0ELNS1_11target_archE4294967295ELNS1_3gpuE0ELNS1_3repE0EEENS1_30default_config_static_selectorELNS0_4arch9wavefront6targetE1EEEvS14_
	.p2align	8
	.type	_ZN7rocprim17ROCPRIM_400000_NS6detail17trampoline_kernelINS0_14default_configENS1_22reduce_config_selectorIN6thrust23THRUST_200600_302600_NS5tupleIblNS6_9null_typeES8_S8_S8_S8_S8_S8_S8_EEEEZNS1_11reduce_implILb1ES3_NS6_12zip_iteratorINS7_INS6_11hip_rocprim26transform_input_iterator_tIbNSD_35transform_pair_of_input_iterators_tIbNS6_6detail15normal_iteratorINS6_10device_ptrIKsEEEESL_NS6_8equal_toIsEEEENSG_9not_fun_tINSD_8identityEEEEENSD_19counting_iterator_tIlEES8_S8_S8_S8_S8_S8_S8_S8_EEEEPS9_S9_NSD_9__find_if7functorIS9_EEEE10hipError_tPvRmT1_T2_T3_mT4_P12ihipStream_tbEUlT_E0_NS1_11comp_targetILNS1_3genE0ELNS1_11target_archE4294967295ELNS1_3gpuE0ELNS1_3repE0EEENS1_30default_config_static_selectorELNS0_4arch9wavefront6targetE1EEEvS14_,@function
_ZN7rocprim17ROCPRIM_400000_NS6detail17trampoline_kernelINS0_14default_configENS1_22reduce_config_selectorIN6thrust23THRUST_200600_302600_NS5tupleIblNS6_9null_typeES8_S8_S8_S8_S8_S8_S8_EEEEZNS1_11reduce_implILb1ES3_NS6_12zip_iteratorINS7_INS6_11hip_rocprim26transform_input_iterator_tIbNSD_35transform_pair_of_input_iterators_tIbNS6_6detail15normal_iteratorINS6_10device_ptrIKsEEEESL_NS6_8equal_toIsEEEENSG_9not_fun_tINSD_8identityEEEEENSD_19counting_iterator_tIlEES8_S8_S8_S8_S8_S8_S8_S8_EEEEPS9_S9_NSD_9__find_if7functorIS9_EEEE10hipError_tPvRmT1_T2_T3_mT4_P12ihipStream_tbEUlT_E0_NS1_11comp_targetILNS1_3genE0ELNS1_11target_archE4294967295ELNS1_3gpuE0ELNS1_3repE0EEENS1_30default_config_static_selectorELNS0_4arch9wavefront6targetE1EEEvS14_: ; @_ZN7rocprim17ROCPRIM_400000_NS6detail17trampoline_kernelINS0_14default_configENS1_22reduce_config_selectorIN6thrust23THRUST_200600_302600_NS5tupleIblNS6_9null_typeES8_S8_S8_S8_S8_S8_S8_EEEEZNS1_11reduce_implILb1ES3_NS6_12zip_iteratorINS7_INS6_11hip_rocprim26transform_input_iterator_tIbNSD_35transform_pair_of_input_iterators_tIbNS6_6detail15normal_iteratorINS6_10device_ptrIKsEEEESL_NS6_8equal_toIsEEEENSG_9not_fun_tINSD_8identityEEEEENSD_19counting_iterator_tIlEES8_S8_S8_S8_S8_S8_S8_S8_EEEEPS9_S9_NSD_9__find_if7functorIS9_EEEE10hipError_tPvRmT1_T2_T3_mT4_P12ihipStream_tbEUlT_E0_NS1_11comp_targetILNS1_3genE0ELNS1_11target_archE4294967295ELNS1_3gpuE0ELNS1_3repE0EEENS1_30default_config_static_selectorELNS0_4arch9wavefront6targetE1EEEvS14_
; %bb.0:
	.section	.rodata,"a",@progbits
	.p2align	6, 0x0
	.amdhsa_kernel _ZN7rocprim17ROCPRIM_400000_NS6detail17trampoline_kernelINS0_14default_configENS1_22reduce_config_selectorIN6thrust23THRUST_200600_302600_NS5tupleIblNS6_9null_typeES8_S8_S8_S8_S8_S8_S8_EEEEZNS1_11reduce_implILb1ES3_NS6_12zip_iteratorINS7_INS6_11hip_rocprim26transform_input_iterator_tIbNSD_35transform_pair_of_input_iterators_tIbNS6_6detail15normal_iteratorINS6_10device_ptrIKsEEEESL_NS6_8equal_toIsEEEENSG_9not_fun_tINSD_8identityEEEEENSD_19counting_iterator_tIlEES8_S8_S8_S8_S8_S8_S8_S8_EEEEPS9_S9_NSD_9__find_if7functorIS9_EEEE10hipError_tPvRmT1_T2_T3_mT4_P12ihipStream_tbEUlT_E0_NS1_11comp_targetILNS1_3genE0ELNS1_11target_archE4294967295ELNS1_3gpuE0ELNS1_3repE0EEENS1_30default_config_static_selectorELNS0_4arch9wavefront6targetE1EEEvS14_
		.amdhsa_group_segment_fixed_size 0
		.amdhsa_private_segment_fixed_size 0
		.amdhsa_kernarg_size 104
		.amdhsa_user_sgpr_count 6
		.amdhsa_user_sgpr_private_segment_buffer 1
		.amdhsa_user_sgpr_dispatch_ptr 0
		.amdhsa_user_sgpr_queue_ptr 0
		.amdhsa_user_sgpr_kernarg_segment_ptr 1
		.amdhsa_user_sgpr_dispatch_id 0
		.amdhsa_user_sgpr_flat_scratch_init 0
		.amdhsa_user_sgpr_private_segment_size 0
		.amdhsa_uses_dynamic_stack 0
		.amdhsa_system_sgpr_private_segment_wavefront_offset 0
		.amdhsa_system_sgpr_workgroup_id_x 1
		.amdhsa_system_sgpr_workgroup_id_y 0
		.amdhsa_system_sgpr_workgroup_id_z 0
		.amdhsa_system_sgpr_workgroup_info 0
		.amdhsa_system_vgpr_workitem_id 0
		.amdhsa_next_free_vgpr 1
		.amdhsa_next_free_sgpr 0
		.amdhsa_reserve_vcc 0
		.amdhsa_reserve_flat_scratch 0
		.amdhsa_float_round_mode_32 0
		.amdhsa_float_round_mode_16_64 0
		.amdhsa_float_denorm_mode_32 3
		.amdhsa_float_denorm_mode_16_64 3
		.amdhsa_dx10_clamp 1
		.amdhsa_ieee_mode 1
		.amdhsa_fp16_overflow 0
		.amdhsa_exception_fp_ieee_invalid_op 0
		.amdhsa_exception_fp_denorm_src 0
		.amdhsa_exception_fp_ieee_div_zero 0
		.amdhsa_exception_fp_ieee_overflow 0
		.amdhsa_exception_fp_ieee_underflow 0
		.amdhsa_exception_fp_ieee_inexact 0
		.amdhsa_exception_int_div_zero 0
	.end_amdhsa_kernel
	.section	.text._ZN7rocprim17ROCPRIM_400000_NS6detail17trampoline_kernelINS0_14default_configENS1_22reduce_config_selectorIN6thrust23THRUST_200600_302600_NS5tupleIblNS6_9null_typeES8_S8_S8_S8_S8_S8_S8_EEEEZNS1_11reduce_implILb1ES3_NS6_12zip_iteratorINS7_INS6_11hip_rocprim26transform_input_iterator_tIbNSD_35transform_pair_of_input_iterators_tIbNS6_6detail15normal_iteratorINS6_10device_ptrIKsEEEESL_NS6_8equal_toIsEEEENSG_9not_fun_tINSD_8identityEEEEENSD_19counting_iterator_tIlEES8_S8_S8_S8_S8_S8_S8_S8_EEEEPS9_S9_NSD_9__find_if7functorIS9_EEEE10hipError_tPvRmT1_T2_T3_mT4_P12ihipStream_tbEUlT_E0_NS1_11comp_targetILNS1_3genE0ELNS1_11target_archE4294967295ELNS1_3gpuE0ELNS1_3repE0EEENS1_30default_config_static_selectorELNS0_4arch9wavefront6targetE1EEEvS14_,"axG",@progbits,_ZN7rocprim17ROCPRIM_400000_NS6detail17trampoline_kernelINS0_14default_configENS1_22reduce_config_selectorIN6thrust23THRUST_200600_302600_NS5tupleIblNS6_9null_typeES8_S8_S8_S8_S8_S8_S8_EEEEZNS1_11reduce_implILb1ES3_NS6_12zip_iteratorINS7_INS6_11hip_rocprim26transform_input_iterator_tIbNSD_35transform_pair_of_input_iterators_tIbNS6_6detail15normal_iteratorINS6_10device_ptrIKsEEEESL_NS6_8equal_toIsEEEENSG_9not_fun_tINSD_8identityEEEEENSD_19counting_iterator_tIlEES8_S8_S8_S8_S8_S8_S8_S8_EEEEPS9_S9_NSD_9__find_if7functorIS9_EEEE10hipError_tPvRmT1_T2_T3_mT4_P12ihipStream_tbEUlT_E0_NS1_11comp_targetILNS1_3genE0ELNS1_11target_archE4294967295ELNS1_3gpuE0ELNS1_3repE0EEENS1_30default_config_static_selectorELNS0_4arch9wavefront6targetE1EEEvS14_,comdat
.Lfunc_end555:
	.size	_ZN7rocprim17ROCPRIM_400000_NS6detail17trampoline_kernelINS0_14default_configENS1_22reduce_config_selectorIN6thrust23THRUST_200600_302600_NS5tupleIblNS6_9null_typeES8_S8_S8_S8_S8_S8_S8_EEEEZNS1_11reduce_implILb1ES3_NS6_12zip_iteratorINS7_INS6_11hip_rocprim26transform_input_iterator_tIbNSD_35transform_pair_of_input_iterators_tIbNS6_6detail15normal_iteratorINS6_10device_ptrIKsEEEESL_NS6_8equal_toIsEEEENSG_9not_fun_tINSD_8identityEEEEENSD_19counting_iterator_tIlEES8_S8_S8_S8_S8_S8_S8_S8_EEEEPS9_S9_NSD_9__find_if7functorIS9_EEEE10hipError_tPvRmT1_T2_T3_mT4_P12ihipStream_tbEUlT_E0_NS1_11comp_targetILNS1_3genE0ELNS1_11target_archE4294967295ELNS1_3gpuE0ELNS1_3repE0EEENS1_30default_config_static_selectorELNS0_4arch9wavefront6targetE1EEEvS14_, .Lfunc_end555-_ZN7rocprim17ROCPRIM_400000_NS6detail17trampoline_kernelINS0_14default_configENS1_22reduce_config_selectorIN6thrust23THRUST_200600_302600_NS5tupleIblNS6_9null_typeES8_S8_S8_S8_S8_S8_S8_EEEEZNS1_11reduce_implILb1ES3_NS6_12zip_iteratorINS7_INS6_11hip_rocprim26transform_input_iterator_tIbNSD_35transform_pair_of_input_iterators_tIbNS6_6detail15normal_iteratorINS6_10device_ptrIKsEEEESL_NS6_8equal_toIsEEEENSG_9not_fun_tINSD_8identityEEEEENSD_19counting_iterator_tIlEES8_S8_S8_S8_S8_S8_S8_S8_EEEEPS9_S9_NSD_9__find_if7functorIS9_EEEE10hipError_tPvRmT1_T2_T3_mT4_P12ihipStream_tbEUlT_E0_NS1_11comp_targetILNS1_3genE0ELNS1_11target_archE4294967295ELNS1_3gpuE0ELNS1_3repE0EEENS1_30default_config_static_selectorELNS0_4arch9wavefront6targetE1EEEvS14_
                                        ; -- End function
	.set _ZN7rocprim17ROCPRIM_400000_NS6detail17trampoline_kernelINS0_14default_configENS1_22reduce_config_selectorIN6thrust23THRUST_200600_302600_NS5tupleIblNS6_9null_typeES8_S8_S8_S8_S8_S8_S8_EEEEZNS1_11reduce_implILb1ES3_NS6_12zip_iteratorINS7_INS6_11hip_rocprim26transform_input_iterator_tIbNSD_35transform_pair_of_input_iterators_tIbNS6_6detail15normal_iteratorINS6_10device_ptrIKsEEEESL_NS6_8equal_toIsEEEENSG_9not_fun_tINSD_8identityEEEEENSD_19counting_iterator_tIlEES8_S8_S8_S8_S8_S8_S8_S8_EEEEPS9_S9_NSD_9__find_if7functorIS9_EEEE10hipError_tPvRmT1_T2_T3_mT4_P12ihipStream_tbEUlT_E0_NS1_11comp_targetILNS1_3genE0ELNS1_11target_archE4294967295ELNS1_3gpuE0ELNS1_3repE0EEENS1_30default_config_static_selectorELNS0_4arch9wavefront6targetE1EEEvS14_.num_vgpr, 0
	.set _ZN7rocprim17ROCPRIM_400000_NS6detail17trampoline_kernelINS0_14default_configENS1_22reduce_config_selectorIN6thrust23THRUST_200600_302600_NS5tupleIblNS6_9null_typeES8_S8_S8_S8_S8_S8_S8_EEEEZNS1_11reduce_implILb1ES3_NS6_12zip_iteratorINS7_INS6_11hip_rocprim26transform_input_iterator_tIbNSD_35transform_pair_of_input_iterators_tIbNS6_6detail15normal_iteratorINS6_10device_ptrIKsEEEESL_NS6_8equal_toIsEEEENSG_9not_fun_tINSD_8identityEEEEENSD_19counting_iterator_tIlEES8_S8_S8_S8_S8_S8_S8_S8_EEEEPS9_S9_NSD_9__find_if7functorIS9_EEEE10hipError_tPvRmT1_T2_T3_mT4_P12ihipStream_tbEUlT_E0_NS1_11comp_targetILNS1_3genE0ELNS1_11target_archE4294967295ELNS1_3gpuE0ELNS1_3repE0EEENS1_30default_config_static_selectorELNS0_4arch9wavefront6targetE1EEEvS14_.num_agpr, 0
	.set _ZN7rocprim17ROCPRIM_400000_NS6detail17trampoline_kernelINS0_14default_configENS1_22reduce_config_selectorIN6thrust23THRUST_200600_302600_NS5tupleIblNS6_9null_typeES8_S8_S8_S8_S8_S8_S8_EEEEZNS1_11reduce_implILb1ES3_NS6_12zip_iteratorINS7_INS6_11hip_rocprim26transform_input_iterator_tIbNSD_35transform_pair_of_input_iterators_tIbNS6_6detail15normal_iteratorINS6_10device_ptrIKsEEEESL_NS6_8equal_toIsEEEENSG_9not_fun_tINSD_8identityEEEEENSD_19counting_iterator_tIlEES8_S8_S8_S8_S8_S8_S8_S8_EEEEPS9_S9_NSD_9__find_if7functorIS9_EEEE10hipError_tPvRmT1_T2_T3_mT4_P12ihipStream_tbEUlT_E0_NS1_11comp_targetILNS1_3genE0ELNS1_11target_archE4294967295ELNS1_3gpuE0ELNS1_3repE0EEENS1_30default_config_static_selectorELNS0_4arch9wavefront6targetE1EEEvS14_.numbered_sgpr, 0
	.set _ZN7rocprim17ROCPRIM_400000_NS6detail17trampoline_kernelINS0_14default_configENS1_22reduce_config_selectorIN6thrust23THRUST_200600_302600_NS5tupleIblNS6_9null_typeES8_S8_S8_S8_S8_S8_S8_EEEEZNS1_11reduce_implILb1ES3_NS6_12zip_iteratorINS7_INS6_11hip_rocprim26transform_input_iterator_tIbNSD_35transform_pair_of_input_iterators_tIbNS6_6detail15normal_iteratorINS6_10device_ptrIKsEEEESL_NS6_8equal_toIsEEEENSG_9not_fun_tINSD_8identityEEEEENSD_19counting_iterator_tIlEES8_S8_S8_S8_S8_S8_S8_S8_EEEEPS9_S9_NSD_9__find_if7functorIS9_EEEE10hipError_tPvRmT1_T2_T3_mT4_P12ihipStream_tbEUlT_E0_NS1_11comp_targetILNS1_3genE0ELNS1_11target_archE4294967295ELNS1_3gpuE0ELNS1_3repE0EEENS1_30default_config_static_selectorELNS0_4arch9wavefront6targetE1EEEvS14_.num_named_barrier, 0
	.set _ZN7rocprim17ROCPRIM_400000_NS6detail17trampoline_kernelINS0_14default_configENS1_22reduce_config_selectorIN6thrust23THRUST_200600_302600_NS5tupleIblNS6_9null_typeES8_S8_S8_S8_S8_S8_S8_EEEEZNS1_11reduce_implILb1ES3_NS6_12zip_iteratorINS7_INS6_11hip_rocprim26transform_input_iterator_tIbNSD_35transform_pair_of_input_iterators_tIbNS6_6detail15normal_iteratorINS6_10device_ptrIKsEEEESL_NS6_8equal_toIsEEEENSG_9not_fun_tINSD_8identityEEEEENSD_19counting_iterator_tIlEES8_S8_S8_S8_S8_S8_S8_S8_EEEEPS9_S9_NSD_9__find_if7functorIS9_EEEE10hipError_tPvRmT1_T2_T3_mT4_P12ihipStream_tbEUlT_E0_NS1_11comp_targetILNS1_3genE0ELNS1_11target_archE4294967295ELNS1_3gpuE0ELNS1_3repE0EEENS1_30default_config_static_selectorELNS0_4arch9wavefront6targetE1EEEvS14_.private_seg_size, 0
	.set _ZN7rocprim17ROCPRIM_400000_NS6detail17trampoline_kernelINS0_14default_configENS1_22reduce_config_selectorIN6thrust23THRUST_200600_302600_NS5tupleIblNS6_9null_typeES8_S8_S8_S8_S8_S8_S8_EEEEZNS1_11reduce_implILb1ES3_NS6_12zip_iteratorINS7_INS6_11hip_rocprim26transform_input_iterator_tIbNSD_35transform_pair_of_input_iterators_tIbNS6_6detail15normal_iteratorINS6_10device_ptrIKsEEEESL_NS6_8equal_toIsEEEENSG_9not_fun_tINSD_8identityEEEEENSD_19counting_iterator_tIlEES8_S8_S8_S8_S8_S8_S8_S8_EEEEPS9_S9_NSD_9__find_if7functorIS9_EEEE10hipError_tPvRmT1_T2_T3_mT4_P12ihipStream_tbEUlT_E0_NS1_11comp_targetILNS1_3genE0ELNS1_11target_archE4294967295ELNS1_3gpuE0ELNS1_3repE0EEENS1_30default_config_static_selectorELNS0_4arch9wavefront6targetE1EEEvS14_.uses_vcc, 0
	.set _ZN7rocprim17ROCPRIM_400000_NS6detail17trampoline_kernelINS0_14default_configENS1_22reduce_config_selectorIN6thrust23THRUST_200600_302600_NS5tupleIblNS6_9null_typeES8_S8_S8_S8_S8_S8_S8_EEEEZNS1_11reduce_implILb1ES3_NS6_12zip_iteratorINS7_INS6_11hip_rocprim26transform_input_iterator_tIbNSD_35transform_pair_of_input_iterators_tIbNS6_6detail15normal_iteratorINS6_10device_ptrIKsEEEESL_NS6_8equal_toIsEEEENSG_9not_fun_tINSD_8identityEEEEENSD_19counting_iterator_tIlEES8_S8_S8_S8_S8_S8_S8_S8_EEEEPS9_S9_NSD_9__find_if7functorIS9_EEEE10hipError_tPvRmT1_T2_T3_mT4_P12ihipStream_tbEUlT_E0_NS1_11comp_targetILNS1_3genE0ELNS1_11target_archE4294967295ELNS1_3gpuE0ELNS1_3repE0EEENS1_30default_config_static_selectorELNS0_4arch9wavefront6targetE1EEEvS14_.uses_flat_scratch, 0
	.set _ZN7rocprim17ROCPRIM_400000_NS6detail17trampoline_kernelINS0_14default_configENS1_22reduce_config_selectorIN6thrust23THRUST_200600_302600_NS5tupleIblNS6_9null_typeES8_S8_S8_S8_S8_S8_S8_EEEEZNS1_11reduce_implILb1ES3_NS6_12zip_iteratorINS7_INS6_11hip_rocprim26transform_input_iterator_tIbNSD_35transform_pair_of_input_iterators_tIbNS6_6detail15normal_iteratorINS6_10device_ptrIKsEEEESL_NS6_8equal_toIsEEEENSG_9not_fun_tINSD_8identityEEEEENSD_19counting_iterator_tIlEES8_S8_S8_S8_S8_S8_S8_S8_EEEEPS9_S9_NSD_9__find_if7functorIS9_EEEE10hipError_tPvRmT1_T2_T3_mT4_P12ihipStream_tbEUlT_E0_NS1_11comp_targetILNS1_3genE0ELNS1_11target_archE4294967295ELNS1_3gpuE0ELNS1_3repE0EEENS1_30default_config_static_selectorELNS0_4arch9wavefront6targetE1EEEvS14_.has_dyn_sized_stack, 0
	.set _ZN7rocprim17ROCPRIM_400000_NS6detail17trampoline_kernelINS0_14default_configENS1_22reduce_config_selectorIN6thrust23THRUST_200600_302600_NS5tupleIblNS6_9null_typeES8_S8_S8_S8_S8_S8_S8_EEEEZNS1_11reduce_implILb1ES3_NS6_12zip_iteratorINS7_INS6_11hip_rocprim26transform_input_iterator_tIbNSD_35transform_pair_of_input_iterators_tIbNS6_6detail15normal_iteratorINS6_10device_ptrIKsEEEESL_NS6_8equal_toIsEEEENSG_9not_fun_tINSD_8identityEEEEENSD_19counting_iterator_tIlEES8_S8_S8_S8_S8_S8_S8_S8_EEEEPS9_S9_NSD_9__find_if7functorIS9_EEEE10hipError_tPvRmT1_T2_T3_mT4_P12ihipStream_tbEUlT_E0_NS1_11comp_targetILNS1_3genE0ELNS1_11target_archE4294967295ELNS1_3gpuE0ELNS1_3repE0EEENS1_30default_config_static_selectorELNS0_4arch9wavefront6targetE1EEEvS14_.has_recursion, 0
	.set _ZN7rocprim17ROCPRIM_400000_NS6detail17trampoline_kernelINS0_14default_configENS1_22reduce_config_selectorIN6thrust23THRUST_200600_302600_NS5tupleIblNS6_9null_typeES8_S8_S8_S8_S8_S8_S8_EEEEZNS1_11reduce_implILb1ES3_NS6_12zip_iteratorINS7_INS6_11hip_rocprim26transform_input_iterator_tIbNSD_35transform_pair_of_input_iterators_tIbNS6_6detail15normal_iteratorINS6_10device_ptrIKsEEEESL_NS6_8equal_toIsEEEENSG_9not_fun_tINSD_8identityEEEEENSD_19counting_iterator_tIlEES8_S8_S8_S8_S8_S8_S8_S8_EEEEPS9_S9_NSD_9__find_if7functorIS9_EEEE10hipError_tPvRmT1_T2_T3_mT4_P12ihipStream_tbEUlT_E0_NS1_11comp_targetILNS1_3genE0ELNS1_11target_archE4294967295ELNS1_3gpuE0ELNS1_3repE0EEENS1_30default_config_static_selectorELNS0_4arch9wavefront6targetE1EEEvS14_.has_indirect_call, 0
	.section	.AMDGPU.csdata,"",@progbits
; Kernel info:
; codeLenInByte = 0
; TotalNumSgprs: 4
; NumVgprs: 0
; ScratchSize: 0
; MemoryBound: 0
; FloatMode: 240
; IeeeMode: 1
; LDSByteSize: 0 bytes/workgroup (compile time only)
; SGPRBlocks: 0
; VGPRBlocks: 0
; NumSGPRsForWavesPerEU: 4
; NumVGPRsForWavesPerEU: 1
; Occupancy: 10
; WaveLimiterHint : 0
; COMPUTE_PGM_RSRC2:SCRATCH_EN: 0
; COMPUTE_PGM_RSRC2:USER_SGPR: 6
; COMPUTE_PGM_RSRC2:TRAP_HANDLER: 0
; COMPUTE_PGM_RSRC2:TGID_X_EN: 1
; COMPUTE_PGM_RSRC2:TGID_Y_EN: 0
; COMPUTE_PGM_RSRC2:TGID_Z_EN: 0
; COMPUTE_PGM_RSRC2:TIDIG_COMP_CNT: 0
	.section	.text._ZN7rocprim17ROCPRIM_400000_NS6detail17trampoline_kernelINS0_14default_configENS1_22reduce_config_selectorIN6thrust23THRUST_200600_302600_NS5tupleIblNS6_9null_typeES8_S8_S8_S8_S8_S8_S8_EEEEZNS1_11reduce_implILb1ES3_NS6_12zip_iteratorINS7_INS6_11hip_rocprim26transform_input_iterator_tIbNSD_35transform_pair_of_input_iterators_tIbNS6_6detail15normal_iteratorINS6_10device_ptrIKsEEEESL_NS6_8equal_toIsEEEENSG_9not_fun_tINSD_8identityEEEEENSD_19counting_iterator_tIlEES8_S8_S8_S8_S8_S8_S8_S8_EEEEPS9_S9_NSD_9__find_if7functorIS9_EEEE10hipError_tPvRmT1_T2_T3_mT4_P12ihipStream_tbEUlT_E0_NS1_11comp_targetILNS1_3genE5ELNS1_11target_archE942ELNS1_3gpuE9ELNS1_3repE0EEENS1_30default_config_static_selectorELNS0_4arch9wavefront6targetE1EEEvS14_,"axG",@progbits,_ZN7rocprim17ROCPRIM_400000_NS6detail17trampoline_kernelINS0_14default_configENS1_22reduce_config_selectorIN6thrust23THRUST_200600_302600_NS5tupleIblNS6_9null_typeES8_S8_S8_S8_S8_S8_S8_EEEEZNS1_11reduce_implILb1ES3_NS6_12zip_iteratorINS7_INS6_11hip_rocprim26transform_input_iterator_tIbNSD_35transform_pair_of_input_iterators_tIbNS6_6detail15normal_iteratorINS6_10device_ptrIKsEEEESL_NS6_8equal_toIsEEEENSG_9not_fun_tINSD_8identityEEEEENSD_19counting_iterator_tIlEES8_S8_S8_S8_S8_S8_S8_S8_EEEEPS9_S9_NSD_9__find_if7functorIS9_EEEE10hipError_tPvRmT1_T2_T3_mT4_P12ihipStream_tbEUlT_E0_NS1_11comp_targetILNS1_3genE5ELNS1_11target_archE942ELNS1_3gpuE9ELNS1_3repE0EEENS1_30default_config_static_selectorELNS0_4arch9wavefront6targetE1EEEvS14_,comdat
	.protected	_ZN7rocprim17ROCPRIM_400000_NS6detail17trampoline_kernelINS0_14default_configENS1_22reduce_config_selectorIN6thrust23THRUST_200600_302600_NS5tupleIblNS6_9null_typeES8_S8_S8_S8_S8_S8_S8_EEEEZNS1_11reduce_implILb1ES3_NS6_12zip_iteratorINS7_INS6_11hip_rocprim26transform_input_iterator_tIbNSD_35transform_pair_of_input_iterators_tIbNS6_6detail15normal_iteratorINS6_10device_ptrIKsEEEESL_NS6_8equal_toIsEEEENSG_9not_fun_tINSD_8identityEEEEENSD_19counting_iterator_tIlEES8_S8_S8_S8_S8_S8_S8_S8_EEEEPS9_S9_NSD_9__find_if7functorIS9_EEEE10hipError_tPvRmT1_T2_T3_mT4_P12ihipStream_tbEUlT_E0_NS1_11comp_targetILNS1_3genE5ELNS1_11target_archE942ELNS1_3gpuE9ELNS1_3repE0EEENS1_30default_config_static_selectorELNS0_4arch9wavefront6targetE1EEEvS14_ ; -- Begin function _ZN7rocprim17ROCPRIM_400000_NS6detail17trampoline_kernelINS0_14default_configENS1_22reduce_config_selectorIN6thrust23THRUST_200600_302600_NS5tupleIblNS6_9null_typeES8_S8_S8_S8_S8_S8_S8_EEEEZNS1_11reduce_implILb1ES3_NS6_12zip_iteratorINS7_INS6_11hip_rocprim26transform_input_iterator_tIbNSD_35transform_pair_of_input_iterators_tIbNS6_6detail15normal_iteratorINS6_10device_ptrIKsEEEESL_NS6_8equal_toIsEEEENSG_9not_fun_tINSD_8identityEEEEENSD_19counting_iterator_tIlEES8_S8_S8_S8_S8_S8_S8_S8_EEEEPS9_S9_NSD_9__find_if7functorIS9_EEEE10hipError_tPvRmT1_T2_T3_mT4_P12ihipStream_tbEUlT_E0_NS1_11comp_targetILNS1_3genE5ELNS1_11target_archE942ELNS1_3gpuE9ELNS1_3repE0EEENS1_30default_config_static_selectorELNS0_4arch9wavefront6targetE1EEEvS14_
	.globl	_ZN7rocprim17ROCPRIM_400000_NS6detail17trampoline_kernelINS0_14default_configENS1_22reduce_config_selectorIN6thrust23THRUST_200600_302600_NS5tupleIblNS6_9null_typeES8_S8_S8_S8_S8_S8_S8_EEEEZNS1_11reduce_implILb1ES3_NS6_12zip_iteratorINS7_INS6_11hip_rocprim26transform_input_iterator_tIbNSD_35transform_pair_of_input_iterators_tIbNS6_6detail15normal_iteratorINS6_10device_ptrIKsEEEESL_NS6_8equal_toIsEEEENSG_9not_fun_tINSD_8identityEEEEENSD_19counting_iterator_tIlEES8_S8_S8_S8_S8_S8_S8_S8_EEEEPS9_S9_NSD_9__find_if7functorIS9_EEEE10hipError_tPvRmT1_T2_T3_mT4_P12ihipStream_tbEUlT_E0_NS1_11comp_targetILNS1_3genE5ELNS1_11target_archE942ELNS1_3gpuE9ELNS1_3repE0EEENS1_30default_config_static_selectorELNS0_4arch9wavefront6targetE1EEEvS14_
	.p2align	8
	.type	_ZN7rocprim17ROCPRIM_400000_NS6detail17trampoline_kernelINS0_14default_configENS1_22reduce_config_selectorIN6thrust23THRUST_200600_302600_NS5tupleIblNS6_9null_typeES8_S8_S8_S8_S8_S8_S8_EEEEZNS1_11reduce_implILb1ES3_NS6_12zip_iteratorINS7_INS6_11hip_rocprim26transform_input_iterator_tIbNSD_35transform_pair_of_input_iterators_tIbNS6_6detail15normal_iteratorINS6_10device_ptrIKsEEEESL_NS6_8equal_toIsEEEENSG_9not_fun_tINSD_8identityEEEEENSD_19counting_iterator_tIlEES8_S8_S8_S8_S8_S8_S8_S8_EEEEPS9_S9_NSD_9__find_if7functorIS9_EEEE10hipError_tPvRmT1_T2_T3_mT4_P12ihipStream_tbEUlT_E0_NS1_11comp_targetILNS1_3genE5ELNS1_11target_archE942ELNS1_3gpuE9ELNS1_3repE0EEENS1_30default_config_static_selectorELNS0_4arch9wavefront6targetE1EEEvS14_,@function
_ZN7rocprim17ROCPRIM_400000_NS6detail17trampoline_kernelINS0_14default_configENS1_22reduce_config_selectorIN6thrust23THRUST_200600_302600_NS5tupleIblNS6_9null_typeES8_S8_S8_S8_S8_S8_S8_EEEEZNS1_11reduce_implILb1ES3_NS6_12zip_iteratorINS7_INS6_11hip_rocprim26transform_input_iterator_tIbNSD_35transform_pair_of_input_iterators_tIbNS6_6detail15normal_iteratorINS6_10device_ptrIKsEEEESL_NS6_8equal_toIsEEEENSG_9not_fun_tINSD_8identityEEEEENSD_19counting_iterator_tIlEES8_S8_S8_S8_S8_S8_S8_S8_EEEEPS9_S9_NSD_9__find_if7functorIS9_EEEE10hipError_tPvRmT1_T2_T3_mT4_P12ihipStream_tbEUlT_E0_NS1_11comp_targetILNS1_3genE5ELNS1_11target_archE942ELNS1_3gpuE9ELNS1_3repE0EEENS1_30default_config_static_selectorELNS0_4arch9wavefront6targetE1EEEvS14_: ; @_ZN7rocprim17ROCPRIM_400000_NS6detail17trampoline_kernelINS0_14default_configENS1_22reduce_config_selectorIN6thrust23THRUST_200600_302600_NS5tupleIblNS6_9null_typeES8_S8_S8_S8_S8_S8_S8_EEEEZNS1_11reduce_implILb1ES3_NS6_12zip_iteratorINS7_INS6_11hip_rocprim26transform_input_iterator_tIbNSD_35transform_pair_of_input_iterators_tIbNS6_6detail15normal_iteratorINS6_10device_ptrIKsEEEESL_NS6_8equal_toIsEEEENSG_9not_fun_tINSD_8identityEEEEENSD_19counting_iterator_tIlEES8_S8_S8_S8_S8_S8_S8_S8_EEEEPS9_S9_NSD_9__find_if7functorIS9_EEEE10hipError_tPvRmT1_T2_T3_mT4_P12ihipStream_tbEUlT_E0_NS1_11comp_targetILNS1_3genE5ELNS1_11target_archE942ELNS1_3gpuE9ELNS1_3repE0EEENS1_30default_config_static_selectorELNS0_4arch9wavefront6targetE1EEEvS14_
; %bb.0:
	.section	.rodata,"a",@progbits
	.p2align	6, 0x0
	.amdhsa_kernel _ZN7rocprim17ROCPRIM_400000_NS6detail17trampoline_kernelINS0_14default_configENS1_22reduce_config_selectorIN6thrust23THRUST_200600_302600_NS5tupleIblNS6_9null_typeES8_S8_S8_S8_S8_S8_S8_EEEEZNS1_11reduce_implILb1ES3_NS6_12zip_iteratorINS7_INS6_11hip_rocprim26transform_input_iterator_tIbNSD_35transform_pair_of_input_iterators_tIbNS6_6detail15normal_iteratorINS6_10device_ptrIKsEEEESL_NS6_8equal_toIsEEEENSG_9not_fun_tINSD_8identityEEEEENSD_19counting_iterator_tIlEES8_S8_S8_S8_S8_S8_S8_S8_EEEEPS9_S9_NSD_9__find_if7functorIS9_EEEE10hipError_tPvRmT1_T2_T3_mT4_P12ihipStream_tbEUlT_E0_NS1_11comp_targetILNS1_3genE5ELNS1_11target_archE942ELNS1_3gpuE9ELNS1_3repE0EEENS1_30default_config_static_selectorELNS0_4arch9wavefront6targetE1EEEvS14_
		.amdhsa_group_segment_fixed_size 0
		.amdhsa_private_segment_fixed_size 0
		.amdhsa_kernarg_size 104
		.amdhsa_user_sgpr_count 6
		.amdhsa_user_sgpr_private_segment_buffer 1
		.amdhsa_user_sgpr_dispatch_ptr 0
		.amdhsa_user_sgpr_queue_ptr 0
		.amdhsa_user_sgpr_kernarg_segment_ptr 1
		.amdhsa_user_sgpr_dispatch_id 0
		.amdhsa_user_sgpr_flat_scratch_init 0
		.amdhsa_user_sgpr_private_segment_size 0
		.amdhsa_uses_dynamic_stack 0
		.amdhsa_system_sgpr_private_segment_wavefront_offset 0
		.amdhsa_system_sgpr_workgroup_id_x 1
		.amdhsa_system_sgpr_workgroup_id_y 0
		.amdhsa_system_sgpr_workgroup_id_z 0
		.amdhsa_system_sgpr_workgroup_info 0
		.amdhsa_system_vgpr_workitem_id 0
		.amdhsa_next_free_vgpr 1
		.amdhsa_next_free_sgpr 0
		.amdhsa_reserve_vcc 0
		.amdhsa_reserve_flat_scratch 0
		.amdhsa_float_round_mode_32 0
		.amdhsa_float_round_mode_16_64 0
		.amdhsa_float_denorm_mode_32 3
		.amdhsa_float_denorm_mode_16_64 3
		.amdhsa_dx10_clamp 1
		.amdhsa_ieee_mode 1
		.amdhsa_fp16_overflow 0
		.amdhsa_exception_fp_ieee_invalid_op 0
		.amdhsa_exception_fp_denorm_src 0
		.amdhsa_exception_fp_ieee_div_zero 0
		.amdhsa_exception_fp_ieee_overflow 0
		.amdhsa_exception_fp_ieee_underflow 0
		.amdhsa_exception_fp_ieee_inexact 0
		.amdhsa_exception_int_div_zero 0
	.end_amdhsa_kernel
	.section	.text._ZN7rocprim17ROCPRIM_400000_NS6detail17trampoline_kernelINS0_14default_configENS1_22reduce_config_selectorIN6thrust23THRUST_200600_302600_NS5tupleIblNS6_9null_typeES8_S8_S8_S8_S8_S8_S8_EEEEZNS1_11reduce_implILb1ES3_NS6_12zip_iteratorINS7_INS6_11hip_rocprim26transform_input_iterator_tIbNSD_35transform_pair_of_input_iterators_tIbNS6_6detail15normal_iteratorINS6_10device_ptrIKsEEEESL_NS6_8equal_toIsEEEENSG_9not_fun_tINSD_8identityEEEEENSD_19counting_iterator_tIlEES8_S8_S8_S8_S8_S8_S8_S8_EEEEPS9_S9_NSD_9__find_if7functorIS9_EEEE10hipError_tPvRmT1_T2_T3_mT4_P12ihipStream_tbEUlT_E0_NS1_11comp_targetILNS1_3genE5ELNS1_11target_archE942ELNS1_3gpuE9ELNS1_3repE0EEENS1_30default_config_static_selectorELNS0_4arch9wavefront6targetE1EEEvS14_,"axG",@progbits,_ZN7rocprim17ROCPRIM_400000_NS6detail17trampoline_kernelINS0_14default_configENS1_22reduce_config_selectorIN6thrust23THRUST_200600_302600_NS5tupleIblNS6_9null_typeES8_S8_S8_S8_S8_S8_S8_EEEEZNS1_11reduce_implILb1ES3_NS6_12zip_iteratorINS7_INS6_11hip_rocprim26transform_input_iterator_tIbNSD_35transform_pair_of_input_iterators_tIbNS6_6detail15normal_iteratorINS6_10device_ptrIKsEEEESL_NS6_8equal_toIsEEEENSG_9not_fun_tINSD_8identityEEEEENSD_19counting_iterator_tIlEES8_S8_S8_S8_S8_S8_S8_S8_EEEEPS9_S9_NSD_9__find_if7functorIS9_EEEE10hipError_tPvRmT1_T2_T3_mT4_P12ihipStream_tbEUlT_E0_NS1_11comp_targetILNS1_3genE5ELNS1_11target_archE942ELNS1_3gpuE9ELNS1_3repE0EEENS1_30default_config_static_selectorELNS0_4arch9wavefront6targetE1EEEvS14_,comdat
.Lfunc_end556:
	.size	_ZN7rocprim17ROCPRIM_400000_NS6detail17trampoline_kernelINS0_14default_configENS1_22reduce_config_selectorIN6thrust23THRUST_200600_302600_NS5tupleIblNS6_9null_typeES8_S8_S8_S8_S8_S8_S8_EEEEZNS1_11reduce_implILb1ES3_NS6_12zip_iteratorINS7_INS6_11hip_rocprim26transform_input_iterator_tIbNSD_35transform_pair_of_input_iterators_tIbNS6_6detail15normal_iteratorINS6_10device_ptrIKsEEEESL_NS6_8equal_toIsEEEENSG_9not_fun_tINSD_8identityEEEEENSD_19counting_iterator_tIlEES8_S8_S8_S8_S8_S8_S8_S8_EEEEPS9_S9_NSD_9__find_if7functorIS9_EEEE10hipError_tPvRmT1_T2_T3_mT4_P12ihipStream_tbEUlT_E0_NS1_11comp_targetILNS1_3genE5ELNS1_11target_archE942ELNS1_3gpuE9ELNS1_3repE0EEENS1_30default_config_static_selectorELNS0_4arch9wavefront6targetE1EEEvS14_, .Lfunc_end556-_ZN7rocprim17ROCPRIM_400000_NS6detail17trampoline_kernelINS0_14default_configENS1_22reduce_config_selectorIN6thrust23THRUST_200600_302600_NS5tupleIblNS6_9null_typeES8_S8_S8_S8_S8_S8_S8_EEEEZNS1_11reduce_implILb1ES3_NS6_12zip_iteratorINS7_INS6_11hip_rocprim26transform_input_iterator_tIbNSD_35transform_pair_of_input_iterators_tIbNS6_6detail15normal_iteratorINS6_10device_ptrIKsEEEESL_NS6_8equal_toIsEEEENSG_9not_fun_tINSD_8identityEEEEENSD_19counting_iterator_tIlEES8_S8_S8_S8_S8_S8_S8_S8_EEEEPS9_S9_NSD_9__find_if7functorIS9_EEEE10hipError_tPvRmT1_T2_T3_mT4_P12ihipStream_tbEUlT_E0_NS1_11comp_targetILNS1_3genE5ELNS1_11target_archE942ELNS1_3gpuE9ELNS1_3repE0EEENS1_30default_config_static_selectorELNS0_4arch9wavefront6targetE1EEEvS14_
                                        ; -- End function
	.set _ZN7rocprim17ROCPRIM_400000_NS6detail17trampoline_kernelINS0_14default_configENS1_22reduce_config_selectorIN6thrust23THRUST_200600_302600_NS5tupleIblNS6_9null_typeES8_S8_S8_S8_S8_S8_S8_EEEEZNS1_11reduce_implILb1ES3_NS6_12zip_iteratorINS7_INS6_11hip_rocprim26transform_input_iterator_tIbNSD_35transform_pair_of_input_iterators_tIbNS6_6detail15normal_iteratorINS6_10device_ptrIKsEEEESL_NS6_8equal_toIsEEEENSG_9not_fun_tINSD_8identityEEEEENSD_19counting_iterator_tIlEES8_S8_S8_S8_S8_S8_S8_S8_EEEEPS9_S9_NSD_9__find_if7functorIS9_EEEE10hipError_tPvRmT1_T2_T3_mT4_P12ihipStream_tbEUlT_E0_NS1_11comp_targetILNS1_3genE5ELNS1_11target_archE942ELNS1_3gpuE9ELNS1_3repE0EEENS1_30default_config_static_selectorELNS0_4arch9wavefront6targetE1EEEvS14_.num_vgpr, 0
	.set _ZN7rocprim17ROCPRIM_400000_NS6detail17trampoline_kernelINS0_14default_configENS1_22reduce_config_selectorIN6thrust23THRUST_200600_302600_NS5tupleIblNS6_9null_typeES8_S8_S8_S8_S8_S8_S8_EEEEZNS1_11reduce_implILb1ES3_NS6_12zip_iteratorINS7_INS6_11hip_rocprim26transform_input_iterator_tIbNSD_35transform_pair_of_input_iterators_tIbNS6_6detail15normal_iteratorINS6_10device_ptrIKsEEEESL_NS6_8equal_toIsEEEENSG_9not_fun_tINSD_8identityEEEEENSD_19counting_iterator_tIlEES8_S8_S8_S8_S8_S8_S8_S8_EEEEPS9_S9_NSD_9__find_if7functorIS9_EEEE10hipError_tPvRmT1_T2_T3_mT4_P12ihipStream_tbEUlT_E0_NS1_11comp_targetILNS1_3genE5ELNS1_11target_archE942ELNS1_3gpuE9ELNS1_3repE0EEENS1_30default_config_static_selectorELNS0_4arch9wavefront6targetE1EEEvS14_.num_agpr, 0
	.set _ZN7rocprim17ROCPRIM_400000_NS6detail17trampoline_kernelINS0_14default_configENS1_22reduce_config_selectorIN6thrust23THRUST_200600_302600_NS5tupleIblNS6_9null_typeES8_S8_S8_S8_S8_S8_S8_EEEEZNS1_11reduce_implILb1ES3_NS6_12zip_iteratorINS7_INS6_11hip_rocprim26transform_input_iterator_tIbNSD_35transform_pair_of_input_iterators_tIbNS6_6detail15normal_iteratorINS6_10device_ptrIKsEEEESL_NS6_8equal_toIsEEEENSG_9not_fun_tINSD_8identityEEEEENSD_19counting_iterator_tIlEES8_S8_S8_S8_S8_S8_S8_S8_EEEEPS9_S9_NSD_9__find_if7functorIS9_EEEE10hipError_tPvRmT1_T2_T3_mT4_P12ihipStream_tbEUlT_E0_NS1_11comp_targetILNS1_3genE5ELNS1_11target_archE942ELNS1_3gpuE9ELNS1_3repE0EEENS1_30default_config_static_selectorELNS0_4arch9wavefront6targetE1EEEvS14_.numbered_sgpr, 0
	.set _ZN7rocprim17ROCPRIM_400000_NS6detail17trampoline_kernelINS0_14default_configENS1_22reduce_config_selectorIN6thrust23THRUST_200600_302600_NS5tupleIblNS6_9null_typeES8_S8_S8_S8_S8_S8_S8_EEEEZNS1_11reduce_implILb1ES3_NS6_12zip_iteratorINS7_INS6_11hip_rocprim26transform_input_iterator_tIbNSD_35transform_pair_of_input_iterators_tIbNS6_6detail15normal_iteratorINS6_10device_ptrIKsEEEESL_NS6_8equal_toIsEEEENSG_9not_fun_tINSD_8identityEEEEENSD_19counting_iterator_tIlEES8_S8_S8_S8_S8_S8_S8_S8_EEEEPS9_S9_NSD_9__find_if7functorIS9_EEEE10hipError_tPvRmT1_T2_T3_mT4_P12ihipStream_tbEUlT_E0_NS1_11comp_targetILNS1_3genE5ELNS1_11target_archE942ELNS1_3gpuE9ELNS1_3repE0EEENS1_30default_config_static_selectorELNS0_4arch9wavefront6targetE1EEEvS14_.num_named_barrier, 0
	.set _ZN7rocprim17ROCPRIM_400000_NS6detail17trampoline_kernelINS0_14default_configENS1_22reduce_config_selectorIN6thrust23THRUST_200600_302600_NS5tupleIblNS6_9null_typeES8_S8_S8_S8_S8_S8_S8_EEEEZNS1_11reduce_implILb1ES3_NS6_12zip_iteratorINS7_INS6_11hip_rocprim26transform_input_iterator_tIbNSD_35transform_pair_of_input_iterators_tIbNS6_6detail15normal_iteratorINS6_10device_ptrIKsEEEESL_NS6_8equal_toIsEEEENSG_9not_fun_tINSD_8identityEEEEENSD_19counting_iterator_tIlEES8_S8_S8_S8_S8_S8_S8_S8_EEEEPS9_S9_NSD_9__find_if7functorIS9_EEEE10hipError_tPvRmT1_T2_T3_mT4_P12ihipStream_tbEUlT_E0_NS1_11comp_targetILNS1_3genE5ELNS1_11target_archE942ELNS1_3gpuE9ELNS1_3repE0EEENS1_30default_config_static_selectorELNS0_4arch9wavefront6targetE1EEEvS14_.private_seg_size, 0
	.set _ZN7rocprim17ROCPRIM_400000_NS6detail17trampoline_kernelINS0_14default_configENS1_22reduce_config_selectorIN6thrust23THRUST_200600_302600_NS5tupleIblNS6_9null_typeES8_S8_S8_S8_S8_S8_S8_EEEEZNS1_11reduce_implILb1ES3_NS6_12zip_iteratorINS7_INS6_11hip_rocprim26transform_input_iterator_tIbNSD_35transform_pair_of_input_iterators_tIbNS6_6detail15normal_iteratorINS6_10device_ptrIKsEEEESL_NS6_8equal_toIsEEEENSG_9not_fun_tINSD_8identityEEEEENSD_19counting_iterator_tIlEES8_S8_S8_S8_S8_S8_S8_S8_EEEEPS9_S9_NSD_9__find_if7functorIS9_EEEE10hipError_tPvRmT1_T2_T3_mT4_P12ihipStream_tbEUlT_E0_NS1_11comp_targetILNS1_3genE5ELNS1_11target_archE942ELNS1_3gpuE9ELNS1_3repE0EEENS1_30default_config_static_selectorELNS0_4arch9wavefront6targetE1EEEvS14_.uses_vcc, 0
	.set _ZN7rocprim17ROCPRIM_400000_NS6detail17trampoline_kernelINS0_14default_configENS1_22reduce_config_selectorIN6thrust23THRUST_200600_302600_NS5tupleIblNS6_9null_typeES8_S8_S8_S8_S8_S8_S8_EEEEZNS1_11reduce_implILb1ES3_NS6_12zip_iteratorINS7_INS6_11hip_rocprim26transform_input_iterator_tIbNSD_35transform_pair_of_input_iterators_tIbNS6_6detail15normal_iteratorINS6_10device_ptrIKsEEEESL_NS6_8equal_toIsEEEENSG_9not_fun_tINSD_8identityEEEEENSD_19counting_iterator_tIlEES8_S8_S8_S8_S8_S8_S8_S8_EEEEPS9_S9_NSD_9__find_if7functorIS9_EEEE10hipError_tPvRmT1_T2_T3_mT4_P12ihipStream_tbEUlT_E0_NS1_11comp_targetILNS1_3genE5ELNS1_11target_archE942ELNS1_3gpuE9ELNS1_3repE0EEENS1_30default_config_static_selectorELNS0_4arch9wavefront6targetE1EEEvS14_.uses_flat_scratch, 0
	.set _ZN7rocprim17ROCPRIM_400000_NS6detail17trampoline_kernelINS0_14default_configENS1_22reduce_config_selectorIN6thrust23THRUST_200600_302600_NS5tupleIblNS6_9null_typeES8_S8_S8_S8_S8_S8_S8_EEEEZNS1_11reduce_implILb1ES3_NS6_12zip_iteratorINS7_INS6_11hip_rocprim26transform_input_iterator_tIbNSD_35transform_pair_of_input_iterators_tIbNS6_6detail15normal_iteratorINS6_10device_ptrIKsEEEESL_NS6_8equal_toIsEEEENSG_9not_fun_tINSD_8identityEEEEENSD_19counting_iterator_tIlEES8_S8_S8_S8_S8_S8_S8_S8_EEEEPS9_S9_NSD_9__find_if7functorIS9_EEEE10hipError_tPvRmT1_T2_T3_mT4_P12ihipStream_tbEUlT_E0_NS1_11comp_targetILNS1_3genE5ELNS1_11target_archE942ELNS1_3gpuE9ELNS1_3repE0EEENS1_30default_config_static_selectorELNS0_4arch9wavefront6targetE1EEEvS14_.has_dyn_sized_stack, 0
	.set _ZN7rocprim17ROCPRIM_400000_NS6detail17trampoline_kernelINS0_14default_configENS1_22reduce_config_selectorIN6thrust23THRUST_200600_302600_NS5tupleIblNS6_9null_typeES8_S8_S8_S8_S8_S8_S8_EEEEZNS1_11reduce_implILb1ES3_NS6_12zip_iteratorINS7_INS6_11hip_rocprim26transform_input_iterator_tIbNSD_35transform_pair_of_input_iterators_tIbNS6_6detail15normal_iteratorINS6_10device_ptrIKsEEEESL_NS6_8equal_toIsEEEENSG_9not_fun_tINSD_8identityEEEEENSD_19counting_iterator_tIlEES8_S8_S8_S8_S8_S8_S8_S8_EEEEPS9_S9_NSD_9__find_if7functorIS9_EEEE10hipError_tPvRmT1_T2_T3_mT4_P12ihipStream_tbEUlT_E0_NS1_11comp_targetILNS1_3genE5ELNS1_11target_archE942ELNS1_3gpuE9ELNS1_3repE0EEENS1_30default_config_static_selectorELNS0_4arch9wavefront6targetE1EEEvS14_.has_recursion, 0
	.set _ZN7rocprim17ROCPRIM_400000_NS6detail17trampoline_kernelINS0_14default_configENS1_22reduce_config_selectorIN6thrust23THRUST_200600_302600_NS5tupleIblNS6_9null_typeES8_S8_S8_S8_S8_S8_S8_EEEEZNS1_11reduce_implILb1ES3_NS6_12zip_iteratorINS7_INS6_11hip_rocprim26transform_input_iterator_tIbNSD_35transform_pair_of_input_iterators_tIbNS6_6detail15normal_iteratorINS6_10device_ptrIKsEEEESL_NS6_8equal_toIsEEEENSG_9not_fun_tINSD_8identityEEEEENSD_19counting_iterator_tIlEES8_S8_S8_S8_S8_S8_S8_S8_EEEEPS9_S9_NSD_9__find_if7functorIS9_EEEE10hipError_tPvRmT1_T2_T3_mT4_P12ihipStream_tbEUlT_E0_NS1_11comp_targetILNS1_3genE5ELNS1_11target_archE942ELNS1_3gpuE9ELNS1_3repE0EEENS1_30default_config_static_selectorELNS0_4arch9wavefront6targetE1EEEvS14_.has_indirect_call, 0
	.section	.AMDGPU.csdata,"",@progbits
; Kernel info:
; codeLenInByte = 0
; TotalNumSgprs: 4
; NumVgprs: 0
; ScratchSize: 0
; MemoryBound: 0
; FloatMode: 240
; IeeeMode: 1
; LDSByteSize: 0 bytes/workgroup (compile time only)
; SGPRBlocks: 0
; VGPRBlocks: 0
; NumSGPRsForWavesPerEU: 4
; NumVGPRsForWavesPerEU: 1
; Occupancy: 10
; WaveLimiterHint : 0
; COMPUTE_PGM_RSRC2:SCRATCH_EN: 0
; COMPUTE_PGM_RSRC2:USER_SGPR: 6
; COMPUTE_PGM_RSRC2:TRAP_HANDLER: 0
; COMPUTE_PGM_RSRC2:TGID_X_EN: 1
; COMPUTE_PGM_RSRC2:TGID_Y_EN: 0
; COMPUTE_PGM_RSRC2:TGID_Z_EN: 0
; COMPUTE_PGM_RSRC2:TIDIG_COMP_CNT: 0
	.section	.text._ZN7rocprim17ROCPRIM_400000_NS6detail17trampoline_kernelINS0_14default_configENS1_22reduce_config_selectorIN6thrust23THRUST_200600_302600_NS5tupleIblNS6_9null_typeES8_S8_S8_S8_S8_S8_S8_EEEEZNS1_11reduce_implILb1ES3_NS6_12zip_iteratorINS7_INS6_11hip_rocprim26transform_input_iterator_tIbNSD_35transform_pair_of_input_iterators_tIbNS6_6detail15normal_iteratorINS6_10device_ptrIKsEEEESL_NS6_8equal_toIsEEEENSG_9not_fun_tINSD_8identityEEEEENSD_19counting_iterator_tIlEES8_S8_S8_S8_S8_S8_S8_S8_EEEEPS9_S9_NSD_9__find_if7functorIS9_EEEE10hipError_tPvRmT1_T2_T3_mT4_P12ihipStream_tbEUlT_E0_NS1_11comp_targetILNS1_3genE4ELNS1_11target_archE910ELNS1_3gpuE8ELNS1_3repE0EEENS1_30default_config_static_selectorELNS0_4arch9wavefront6targetE1EEEvS14_,"axG",@progbits,_ZN7rocprim17ROCPRIM_400000_NS6detail17trampoline_kernelINS0_14default_configENS1_22reduce_config_selectorIN6thrust23THRUST_200600_302600_NS5tupleIblNS6_9null_typeES8_S8_S8_S8_S8_S8_S8_EEEEZNS1_11reduce_implILb1ES3_NS6_12zip_iteratorINS7_INS6_11hip_rocprim26transform_input_iterator_tIbNSD_35transform_pair_of_input_iterators_tIbNS6_6detail15normal_iteratorINS6_10device_ptrIKsEEEESL_NS6_8equal_toIsEEEENSG_9not_fun_tINSD_8identityEEEEENSD_19counting_iterator_tIlEES8_S8_S8_S8_S8_S8_S8_S8_EEEEPS9_S9_NSD_9__find_if7functorIS9_EEEE10hipError_tPvRmT1_T2_T3_mT4_P12ihipStream_tbEUlT_E0_NS1_11comp_targetILNS1_3genE4ELNS1_11target_archE910ELNS1_3gpuE8ELNS1_3repE0EEENS1_30default_config_static_selectorELNS0_4arch9wavefront6targetE1EEEvS14_,comdat
	.protected	_ZN7rocprim17ROCPRIM_400000_NS6detail17trampoline_kernelINS0_14default_configENS1_22reduce_config_selectorIN6thrust23THRUST_200600_302600_NS5tupleIblNS6_9null_typeES8_S8_S8_S8_S8_S8_S8_EEEEZNS1_11reduce_implILb1ES3_NS6_12zip_iteratorINS7_INS6_11hip_rocprim26transform_input_iterator_tIbNSD_35transform_pair_of_input_iterators_tIbNS6_6detail15normal_iteratorINS6_10device_ptrIKsEEEESL_NS6_8equal_toIsEEEENSG_9not_fun_tINSD_8identityEEEEENSD_19counting_iterator_tIlEES8_S8_S8_S8_S8_S8_S8_S8_EEEEPS9_S9_NSD_9__find_if7functorIS9_EEEE10hipError_tPvRmT1_T2_T3_mT4_P12ihipStream_tbEUlT_E0_NS1_11comp_targetILNS1_3genE4ELNS1_11target_archE910ELNS1_3gpuE8ELNS1_3repE0EEENS1_30default_config_static_selectorELNS0_4arch9wavefront6targetE1EEEvS14_ ; -- Begin function _ZN7rocprim17ROCPRIM_400000_NS6detail17trampoline_kernelINS0_14default_configENS1_22reduce_config_selectorIN6thrust23THRUST_200600_302600_NS5tupleIblNS6_9null_typeES8_S8_S8_S8_S8_S8_S8_EEEEZNS1_11reduce_implILb1ES3_NS6_12zip_iteratorINS7_INS6_11hip_rocprim26transform_input_iterator_tIbNSD_35transform_pair_of_input_iterators_tIbNS6_6detail15normal_iteratorINS6_10device_ptrIKsEEEESL_NS6_8equal_toIsEEEENSG_9not_fun_tINSD_8identityEEEEENSD_19counting_iterator_tIlEES8_S8_S8_S8_S8_S8_S8_S8_EEEEPS9_S9_NSD_9__find_if7functorIS9_EEEE10hipError_tPvRmT1_T2_T3_mT4_P12ihipStream_tbEUlT_E0_NS1_11comp_targetILNS1_3genE4ELNS1_11target_archE910ELNS1_3gpuE8ELNS1_3repE0EEENS1_30default_config_static_selectorELNS0_4arch9wavefront6targetE1EEEvS14_
	.globl	_ZN7rocprim17ROCPRIM_400000_NS6detail17trampoline_kernelINS0_14default_configENS1_22reduce_config_selectorIN6thrust23THRUST_200600_302600_NS5tupleIblNS6_9null_typeES8_S8_S8_S8_S8_S8_S8_EEEEZNS1_11reduce_implILb1ES3_NS6_12zip_iteratorINS7_INS6_11hip_rocprim26transform_input_iterator_tIbNSD_35transform_pair_of_input_iterators_tIbNS6_6detail15normal_iteratorINS6_10device_ptrIKsEEEESL_NS6_8equal_toIsEEEENSG_9not_fun_tINSD_8identityEEEEENSD_19counting_iterator_tIlEES8_S8_S8_S8_S8_S8_S8_S8_EEEEPS9_S9_NSD_9__find_if7functorIS9_EEEE10hipError_tPvRmT1_T2_T3_mT4_P12ihipStream_tbEUlT_E0_NS1_11comp_targetILNS1_3genE4ELNS1_11target_archE910ELNS1_3gpuE8ELNS1_3repE0EEENS1_30default_config_static_selectorELNS0_4arch9wavefront6targetE1EEEvS14_
	.p2align	8
	.type	_ZN7rocprim17ROCPRIM_400000_NS6detail17trampoline_kernelINS0_14default_configENS1_22reduce_config_selectorIN6thrust23THRUST_200600_302600_NS5tupleIblNS6_9null_typeES8_S8_S8_S8_S8_S8_S8_EEEEZNS1_11reduce_implILb1ES3_NS6_12zip_iteratorINS7_INS6_11hip_rocprim26transform_input_iterator_tIbNSD_35transform_pair_of_input_iterators_tIbNS6_6detail15normal_iteratorINS6_10device_ptrIKsEEEESL_NS6_8equal_toIsEEEENSG_9not_fun_tINSD_8identityEEEEENSD_19counting_iterator_tIlEES8_S8_S8_S8_S8_S8_S8_S8_EEEEPS9_S9_NSD_9__find_if7functorIS9_EEEE10hipError_tPvRmT1_T2_T3_mT4_P12ihipStream_tbEUlT_E0_NS1_11comp_targetILNS1_3genE4ELNS1_11target_archE910ELNS1_3gpuE8ELNS1_3repE0EEENS1_30default_config_static_selectorELNS0_4arch9wavefront6targetE1EEEvS14_,@function
_ZN7rocprim17ROCPRIM_400000_NS6detail17trampoline_kernelINS0_14default_configENS1_22reduce_config_selectorIN6thrust23THRUST_200600_302600_NS5tupleIblNS6_9null_typeES8_S8_S8_S8_S8_S8_S8_EEEEZNS1_11reduce_implILb1ES3_NS6_12zip_iteratorINS7_INS6_11hip_rocprim26transform_input_iterator_tIbNSD_35transform_pair_of_input_iterators_tIbNS6_6detail15normal_iteratorINS6_10device_ptrIKsEEEESL_NS6_8equal_toIsEEEENSG_9not_fun_tINSD_8identityEEEEENSD_19counting_iterator_tIlEES8_S8_S8_S8_S8_S8_S8_S8_EEEEPS9_S9_NSD_9__find_if7functorIS9_EEEE10hipError_tPvRmT1_T2_T3_mT4_P12ihipStream_tbEUlT_E0_NS1_11comp_targetILNS1_3genE4ELNS1_11target_archE910ELNS1_3gpuE8ELNS1_3repE0EEENS1_30default_config_static_selectorELNS0_4arch9wavefront6targetE1EEEvS14_: ; @_ZN7rocprim17ROCPRIM_400000_NS6detail17trampoline_kernelINS0_14default_configENS1_22reduce_config_selectorIN6thrust23THRUST_200600_302600_NS5tupleIblNS6_9null_typeES8_S8_S8_S8_S8_S8_S8_EEEEZNS1_11reduce_implILb1ES3_NS6_12zip_iteratorINS7_INS6_11hip_rocprim26transform_input_iterator_tIbNSD_35transform_pair_of_input_iterators_tIbNS6_6detail15normal_iteratorINS6_10device_ptrIKsEEEESL_NS6_8equal_toIsEEEENSG_9not_fun_tINSD_8identityEEEEENSD_19counting_iterator_tIlEES8_S8_S8_S8_S8_S8_S8_S8_EEEEPS9_S9_NSD_9__find_if7functorIS9_EEEE10hipError_tPvRmT1_T2_T3_mT4_P12ihipStream_tbEUlT_E0_NS1_11comp_targetILNS1_3genE4ELNS1_11target_archE910ELNS1_3gpuE8ELNS1_3repE0EEENS1_30default_config_static_selectorELNS0_4arch9wavefront6targetE1EEEvS14_
; %bb.0:
	.section	.rodata,"a",@progbits
	.p2align	6, 0x0
	.amdhsa_kernel _ZN7rocprim17ROCPRIM_400000_NS6detail17trampoline_kernelINS0_14default_configENS1_22reduce_config_selectorIN6thrust23THRUST_200600_302600_NS5tupleIblNS6_9null_typeES8_S8_S8_S8_S8_S8_S8_EEEEZNS1_11reduce_implILb1ES3_NS6_12zip_iteratorINS7_INS6_11hip_rocprim26transform_input_iterator_tIbNSD_35transform_pair_of_input_iterators_tIbNS6_6detail15normal_iteratorINS6_10device_ptrIKsEEEESL_NS6_8equal_toIsEEEENSG_9not_fun_tINSD_8identityEEEEENSD_19counting_iterator_tIlEES8_S8_S8_S8_S8_S8_S8_S8_EEEEPS9_S9_NSD_9__find_if7functorIS9_EEEE10hipError_tPvRmT1_T2_T3_mT4_P12ihipStream_tbEUlT_E0_NS1_11comp_targetILNS1_3genE4ELNS1_11target_archE910ELNS1_3gpuE8ELNS1_3repE0EEENS1_30default_config_static_selectorELNS0_4arch9wavefront6targetE1EEEvS14_
		.amdhsa_group_segment_fixed_size 0
		.amdhsa_private_segment_fixed_size 0
		.amdhsa_kernarg_size 104
		.amdhsa_user_sgpr_count 6
		.amdhsa_user_sgpr_private_segment_buffer 1
		.amdhsa_user_sgpr_dispatch_ptr 0
		.amdhsa_user_sgpr_queue_ptr 0
		.amdhsa_user_sgpr_kernarg_segment_ptr 1
		.amdhsa_user_sgpr_dispatch_id 0
		.amdhsa_user_sgpr_flat_scratch_init 0
		.amdhsa_user_sgpr_private_segment_size 0
		.amdhsa_uses_dynamic_stack 0
		.amdhsa_system_sgpr_private_segment_wavefront_offset 0
		.amdhsa_system_sgpr_workgroup_id_x 1
		.amdhsa_system_sgpr_workgroup_id_y 0
		.amdhsa_system_sgpr_workgroup_id_z 0
		.amdhsa_system_sgpr_workgroup_info 0
		.amdhsa_system_vgpr_workitem_id 0
		.amdhsa_next_free_vgpr 1
		.amdhsa_next_free_sgpr 0
		.amdhsa_reserve_vcc 0
		.amdhsa_reserve_flat_scratch 0
		.amdhsa_float_round_mode_32 0
		.amdhsa_float_round_mode_16_64 0
		.amdhsa_float_denorm_mode_32 3
		.amdhsa_float_denorm_mode_16_64 3
		.amdhsa_dx10_clamp 1
		.amdhsa_ieee_mode 1
		.amdhsa_fp16_overflow 0
		.amdhsa_exception_fp_ieee_invalid_op 0
		.amdhsa_exception_fp_denorm_src 0
		.amdhsa_exception_fp_ieee_div_zero 0
		.amdhsa_exception_fp_ieee_overflow 0
		.amdhsa_exception_fp_ieee_underflow 0
		.amdhsa_exception_fp_ieee_inexact 0
		.amdhsa_exception_int_div_zero 0
	.end_amdhsa_kernel
	.section	.text._ZN7rocprim17ROCPRIM_400000_NS6detail17trampoline_kernelINS0_14default_configENS1_22reduce_config_selectorIN6thrust23THRUST_200600_302600_NS5tupleIblNS6_9null_typeES8_S8_S8_S8_S8_S8_S8_EEEEZNS1_11reduce_implILb1ES3_NS6_12zip_iteratorINS7_INS6_11hip_rocprim26transform_input_iterator_tIbNSD_35transform_pair_of_input_iterators_tIbNS6_6detail15normal_iteratorINS6_10device_ptrIKsEEEESL_NS6_8equal_toIsEEEENSG_9not_fun_tINSD_8identityEEEEENSD_19counting_iterator_tIlEES8_S8_S8_S8_S8_S8_S8_S8_EEEEPS9_S9_NSD_9__find_if7functorIS9_EEEE10hipError_tPvRmT1_T2_T3_mT4_P12ihipStream_tbEUlT_E0_NS1_11comp_targetILNS1_3genE4ELNS1_11target_archE910ELNS1_3gpuE8ELNS1_3repE0EEENS1_30default_config_static_selectorELNS0_4arch9wavefront6targetE1EEEvS14_,"axG",@progbits,_ZN7rocprim17ROCPRIM_400000_NS6detail17trampoline_kernelINS0_14default_configENS1_22reduce_config_selectorIN6thrust23THRUST_200600_302600_NS5tupleIblNS6_9null_typeES8_S8_S8_S8_S8_S8_S8_EEEEZNS1_11reduce_implILb1ES3_NS6_12zip_iteratorINS7_INS6_11hip_rocprim26transform_input_iterator_tIbNSD_35transform_pair_of_input_iterators_tIbNS6_6detail15normal_iteratorINS6_10device_ptrIKsEEEESL_NS6_8equal_toIsEEEENSG_9not_fun_tINSD_8identityEEEEENSD_19counting_iterator_tIlEES8_S8_S8_S8_S8_S8_S8_S8_EEEEPS9_S9_NSD_9__find_if7functorIS9_EEEE10hipError_tPvRmT1_T2_T3_mT4_P12ihipStream_tbEUlT_E0_NS1_11comp_targetILNS1_3genE4ELNS1_11target_archE910ELNS1_3gpuE8ELNS1_3repE0EEENS1_30default_config_static_selectorELNS0_4arch9wavefront6targetE1EEEvS14_,comdat
.Lfunc_end557:
	.size	_ZN7rocprim17ROCPRIM_400000_NS6detail17trampoline_kernelINS0_14default_configENS1_22reduce_config_selectorIN6thrust23THRUST_200600_302600_NS5tupleIblNS6_9null_typeES8_S8_S8_S8_S8_S8_S8_EEEEZNS1_11reduce_implILb1ES3_NS6_12zip_iteratorINS7_INS6_11hip_rocprim26transform_input_iterator_tIbNSD_35transform_pair_of_input_iterators_tIbNS6_6detail15normal_iteratorINS6_10device_ptrIKsEEEESL_NS6_8equal_toIsEEEENSG_9not_fun_tINSD_8identityEEEEENSD_19counting_iterator_tIlEES8_S8_S8_S8_S8_S8_S8_S8_EEEEPS9_S9_NSD_9__find_if7functorIS9_EEEE10hipError_tPvRmT1_T2_T3_mT4_P12ihipStream_tbEUlT_E0_NS1_11comp_targetILNS1_3genE4ELNS1_11target_archE910ELNS1_3gpuE8ELNS1_3repE0EEENS1_30default_config_static_selectorELNS0_4arch9wavefront6targetE1EEEvS14_, .Lfunc_end557-_ZN7rocprim17ROCPRIM_400000_NS6detail17trampoline_kernelINS0_14default_configENS1_22reduce_config_selectorIN6thrust23THRUST_200600_302600_NS5tupleIblNS6_9null_typeES8_S8_S8_S8_S8_S8_S8_EEEEZNS1_11reduce_implILb1ES3_NS6_12zip_iteratorINS7_INS6_11hip_rocprim26transform_input_iterator_tIbNSD_35transform_pair_of_input_iterators_tIbNS6_6detail15normal_iteratorINS6_10device_ptrIKsEEEESL_NS6_8equal_toIsEEEENSG_9not_fun_tINSD_8identityEEEEENSD_19counting_iterator_tIlEES8_S8_S8_S8_S8_S8_S8_S8_EEEEPS9_S9_NSD_9__find_if7functorIS9_EEEE10hipError_tPvRmT1_T2_T3_mT4_P12ihipStream_tbEUlT_E0_NS1_11comp_targetILNS1_3genE4ELNS1_11target_archE910ELNS1_3gpuE8ELNS1_3repE0EEENS1_30default_config_static_selectorELNS0_4arch9wavefront6targetE1EEEvS14_
                                        ; -- End function
	.set _ZN7rocprim17ROCPRIM_400000_NS6detail17trampoline_kernelINS0_14default_configENS1_22reduce_config_selectorIN6thrust23THRUST_200600_302600_NS5tupleIblNS6_9null_typeES8_S8_S8_S8_S8_S8_S8_EEEEZNS1_11reduce_implILb1ES3_NS6_12zip_iteratorINS7_INS6_11hip_rocprim26transform_input_iterator_tIbNSD_35transform_pair_of_input_iterators_tIbNS6_6detail15normal_iteratorINS6_10device_ptrIKsEEEESL_NS6_8equal_toIsEEEENSG_9not_fun_tINSD_8identityEEEEENSD_19counting_iterator_tIlEES8_S8_S8_S8_S8_S8_S8_S8_EEEEPS9_S9_NSD_9__find_if7functorIS9_EEEE10hipError_tPvRmT1_T2_T3_mT4_P12ihipStream_tbEUlT_E0_NS1_11comp_targetILNS1_3genE4ELNS1_11target_archE910ELNS1_3gpuE8ELNS1_3repE0EEENS1_30default_config_static_selectorELNS0_4arch9wavefront6targetE1EEEvS14_.num_vgpr, 0
	.set _ZN7rocprim17ROCPRIM_400000_NS6detail17trampoline_kernelINS0_14default_configENS1_22reduce_config_selectorIN6thrust23THRUST_200600_302600_NS5tupleIblNS6_9null_typeES8_S8_S8_S8_S8_S8_S8_EEEEZNS1_11reduce_implILb1ES3_NS6_12zip_iteratorINS7_INS6_11hip_rocprim26transform_input_iterator_tIbNSD_35transform_pair_of_input_iterators_tIbNS6_6detail15normal_iteratorINS6_10device_ptrIKsEEEESL_NS6_8equal_toIsEEEENSG_9not_fun_tINSD_8identityEEEEENSD_19counting_iterator_tIlEES8_S8_S8_S8_S8_S8_S8_S8_EEEEPS9_S9_NSD_9__find_if7functorIS9_EEEE10hipError_tPvRmT1_T2_T3_mT4_P12ihipStream_tbEUlT_E0_NS1_11comp_targetILNS1_3genE4ELNS1_11target_archE910ELNS1_3gpuE8ELNS1_3repE0EEENS1_30default_config_static_selectorELNS0_4arch9wavefront6targetE1EEEvS14_.num_agpr, 0
	.set _ZN7rocprim17ROCPRIM_400000_NS6detail17trampoline_kernelINS0_14default_configENS1_22reduce_config_selectorIN6thrust23THRUST_200600_302600_NS5tupleIblNS6_9null_typeES8_S8_S8_S8_S8_S8_S8_EEEEZNS1_11reduce_implILb1ES3_NS6_12zip_iteratorINS7_INS6_11hip_rocprim26transform_input_iterator_tIbNSD_35transform_pair_of_input_iterators_tIbNS6_6detail15normal_iteratorINS6_10device_ptrIKsEEEESL_NS6_8equal_toIsEEEENSG_9not_fun_tINSD_8identityEEEEENSD_19counting_iterator_tIlEES8_S8_S8_S8_S8_S8_S8_S8_EEEEPS9_S9_NSD_9__find_if7functorIS9_EEEE10hipError_tPvRmT1_T2_T3_mT4_P12ihipStream_tbEUlT_E0_NS1_11comp_targetILNS1_3genE4ELNS1_11target_archE910ELNS1_3gpuE8ELNS1_3repE0EEENS1_30default_config_static_selectorELNS0_4arch9wavefront6targetE1EEEvS14_.numbered_sgpr, 0
	.set _ZN7rocprim17ROCPRIM_400000_NS6detail17trampoline_kernelINS0_14default_configENS1_22reduce_config_selectorIN6thrust23THRUST_200600_302600_NS5tupleIblNS6_9null_typeES8_S8_S8_S8_S8_S8_S8_EEEEZNS1_11reduce_implILb1ES3_NS6_12zip_iteratorINS7_INS6_11hip_rocprim26transform_input_iterator_tIbNSD_35transform_pair_of_input_iterators_tIbNS6_6detail15normal_iteratorINS6_10device_ptrIKsEEEESL_NS6_8equal_toIsEEEENSG_9not_fun_tINSD_8identityEEEEENSD_19counting_iterator_tIlEES8_S8_S8_S8_S8_S8_S8_S8_EEEEPS9_S9_NSD_9__find_if7functorIS9_EEEE10hipError_tPvRmT1_T2_T3_mT4_P12ihipStream_tbEUlT_E0_NS1_11comp_targetILNS1_3genE4ELNS1_11target_archE910ELNS1_3gpuE8ELNS1_3repE0EEENS1_30default_config_static_selectorELNS0_4arch9wavefront6targetE1EEEvS14_.num_named_barrier, 0
	.set _ZN7rocprim17ROCPRIM_400000_NS6detail17trampoline_kernelINS0_14default_configENS1_22reduce_config_selectorIN6thrust23THRUST_200600_302600_NS5tupleIblNS6_9null_typeES8_S8_S8_S8_S8_S8_S8_EEEEZNS1_11reduce_implILb1ES3_NS6_12zip_iteratorINS7_INS6_11hip_rocprim26transform_input_iterator_tIbNSD_35transform_pair_of_input_iterators_tIbNS6_6detail15normal_iteratorINS6_10device_ptrIKsEEEESL_NS6_8equal_toIsEEEENSG_9not_fun_tINSD_8identityEEEEENSD_19counting_iterator_tIlEES8_S8_S8_S8_S8_S8_S8_S8_EEEEPS9_S9_NSD_9__find_if7functorIS9_EEEE10hipError_tPvRmT1_T2_T3_mT4_P12ihipStream_tbEUlT_E0_NS1_11comp_targetILNS1_3genE4ELNS1_11target_archE910ELNS1_3gpuE8ELNS1_3repE0EEENS1_30default_config_static_selectorELNS0_4arch9wavefront6targetE1EEEvS14_.private_seg_size, 0
	.set _ZN7rocprim17ROCPRIM_400000_NS6detail17trampoline_kernelINS0_14default_configENS1_22reduce_config_selectorIN6thrust23THRUST_200600_302600_NS5tupleIblNS6_9null_typeES8_S8_S8_S8_S8_S8_S8_EEEEZNS1_11reduce_implILb1ES3_NS6_12zip_iteratorINS7_INS6_11hip_rocprim26transform_input_iterator_tIbNSD_35transform_pair_of_input_iterators_tIbNS6_6detail15normal_iteratorINS6_10device_ptrIKsEEEESL_NS6_8equal_toIsEEEENSG_9not_fun_tINSD_8identityEEEEENSD_19counting_iterator_tIlEES8_S8_S8_S8_S8_S8_S8_S8_EEEEPS9_S9_NSD_9__find_if7functorIS9_EEEE10hipError_tPvRmT1_T2_T3_mT4_P12ihipStream_tbEUlT_E0_NS1_11comp_targetILNS1_3genE4ELNS1_11target_archE910ELNS1_3gpuE8ELNS1_3repE0EEENS1_30default_config_static_selectorELNS0_4arch9wavefront6targetE1EEEvS14_.uses_vcc, 0
	.set _ZN7rocprim17ROCPRIM_400000_NS6detail17trampoline_kernelINS0_14default_configENS1_22reduce_config_selectorIN6thrust23THRUST_200600_302600_NS5tupleIblNS6_9null_typeES8_S8_S8_S8_S8_S8_S8_EEEEZNS1_11reduce_implILb1ES3_NS6_12zip_iteratorINS7_INS6_11hip_rocprim26transform_input_iterator_tIbNSD_35transform_pair_of_input_iterators_tIbNS6_6detail15normal_iteratorINS6_10device_ptrIKsEEEESL_NS6_8equal_toIsEEEENSG_9not_fun_tINSD_8identityEEEEENSD_19counting_iterator_tIlEES8_S8_S8_S8_S8_S8_S8_S8_EEEEPS9_S9_NSD_9__find_if7functorIS9_EEEE10hipError_tPvRmT1_T2_T3_mT4_P12ihipStream_tbEUlT_E0_NS1_11comp_targetILNS1_3genE4ELNS1_11target_archE910ELNS1_3gpuE8ELNS1_3repE0EEENS1_30default_config_static_selectorELNS0_4arch9wavefront6targetE1EEEvS14_.uses_flat_scratch, 0
	.set _ZN7rocprim17ROCPRIM_400000_NS6detail17trampoline_kernelINS0_14default_configENS1_22reduce_config_selectorIN6thrust23THRUST_200600_302600_NS5tupleIblNS6_9null_typeES8_S8_S8_S8_S8_S8_S8_EEEEZNS1_11reduce_implILb1ES3_NS6_12zip_iteratorINS7_INS6_11hip_rocprim26transform_input_iterator_tIbNSD_35transform_pair_of_input_iterators_tIbNS6_6detail15normal_iteratorINS6_10device_ptrIKsEEEESL_NS6_8equal_toIsEEEENSG_9not_fun_tINSD_8identityEEEEENSD_19counting_iterator_tIlEES8_S8_S8_S8_S8_S8_S8_S8_EEEEPS9_S9_NSD_9__find_if7functorIS9_EEEE10hipError_tPvRmT1_T2_T3_mT4_P12ihipStream_tbEUlT_E0_NS1_11comp_targetILNS1_3genE4ELNS1_11target_archE910ELNS1_3gpuE8ELNS1_3repE0EEENS1_30default_config_static_selectorELNS0_4arch9wavefront6targetE1EEEvS14_.has_dyn_sized_stack, 0
	.set _ZN7rocprim17ROCPRIM_400000_NS6detail17trampoline_kernelINS0_14default_configENS1_22reduce_config_selectorIN6thrust23THRUST_200600_302600_NS5tupleIblNS6_9null_typeES8_S8_S8_S8_S8_S8_S8_EEEEZNS1_11reduce_implILb1ES3_NS6_12zip_iteratorINS7_INS6_11hip_rocprim26transform_input_iterator_tIbNSD_35transform_pair_of_input_iterators_tIbNS6_6detail15normal_iteratorINS6_10device_ptrIKsEEEESL_NS6_8equal_toIsEEEENSG_9not_fun_tINSD_8identityEEEEENSD_19counting_iterator_tIlEES8_S8_S8_S8_S8_S8_S8_S8_EEEEPS9_S9_NSD_9__find_if7functorIS9_EEEE10hipError_tPvRmT1_T2_T3_mT4_P12ihipStream_tbEUlT_E0_NS1_11comp_targetILNS1_3genE4ELNS1_11target_archE910ELNS1_3gpuE8ELNS1_3repE0EEENS1_30default_config_static_selectorELNS0_4arch9wavefront6targetE1EEEvS14_.has_recursion, 0
	.set _ZN7rocprim17ROCPRIM_400000_NS6detail17trampoline_kernelINS0_14default_configENS1_22reduce_config_selectorIN6thrust23THRUST_200600_302600_NS5tupleIblNS6_9null_typeES8_S8_S8_S8_S8_S8_S8_EEEEZNS1_11reduce_implILb1ES3_NS6_12zip_iteratorINS7_INS6_11hip_rocprim26transform_input_iterator_tIbNSD_35transform_pair_of_input_iterators_tIbNS6_6detail15normal_iteratorINS6_10device_ptrIKsEEEESL_NS6_8equal_toIsEEEENSG_9not_fun_tINSD_8identityEEEEENSD_19counting_iterator_tIlEES8_S8_S8_S8_S8_S8_S8_S8_EEEEPS9_S9_NSD_9__find_if7functorIS9_EEEE10hipError_tPvRmT1_T2_T3_mT4_P12ihipStream_tbEUlT_E0_NS1_11comp_targetILNS1_3genE4ELNS1_11target_archE910ELNS1_3gpuE8ELNS1_3repE0EEENS1_30default_config_static_selectorELNS0_4arch9wavefront6targetE1EEEvS14_.has_indirect_call, 0
	.section	.AMDGPU.csdata,"",@progbits
; Kernel info:
; codeLenInByte = 0
; TotalNumSgprs: 4
; NumVgprs: 0
; ScratchSize: 0
; MemoryBound: 0
; FloatMode: 240
; IeeeMode: 1
; LDSByteSize: 0 bytes/workgroup (compile time only)
; SGPRBlocks: 0
; VGPRBlocks: 0
; NumSGPRsForWavesPerEU: 4
; NumVGPRsForWavesPerEU: 1
; Occupancy: 10
; WaveLimiterHint : 0
; COMPUTE_PGM_RSRC2:SCRATCH_EN: 0
; COMPUTE_PGM_RSRC2:USER_SGPR: 6
; COMPUTE_PGM_RSRC2:TRAP_HANDLER: 0
; COMPUTE_PGM_RSRC2:TGID_X_EN: 1
; COMPUTE_PGM_RSRC2:TGID_Y_EN: 0
; COMPUTE_PGM_RSRC2:TGID_Z_EN: 0
; COMPUTE_PGM_RSRC2:TIDIG_COMP_CNT: 0
	.section	.text._ZN7rocprim17ROCPRIM_400000_NS6detail17trampoline_kernelINS0_14default_configENS1_22reduce_config_selectorIN6thrust23THRUST_200600_302600_NS5tupleIblNS6_9null_typeES8_S8_S8_S8_S8_S8_S8_EEEEZNS1_11reduce_implILb1ES3_NS6_12zip_iteratorINS7_INS6_11hip_rocprim26transform_input_iterator_tIbNSD_35transform_pair_of_input_iterators_tIbNS6_6detail15normal_iteratorINS6_10device_ptrIKsEEEESL_NS6_8equal_toIsEEEENSG_9not_fun_tINSD_8identityEEEEENSD_19counting_iterator_tIlEES8_S8_S8_S8_S8_S8_S8_S8_EEEEPS9_S9_NSD_9__find_if7functorIS9_EEEE10hipError_tPvRmT1_T2_T3_mT4_P12ihipStream_tbEUlT_E0_NS1_11comp_targetILNS1_3genE3ELNS1_11target_archE908ELNS1_3gpuE7ELNS1_3repE0EEENS1_30default_config_static_selectorELNS0_4arch9wavefront6targetE1EEEvS14_,"axG",@progbits,_ZN7rocprim17ROCPRIM_400000_NS6detail17trampoline_kernelINS0_14default_configENS1_22reduce_config_selectorIN6thrust23THRUST_200600_302600_NS5tupleIblNS6_9null_typeES8_S8_S8_S8_S8_S8_S8_EEEEZNS1_11reduce_implILb1ES3_NS6_12zip_iteratorINS7_INS6_11hip_rocprim26transform_input_iterator_tIbNSD_35transform_pair_of_input_iterators_tIbNS6_6detail15normal_iteratorINS6_10device_ptrIKsEEEESL_NS6_8equal_toIsEEEENSG_9not_fun_tINSD_8identityEEEEENSD_19counting_iterator_tIlEES8_S8_S8_S8_S8_S8_S8_S8_EEEEPS9_S9_NSD_9__find_if7functorIS9_EEEE10hipError_tPvRmT1_T2_T3_mT4_P12ihipStream_tbEUlT_E0_NS1_11comp_targetILNS1_3genE3ELNS1_11target_archE908ELNS1_3gpuE7ELNS1_3repE0EEENS1_30default_config_static_selectorELNS0_4arch9wavefront6targetE1EEEvS14_,comdat
	.protected	_ZN7rocprim17ROCPRIM_400000_NS6detail17trampoline_kernelINS0_14default_configENS1_22reduce_config_selectorIN6thrust23THRUST_200600_302600_NS5tupleIblNS6_9null_typeES8_S8_S8_S8_S8_S8_S8_EEEEZNS1_11reduce_implILb1ES3_NS6_12zip_iteratorINS7_INS6_11hip_rocprim26transform_input_iterator_tIbNSD_35transform_pair_of_input_iterators_tIbNS6_6detail15normal_iteratorINS6_10device_ptrIKsEEEESL_NS6_8equal_toIsEEEENSG_9not_fun_tINSD_8identityEEEEENSD_19counting_iterator_tIlEES8_S8_S8_S8_S8_S8_S8_S8_EEEEPS9_S9_NSD_9__find_if7functorIS9_EEEE10hipError_tPvRmT1_T2_T3_mT4_P12ihipStream_tbEUlT_E0_NS1_11comp_targetILNS1_3genE3ELNS1_11target_archE908ELNS1_3gpuE7ELNS1_3repE0EEENS1_30default_config_static_selectorELNS0_4arch9wavefront6targetE1EEEvS14_ ; -- Begin function _ZN7rocprim17ROCPRIM_400000_NS6detail17trampoline_kernelINS0_14default_configENS1_22reduce_config_selectorIN6thrust23THRUST_200600_302600_NS5tupleIblNS6_9null_typeES8_S8_S8_S8_S8_S8_S8_EEEEZNS1_11reduce_implILb1ES3_NS6_12zip_iteratorINS7_INS6_11hip_rocprim26transform_input_iterator_tIbNSD_35transform_pair_of_input_iterators_tIbNS6_6detail15normal_iteratorINS6_10device_ptrIKsEEEESL_NS6_8equal_toIsEEEENSG_9not_fun_tINSD_8identityEEEEENSD_19counting_iterator_tIlEES8_S8_S8_S8_S8_S8_S8_S8_EEEEPS9_S9_NSD_9__find_if7functorIS9_EEEE10hipError_tPvRmT1_T2_T3_mT4_P12ihipStream_tbEUlT_E0_NS1_11comp_targetILNS1_3genE3ELNS1_11target_archE908ELNS1_3gpuE7ELNS1_3repE0EEENS1_30default_config_static_selectorELNS0_4arch9wavefront6targetE1EEEvS14_
	.globl	_ZN7rocprim17ROCPRIM_400000_NS6detail17trampoline_kernelINS0_14default_configENS1_22reduce_config_selectorIN6thrust23THRUST_200600_302600_NS5tupleIblNS6_9null_typeES8_S8_S8_S8_S8_S8_S8_EEEEZNS1_11reduce_implILb1ES3_NS6_12zip_iteratorINS7_INS6_11hip_rocprim26transform_input_iterator_tIbNSD_35transform_pair_of_input_iterators_tIbNS6_6detail15normal_iteratorINS6_10device_ptrIKsEEEESL_NS6_8equal_toIsEEEENSG_9not_fun_tINSD_8identityEEEEENSD_19counting_iterator_tIlEES8_S8_S8_S8_S8_S8_S8_S8_EEEEPS9_S9_NSD_9__find_if7functorIS9_EEEE10hipError_tPvRmT1_T2_T3_mT4_P12ihipStream_tbEUlT_E0_NS1_11comp_targetILNS1_3genE3ELNS1_11target_archE908ELNS1_3gpuE7ELNS1_3repE0EEENS1_30default_config_static_selectorELNS0_4arch9wavefront6targetE1EEEvS14_
	.p2align	8
	.type	_ZN7rocprim17ROCPRIM_400000_NS6detail17trampoline_kernelINS0_14default_configENS1_22reduce_config_selectorIN6thrust23THRUST_200600_302600_NS5tupleIblNS6_9null_typeES8_S8_S8_S8_S8_S8_S8_EEEEZNS1_11reduce_implILb1ES3_NS6_12zip_iteratorINS7_INS6_11hip_rocprim26transform_input_iterator_tIbNSD_35transform_pair_of_input_iterators_tIbNS6_6detail15normal_iteratorINS6_10device_ptrIKsEEEESL_NS6_8equal_toIsEEEENSG_9not_fun_tINSD_8identityEEEEENSD_19counting_iterator_tIlEES8_S8_S8_S8_S8_S8_S8_S8_EEEEPS9_S9_NSD_9__find_if7functorIS9_EEEE10hipError_tPvRmT1_T2_T3_mT4_P12ihipStream_tbEUlT_E0_NS1_11comp_targetILNS1_3genE3ELNS1_11target_archE908ELNS1_3gpuE7ELNS1_3repE0EEENS1_30default_config_static_selectorELNS0_4arch9wavefront6targetE1EEEvS14_,@function
_ZN7rocprim17ROCPRIM_400000_NS6detail17trampoline_kernelINS0_14default_configENS1_22reduce_config_selectorIN6thrust23THRUST_200600_302600_NS5tupleIblNS6_9null_typeES8_S8_S8_S8_S8_S8_S8_EEEEZNS1_11reduce_implILb1ES3_NS6_12zip_iteratorINS7_INS6_11hip_rocprim26transform_input_iterator_tIbNSD_35transform_pair_of_input_iterators_tIbNS6_6detail15normal_iteratorINS6_10device_ptrIKsEEEESL_NS6_8equal_toIsEEEENSG_9not_fun_tINSD_8identityEEEEENSD_19counting_iterator_tIlEES8_S8_S8_S8_S8_S8_S8_S8_EEEEPS9_S9_NSD_9__find_if7functorIS9_EEEE10hipError_tPvRmT1_T2_T3_mT4_P12ihipStream_tbEUlT_E0_NS1_11comp_targetILNS1_3genE3ELNS1_11target_archE908ELNS1_3gpuE7ELNS1_3repE0EEENS1_30default_config_static_selectorELNS0_4arch9wavefront6targetE1EEEvS14_: ; @_ZN7rocprim17ROCPRIM_400000_NS6detail17trampoline_kernelINS0_14default_configENS1_22reduce_config_selectorIN6thrust23THRUST_200600_302600_NS5tupleIblNS6_9null_typeES8_S8_S8_S8_S8_S8_S8_EEEEZNS1_11reduce_implILb1ES3_NS6_12zip_iteratorINS7_INS6_11hip_rocprim26transform_input_iterator_tIbNSD_35transform_pair_of_input_iterators_tIbNS6_6detail15normal_iteratorINS6_10device_ptrIKsEEEESL_NS6_8equal_toIsEEEENSG_9not_fun_tINSD_8identityEEEEENSD_19counting_iterator_tIlEES8_S8_S8_S8_S8_S8_S8_S8_EEEEPS9_S9_NSD_9__find_if7functorIS9_EEEE10hipError_tPvRmT1_T2_T3_mT4_P12ihipStream_tbEUlT_E0_NS1_11comp_targetILNS1_3genE3ELNS1_11target_archE908ELNS1_3gpuE7ELNS1_3repE0EEENS1_30default_config_static_selectorELNS0_4arch9wavefront6targetE1EEEvS14_
; %bb.0:
	.section	.rodata,"a",@progbits
	.p2align	6, 0x0
	.amdhsa_kernel _ZN7rocprim17ROCPRIM_400000_NS6detail17trampoline_kernelINS0_14default_configENS1_22reduce_config_selectorIN6thrust23THRUST_200600_302600_NS5tupleIblNS6_9null_typeES8_S8_S8_S8_S8_S8_S8_EEEEZNS1_11reduce_implILb1ES3_NS6_12zip_iteratorINS7_INS6_11hip_rocprim26transform_input_iterator_tIbNSD_35transform_pair_of_input_iterators_tIbNS6_6detail15normal_iteratorINS6_10device_ptrIKsEEEESL_NS6_8equal_toIsEEEENSG_9not_fun_tINSD_8identityEEEEENSD_19counting_iterator_tIlEES8_S8_S8_S8_S8_S8_S8_S8_EEEEPS9_S9_NSD_9__find_if7functorIS9_EEEE10hipError_tPvRmT1_T2_T3_mT4_P12ihipStream_tbEUlT_E0_NS1_11comp_targetILNS1_3genE3ELNS1_11target_archE908ELNS1_3gpuE7ELNS1_3repE0EEENS1_30default_config_static_selectorELNS0_4arch9wavefront6targetE1EEEvS14_
		.amdhsa_group_segment_fixed_size 0
		.amdhsa_private_segment_fixed_size 0
		.amdhsa_kernarg_size 104
		.amdhsa_user_sgpr_count 6
		.amdhsa_user_sgpr_private_segment_buffer 1
		.amdhsa_user_sgpr_dispatch_ptr 0
		.amdhsa_user_sgpr_queue_ptr 0
		.amdhsa_user_sgpr_kernarg_segment_ptr 1
		.amdhsa_user_sgpr_dispatch_id 0
		.amdhsa_user_sgpr_flat_scratch_init 0
		.amdhsa_user_sgpr_private_segment_size 0
		.amdhsa_uses_dynamic_stack 0
		.amdhsa_system_sgpr_private_segment_wavefront_offset 0
		.amdhsa_system_sgpr_workgroup_id_x 1
		.amdhsa_system_sgpr_workgroup_id_y 0
		.amdhsa_system_sgpr_workgroup_id_z 0
		.amdhsa_system_sgpr_workgroup_info 0
		.amdhsa_system_vgpr_workitem_id 0
		.amdhsa_next_free_vgpr 1
		.amdhsa_next_free_sgpr 0
		.amdhsa_reserve_vcc 0
		.amdhsa_reserve_flat_scratch 0
		.amdhsa_float_round_mode_32 0
		.amdhsa_float_round_mode_16_64 0
		.amdhsa_float_denorm_mode_32 3
		.amdhsa_float_denorm_mode_16_64 3
		.amdhsa_dx10_clamp 1
		.amdhsa_ieee_mode 1
		.amdhsa_fp16_overflow 0
		.amdhsa_exception_fp_ieee_invalid_op 0
		.amdhsa_exception_fp_denorm_src 0
		.amdhsa_exception_fp_ieee_div_zero 0
		.amdhsa_exception_fp_ieee_overflow 0
		.amdhsa_exception_fp_ieee_underflow 0
		.amdhsa_exception_fp_ieee_inexact 0
		.amdhsa_exception_int_div_zero 0
	.end_amdhsa_kernel
	.section	.text._ZN7rocprim17ROCPRIM_400000_NS6detail17trampoline_kernelINS0_14default_configENS1_22reduce_config_selectorIN6thrust23THRUST_200600_302600_NS5tupleIblNS6_9null_typeES8_S8_S8_S8_S8_S8_S8_EEEEZNS1_11reduce_implILb1ES3_NS6_12zip_iteratorINS7_INS6_11hip_rocprim26transform_input_iterator_tIbNSD_35transform_pair_of_input_iterators_tIbNS6_6detail15normal_iteratorINS6_10device_ptrIKsEEEESL_NS6_8equal_toIsEEEENSG_9not_fun_tINSD_8identityEEEEENSD_19counting_iterator_tIlEES8_S8_S8_S8_S8_S8_S8_S8_EEEEPS9_S9_NSD_9__find_if7functorIS9_EEEE10hipError_tPvRmT1_T2_T3_mT4_P12ihipStream_tbEUlT_E0_NS1_11comp_targetILNS1_3genE3ELNS1_11target_archE908ELNS1_3gpuE7ELNS1_3repE0EEENS1_30default_config_static_selectorELNS0_4arch9wavefront6targetE1EEEvS14_,"axG",@progbits,_ZN7rocprim17ROCPRIM_400000_NS6detail17trampoline_kernelINS0_14default_configENS1_22reduce_config_selectorIN6thrust23THRUST_200600_302600_NS5tupleIblNS6_9null_typeES8_S8_S8_S8_S8_S8_S8_EEEEZNS1_11reduce_implILb1ES3_NS6_12zip_iteratorINS7_INS6_11hip_rocprim26transform_input_iterator_tIbNSD_35transform_pair_of_input_iterators_tIbNS6_6detail15normal_iteratorINS6_10device_ptrIKsEEEESL_NS6_8equal_toIsEEEENSG_9not_fun_tINSD_8identityEEEEENSD_19counting_iterator_tIlEES8_S8_S8_S8_S8_S8_S8_S8_EEEEPS9_S9_NSD_9__find_if7functorIS9_EEEE10hipError_tPvRmT1_T2_T3_mT4_P12ihipStream_tbEUlT_E0_NS1_11comp_targetILNS1_3genE3ELNS1_11target_archE908ELNS1_3gpuE7ELNS1_3repE0EEENS1_30default_config_static_selectorELNS0_4arch9wavefront6targetE1EEEvS14_,comdat
.Lfunc_end558:
	.size	_ZN7rocprim17ROCPRIM_400000_NS6detail17trampoline_kernelINS0_14default_configENS1_22reduce_config_selectorIN6thrust23THRUST_200600_302600_NS5tupleIblNS6_9null_typeES8_S8_S8_S8_S8_S8_S8_EEEEZNS1_11reduce_implILb1ES3_NS6_12zip_iteratorINS7_INS6_11hip_rocprim26transform_input_iterator_tIbNSD_35transform_pair_of_input_iterators_tIbNS6_6detail15normal_iteratorINS6_10device_ptrIKsEEEESL_NS6_8equal_toIsEEEENSG_9not_fun_tINSD_8identityEEEEENSD_19counting_iterator_tIlEES8_S8_S8_S8_S8_S8_S8_S8_EEEEPS9_S9_NSD_9__find_if7functorIS9_EEEE10hipError_tPvRmT1_T2_T3_mT4_P12ihipStream_tbEUlT_E0_NS1_11comp_targetILNS1_3genE3ELNS1_11target_archE908ELNS1_3gpuE7ELNS1_3repE0EEENS1_30default_config_static_selectorELNS0_4arch9wavefront6targetE1EEEvS14_, .Lfunc_end558-_ZN7rocprim17ROCPRIM_400000_NS6detail17trampoline_kernelINS0_14default_configENS1_22reduce_config_selectorIN6thrust23THRUST_200600_302600_NS5tupleIblNS6_9null_typeES8_S8_S8_S8_S8_S8_S8_EEEEZNS1_11reduce_implILb1ES3_NS6_12zip_iteratorINS7_INS6_11hip_rocprim26transform_input_iterator_tIbNSD_35transform_pair_of_input_iterators_tIbNS6_6detail15normal_iteratorINS6_10device_ptrIKsEEEESL_NS6_8equal_toIsEEEENSG_9not_fun_tINSD_8identityEEEEENSD_19counting_iterator_tIlEES8_S8_S8_S8_S8_S8_S8_S8_EEEEPS9_S9_NSD_9__find_if7functorIS9_EEEE10hipError_tPvRmT1_T2_T3_mT4_P12ihipStream_tbEUlT_E0_NS1_11comp_targetILNS1_3genE3ELNS1_11target_archE908ELNS1_3gpuE7ELNS1_3repE0EEENS1_30default_config_static_selectorELNS0_4arch9wavefront6targetE1EEEvS14_
                                        ; -- End function
	.set _ZN7rocprim17ROCPRIM_400000_NS6detail17trampoline_kernelINS0_14default_configENS1_22reduce_config_selectorIN6thrust23THRUST_200600_302600_NS5tupleIblNS6_9null_typeES8_S8_S8_S8_S8_S8_S8_EEEEZNS1_11reduce_implILb1ES3_NS6_12zip_iteratorINS7_INS6_11hip_rocprim26transform_input_iterator_tIbNSD_35transform_pair_of_input_iterators_tIbNS6_6detail15normal_iteratorINS6_10device_ptrIKsEEEESL_NS6_8equal_toIsEEEENSG_9not_fun_tINSD_8identityEEEEENSD_19counting_iterator_tIlEES8_S8_S8_S8_S8_S8_S8_S8_EEEEPS9_S9_NSD_9__find_if7functorIS9_EEEE10hipError_tPvRmT1_T2_T3_mT4_P12ihipStream_tbEUlT_E0_NS1_11comp_targetILNS1_3genE3ELNS1_11target_archE908ELNS1_3gpuE7ELNS1_3repE0EEENS1_30default_config_static_selectorELNS0_4arch9wavefront6targetE1EEEvS14_.num_vgpr, 0
	.set _ZN7rocprim17ROCPRIM_400000_NS6detail17trampoline_kernelINS0_14default_configENS1_22reduce_config_selectorIN6thrust23THRUST_200600_302600_NS5tupleIblNS6_9null_typeES8_S8_S8_S8_S8_S8_S8_EEEEZNS1_11reduce_implILb1ES3_NS6_12zip_iteratorINS7_INS6_11hip_rocprim26transform_input_iterator_tIbNSD_35transform_pair_of_input_iterators_tIbNS6_6detail15normal_iteratorINS6_10device_ptrIKsEEEESL_NS6_8equal_toIsEEEENSG_9not_fun_tINSD_8identityEEEEENSD_19counting_iterator_tIlEES8_S8_S8_S8_S8_S8_S8_S8_EEEEPS9_S9_NSD_9__find_if7functorIS9_EEEE10hipError_tPvRmT1_T2_T3_mT4_P12ihipStream_tbEUlT_E0_NS1_11comp_targetILNS1_3genE3ELNS1_11target_archE908ELNS1_3gpuE7ELNS1_3repE0EEENS1_30default_config_static_selectorELNS0_4arch9wavefront6targetE1EEEvS14_.num_agpr, 0
	.set _ZN7rocprim17ROCPRIM_400000_NS6detail17trampoline_kernelINS0_14default_configENS1_22reduce_config_selectorIN6thrust23THRUST_200600_302600_NS5tupleIblNS6_9null_typeES8_S8_S8_S8_S8_S8_S8_EEEEZNS1_11reduce_implILb1ES3_NS6_12zip_iteratorINS7_INS6_11hip_rocprim26transform_input_iterator_tIbNSD_35transform_pair_of_input_iterators_tIbNS6_6detail15normal_iteratorINS6_10device_ptrIKsEEEESL_NS6_8equal_toIsEEEENSG_9not_fun_tINSD_8identityEEEEENSD_19counting_iterator_tIlEES8_S8_S8_S8_S8_S8_S8_S8_EEEEPS9_S9_NSD_9__find_if7functorIS9_EEEE10hipError_tPvRmT1_T2_T3_mT4_P12ihipStream_tbEUlT_E0_NS1_11comp_targetILNS1_3genE3ELNS1_11target_archE908ELNS1_3gpuE7ELNS1_3repE0EEENS1_30default_config_static_selectorELNS0_4arch9wavefront6targetE1EEEvS14_.numbered_sgpr, 0
	.set _ZN7rocprim17ROCPRIM_400000_NS6detail17trampoline_kernelINS0_14default_configENS1_22reduce_config_selectorIN6thrust23THRUST_200600_302600_NS5tupleIblNS6_9null_typeES8_S8_S8_S8_S8_S8_S8_EEEEZNS1_11reduce_implILb1ES3_NS6_12zip_iteratorINS7_INS6_11hip_rocprim26transform_input_iterator_tIbNSD_35transform_pair_of_input_iterators_tIbNS6_6detail15normal_iteratorINS6_10device_ptrIKsEEEESL_NS6_8equal_toIsEEEENSG_9not_fun_tINSD_8identityEEEEENSD_19counting_iterator_tIlEES8_S8_S8_S8_S8_S8_S8_S8_EEEEPS9_S9_NSD_9__find_if7functorIS9_EEEE10hipError_tPvRmT1_T2_T3_mT4_P12ihipStream_tbEUlT_E0_NS1_11comp_targetILNS1_3genE3ELNS1_11target_archE908ELNS1_3gpuE7ELNS1_3repE0EEENS1_30default_config_static_selectorELNS0_4arch9wavefront6targetE1EEEvS14_.num_named_barrier, 0
	.set _ZN7rocprim17ROCPRIM_400000_NS6detail17trampoline_kernelINS0_14default_configENS1_22reduce_config_selectorIN6thrust23THRUST_200600_302600_NS5tupleIblNS6_9null_typeES8_S8_S8_S8_S8_S8_S8_EEEEZNS1_11reduce_implILb1ES3_NS6_12zip_iteratorINS7_INS6_11hip_rocprim26transform_input_iterator_tIbNSD_35transform_pair_of_input_iterators_tIbNS6_6detail15normal_iteratorINS6_10device_ptrIKsEEEESL_NS6_8equal_toIsEEEENSG_9not_fun_tINSD_8identityEEEEENSD_19counting_iterator_tIlEES8_S8_S8_S8_S8_S8_S8_S8_EEEEPS9_S9_NSD_9__find_if7functorIS9_EEEE10hipError_tPvRmT1_T2_T3_mT4_P12ihipStream_tbEUlT_E0_NS1_11comp_targetILNS1_3genE3ELNS1_11target_archE908ELNS1_3gpuE7ELNS1_3repE0EEENS1_30default_config_static_selectorELNS0_4arch9wavefront6targetE1EEEvS14_.private_seg_size, 0
	.set _ZN7rocprim17ROCPRIM_400000_NS6detail17trampoline_kernelINS0_14default_configENS1_22reduce_config_selectorIN6thrust23THRUST_200600_302600_NS5tupleIblNS6_9null_typeES8_S8_S8_S8_S8_S8_S8_EEEEZNS1_11reduce_implILb1ES3_NS6_12zip_iteratorINS7_INS6_11hip_rocprim26transform_input_iterator_tIbNSD_35transform_pair_of_input_iterators_tIbNS6_6detail15normal_iteratorINS6_10device_ptrIKsEEEESL_NS6_8equal_toIsEEEENSG_9not_fun_tINSD_8identityEEEEENSD_19counting_iterator_tIlEES8_S8_S8_S8_S8_S8_S8_S8_EEEEPS9_S9_NSD_9__find_if7functorIS9_EEEE10hipError_tPvRmT1_T2_T3_mT4_P12ihipStream_tbEUlT_E0_NS1_11comp_targetILNS1_3genE3ELNS1_11target_archE908ELNS1_3gpuE7ELNS1_3repE0EEENS1_30default_config_static_selectorELNS0_4arch9wavefront6targetE1EEEvS14_.uses_vcc, 0
	.set _ZN7rocprim17ROCPRIM_400000_NS6detail17trampoline_kernelINS0_14default_configENS1_22reduce_config_selectorIN6thrust23THRUST_200600_302600_NS5tupleIblNS6_9null_typeES8_S8_S8_S8_S8_S8_S8_EEEEZNS1_11reduce_implILb1ES3_NS6_12zip_iteratorINS7_INS6_11hip_rocprim26transform_input_iterator_tIbNSD_35transform_pair_of_input_iterators_tIbNS6_6detail15normal_iteratorINS6_10device_ptrIKsEEEESL_NS6_8equal_toIsEEEENSG_9not_fun_tINSD_8identityEEEEENSD_19counting_iterator_tIlEES8_S8_S8_S8_S8_S8_S8_S8_EEEEPS9_S9_NSD_9__find_if7functorIS9_EEEE10hipError_tPvRmT1_T2_T3_mT4_P12ihipStream_tbEUlT_E0_NS1_11comp_targetILNS1_3genE3ELNS1_11target_archE908ELNS1_3gpuE7ELNS1_3repE0EEENS1_30default_config_static_selectorELNS0_4arch9wavefront6targetE1EEEvS14_.uses_flat_scratch, 0
	.set _ZN7rocprim17ROCPRIM_400000_NS6detail17trampoline_kernelINS0_14default_configENS1_22reduce_config_selectorIN6thrust23THRUST_200600_302600_NS5tupleIblNS6_9null_typeES8_S8_S8_S8_S8_S8_S8_EEEEZNS1_11reduce_implILb1ES3_NS6_12zip_iteratorINS7_INS6_11hip_rocprim26transform_input_iterator_tIbNSD_35transform_pair_of_input_iterators_tIbNS6_6detail15normal_iteratorINS6_10device_ptrIKsEEEESL_NS6_8equal_toIsEEEENSG_9not_fun_tINSD_8identityEEEEENSD_19counting_iterator_tIlEES8_S8_S8_S8_S8_S8_S8_S8_EEEEPS9_S9_NSD_9__find_if7functorIS9_EEEE10hipError_tPvRmT1_T2_T3_mT4_P12ihipStream_tbEUlT_E0_NS1_11comp_targetILNS1_3genE3ELNS1_11target_archE908ELNS1_3gpuE7ELNS1_3repE0EEENS1_30default_config_static_selectorELNS0_4arch9wavefront6targetE1EEEvS14_.has_dyn_sized_stack, 0
	.set _ZN7rocprim17ROCPRIM_400000_NS6detail17trampoline_kernelINS0_14default_configENS1_22reduce_config_selectorIN6thrust23THRUST_200600_302600_NS5tupleIblNS6_9null_typeES8_S8_S8_S8_S8_S8_S8_EEEEZNS1_11reduce_implILb1ES3_NS6_12zip_iteratorINS7_INS6_11hip_rocprim26transform_input_iterator_tIbNSD_35transform_pair_of_input_iterators_tIbNS6_6detail15normal_iteratorINS6_10device_ptrIKsEEEESL_NS6_8equal_toIsEEEENSG_9not_fun_tINSD_8identityEEEEENSD_19counting_iterator_tIlEES8_S8_S8_S8_S8_S8_S8_S8_EEEEPS9_S9_NSD_9__find_if7functorIS9_EEEE10hipError_tPvRmT1_T2_T3_mT4_P12ihipStream_tbEUlT_E0_NS1_11comp_targetILNS1_3genE3ELNS1_11target_archE908ELNS1_3gpuE7ELNS1_3repE0EEENS1_30default_config_static_selectorELNS0_4arch9wavefront6targetE1EEEvS14_.has_recursion, 0
	.set _ZN7rocprim17ROCPRIM_400000_NS6detail17trampoline_kernelINS0_14default_configENS1_22reduce_config_selectorIN6thrust23THRUST_200600_302600_NS5tupleIblNS6_9null_typeES8_S8_S8_S8_S8_S8_S8_EEEEZNS1_11reduce_implILb1ES3_NS6_12zip_iteratorINS7_INS6_11hip_rocprim26transform_input_iterator_tIbNSD_35transform_pair_of_input_iterators_tIbNS6_6detail15normal_iteratorINS6_10device_ptrIKsEEEESL_NS6_8equal_toIsEEEENSG_9not_fun_tINSD_8identityEEEEENSD_19counting_iterator_tIlEES8_S8_S8_S8_S8_S8_S8_S8_EEEEPS9_S9_NSD_9__find_if7functorIS9_EEEE10hipError_tPvRmT1_T2_T3_mT4_P12ihipStream_tbEUlT_E0_NS1_11comp_targetILNS1_3genE3ELNS1_11target_archE908ELNS1_3gpuE7ELNS1_3repE0EEENS1_30default_config_static_selectorELNS0_4arch9wavefront6targetE1EEEvS14_.has_indirect_call, 0
	.section	.AMDGPU.csdata,"",@progbits
; Kernel info:
; codeLenInByte = 0
; TotalNumSgprs: 4
; NumVgprs: 0
; ScratchSize: 0
; MemoryBound: 0
; FloatMode: 240
; IeeeMode: 1
; LDSByteSize: 0 bytes/workgroup (compile time only)
; SGPRBlocks: 0
; VGPRBlocks: 0
; NumSGPRsForWavesPerEU: 4
; NumVGPRsForWavesPerEU: 1
; Occupancy: 10
; WaveLimiterHint : 0
; COMPUTE_PGM_RSRC2:SCRATCH_EN: 0
; COMPUTE_PGM_RSRC2:USER_SGPR: 6
; COMPUTE_PGM_RSRC2:TRAP_HANDLER: 0
; COMPUTE_PGM_RSRC2:TGID_X_EN: 1
; COMPUTE_PGM_RSRC2:TGID_Y_EN: 0
; COMPUTE_PGM_RSRC2:TGID_Z_EN: 0
; COMPUTE_PGM_RSRC2:TIDIG_COMP_CNT: 0
	.section	.text._ZN7rocprim17ROCPRIM_400000_NS6detail17trampoline_kernelINS0_14default_configENS1_22reduce_config_selectorIN6thrust23THRUST_200600_302600_NS5tupleIblNS6_9null_typeES8_S8_S8_S8_S8_S8_S8_EEEEZNS1_11reduce_implILb1ES3_NS6_12zip_iteratorINS7_INS6_11hip_rocprim26transform_input_iterator_tIbNSD_35transform_pair_of_input_iterators_tIbNS6_6detail15normal_iteratorINS6_10device_ptrIKsEEEESL_NS6_8equal_toIsEEEENSG_9not_fun_tINSD_8identityEEEEENSD_19counting_iterator_tIlEES8_S8_S8_S8_S8_S8_S8_S8_EEEEPS9_S9_NSD_9__find_if7functorIS9_EEEE10hipError_tPvRmT1_T2_T3_mT4_P12ihipStream_tbEUlT_E0_NS1_11comp_targetILNS1_3genE2ELNS1_11target_archE906ELNS1_3gpuE6ELNS1_3repE0EEENS1_30default_config_static_selectorELNS0_4arch9wavefront6targetE1EEEvS14_,"axG",@progbits,_ZN7rocprim17ROCPRIM_400000_NS6detail17trampoline_kernelINS0_14default_configENS1_22reduce_config_selectorIN6thrust23THRUST_200600_302600_NS5tupleIblNS6_9null_typeES8_S8_S8_S8_S8_S8_S8_EEEEZNS1_11reduce_implILb1ES3_NS6_12zip_iteratorINS7_INS6_11hip_rocprim26transform_input_iterator_tIbNSD_35transform_pair_of_input_iterators_tIbNS6_6detail15normal_iteratorINS6_10device_ptrIKsEEEESL_NS6_8equal_toIsEEEENSG_9not_fun_tINSD_8identityEEEEENSD_19counting_iterator_tIlEES8_S8_S8_S8_S8_S8_S8_S8_EEEEPS9_S9_NSD_9__find_if7functorIS9_EEEE10hipError_tPvRmT1_T2_T3_mT4_P12ihipStream_tbEUlT_E0_NS1_11comp_targetILNS1_3genE2ELNS1_11target_archE906ELNS1_3gpuE6ELNS1_3repE0EEENS1_30default_config_static_selectorELNS0_4arch9wavefront6targetE1EEEvS14_,comdat
	.protected	_ZN7rocprim17ROCPRIM_400000_NS6detail17trampoline_kernelINS0_14default_configENS1_22reduce_config_selectorIN6thrust23THRUST_200600_302600_NS5tupleIblNS6_9null_typeES8_S8_S8_S8_S8_S8_S8_EEEEZNS1_11reduce_implILb1ES3_NS6_12zip_iteratorINS7_INS6_11hip_rocprim26transform_input_iterator_tIbNSD_35transform_pair_of_input_iterators_tIbNS6_6detail15normal_iteratorINS6_10device_ptrIKsEEEESL_NS6_8equal_toIsEEEENSG_9not_fun_tINSD_8identityEEEEENSD_19counting_iterator_tIlEES8_S8_S8_S8_S8_S8_S8_S8_EEEEPS9_S9_NSD_9__find_if7functorIS9_EEEE10hipError_tPvRmT1_T2_T3_mT4_P12ihipStream_tbEUlT_E0_NS1_11comp_targetILNS1_3genE2ELNS1_11target_archE906ELNS1_3gpuE6ELNS1_3repE0EEENS1_30default_config_static_selectorELNS0_4arch9wavefront6targetE1EEEvS14_ ; -- Begin function _ZN7rocprim17ROCPRIM_400000_NS6detail17trampoline_kernelINS0_14default_configENS1_22reduce_config_selectorIN6thrust23THRUST_200600_302600_NS5tupleIblNS6_9null_typeES8_S8_S8_S8_S8_S8_S8_EEEEZNS1_11reduce_implILb1ES3_NS6_12zip_iteratorINS7_INS6_11hip_rocprim26transform_input_iterator_tIbNSD_35transform_pair_of_input_iterators_tIbNS6_6detail15normal_iteratorINS6_10device_ptrIKsEEEESL_NS6_8equal_toIsEEEENSG_9not_fun_tINSD_8identityEEEEENSD_19counting_iterator_tIlEES8_S8_S8_S8_S8_S8_S8_S8_EEEEPS9_S9_NSD_9__find_if7functorIS9_EEEE10hipError_tPvRmT1_T2_T3_mT4_P12ihipStream_tbEUlT_E0_NS1_11comp_targetILNS1_3genE2ELNS1_11target_archE906ELNS1_3gpuE6ELNS1_3repE0EEENS1_30default_config_static_selectorELNS0_4arch9wavefront6targetE1EEEvS14_
	.globl	_ZN7rocprim17ROCPRIM_400000_NS6detail17trampoline_kernelINS0_14default_configENS1_22reduce_config_selectorIN6thrust23THRUST_200600_302600_NS5tupleIblNS6_9null_typeES8_S8_S8_S8_S8_S8_S8_EEEEZNS1_11reduce_implILb1ES3_NS6_12zip_iteratorINS7_INS6_11hip_rocprim26transform_input_iterator_tIbNSD_35transform_pair_of_input_iterators_tIbNS6_6detail15normal_iteratorINS6_10device_ptrIKsEEEESL_NS6_8equal_toIsEEEENSG_9not_fun_tINSD_8identityEEEEENSD_19counting_iterator_tIlEES8_S8_S8_S8_S8_S8_S8_S8_EEEEPS9_S9_NSD_9__find_if7functorIS9_EEEE10hipError_tPvRmT1_T2_T3_mT4_P12ihipStream_tbEUlT_E0_NS1_11comp_targetILNS1_3genE2ELNS1_11target_archE906ELNS1_3gpuE6ELNS1_3repE0EEENS1_30default_config_static_selectorELNS0_4arch9wavefront6targetE1EEEvS14_
	.p2align	8
	.type	_ZN7rocprim17ROCPRIM_400000_NS6detail17trampoline_kernelINS0_14default_configENS1_22reduce_config_selectorIN6thrust23THRUST_200600_302600_NS5tupleIblNS6_9null_typeES8_S8_S8_S8_S8_S8_S8_EEEEZNS1_11reduce_implILb1ES3_NS6_12zip_iteratorINS7_INS6_11hip_rocprim26transform_input_iterator_tIbNSD_35transform_pair_of_input_iterators_tIbNS6_6detail15normal_iteratorINS6_10device_ptrIKsEEEESL_NS6_8equal_toIsEEEENSG_9not_fun_tINSD_8identityEEEEENSD_19counting_iterator_tIlEES8_S8_S8_S8_S8_S8_S8_S8_EEEEPS9_S9_NSD_9__find_if7functorIS9_EEEE10hipError_tPvRmT1_T2_T3_mT4_P12ihipStream_tbEUlT_E0_NS1_11comp_targetILNS1_3genE2ELNS1_11target_archE906ELNS1_3gpuE6ELNS1_3repE0EEENS1_30default_config_static_selectorELNS0_4arch9wavefront6targetE1EEEvS14_,@function
_ZN7rocprim17ROCPRIM_400000_NS6detail17trampoline_kernelINS0_14default_configENS1_22reduce_config_selectorIN6thrust23THRUST_200600_302600_NS5tupleIblNS6_9null_typeES8_S8_S8_S8_S8_S8_S8_EEEEZNS1_11reduce_implILb1ES3_NS6_12zip_iteratorINS7_INS6_11hip_rocprim26transform_input_iterator_tIbNSD_35transform_pair_of_input_iterators_tIbNS6_6detail15normal_iteratorINS6_10device_ptrIKsEEEESL_NS6_8equal_toIsEEEENSG_9not_fun_tINSD_8identityEEEEENSD_19counting_iterator_tIlEES8_S8_S8_S8_S8_S8_S8_S8_EEEEPS9_S9_NSD_9__find_if7functorIS9_EEEE10hipError_tPvRmT1_T2_T3_mT4_P12ihipStream_tbEUlT_E0_NS1_11comp_targetILNS1_3genE2ELNS1_11target_archE906ELNS1_3gpuE6ELNS1_3repE0EEENS1_30default_config_static_selectorELNS0_4arch9wavefront6targetE1EEEvS14_: ; @_ZN7rocprim17ROCPRIM_400000_NS6detail17trampoline_kernelINS0_14default_configENS1_22reduce_config_selectorIN6thrust23THRUST_200600_302600_NS5tupleIblNS6_9null_typeES8_S8_S8_S8_S8_S8_S8_EEEEZNS1_11reduce_implILb1ES3_NS6_12zip_iteratorINS7_INS6_11hip_rocprim26transform_input_iterator_tIbNSD_35transform_pair_of_input_iterators_tIbNS6_6detail15normal_iteratorINS6_10device_ptrIKsEEEESL_NS6_8equal_toIsEEEENSG_9not_fun_tINSD_8identityEEEEENSD_19counting_iterator_tIlEES8_S8_S8_S8_S8_S8_S8_S8_EEEEPS9_S9_NSD_9__find_if7functorIS9_EEEE10hipError_tPvRmT1_T2_T3_mT4_P12ihipStream_tbEUlT_E0_NS1_11comp_targetILNS1_3genE2ELNS1_11target_archE906ELNS1_3gpuE6ELNS1_3repE0EEENS1_30default_config_static_selectorELNS0_4arch9wavefront6targetE1EEEvS14_
; %bb.0:
	s_load_dwordx8 s[12:19], s[4:5], 0x20
	s_load_dwordx4 s[0:3], s[4:5], 0x0
	s_load_dwordx4 s[20:23], s[4:5], 0x40
	s_mov_b32 s29, 0
	s_mov_b32 s7, s29
	s_waitcnt lgkmcnt(0)
	s_lshl_b64 s[8:9], s[14:15], 1
	s_add_u32 s10, s0, s8
	s_addc_u32 s11, s1, s9
	s_add_u32 s8, s2, s8
	s_addc_u32 s9, s3, s9
	s_lshl_b32 s28, s6, 8
	s_lshr_b64 s[0:1], s[16:17], 8
	s_lshl_b64 s[2:3], s[28:29], 1
	s_add_u32 s24, s10, s2
	s_addc_u32 s25, s11, s3
	s_add_u32 s26, s8, s2
	s_addc_u32 s27, s9, s3
	;; [unrolled: 2-line block ×4, first 2 shown]
	s_cmp_lg_u64 s[0:1], s[6:7]
	v_lshlrev_b32_e32 v9, 1, v0
	v_mbcnt_lo_u32_b32 v8, -1, 0
	s_cbranch_scc0 .LBB559_10
; %bb.1:
	global_load_ushort v1, v9, s[26:27]
	global_load_ushort v2, v9, s[26:27] offset:256
	global_load_ushort v4, v9, s[24:25] offset:256
	global_load_ushort v6, v9, s[24:25]
	v_mov_b32_e32 v5, s15
	v_add_co_u32_e32 v7, vcc, s14, v0
	v_addc_co_u32_e32 v10, vcc, 0, v5, vcc
	v_add_co_u32_e32 v11, vcc, 0x80, v7
	v_addc_co_u32_e32 v12, vcc, 0, v10, vcc
	v_mbcnt_hi_u32_b32 v3, -1, v8
	v_lshlrev_b32_e32 v5, 2, v3
	v_or_b32_e32 v13, 0xfc, v5
	s_waitcnt vmcnt(1)
	v_cmp_ne_u16_e32 vcc, v4, v2
	s_waitcnt vmcnt(0)
	v_cmp_ne_u16_e64 s[0:1], v6, v1
	v_cndmask_b32_e64 v2, v12, v10, s[0:1]
	v_cndmask_b32_e64 v1, v11, v7, s[0:1]
	s_or_b64 s[0:1], s[0:1], vcc
	v_mov_b32_dpp v7, v2 quad_perm:[1,0,3,2] row_mask:0xf bank_mask:0xf bound_ctrl:1
	v_mov_b32_dpp v6, v1 quad_perm:[1,0,3,2] row_mask:0xf bank_mask:0xf bound_ctrl:1
	v_cndmask_b32_e64 v4, 0, 1, s[0:1]
	v_cmp_lt_i64_e32 vcc, v[1:2], v[6:7]
	s_and_b64 vcc, s[0:1], vcc
	v_mov_b32_dpp v10, v4 quad_perm:[1,0,3,2] row_mask:0xf bank_mask:0xf bound_ctrl:1
	v_and_b32_e32 v10, 1, v10
	v_cndmask_b32_e32 v6, v6, v1, vcc
	v_cndmask_b32_e32 v7, v7, v2, vcc
	v_cmp_eq_u32_e32 vcc, 1, v10
	v_cndmask_b32_e32 v2, v2, v7, vcc
	v_cndmask_b32_e32 v1, v1, v6, vcc
	v_cndmask_b32_e64 v4, v4, 1, vcc
	v_mov_b32_dpp v7, v2 quad_perm:[2,3,0,1] row_mask:0xf bank_mask:0xf bound_ctrl:1
	v_mov_b32_dpp v6, v1 quad_perm:[2,3,0,1] row_mask:0xf bank_mask:0xf bound_ctrl:1
	v_and_b32_e32 v11, 1, v4
	v_cmp_lt_i64_e64 s[0:1], v[1:2], v[6:7]
	v_mov_b32_dpp v10, v4 quad_perm:[2,3,0,1] row_mask:0xf bank_mask:0xf bound_ctrl:1
	v_cmp_eq_u32_e32 vcc, 1, v11
	v_and_b32_e32 v10, 1, v10
	s_and_b64 vcc, vcc, s[0:1]
	v_cmp_eq_u32_e64 s[2:3], 1, v10
	v_cndmask_b32_e32 v6, v6, v1, vcc
	v_cndmask_b32_e32 v7, v7, v2, vcc
	v_cndmask_b32_e64 v1, v1, v6, s[2:3]
	v_cndmask_b32_e64 v2, v2, v7, s[2:3]
	;; [unrolled: 1-line block ×3, first 2 shown]
	v_mov_b32_dpp v6, v1 row_ror:4 row_mask:0xf bank_mask:0xf bound_ctrl:1
	v_mov_b32_dpp v7, v2 row_ror:4 row_mask:0xf bank_mask:0xf bound_ctrl:1
	v_and_b32_e32 v11, 1, v4
	v_cmp_lt_i64_e64 s[2:3], v[1:2], v[6:7]
	v_mov_b32_dpp v10, v4 row_ror:4 row_mask:0xf bank_mask:0xf bound_ctrl:1
	v_cmp_eq_u32_e32 vcc, 1, v11
	v_and_b32_e32 v10, 1, v10
	s_and_b64 vcc, vcc, s[2:3]
	v_cmp_eq_u32_e64 s[0:1], 1, v10
	v_cndmask_b32_e32 v6, v6, v1, vcc
	v_cndmask_b32_e32 v7, v7, v2, vcc
	v_cndmask_b32_e64 v1, v1, v6, s[0:1]
	v_cndmask_b32_e64 v2, v2, v7, s[0:1]
	;; [unrolled: 1-line block ×3, first 2 shown]
	v_mov_b32_dpp v6, v1 row_ror:8 row_mask:0xf bank_mask:0xf bound_ctrl:1
	v_mov_b32_dpp v7, v2 row_ror:8 row_mask:0xf bank_mask:0xf bound_ctrl:1
	v_and_b32_e32 v11, 1, v4
	v_cmp_lt_i64_e64 s[2:3], v[1:2], v[6:7]
	v_mov_b32_dpp v10, v4 row_ror:8 row_mask:0xf bank_mask:0xf bound_ctrl:1
	v_cmp_eq_u32_e64 s[8:9], 1, v11
	v_and_b32_e32 v10, 1, v10
	s_and_b64 s[2:3], s[8:9], s[2:3]
	v_cmp_eq_u32_e64 s[10:11], 1, v10
	v_cndmask_b32_e64 v6, v6, v1, s[2:3]
	v_cndmask_b32_e64 v7, v7, v2, s[2:3]
	;; [unrolled: 1-line block ×5, first 2 shown]
	v_mov_b32_dpp v10, v4 row_bcast:15 row_mask:0xf bank_mask:0xf bound_ctrl:1
	v_mov_b32_dpp v6, v1 row_bcast:15 row_mask:0xf bank_mask:0xf bound_ctrl:1
	v_mov_b32_dpp v7, v2 row_bcast:15 row_mask:0xf bank_mask:0xf bound_ctrl:1
	v_and_b32_e32 v11, 1, v4
	v_and_b32_e32 v10, 1, v10
	v_cmp_lt_i64_e64 s[2:3], v[1:2], v[6:7]
	v_cmp_eq_u32_e32 vcc, 1, v11
	v_cmp_eq_u32_e64 s[0:1], 1, v10
	v_cndmask_b32_e64 v4, v4, 1, s[0:1]
	s_and_b64 vcc, vcc, s[2:3]
	v_cndmask_b32_e32 v6, v6, v1, vcc
	v_mov_b32_dpp v10, v4 row_bcast:31 row_mask:0xf bank_mask:0xf bound_ctrl:1
	v_cndmask_b32_e32 v7, v7, v2, vcc
	v_and_b32_e32 v11, 1, v4
	v_and_b32_e32 v10, 1, v10
	v_cndmask_b32_e64 v1, v1, v6, s[0:1]
	v_cndmask_b32_e64 v2, v2, v7, s[0:1]
	v_cmp_eq_u32_e64 s[12:13], 1, v11
	v_cmp_eq_u32_e64 s[8:9], 1, v10
	v_mov_b32_dpp v10, v1 row_bcast:31 row_mask:0xf bank_mask:0xf bound_ctrl:1
	v_mov_b32_dpp v11, v2 row_bcast:31 row_mask:0xf bank_mask:0xf bound_ctrl:1
	v_cmp_lt_i64_e32 vcc, v[1:2], v[10:11]
	v_cndmask_b32_e64 v4, v4, 1, s[8:9]
	s_and_b64 vcc, s[12:13], vcc
	ds_bpermute_b32 v7, v13, v4
	v_cndmask_b32_e32 v4, v10, v1, vcc
	v_cndmask_b32_e32 v6, v11, v2, vcc
	v_cndmask_b32_e64 v1, v1, v4, s[8:9]
	v_cndmask_b32_e64 v2, v2, v6, s[8:9]
	ds_bpermute_b32 v1, v13, v1
	ds_bpermute_b32 v2, v13, v2
	v_cmp_eq_u32_e32 vcc, 0, v3
	s_and_saveexec_b64 s[0:1], vcc
	s_cbranch_execz .LBB559_3
; %bb.2:
	v_lshrrev_b32_e32 v4, 2, v0
	v_and_b32_e32 v4, 16, v4
	s_waitcnt lgkmcnt(2)
	ds_write_b8 v4, v7
	s_waitcnt lgkmcnt(1)
	ds_write_b64 v4, v[1:2] offset:8
.LBB559_3:
	s_or_b64 exec, exec, s[0:1]
	v_cmp_gt_u32_e32 vcc, 64, v0
	s_waitcnt lgkmcnt(0)
	s_barrier
	s_and_saveexec_b64 s[0:1], vcc
	s_cbranch_execz .LBB559_9
; %bb.4:
	v_and_b32_e32 v1, 1, v3
	v_lshlrev_b32_e32 v1, 4, v1
	ds_read_u8 v10, v1
	ds_read_b64 v[3:4], v1 offset:8
	v_or_b32_e32 v2, 4, v5
	s_waitcnt lgkmcnt(1)
	v_and_b32_e32 v1, 0xff, v10
	ds_bpermute_b32 v11, v2, v1
	s_waitcnt lgkmcnt(1)
	ds_bpermute_b32 v5, v2, v3
	ds_bpermute_b32 v6, v2, v4
	s_waitcnt lgkmcnt(2)
	v_and_b32_e32 v1, v10, v11
	v_and_b32_e32 v1, 1, v1
	v_cmp_eq_u32_e32 vcc, 1, v1
                                        ; implicit-def: $vgpr1_vgpr2
	s_and_saveexec_b64 s[2:3], vcc
	s_xor_b64 s[2:3], exec, s[2:3]
	s_cbranch_execz .LBB559_6
; %bb.5:
	s_waitcnt lgkmcnt(0)
	v_cmp_lt_i64_e32 vcc, v[5:6], v[3:4]
                                        ; implicit-def: $vgpr10
                                        ; implicit-def: $vgpr11
	v_cndmask_b32_e32 v2, v4, v6, vcc
	v_cndmask_b32_e32 v1, v3, v5, vcc
                                        ; implicit-def: $vgpr5_vgpr6
                                        ; implicit-def: $vgpr3_vgpr4
.LBB559_6:
	s_or_saveexec_b64 s[2:3], s[2:3]
	v_mov_b32_e32 v7, 1
	s_xor_b64 exec, exec, s[2:3]
	s_cbranch_execz .LBB559_8
; %bb.7:
	v_and_b32_e32 v1, 1, v10
	v_cmp_eq_u32_e32 vcc, 1, v1
	s_waitcnt lgkmcnt(0)
	v_cndmask_b32_e32 v2, v6, v4, vcc
	v_cndmask_b32_e32 v1, v5, v3, vcc
	v_cndmask_b32_e64 v7, v11, 1, vcc
.LBB559_8:
	s_or_b64 exec, exec, s[2:3]
.LBB559_9:
	s_or_b64 exec, exec, s[0:1]
	s_load_dword s10, s[4:5], 0x50
	s_load_dwordx2 s[8:9], s[4:5], 0x58
	s_branch .LBB559_62
.LBB559_10:
                                        ; implicit-def: $vgpr1_vgpr2
                                        ; implicit-def: $vgpr7
	s_load_dword s10, s[4:5], 0x50
	s_load_dwordx2 s[8:9], s[4:5], 0x58
	s_cbranch_execz .LBB559_62
; %bb.11:
	s_sub_i32 s11, s16, s28
	v_mov_b32_e32 v3, 0
	v_mov_b32_e32 v1, 0
	v_cmp_gt_u32_e32 vcc, s11, v0
	s_waitcnt lgkmcnt(0)
	v_mov_b32_e32 v6, 0
	v_mov_b32_e32 v4, 0
	;; [unrolled: 1-line block ×4, first 2 shown]
	s_and_saveexec_b64 s[0:1], vcc
	s_cbranch_execz .LBB559_13
; %bb.12:
	global_load_ushort v5, v9, s[24:25]
	global_load_ushort v7, v9, s[26:27]
	v_mov_b32_e32 v2, s15
	v_add_co_u32_e32 v1, vcc, s14, v0
	v_addc_co_u32_e32 v2, vcc, 0, v2, vcc
	s_waitcnt vmcnt(0)
	v_cmp_ne_u16_e32 vcc, v5, v7
	v_cndmask_b32_e64 v5, 0, 1, vcc
.LBB559_13:
	s_or_b64 exec, exec, s[0:1]
	v_or_b32_e32 v7, 0x80, v0
	v_cmp_gt_u32_e32 vcc, s11, v7
	s_and_saveexec_b64 s[2:3], vcc
	s_cbranch_execz .LBB559_15
; %bb.14:
	global_load_ushort v6, v9, s[24:25] offset:256
	global_load_ushort v10, v9, s[26:27] offset:256
	v_mov_b32_e32 v4, s15
	v_add_co_u32_e64 v3, s[0:1], s14, v7
	v_addc_co_u32_e64 v4, s[0:1], 0, v4, s[0:1]
	s_waitcnt vmcnt(0)
	v_cmp_ne_u16_e64 s[0:1], v6, v10
	v_cndmask_b32_e64 v6, 0, 1, s[0:1]
.LBB559_15:
	s_or_b64 exec, exec, s[2:3]
	v_and_b32_e32 v7, 0xffff, v5
	v_and_b32_e32 v9, 0xffff, v6
	;; [unrolled: 1-line block ×4, first 2 shown]
	v_cmp_lt_i64_e64 s[2:3], v[3:4], v[1:2]
	v_cmp_eq_u32_e64 s[0:1], 1, v6
	v_cmp_eq_u32_e64 s[4:5], 1, v5
	v_cndmask_b32_e64 v5, v9, 1, s[4:5]
	s_and_b64 s[0:1], s[0:1], s[2:3]
	v_cndmask_b32_e64 v6, v2, v4, s[0:1]
	v_cndmask_b32_e64 v9, v1, v3, s[0:1]
	v_cndmask_b32_e32 v7, v7, v5, vcc
	v_mbcnt_hi_u32_b32 v5, -1, v8
	v_cndmask_b32_e64 v3, v3, v9, s[4:5]
	v_cndmask_b32_e64 v4, v4, v6, s[4:5]
	v_and_b32_e32 v6, 63, v5
	v_cndmask_b32_e32 v2, v2, v4, vcc
	v_cndmask_b32_e32 v1, v1, v3, vcc
	v_cmp_ne_u32_e32 vcc, 63, v6
	v_addc_co_u32_e32 v3, vcc, 0, v5, vcc
	v_lshlrev_b32_e32 v4, 2, v3
	ds_bpermute_b32 v9, v4, v7
	ds_bpermute_b32 v3, v4, v1
	;; [unrolled: 1-line block ×3, first 2 shown]
	s_min_u32 s4, s11, 0x80
	v_and_b32_e32 v8, 64, v0
	v_sub_u32_e64 v8, s4, v8 clamp
	v_add_u32_e32 v10, 1, v6
	v_cmp_lt_u32_e32 vcc, v10, v8
	s_and_saveexec_b64 s[0:1], vcc
	s_cbranch_execz .LBB559_21
; %bb.16:
	s_waitcnt lgkmcnt(2)
	v_and_b32_e32 v10, v9, v7
	v_cmp_ne_u32_e32 vcc, 0, v10
	s_and_saveexec_b64 s[2:3], vcc
	s_xor_b64 s[2:3], exec, s[2:3]
	s_cbranch_execz .LBB559_18
; %bb.17:
	s_waitcnt lgkmcnt(0)
	v_cmp_lt_i64_e32 vcc, v[3:4], v[1:2]
                                        ; implicit-def: $vgpr7
                                        ; implicit-def: $vgpr9
	v_cndmask_b32_e32 v2, v2, v4, vcc
	v_cndmask_b32_e32 v1, v1, v3, vcc
                                        ; implicit-def: $vgpr3_vgpr4
.LBB559_18:
	s_or_saveexec_b64 s[2:3], s[2:3]
	v_mov_b32_e32 v10, 1
	s_xor_b64 exec, exec, s[2:3]
	s_cbranch_execz .LBB559_20
; %bb.19:
	v_and_b32_e32 v7, 1, v7
	v_cmp_eq_u32_e32 vcc, 1, v7
	s_waitcnt lgkmcnt(1)
	v_cndmask_b32_e32 v1, v3, v1, vcc
	v_and_b32_e32 v3, 0xff, v9
	s_waitcnt lgkmcnt(0)
	v_cndmask_b32_e32 v2, v4, v2, vcc
	v_cndmask_b32_e64 v10, v3, 1, vcc
.LBB559_20:
	s_or_b64 exec, exec, s[2:3]
	v_mov_b32_e32 v7, v10
.LBB559_21:
	s_or_b64 exec, exec, s[0:1]
	v_cmp_gt_u32_e32 vcc, 62, v6
	s_waitcnt lgkmcnt(1)
	v_cndmask_b32_e64 v3, 0, 2, vcc
	s_waitcnt lgkmcnt(0)
	v_add_lshl_u32 v4, v3, v5, 2
	ds_bpermute_b32 v9, v4, v7
	ds_bpermute_b32 v3, v4, v1
	ds_bpermute_b32 v4, v4, v2
	v_add_u32_e32 v10, 2, v6
	v_cmp_lt_u32_e32 vcc, v10, v8
	s_and_saveexec_b64 s[0:1], vcc
	s_cbranch_execz .LBB559_27
; %bb.22:
	s_waitcnt lgkmcnt(2)
	v_and_b32_e32 v10, v7, v9
	v_and_b32_e32 v10, 1, v10
	v_cmp_eq_u32_e32 vcc, 1, v10
	s_and_saveexec_b64 s[2:3], vcc
	s_xor_b64 s[2:3], exec, s[2:3]
	s_cbranch_execz .LBB559_24
; %bb.23:
	s_waitcnt lgkmcnt(0)
	v_cmp_lt_i64_e32 vcc, v[3:4], v[1:2]
                                        ; implicit-def: $vgpr7
                                        ; implicit-def: $vgpr9
	v_cndmask_b32_e32 v2, v2, v4, vcc
	v_cndmask_b32_e32 v1, v1, v3, vcc
                                        ; implicit-def: $vgpr3_vgpr4
.LBB559_24:
	s_or_saveexec_b64 s[2:3], s[2:3]
	v_mov_b32_e32 v10, 1
	s_xor_b64 exec, exec, s[2:3]
	s_cbranch_execz .LBB559_26
; %bb.25:
	v_and_b32_e32 v7, 1, v7
	v_cmp_eq_u32_e32 vcc, 1, v7
	s_waitcnt lgkmcnt(1)
	v_cndmask_b32_e32 v1, v3, v1, vcc
	v_and_b32_e32 v3, 0xff, v9
	s_waitcnt lgkmcnt(0)
	v_cndmask_b32_e32 v2, v4, v2, vcc
	v_cndmask_b32_e64 v10, v3, 1, vcc
.LBB559_26:
	s_or_b64 exec, exec, s[2:3]
	v_mov_b32_e32 v7, v10
.LBB559_27:
	s_or_b64 exec, exec, s[0:1]
	v_cmp_gt_u32_e32 vcc, 60, v6
	s_waitcnt lgkmcnt(1)
	v_cndmask_b32_e64 v3, 0, 4, vcc
	s_waitcnt lgkmcnt(0)
	v_add_lshl_u32 v4, v3, v5, 2
	ds_bpermute_b32 v9, v4, v7
	ds_bpermute_b32 v3, v4, v1
	ds_bpermute_b32 v4, v4, v2
	v_add_u32_e32 v10, 4, v6
	v_cmp_lt_u32_e32 vcc, v10, v8
	s_and_saveexec_b64 s[0:1], vcc
	s_cbranch_execz .LBB559_33
; %bb.28:
	s_waitcnt lgkmcnt(2)
	v_and_b32_e32 v10, v7, v9
	v_and_b32_e32 v10, 1, v10
	v_cmp_eq_u32_e32 vcc, 1, v10
	s_and_saveexec_b64 s[2:3], vcc
	s_xor_b64 s[2:3], exec, s[2:3]
	s_cbranch_execz .LBB559_30
; %bb.29:
	s_waitcnt lgkmcnt(0)
	v_cmp_lt_i64_e32 vcc, v[3:4], v[1:2]
                                        ; implicit-def: $vgpr7
                                        ; implicit-def: $vgpr9
	v_cndmask_b32_e32 v2, v2, v4, vcc
	v_cndmask_b32_e32 v1, v1, v3, vcc
                                        ; implicit-def: $vgpr3_vgpr4
.LBB559_30:
	s_or_saveexec_b64 s[2:3], s[2:3]
	v_mov_b32_e32 v10, 1
	s_xor_b64 exec, exec, s[2:3]
	s_cbranch_execz .LBB559_32
; %bb.31:
	v_and_b32_e32 v7, 1, v7
	v_cmp_eq_u32_e32 vcc, 1, v7
	s_waitcnt lgkmcnt(1)
	v_cndmask_b32_e32 v1, v3, v1, vcc
	v_and_b32_e32 v3, 0xff, v9
	s_waitcnt lgkmcnt(0)
	v_cndmask_b32_e32 v2, v4, v2, vcc
	v_cndmask_b32_e64 v10, v3, 1, vcc
.LBB559_32:
	s_or_b64 exec, exec, s[2:3]
	v_mov_b32_e32 v7, v10
.LBB559_33:
	;; [unrolled: 47-line block ×4, first 2 shown]
	s_or_b64 exec, exec, s[0:1]
	s_waitcnt lgkmcnt(2)
	v_lshlrev_b32_e32 v9, 2, v5
	s_waitcnt lgkmcnt(0)
	v_or_b32_e32 v4, 0x80, v9
	ds_bpermute_b32 v10, v4, v7
	ds_bpermute_b32 v3, v4, v1
	;; [unrolled: 1-line block ×3, first 2 shown]
	v_add_u32_e32 v6, 32, v6
	v_cmp_lt_u32_e32 vcc, v6, v8
	v_mov_b32_e32 v6, v7
	s_and_saveexec_b64 s[0:1], vcc
	s_cbranch_execz .LBB559_51
; %bb.46:
	s_waitcnt lgkmcnt(2)
	v_and_b32_e32 v6, v7, v10
	v_and_b32_e32 v6, 1, v6
	v_cmp_eq_u32_e32 vcc, 1, v6
	s_and_saveexec_b64 s[2:3], vcc
	s_xor_b64 s[2:3], exec, s[2:3]
	s_cbranch_execz .LBB559_48
; %bb.47:
	s_waitcnt lgkmcnt(0)
	v_cmp_lt_i64_e32 vcc, v[3:4], v[1:2]
                                        ; implicit-def: $vgpr7
                                        ; implicit-def: $vgpr10
	v_cndmask_b32_e32 v2, v2, v4, vcc
	v_cndmask_b32_e32 v1, v1, v3, vcc
                                        ; implicit-def: $vgpr3_vgpr4
.LBB559_48:
	s_or_saveexec_b64 s[2:3], s[2:3]
	v_mov_b32_e32 v6, 1
	s_xor_b64 exec, exec, s[2:3]
	s_cbranch_execz .LBB559_50
; %bb.49:
	v_and_b32_e32 v6, 1, v7
	v_cmp_eq_u32_e32 vcc, 1, v6
	v_cndmask_b32_e64 v6, v10, 1, vcc
	s_waitcnt lgkmcnt(0)
	v_cndmask_b32_e32 v2, v4, v2, vcc
	v_cndmask_b32_e32 v1, v3, v1, vcc
.LBB559_50:
	s_or_b64 exec, exec, s[2:3]
	v_and_b32_e32 v7, 0xff, v6
.LBB559_51:
	s_or_b64 exec, exec, s[0:1]
	v_cmp_eq_u32_e32 vcc, 0, v5
	s_and_saveexec_b64 s[0:1], vcc
	s_cbranch_execz .LBB559_53
; %bb.52:
	s_waitcnt lgkmcnt(1)
	v_lshrrev_b32_e32 v3, 2, v0
	v_and_b32_e32 v3, 16, v3
	ds_write_b8 v3, v6 offset:32
	ds_write_b64 v3, v[1:2] offset:40
.LBB559_53:
	s_or_b64 exec, exec, s[0:1]
	v_cmp_gt_u32_e32 vcc, 2, v0
	s_waitcnt lgkmcnt(0)
	s_barrier
	s_and_saveexec_b64 s[0:1], vcc
	s_cbranch_execz .LBB559_61
; %bb.54:
	v_lshlrev_b32_e32 v1, 4, v5
	ds_read_u8 v6, v1 offset:32
	ds_read_b64 v[1:2], v1 offset:40
	v_or_b32_e32 v4, 4, v9
	s_add_i32 s4, s4, 63
	v_and_b32_e32 v5, 1, v5
	s_waitcnt lgkmcnt(1)
	v_and_b32_e32 v7, 0xff, v6
	s_waitcnt lgkmcnt(0)
	ds_bpermute_b32 v3, v4, v1
	ds_bpermute_b32 v8, v4, v7
	;; [unrolled: 1-line block ×3, first 2 shown]
	s_lshr_b32 s2, s4, 6
	v_add_u32_e32 v5, 1, v5
	v_cmp_gt_u32_e32 vcc, s2, v5
	s_and_saveexec_b64 s[2:3], vcc
	s_cbranch_execz .LBB559_60
; %bb.55:
	s_waitcnt lgkmcnt(1)
	v_and_b32_e32 v5, v7, v8
	v_and_b32_e32 v5, 1, v5
	v_cmp_eq_u32_e32 vcc, 1, v5
	s_and_saveexec_b64 s[4:5], vcc
	s_xor_b64 s[4:5], exec, s[4:5]
	s_cbranch_execz .LBB559_57
; %bb.56:
	s_waitcnt lgkmcnt(0)
	v_cmp_lt_i64_e32 vcc, v[3:4], v[1:2]
                                        ; implicit-def: $vgpr6
                                        ; implicit-def: $vgpr8
	v_cndmask_b32_e32 v2, v2, v4, vcc
	v_cndmask_b32_e32 v1, v1, v3, vcc
                                        ; implicit-def: $vgpr3_vgpr4
.LBB559_57:
	s_or_saveexec_b64 s[4:5], s[4:5]
	v_mov_b32_e32 v7, 1
	s_xor_b64 exec, exec, s[4:5]
	s_cbranch_execz .LBB559_59
; %bb.58:
	v_and_b32_e32 v5, 1, v6
	v_cmp_eq_u32_e32 vcc, 1, v5
	s_waitcnt lgkmcnt(0)
	v_cndmask_b32_e32 v2, v4, v2, vcc
	v_cndmask_b32_e32 v1, v3, v1, vcc
	v_cndmask_b32_e64 v7, v8, 1, vcc
.LBB559_59:
	s_or_b64 exec, exec, s[4:5]
.LBB559_60:
	s_or_b64 exec, exec, s[2:3]
.LBB559_61:
	s_or_b64 exec, exec, s[0:1]
.LBB559_62:
	v_cmp_eq_u32_e32 vcc, 0, v0
	s_and_saveexec_b64 s[0:1], vcc
	s_cbranch_execnz .LBB559_64
; %bb.63:
	s_endpgm
.LBB559_64:
	s_mul_i32 s0, s22, s21
	s_mul_hi_u32 s1, s22, s20
	s_add_i32 s0, s1, s0
	s_mul_i32 s1, s23, s20
	s_add_i32 s1, s0, s1
	s_mul_i32 s0, s22, s20
	s_lshl_b64 s[0:1], s[0:1], 4
	s_add_u32 s2, s18, s0
	s_addc_u32 s3, s19, s1
	s_cmp_eq_u64 s[16:17], 0
	s_waitcnt lgkmcnt(0)
	v_mov_b32_e32 v0, s9
	s_cselect_b64 vcc, -1, 0
	v_cndmask_b32_e32 v2, v2, v0, vcc
	v_mov_b32_e32 v0, s8
	s_lshl_b64 s[0:1], s[6:7], 4
	v_cndmask_b32_e32 v1, v1, v0, vcc
	v_mov_b32_e32 v0, s10
	s_add_u32 s0, s2, s0
	v_cndmask_b32_e32 v0, v7, v0, vcc
	s_addc_u32 s1, s3, s1
	v_mov_b32_e32 v3, 0
	global_store_byte v3, v0, s[0:1]
	global_store_dwordx2 v3, v[1:2], s[0:1] offset:8
	s_endpgm
	.section	.rodata,"a",@progbits
	.p2align	6, 0x0
	.amdhsa_kernel _ZN7rocprim17ROCPRIM_400000_NS6detail17trampoline_kernelINS0_14default_configENS1_22reduce_config_selectorIN6thrust23THRUST_200600_302600_NS5tupleIblNS6_9null_typeES8_S8_S8_S8_S8_S8_S8_EEEEZNS1_11reduce_implILb1ES3_NS6_12zip_iteratorINS7_INS6_11hip_rocprim26transform_input_iterator_tIbNSD_35transform_pair_of_input_iterators_tIbNS6_6detail15normal_iteratorINS6_10device_ptrIKsEEEESL_NS6_8equal_toIsEEEENSG_9not_fun_tINSD_8identityEEEEENSD_19counting_iterator_tIlEES8_S8_S8_S8_S8_S8_S8_S8_EEEEPS9_S9_NSD_9__find_if7functorIS9_EEEE10hipError_tPvRmT1_T2_T3_mT4_P12ihipStream_tbEUlT_E0_NS1_11comp_targetILNS1_3genE2ELNS1_11target_archE906ELNS1_3gpuE6ELNS1_3repE0EEENS1_30default_config_static_selectorELNS0_4arch9wavefront6targetE1EEEvS14_
		.amdhsa_group_segment_fixed_size 64
		.amdhsa_private_segment_fixed_size 0
		.amdhsa_kernarg_size 104
		.amdhsa_user_sgpr_count 6
		.amdhsa_user_sgpr_private_segment_buffer 1
		.amdhsa_user_sgpr_dispatch_ptr 0
		.amdhsa_user_sgpr_queue_ptr 0
		.amdhsa_user_sgpr_kernarg_segment_ptr 1
		.amdhsa_user_sgpr_dispatch_id 0
		.amdhsa_user_sgpr_flat_scratch_init 0
		.amdhsa_user_sgpr_private_segment_size 0
		.amdhsa_uses_dynamic_stack 0
		.amdhsa_system_sgpr_private_segment_wavefront_offset 0
		.amdhsa_system_sgpr_workgroup_id_x 1
		.amdhsa_system_sgpr_workgroup_id_y 0
		.amdhsa_system_sgpr_workgroup_id_z 0
		.amdhsa_system_sgpr_workgroup_info 0
		.amdhsa_system_vgpr_workitem_id 0
		.amdhsa_next_free_vgpr 14
		.amdhsa_next_free_sgpr 30
		.amdhsa_reserve_vcc 1
		.amdhsa_reserve_flat_scratch 0
		.amdhsa_float_round_mode_32 0
		.amdhsa_float_round_mode_16_64 0
		.amdhsa_float_denorm_mode_32 3
		.amdhsa_float_denorm_mode_16_64 3
		.amdhsa_dx10_clamp 1
		.amdhsa_ieee_mode 1
		.amdhsa_fp16_overflow 0
		.amdhsa_exception_fp_ieee_invalid_op 0
		.amdhsa_exception_fp_denorm_src 0
		.amdhsa_exception_fp_ieee_div_zero 0
		.amdhsa_exception_fp_ieee_overflow 0
		.amdhsa_exception_fp_ieee_underflow 0
		.amdhsa_exception_fp_ieee_inexact 0
		.amdhsa_exception_int_div_zero 0
	.end_amdhsa_kernel
	.section	.text._ZN7rocprim17ROCPRIM_400000_NS6detail17trampoline_kernelINS0_14default_configENS1_22reduce_config_selectorIN6thrust23THRUST_200600_302600_NS5tupleIblNS6_9null_typeES8_S8_S8_S8_S8_S8_S8_EEEEZNS1_11reduce_implILb1ES3_NS6_12zip_iteratorINS7_INS6_11hip_rocprim26transform_input_iterator_tIbNSD_35transform_pair_of_input_iterators_tIbNS6_6detail15normal_iteratorINS6_10device_ptrIKsEEEESL_NS6_8equal_toIsEEEENSG_9not_fun_tINSD_8identityEEEEENSD_19counting_iterator_tIlEES8_S8_S8_S8_S8_S8_S8_S8_EEEEPS9_S9_NSD_9__find_if7functorIS9_EEEE10hipError_tPvRmT1_T2_T3_mT4_P12ihipStream_tbEUlT_E0_NS1_11comp_targetILNS1_3genE2ELNS1_11target_archE906ELNS1_3gpuE6ELNS1_3repE0EEENS1_30default_config_static_selectorELNS0_4arch9wavefront6targetE1EEEvS14_,"axG",@progbits,_ZN7rocprim17ROCPRIM_400000_NS6detail17trampoline_kernelINS0_14default_configENS1_22reduce_config_selectorIN6thrust23THRUST_200600_302600_NS5tupleIblNS6_9null_typeES8_S8_S8_S8_S8_S8_S8_EEEEZNS1_11reduce_implILb1ES3_NS6_12zip_iteratorINS7_INS6_11hip_rocprim26transform_input_iterator_tIbNSD_35transform_pair_of_input_iterators_tIbNS6_6detail15normal_iteratorINS6_10device_ptrIKsEEEESL_NS6_8equal_toIsEEEENSG_9not_fun_tINSD_8identityEEEEENSD_19counting_iterator_tIlEES8_S8_S8_S8_S8_S8_S8_S8_EEEEPS9_S9_NSD_9__find_if7functorIS9_EEEE10hipError_tPvRmT1_T2_T3_mT4_P12ihipStream_tbEUlT_E0_NS1_11comp_targetILNS1_3genE2ELNS1_11target_archE906ELNS1_3gpuE6ELNS1_3repE0EEENS1_30default_config_static_selectorELNS0_4arch9wavefront6targetE1EEEvS14_,comdat
.Lfunc_end559:
	.size	_ZN7rocprim17ROCPRIM_400000_NS6detail17trampoline_kernelINS0_14default_configENS1_22reduce_config_selectorIN6thrust23THRUST_200600_302600_NS5tupleIblNS6_9null_typeES8_S8_S8_S8_S8_S8_S8_EEEEZNS1_11reduce_implILb1ES3_NS6_12zip_iteratorINS7_INS6_11hip_rocprim26transform_input_iterator_tIbNSD_35transform_pair_of_input_iterators_tIbNS6_6detail15normal_iteratorINS6_10device_ptrIKsEEEESL_NS6_8equal_toIsEEEENSG_9not_fun_tINSD_8identityEEEEENSD_19counting_iterator_tIlEES8_S8_S8_S8_S8_S8_S8_S8_EEEEPS9_S9_NSD_9__find_if7functorIS9_EEEE10hipError_tPvRmT1_T2_T3_mT4_P12ihipStream_tbEUlT_E0_NS1_11comp_targetILNS1_3genE2ELNS1_11target_archE906ELNS1_3gpuE6ELNS1_3repE0EEENS1_30default_config_static_selectorELNS0_4arch9wavefront6targetE1EEEvS14_, .Lfunc_end559-_ZN7rocprim17ROCPRIM_400000_NS6detail17trampoline_kernelINS0_14default_configENS1_22reduce_config_selectorIN6thrust23THRUST_200600_302600_NS5tupleIblNS6_9null_typeES8_S8_S8_S8_S8_S8_S8_EEEEZNS1_11reduce_implILb1ES3_NS6_12zip_iteratorINS7_INS6_11hip_rocprim26transform_input_iterator_tIbNSD_35transform_pair_of_input_iterators_tIbNS6_6detail15normal_iteratorINS6_10device_ptrIKsEEEESL_NS6_8equal_toIsEEEENSG_9not_fun_tINSD_8identityEEEEENSD_19counting_iterator_tIlEES8_S8_S8_S8_S8_S8_S8_S8_EEEEPS9_S9_NSD_9__find_if7functorIS9_EEEE10hipError_tPvRmT1_T2_T3_mT4_P12ihipStream_tbEUlT_E0_NS1_11comp_targetILNS1_3genE2ELNS1_11target_archE906ELNS1_3gpuE6ELNS1_3repE0EEENS1_30default_config_static_selectorELNS0_4arch9wavefront6targetE1EEEvS14_
                                        ; -- End function
	.set _ZN7rocprim17ROCPRIM_400000_NS6detail17trampoline_kernelINS0_14default_configENS1_22reduce_config_selectorIN6thrust23THRUST_200600_302600_NS5tupleIblNS6_9null_typeES8_S8_S8_S8_S8_S8_S8_EEEEZNS1_11reduce_implILb1ES3_NS6_12zip_iteratorINS7_INS6_11hip_rocprim26transform_input_iterator_tIbNSD_35transform_pair_of_input_iterators_tIbNS6_6detail15normal_iteratorINS6_10device_ptrIKsEEEESL_NS6_8equal_toIsEEEENSG_9not_fun_tINSD_8identityEEEEENSD_19counting_iterator_tIlEES8_S8_S8_S8_S8_S8_S8_S8_EEEEPS9_S9_NSD_9__find_if7functorIS9_EEEE10hipError_tPvRmT1_T2_T3_mT4_P12ihipStream_tbEUlT_E0_NS1_11comp_targetILNS1_3genE2ELNS1_11target_archE906ELNS1_3gpuE6ELNS1_3repE0EEENS1_30default_config_static_selectorELNS0_4arch9wavefront6targetE1EEEvS14_.num_vgpr, 14
	.set _ZN7rocprim17ROCPRIM_400000_NS6detail17trampoline_kernelINS0_14default_configENS1_22reduce_config_selectorIN6thrust23THRUST_200600_302600_NS5tupleIblNS6_9null_typeES8_S8_S8_S8_S8_S8_S8_EEEEZNS1_11reduce_implILb1ES3_NS6_12zip_iteratorINS7_INS6_11hip_rocprim26transform_input_iterator_tIbNSD_35transform_pair_of_input_iterators_tIbNS6_6detail15normal_iteratorINS6_10device_ptrIKsEEEESL_NS6_8equal_toIsEEEENSG_9not_fun_tINSD_8identityEEEEENSD_19counting_iterator_tIlEES8_S8_S8_S8_S8_S8_S8_S8_EEEEPS9_S9_NSD_9__find_if7functorIS9_EEEE10hipError_tPvRmT1_T2_T3_mT4_P12ihipStream_tbEUlT_E0_NS1_11comp_targetILNS1_3genE2ELNS1_11target_archE906ELNS1_3gpuE6ELNS1_3repE0EEENS1_30default_config_static_selectorELNS0_4arch9wavefront6targetE1EEEvS14_.num_agpr, 0
	.set _ZN7rocprim17ROCPRIM_400000_NS6detail17trampoline_kernelINS0_14default_configENS1_22reduce_config_selectorIN6thrust23THRUST_200600_302600_NS5tupleIblNS6_9null_typeES8_S8_S8_S8_S8_S8_S8_EEEEZNS1_11reduce_implILb1ES3_NS6_12zip_iteratorINS7_INS6_11hip_rocprim26transform_input_iterator_tIbNSD_35transform_pair_of_input_iterators_tIbNS6_6detail15normal_iteratorINS6_10device_ptrIKsEEEESL_NS6_8equal_toIsEEEENSG_9not_fun_tINSD_8identityEEEEENSD_19counting_iterator_tIlEES8_S8_S8_S8_S8_S8_S8_S8_EEEEPS9_S9_NSD_9__find_if7functorIS9_EEEE10hipError_tPvRmT1_T2_T3_mT4_P12ihipStream_tbEUlT_E0_NS1_11comp_targetILNS1_3genE2ELNS1_11target_archE906ELNS1_3gpuE6ELNS1_3repE0EEENS1_30default_config_static_selectorELNS0_4arch9wavefront6targetE1EEEvS14_.numbered_sgpr, 30
	.set _ZN7rocprim17ROCPRIM_400000_NS6detail17trampoline_kernelINS0_14default_configENS1_22reduce_config_selectorIN6thrust23THRUST_200600_302600_NS5tupleIblNS6_9null_typeES8_S8_S8_S8_S8_S8_S8_EEEEZNS1_11reduce_implILb1ES3_NS6_12zip_iteratorINS7_INS6_11hip_rocprim26transform_input_iterator_tIbNSD_35transform_pair_of_input_iterators_tIbNS6_6detail15normal_iteratorINS6_10device_ptrIKsEEEESL_NS6_8equal_toIsEEEENSG_9not_fun_tINSD_8identityEEEEENSD_19counting_iterator_tIlEES8_S8_S8_S8_S8_S8_S8_S8_EEEEPS9_S9_NSD_9__find_if7functorIS9_EEEE10hipError_tPvRmT1_T2_T3_mT4_P12ihipStream_tbEUlT_E0_NS1_11comp_targetILNS1_3genE2ELNS1_11target_archE906ELNS1_3gpuE6ELNS1_3repE0EEENS1_30default_config_static_selectorELNS0_4arch9wavefront6targetE1EEEvS14_.num_named_barrier, 0
	.set _ZN7rocprim17ROCPRIM_400000_NS6detail17trampoline_kernelINS0_14default_configENS1_22reduce_config_selectorIN6thrust23THRUST_200600_302600_NS5tupleIblNS6_9null_typeES8_S8_S8_S8_S8_S8_S8_EEEEZNS1_11reduce_implILb1ES3_NS6_12zip_iteratorINS7_INS6_11hip_rocprim26transform_input_iterator_tIbNSD_35transform_pair_of_input_iterators_tIbNS6_6detail15normal_iteratorINS6_10device_ptrIKsEEEESL_NS6_8equal_toIsEEEENSG_9not_fun_tINSD_8identityEEEEENSD_19counting_iterator_tIlEES8_S8_S8_S8_S8_S8_S8_S8_EEEEPS9_S9_NSD_9__find_if7functorIS9_EEEE10hipError_tPvRmT1_T2_T3_mT4_P12ihipStream_tbEUlT_E0_NS1_11comp_targetILNS1_3genE2ELNS1_11target_archE906ELNS1_3gpuE6ELNS1_3repE0EEENS1_30default_config_static_selectorELNS0_4arch9wavefront6targetE1EEEvS14_.private_seg_size, 0
	.set _ZN7rocprim17ROCPRIM_400000_NS6detail17trampoline_kernelINS0_14default_configENS1_22reduce_config_selectorIN6thrust23THRUST_200600_302600_NS5tupleIblNS6_9null_typeES8_S8_S8_S8_S8_S8_S8_EEEEZNS1_11reduce_implILb1ES3_NS6_12zip_iteratorINS7_INS6_11hip_rocprim26transform_input_iterator_tIbNSD_35transform_pair_of_input_iterators_tIbNS6_6detail15normal_iteratorINS6_10device_ptrIKsEEEESL_NS6_8equal_toIsEEEENSG_9not_fun_tINSD_8identityEEEEENSD_19counting_iterator_tIlEES8_S8_S8_S8_S8_S8_S8_S8_EEEEPS9_S9_NSD_9__find_if7functorIS9_EEEE10hipError_tPvRmT1_T2_T3_mT4_P12ihipStream_tbEUlT_E0_NS1_11comp_targetILNS1_3genE2ELNS1_11target_archE906ELNS1_3gpuE6ELNS1_3repE0EEENS1_30default_config_static_selectorELNS0_4arch9wavefront6targetE1EEEvS14_.uses_vcc, 1
	.set _ZN7rocprim17ROCPRIM_400000_NS6detail17trampoline_kernelINS0_14default_configENS1_22reduce_config_selectorIN6thrust23THRUST_200600_302600_NS5tupleIblNS6_9null_typeES8_S8_S8_S8_S8_S8_S8_EEEEZNS1_11reduce_implILb1ES3_NS6_12zip_iteratorINS7_INS6_11hip_rocprim26transform_input_iterator_tIbNSD_35transform_pair_of_input_iterators_tIbNS6_6detail15normal_iteratorINS6_10device_ptrIKsEEEESL_NS6_8equal_toIsEEEENSG_9not_fun_tINSD_8identityEEEEENSD_19counting_iterator_tIlEES8_S8_S8_S8_S8_S8_S8_S8_EEEEPS9_S9_NSD_9__find_if7functorIS9_EEEE10hipError_tPvRmT1_T2_T3_mT4_P12ihipStream_tbEUlT_E0_NS1_11comp_targetILNS1_3genE2ELNS1_11target_archE906ELNS1_3gpuE6ELNS1_3repE0EEENS1_30default_config_static_selectorELNS0_4arch9wavefront6targetE1EEEvS14_.uses_flat_scratch, 0
	.set _ZN7rocprim17ROCPRIM_400000_NS6detail17trampoline_kernelINS0_14default_configENS1_22reduce_config_selectorIN6thrust23THRUST_200600_302600_NS5tupleIblNS6_9null_typeES8_S8_S8_S8_S8_S8_S8_EEEEZNS1_11reduce_implILb1ES3_NS6_12zip_iteratorINS7_INS6_11hip_rocprim26transform_input_iterator_tIbNSD_35transform_pair_of_input_iterators_tIbNS6_6detail15normal_iteratorINS6_10device_ptrIKsEEEESL_NS6_8equal_toIsEEEENSG_9not_fun_tINSD_8identityEEEEENSD_19counting_iterator_tIlEES8_S8_S8_S8_S8_S8_S8_S8_EEEEPS9_S9_NSD_9__find_if7functorIS9_EEEE10hipError_tPvRmT1_T2_T3_mT4_P12ihipStream_tbEUlT_E0_NS1_11comp_targetILNS1_3genE2ELNS1_11target_archE906ELNS1_3gpuE6ELNS1_3repE0EEENS1_30default_config_static_selectorELNS0_4arch9wavefront6targetE1EEEvS14_.has_dyn_sized_stack, 0
	.set _ZN7rocprim17ROCPRIM_400000_NS6detail17trampoline_kernelINS0_14default_configENS1_22reduce_config_selectorIN6thrust23THRUST_200600_302600_NS5tupleIblNS6_9null_typeES8_S8_S8_S8_S8_S8_S8_EEEEZNS1_11reduce_implILb1ES3_NS6_12zip_iteratorINS7_INS6_11hip_rocprim26transform_input_iterator_tIbNSD_35transform_pair_of_input_iterators_tIbNS6_6detail15normal_iteratorINS6_10device_ptrIKsEEEESL_NS6_8equal_toIsEEEENSG_9not_fun_tINSD_8identityEEEEENSD_19counting_iterator_tIlEES8_S8_S8_S8_S8_S8_S8_S8_EEEEPS9_S9_NSD_9__find_if7functorIS9_EEEE10hipError_tPvRmT1_T2_T3_mT4_P12ihipStream_tbEUlT_E0_NS1_11comp_targetILNS1_3genE2ELNS1_11target_archE906ELNS1_3gpuE6ELNS1_3repE0EEENS1_30default_config_static_selectorELNS0_4arch9wavefront6targetE1EEEvS14_.has_recursion, 0
	.set _ZN7rocprim17ROCPRIM_400000_NS6detail17trampoline_kernelINS0_14default_configENS1_22reduce_config_selectorIN6thrust23THRUST_200600_302600_NS5tupleIblNS6_9null_typeES8_S8_S8_S8_S8_S8_S8_EEEEZNS1_11reduce_implILb1ES3_NS6_12zip_iteratorINS7_INS6_11hip_rocprim26transform_input_iterator_tIbNSD_35transform_pair_of_input_iterators_tIbNS6_6detail15normal_iteratorINS6_10device_ptrIKsEEEESL_NS6_8equal_toIsEEEENSG_9not_fun_tINSD_8identityEEEEENSD_19counting_iterator_tIlEES8_S8_S8_S8_S8_S8_S8_S8_EEEEPS9_S9_NSD_9__find_if7functorIS9_EEEE10hipError_tPvRmT1_T2_T3_mT4_P12ihipStream_tbEUlT_E0_NS1_11comp_targetILNS1_3genE2ELNS1_11target_archE906ELNS1_3gpuE6ELNS1_3repE0EEENS1_30default_config_static_selectorELNS0_4arch9wavefront6targetE1EEEvS14_.has_indirect_call, 0
	.section	.AMDGPU.csdata,"",@progbits
; Kernel info:
; codeLenInByte = 2792
; TotalNumSgprs: 34
; NumVgprs: 14
; ScratchSize: 0
; MemoryBound: 0
; FloatMode: 240
; IeeeMode: 1
; LDSByteSize: 64 bytes/workgroup (compile time only)
; SGPRBlocks: 4
; VGPRBlocks: 3
; NumSGPRsForWavesPerEU: 34
; NumVGPRsForWavesPerEU: 14
; Occupancy: 10
; WaveLimiterHint : 0
; COMPUTE_PGM_RSRC2:SCRATCH_EN: 0
; COMPUTE_PGM_RSRC2:USER_SGPR: 6
; COMPUTE_PGM_RSRC2:TRAP_HANDLER: 0
; COMPUTE_PGM_RSRC2:TGID_X_EN: 1
; COMPUTE_PGM_RSRC2:TGID_Y_EN: 0
; COMPUTE_PGM_RSRC2:TGID_Z_EN: 0
; COMPUTE_PGM_RSRC2:TIDIG_COMP_CNT: 0
	.section	.text._ZN7rocprim17ROCPRIM_400000_NS6detail17trampoline_kernelINS0_14default_configENS1_22reduce_config_selectorIN6thrust23THRUST_200600_302600_NS5tupleIblNS6_9null_typeES8_S8_S8_S8_S8_S8_S8_EEEEZNS1_11reduce_implILb1ES3_NS6_12zip_iteratorINS7_INS6_11hip_rocprim26transform_input_iterator_tIbNSD_35transform_pair_of_input_iterators_tIbNS6_6detail15normal_iteratorINS6_10device_ptrIKsEEEESL_NS6_8equal_toIsEEEENSG_9not_fun_tINSD_8identityEEEEENSD_19counting_iterator_tIlEES8_S8_S8_S8_S8_S8_S8_S8_EEEEPS9_S9_NSD_9__find_if7functorIS9_EEEE10hipError_tPvRmT1_T2_T3_mT4_P12ihipStream_tbEUlT_E0_NS1_11comp_targetILNS1_3genE10ELNS1_11target_archE1201ELNS1_3gpuE5ELNS1_3repE0EEENS1_30default_config_static_selectorELNS0_4arch9wavefront6targetE1EEEvS14_,"axG",@progbits,_ZN7rocprim17ROCPRIM_400000_NS6detail17trampoline_kernelINS0_14default_configENS1_22reduce_config_selectorIN6thrust23THRUST_200600_302600_NS5tupleIblNS6_9null_typeES8_S8_S8_S8_S8_S8_S8_EEEEZNS1_11reduce_implILb1ES3_NS6_12zip_iteratorINS7_INS6_11hip_rocprim26transform_input_iterator_tIbNSD_35transform_pair_of_input_iterators_tIbNS6_6detail15normal_iteratorINS6_10device_ptrIKsEEEESL_NS6_8equal_toIsEEEENSG_9not_fun_tINSD_8identityEEEEENSD_19counting_iterator_tIlEES8_S8_S8_S8_S8_S8_S8_S8_EEEEPS9_S9_NSD_9__find_if7functorIS9_EEEE10hipError_tPvRmT1_T2_T3_mT4_P12ihipStream_tbEUlT_E0_NS1_11comp_targetILNS1_3genE10ELNS1_11target_archE1201ELNS1_3gpuE5ELNS1_3repE0EEENS1_30default_config_static_selectorELNS0_4arch9wavefront6targetE1EEEvS14_,comdat
	.protected	_ZN7rocprim17ROCPRIM_400000_NS6detail17trampoline_kernelINS0_14default_configENS1_22reduce_config_selectorIN6thrust23THRUST_200600_302600_NS5tupleIblNS6_9null_typeES8_S8_S8_S8_S8_S8_S8_EEEEZNS1_11reduce_implILb1ES3_NS6_12zip_iteratorINS7_INS6_11hip_rocprim26transform_input_iterator_tIbNSD_35transform_pair_of_input_iterators_tIbNS6_6detail15normal_iteratorINS6_10device_ptrIKsEEEESL_NS6_8equal_toIsEEEENSG_9not_fun_tINSD_8identityEEEEENSD_19counting_iterator_tIlEES8_S8_S8_S8_S8_S8_S8_S8_EEEEPS9_S9_NSD_9__find_if7functorIS9_EEEE10hipError_tPvRmT1_T2_T3_mT4_P12ihipStream_tbEUlT_E0_NS1_11comp_targetILNS1_3genE10ELNS1_11target_archE1201ELNS1_3gpuE5ELNS1_3repE0EEENS1_30default_config_static_selectorELNS0_4arch9wavefront6targetE1EEEvS14_ ; -- Begin function _ZN7rocprim17ROCPRIM_400000_NS6detail17trampoline_kernelINS0_14default_configENS1_22reduce_config_selectorIN6thrust23THRUST_200600_302600_NS5tupleIblNS6_9null_typeES8_S8_S8_S8_S8_S8_S8_EEEEZNS1_11reduce_implILb1ES3_NS6_12zip_iteratorINS7_INS6_11hip_rocprim26transform_input_iterator_tIbNSD_35transform_pair_of_input_iterators_tIbNS6_6detail15normal_iteratorINS6_10device_ptrIKsEEEESL_NS6_8equal_toIsEEEENSG_9not_fun_tINSD_8identityEEEEENSD_19counting_iterator_tIlEES8_S8_S8_S8_S8_S8_S8_S8_EEEEPS9_S9_NSD_9__find_if7functorIS9_EEEE10hipError_tPvRmT1_T2_T3_mT4_P12ihipStream_tbEUlT_E0_NS1_11comp_targetILNS1_3genE10ELNS1_11target_archE1201ELNS1_3gpuE5ELNS1_3repE0EEENS1_30default_config_static_selectorELNS0_4arch9wavefront6targetE1EEEvS14_
	.globl	_ZN7rocprim17ROCPRIM_400000_NS6detail17trampoline_kernelINS0_14default_configENS1_22reduce_config_selectorIN6thrust23THRUST_200600_302600_NS5tupleIblNS6_9null_typeES8_S8_S8_S8_S8_S8_S8_EEEEZNS1_11reduce_implILb1ES3_NS6_12zip_iteratorINS7_INS6_11hip_rocprim26transform_input_iterator_tIbNSD_35transform_pair_of_input_iterators_tIbNS6_6detail15normal_iteratorINS6_10device_ptrIKsEEEESL_NS6_8equal_toIsEEEENSG_9not_fun_tINSD_8identityEEEEENSD_19counting_iterator_tIlEES8_S8_S8_S8_S8_S8_S8_S8_EEEEPS9_S9_NSD_9__find_if7functorIS9_EEEE10hipError_tPvRmT1_T2_T3_mT4_P12ihipStream_tbEUlT_E0_NS1_11comp_targetILNS1_3genE10ELNS1_11target_archE1201ELNS1_3gpuE5ELNS1_3repE0EEENS1_30default_config_static_selectorELNS0_4arch9wavefront6targetE1EEEvS14_
	.p2align	8
	.type	_ZN7rocprim17ROCPRIM_400000_NS6detail17trampoline_kernelINS0_14default_configENS1_22reduce_config_selectorIN6thrust23THRUST_200600_302600_NS5tupleIblNS6_9null_typeES8_S8_S8_S8_S8_S8_S8_EEEEZNS1_11reduce_implILb1ES3_NS6_12zip_iteratorINS7_INS6_11hip_rocprim26transform_input_iterator_tIbNSD_35transform_pair_of_input_iterators_tIbNS6_6detail15normal_iteratorINS6_10device_ptrIKsEEEESL_NS6_8equal_toIsEEEENSG_9not_fun_tINSD_8identityEEEEENSD_19counting_iterator_tIlEES8_S8_S8_S8_S8_S8_S8_S8_EEEEPS9_S9_NSD_9__find_if7functorIS9_EEEE10hipError_tPvRmT1_T2_T3_mT4_P12ihipStream_tbEUlT_E0_NS1_11comp_targetILNS1_3genE10ELNS1_11target_archE1201ELNS1_3gpuE5ELNS1_3repE0EEENS1_30default_config_static_selectorELNS0_4arch9wavefront6targetE1EEEvS14_,@function
_ZN7rocprim17ROCPRIM_400000_NS6detail17trampoline_kernelINS0_14default_configENS1_22reduce_config_selectorIN6thrust23THRUST_200600_302600_NS5tupleIblNS6_9null_typeES8_S8_S8_S8_S8_S8_S8_EEEEZNS1_11reduce_implILb1ES3_NS6_12zip_iteratorINS7_INS6_11hip_rocprim26transform_input_iterator_tIbNSD_35transform_pair_of_input_iterators_tIbNS6_6detail15normal_iteratorINS6_10device_ptrIKsEEEESL_NS6_8equal_toIsEEEENSG_9not_fun_tINSD_8identityEEEEENSD_19counting_iterator_tIlEES8_S8_S8_S8_S8_S8_S8_S8_EEEEPS9_S9_NSD_9__find_if7functorIS9_EEEE10hipError_tPvRmT1_T2_T3_mT4_P12ihipStream_tbEUlT_E0_NS1_11comp_targetILNS1_3genE10ELNS1_11target_archE1201ELNS1_3gpuE5ELNS1_3repE0EEENS1_30default_config_static_selectorELNS0_4arch9wavefront6targetE1EEEvS14_: ; @_ZN7rocprim17ROCPRIM_400000_NS6detail17trampoline_kernelINS0_14default_configENS1_22reduce_config_selectorIN6thrust23THRUST_200600_302600_NS5tupleIblNS6_9null_typeES8_S8_S8_S8_S8_S8_S8_EEEEZNS1_11reduce_implILb1ES3_NS6_12zip_iteratorINS7_INS6_11hip_rocprim26transform_input_iterator_tIbNSD_35transform_pair_of_input_iterators_tIbNS6_6detail15normal_iteratorINS6_10device_ptrIKsEEEESL_NS6_8equal_toIsEEEENSG_9not_fun_tINSD_8identityEEEEENSD_19counting_iterator_tIlEES8_S8_S8_S8_S8_S8_S8_S8_EEEEPS9_S9_NSD_9__find_if7functorIS9_EEEE10hipError_tPvRmT1_T2_T3_mT4_P12ihipStream_tbEUlT_E0_NS1_11comp_targetILNS1_3genE10ELNS1_11target_archE1201ELNS1_3gpuE5ELNS1_3repE0EEENS1_30default_config_static_selectorELNS0_4arch9wavefront6targetE1EEEvS14_
; %bb.0:
	.section	.rodata,"a",@progbits
	.p2align	6, 0x0
	.amdhsa_kernel _ZN7rocprim17ROCPRIM_400000_NS6detail17trampoline_kernelINS0_14default_configENS1_22reduce_config_selectorIN6thrust23THRUST_200600_302600_NS5tupleIblNS6_9null_typeES8_S8_S8_S8_S8_S8_S8_EEEEZNS1_11reduce_implILb1ES3_NS6_12zip_iteratorINS7_INS6_11hip_rocprim26transform_input_iterator_tIbNSD_35transform_pair_of_input_iterators_tIbNS6_6detail15normal_iteratorINS6_10device_ptrIKsEEEESL_NS6_8equal_toIsEEEENSG_9not_fun_tINSD_8identityEEEEENSD_19counting_iterator_tIlEES8_S8_S8_S8_S8_S8_S8_S8_EEEEPS9_S9_NSD_9__find_if7functorIS9_EEEE10hipError_tPvRmT1_T2_T3_mT4_P12ihipStream_tbEUlT_E0_NS1_11comp_targetILNS1_3genE10ELNS1_11target_archE1201ELNS1_3gpuE5ELNS1_3repE0EEENS1_30default_config_static_selectorELNS0_4arch9wavefront6targetE1EEEvS14_
		.amdhsa_group_segment_fixed_size 0
		.amdhsa_private_segment_fixed_size 0
		.amdhsa_kernarg_size 104
		.amdhsa_user_sgpr_count 6
		.amdhsa_user_sgpr_private_segment_buffer 1
		.amdhsa_user_sgpr_dispatch_ptr 0
		.amdhsa_user_sgpr_queue_ptr 0
		.amdhsa_user_sgpr_kernarg_segment_ptr 1
		.amdhsa_user_sgpr_dispatch_id 0
		.amdhsa_user_sgpr_flat_scratch_init 0
		.amdhsa_user_sgpr_private_segment_size 0
		.amdhsa_uses_dynamic_stack 0
		.amdhsa_system_sgpr_private_segment_wavefront_offset 0
		.amdhsa_system_sgpr_workgroup_id_x 1
		.amdhsa_system_sgpr_workgroup_id_y 0
		.amdhsa_system_sgpr_workgroup_id_z 0
		.amdhsa_system_sgpr_workgroup_info 0
		.amdhsa_system_vgpr_workitem_id 0
		.amdhsa_next_free_vgpr 1
		.amdhsa_next_free_sgpr 0
		.amdhsa_reserve_vcc 0
		.amdhsa_reserve_flat_scratch 0
		.amdhsa_float_round_mode_32 0
		.amdhsa_float_round_mode_16_64 0
		.amdhsa_float_denorm_mode_32 3
		.amdhsa_float_denorm_mode_16_64 3
		.amdhsa_dx10_clamp 1
		.amdhsa_ieee_mode 1
		.amdhsa_fp16_overflow 0
		.amdhsa_exception_fp_ieee_invalid_op 0
		.amdhsa_exception_fp_denorm_src 0
		.amdhsa_exception_fp_ieee_div_zero 0
		.amdhsa_exception_fp_ieee_overflow 0
		.amdhsa_exception_fp_ieee_underflow 0
		.amdhsa_exception_fp_ieee_inexact 0
		.amdhsa_exception_int_div_zero 0
	.end_amdhsa_kernel
	.section	.text._ZN7rocprim17ROCPRIM_400000_NS6detail17trampoline_kernelINS0_14default_configENS1_22reduce_config_selectorIN6thrust23THRUST_200600_302600_NS5tupleIblNS6_9null_typeES8_S8_S8_S8_S8_S8_S8_EEEEZNS1_11reduce_implILb1ES3_NS6_12zip_iteratorINS7_INS6_11hip_rocprim26transform_input_iterator_tIbNSD_35transform_pair_of_input_iterators_tIbNS6_6detail15normal_iteratorINS6_10device_ptrIKsEEEESL_NS6_8equal_toIsEEEENSG_9not_fun_tINSD_8identityEEEEENSD_19counting_iterator_tIlEES8_S8_S8_S8_S8_S8_S8_S8_EEEEPS9_S9_NSD_9__find_if7functorIS9_EEEE10hipError_tPvRmT1_T2_T3_mT4_P12ihipStream_tbEUlT_E0_NS1_11comp_targetILNS1_3genE10ELNS1_11target_archE1201ELNS1_3gpuE5ELNS1_3repE0EEENS1_30default_config_static_selectorELNS0_4arch9wavefront6targetE1EEEvS14_,"axG",@progbits,_ZN7rocprim17ROCPRIM_400000_NS6detail17trampoline_kernelINS0_14default_configENS1_22reduce_config_selectorIN6thrust23THRUST_200600_302600_NS5tupleIblNS6_9null_typeES8_S8_S8_S8_S8_S8_S8_EEEEZNS1_11reduce_implILb1ES3_NS6_12zip_iteratorINS7_INS6_11hip_rocprim26transform_input_iterator_tIbNSD_35transform_pair_of_input_iterators_tIbNS6_6detail15normal_iteratorINS6_10device_ptrIKsEEEESL_NS6_8equal_toIsEEEENSG_9not_fun_tINSD_8identityEEEEENSD_19counting_iterator_tIlEES8_S8_S8_S8_S8_S8_S8_S8_EEEEPS9_S9_NSD_9__find_if7functorIS9_EEEE10hipError_tPvRmT1_T2_T3_mT4_P12ihipStream_tbEUlT_E0_NS1_11comp_targetILNS1_3genE10ELNS1_11target_archE1201ELNS1_3gpuE5ELNS1_3repE0EEENS1_30default_config_static_selectorELNS0_4arch9wavefront6targetE1EEEvS14_,comdat
.Lfunc_end560:
	.size	_ZN7rocprim17ROCPRIM_400000_NS6detail17trampoline_kernelINS0_14default_configENS1_22reduce_config_selectorIN6thrust23THRUST_200600_302600_NS5tupleIblNS6_9null_typeES8_S8_S8_S8_S8_S8_S8_EEEEZNS1_11reduce_implILb1ES3_NS6_12zip_iteratorINS7_INS6_11hip_rocprim26transform_input_iterator_tIbNSD_35transform_pair_of_input_iterators_tIbNS6_6detail15normal_iteratorINS6_10device_ptrIKsEEEESL_NS6_8equal_toIsEEEENSG_9not_fun_tINSD_8identityEEEEENSD_19counting_iterator_tIlEES8_S8_S8_S8_S8_S8_S8_S8_EEEEPS9_S9_NSD_9__find_if7functorIS9_EEEE10hipError_tPvRmT1_T2_T3_mT4_P12ihipStream_tbEUlT_E0_NS1_11comp_targetILNS1_3genE10ELNS1_11target_archE1201ELNS1_3gpuE5ELNS1_3repE0EEENS1_30default_config_static_selectorELNS0_4arch9wavefront6targetE1EEEvS14_, .Lfunc_end560-_ZN7rocprim17ROCPRIM_400000_NS6detail17trampoline_kernelINS0_14default_configENS1_22reduce_config_selectorIN6thrust23THRUST_200600_302600_NS5tupleIblNS6_9null_typeES8_S8_S8_S8_S8_S8_S8_EEEEZNS1_11reduce_implILb1ES3_NS6_12zip_iteratorINS7_INS6_11hip_rocprim26transform_input_iterator_tIbNSD_35transform_pair_of_input_iterators_tIbNS6_6detail15normal_iteratorINS6_10device_ptrIKsEEEESL_NS6_8equal_toIsEEEENSG_9not_fun_tINSD_8identityEEEEENSD_19counting_iterator_tIlEES8_S8_S8_S8_S8_S8_S8_S8_EEEEPS9_S9_NSD_9__find_if7functorIS9_EEEE10hipError_tPvRmT1_T2_T3_mT4_P12ihipStream_tbEUlT_E0_NS1_11comp_targetILNS1_3genE10ELNS1_11target_archE1201ELNS1_3gpuE5ELNS1_3repE0EEENS1_30default_config_static_selectorELNS0_4arch9wavefront6targetE1EEEvS14_
                                        ; -- End function
	.set _ZN7rocprim17ROCPRIM_400000_NS6detail17trampoline_kernelINS0_14default_configENS1_22reduce_config_selectorIN6thrust23THRUST_200600_302600_NS5tupleIblNS6_9null_typeES8_S8_S8_S8_S8_S8_S8_EEEEZNS1_11reduce_implILb1ES3_NS6_12zip_iteratorINS7_INS6_11hip_rocprim26transform_input_iterator_tIbNSD_35transform_pair_of_input_iterators_tIbNS6_6detail15normal_iteratorINS6_10device_ptrIKsEEEESL_NS6_8equal_toIsEEEENSG_9not_fun_tINSD_8identityEEEEENSD_19counting_iterator_tIlEES8_S8_S8_S8_S8_S8_S8_S8_EEEEPS9_S9_NSD_9__find_if7functorIS9_EEEE10hipError_tPvRmT1_T2_T3_mT4_P12ihipStream_tbEUlT_E0_NS1_11comp_targetILNS1_3genE10ELNS1_11target_archE1201ELNS1_3gpuE5ELNS1_3repE0EEENS1_30default_config_static_selectorELNS0_4arch9wavefront6targetE1EEEvS14_.num_vgpr, 0
	.set _ZN7rocprim17ROCPRIM_400000_NS6detail17trampoline_kernelINS0_14default_configENS1_22reduce_config_selectorIN6thrust23THRUST_200600_302600_NS5tupleIblNS6_9null_typeES8_S8_S8_S8_S8_S8_S8_EEEEZNS1_11reduce_implILb1ES3_NS6_12zip_iteratorINS7_INS6_11hip_rocprim26transform_input_iterator_tIbNSD_35transform_pair_of_input_iterators_tIbNS6_6detail15normal_iteratorINS6_10device_ptrIKsEEEESL_NS6_8equal_toIsEEEENSG_9not_fun_tINSD_8identityEEEEENSD_19counting_iterator_tIlEES8_S8_S8_S8_S8_S8_S8_S8_EEEEPS9_S9_NSD_9__find_if7functorIS9_EEEE10hipError_tPvRmT1_T2_T3_mT4_P12ihipStream_tbEUlT_E0_NS1_11comp_targetILNS1_3genE10ELNS1_11target_archE1201ELNS1_3gpuE5ELNS1_3repE0EEENS1_30default_config_static_selectorELNS0_4arch9wavefront6targetE1EEEvS14_.num_agpr, 0
	.set _ZN7rocprim17ROCPRIM_400000_NS6detail17trampoline_kernelINS0_14default_configENS1_22reduce_config_selectorIN6thrust23THRUST_200600_302600_NS5tupleIblNS6_9null_typeES8_S8_S8_S8_S8_S8_S8_EEEEZNS1_11reduce_implILb1ES3_NS6_12zip_iteratorINS7_INS6_11hip_rocprim26transform_input_iterator_tIbNSD_35transform_pair_of_input_iterators_tIbNS6_6detail15normal_iteratorINS6_10device_ptrIKsEEEESL_NS6_8equal_toIsEEEENSG_9not_fun_tINSD_8identityEEEEENSD_19counting_iterator_tIlEES8_S8_S8_S8_S8_S8_S8_S8_EEEEPS9_S9_NSD_9__find_if7functorIS9_EEEE10hipError_tPvRmT1_T2_T3_mT4_P12ihipStream_tbEUlT_E0_NS1_11comp_targetILNS1_3genE10ELNS1_11target_archE1201ELNS1_3gpuE5ELNS1_3repE0EEENS1_30default_config_static_selectorELNS0_4arch9wavefront6targetE1EEEvS14_.numbered_sgpr, 0
	.set _ZN7rocprim17ROCPRIM_400000_NS6detail17trampoline_kernelINS0_14default_configENS1_22reduce_config_selectorIN6thrust23THRUST_200600_302600_NS5tupleIblNS6_9null_typeES8_S8_S8_S8_S8_S8_S8_EEEEZNS1_11reduce_implILb1ES3_NS6_12zip_iteratorINS7_INS6_11hip_rocprim26transform_input_iterator_tIbNSD_35transform_pair_of_input_iterators_tIbNS6_6detail15normal_iteratorINS6_10device_ptrIKsEEEESL_NS6_8equal_toIsEEEENSG_9not_fun_tINSD_8identityEEEEENSD_19counting_iterator_tIlEES8_S8_S8_S8_S8_S8_S8_S8_EEEEPS9_S9_NSD_9__find_if7functorIS9_EEEE10hipError_tPvRmT1_T2_T3_mT4_P12ihipStream_tbEUlT_E0_NS1_11comp_targetILNS1_3genE10ELNS1_11target_archE1201ELNS1_3gpuE5ELNS1_3repE0EEENS1_30default_config_static_selectorELNS0_4arch9wavefront6targetE1EEEvS14_.num_named_barrier, 0
	.set _ZN7rocprim17ROCPRIM_400000_NS6detail17trampoline_kernelINS0_14default_configENS1_22reduce_config_selectorIN6thrust23THRUST_200600_302600_NS5tupleIblNS6_9null_typeES8_S8_S8_S8_S8_S8_S8_EEEEZNS1_11reduce_implILb1ES3_NS6_12zip_iteratorINS7_INS6_11hip_rocprim26transform_input_iterator_tIbNSD_35transform_pair_of_input_iterators_tIbNS6_6detail15normal_iteratorINS6_10device_ptrIKsEEEESL_NS6_8equal_toIsEEEENSG_9not_fun_tINSD_8identityEEEEENSD_19counting_iterator_tIlEES8_S8_S8_S8_S8_S8_S8_S8_EEEEPS9_S9_NSD_9__find_if7functorIS9_EEEE10hipError_tPvRmT1_T2_T3_mT4_P12ihipStream_tbEUlT_E0_NS1_11comp_targetILNS1_3genE10ELNS1_11target_archE1201ELNS1_3gpuE5ELNS1_3repE0EEENS1_30default_config_static_selectorELNS0_4arch9wavefront6targetE1EEEvS14_.private_seg_size, 0
	.set _ZN7rocprim17ROCPRIM_400000_NS6detail17trampoline_kernelINS0_14default_configENS1_22reduce_config_selectorIN6thrust23THRUST_200600_302600_NS5tupleIblNS6_9null_typeES8_S8_S8_S8_S8_S8_S8_EEEEZNS1_11reduce_implILb1ES3_NS6_12zip_iteratorINS7_INS6_11hip_rocprim26transform_input_iterator_tIbNSD_35transform_pair_of_input_iterators_tIbNS6_6detail15normal_iteratorINS6_10device_ptrIKsEEEESL_NS6_8equal_toIsEEEENSG_9not_fun_tINSD_8identityEEEEENSD_19counting_iterator_tIlEES8_S8_S8_S8_S8_S8_S8_S8_EEEEPS9_S9_NSD_9__find_if7functorIS9_EEEE10hipError_tPvRmT1_T2_T3_mT4_P12ihipStream_tbEUlT_E0_NS1_11comp_targetILNS1_3genE10ELNS1_11target_archE1201ELNS1_3gpuE5ELNS1_3repE0EEENS1_30default_config_static_selectorELNS0_4arch9wavefront6targetE1EEEvS14_.uses_vcc, 0
	.set _ZN7rocprim17ROCPRIM_400000_NS6detail17trampoline_kernelINS0_14default_configENS1_22reduce_config_selectorIN6thrust23THRUST_200600_302600_NS5tupleIblNS6_9null_typeES8_S8_S8_S8_S8_S8_S8_EEEEZNS1_11reduce_implILb1ES3_NS6_12zip_iteratorINS7_INS6_11hip_rocprim26transform_input_iterator_tIbNSD_35transform_pair_of_input_iterators_tIbNS6_6detail15normal_iteratorINS6_10device_ptrIKsEEEESL_NS6_8equal_toIsEEEENSG_9not_fun_tINSD_8identityEEEEENSD_19counting_iterator_tIlEES8_S8_S8_S8_S8_S8_S8_S8_EEEEPS9_S9_NSD_9__find_if7functorIS9_EEEE10hipError_tPvRmT1_T2_T3_mT4_P12ihipStream_tbEUlT_E0_NS1_11comp_targetILNS1_3genE10ELNS1_11target_archE1201ELNS1_3gpuE5ELNS1_3repE0EEENS1_30default_config_static_selectorELNS0_4arch9wavefront6targetE1EEEvS14_.uses_flat_scratch, 0
	.set _ZN7rocprim17ROCPRIM_400000_NS6detail17trampoline_kernelINS0_14default_configENS1_22reduce_config_selectorIN6thrust23THRUST_200600_302600_NS5tupleIblNS6_9null_typeES8_S8_S8_S8_S8_S8_S8_EEEEZNS1_11reduce_implILb1ES3_NS6_12zip_iteratorINS7_INS6_11hip_rocprim26transform_input_iterator_tIbNSD_35transform_pair_of_input_iterators_tIbNS6_6detail15normal_iteratorINS6_10device_ptrIKsEEEESL_NS6_8equal_toIsEEEENSG_9not_fun_tINSD_8identityEEEEENSD_19counting_iterator_tIlEES8_S8_S8_S8_S8_S8_S8_S8_EEEEPS9_S9_NSD_9__find_if7functorIS9_EEEE10hipError_tPvRmT1_T2_T3_mT4_P12ihipStream_tbEUlT_E0_NS1_11comp_targetILNS1_3genE10ELNS1_11target_archE1201ELNS1_3gpuE5ELNS1_3repE0EEENS1_30default_config_static_selectorELNS0_4arch9wavefront6targetE1EEEvS14_.has_dyn_sized_stack, 0
	.set _ZN7rocprim17ROCPRIM_400000_NS6detail17trampoline_kernelINS0_14default_configENS1_22reduce_config_selectorIN6thrust23THRUST_200600_302600_NS5tupleIblNS6_9null_typeES8_S8_S8_S8_S8_S8_S8_EEEEZNS1_11reduce_implILb1ES3_NS6_12zip_iteratorINS7_INS6_11hip_rocprim26transform_input_iterator_tIbNSD_35transform_pair_of_input_iterators_tIbNS6_6detail15normal_iteratorINS6_10device_ptrIKsEEEESL_NS6_8equal_toIsEEEENSG_9not_fun_tINSD_8identityEEEEENSD_19counting_iterator_tIlEES8_S8_S8_S8_S8_S8_S8_S8_EEEEPS9_S9_NSD_9__find_if7functorIS9_EEEE10hipError_tPvRmT1_T2_T3_mT4_P12ihipStream_tbEUlT_E0_NS1_11comp_targetILNS1_3genE10ELNS1_11target_archE1201ELNS1_3gpuE5ELNS1_3repE0EEENS1_30default_config_static_selectorELNS0_4arch9wavefront6targetE1EEEvS14_.has_recursion, 0
	.set _ZN7rocprim17ROCPRIM_400000_NS6detail17trampoline_kernelINS0_14default_configENS1_22reduce_config_selectorIN6thrust23THRUST_200600_302600_NS5tupleIblNS6_9null_typeES8_S8_S8_S8_S8_S8_S8_EEEEZNS1_11reduce_implILb1ES3_NS6_12zip_iteratorINS7_INS6_11hip_rocprim26transform_input_iterator_tIbNSD_35transform_pair_of_input_iterators_tIbNS6_6detail15normal_iteratorINS6_10device_ptrIKsEEEESL_NS6_8equal_toIsEEEENSG_9not_fun_tINSD_8identityEEEEENSD_19counting_iterator_tIlEES8_S8_S8_S8_S8_S8_S8_S8_EEEEPS9_S9_NSD_9__find_if7functorIS9_EEEE10hipError_tPvRmT1_T2_T3_mT4_P12ihipStream_tbEUlT_E0_NS1_11comp_targetILNS1_3genE10ELNS1_11target_archE1201ELNS1_3gpuE5ELNS1_3repE0EEENS1_30default_config_static_selectorELNS0_4arch9wavefront6targetE1EEEvS14_.has_indirect_call, 0
	.section	.AMDGPU.csdata,"",@progbits
; Kernel info:
; codeLenInByte = 0
; TotalNumSgprs: 4
; NumVgprs: 0
; ScratchSize: 0
; MemoryBound: 0
; FloatMode: 240
; IeeeMode: 1
; LDSByteSize: 0 bytes/workgroup (compile time only)
; SGPRBlocks: 0
; VGPRBlocks: 0
; NumSGPRsForWavesPerEU: 4
; NumVGPRsForWavesPerEU: 1
; Occupancy: 10
; WaveLimiterHint : 0
; COMPUTE_PGM_RSRC2:SCRATCH_EN: 0
; COMPUTE_PGM_RSRC2:USER_SGPR: 6
; COMPUTE_PGM_RSRC2:TRAP_HANDLER: 0
; COMPUTE_PGM_RSRC2:TGID_X_EN: 1
; COMPUTE_PGM_RSRC2:TGID_Y_EN: 0
; COMPUTE_PGM_RSRC2:TGID_Z_EN: 0
; COMPUTE_PGM_RSRC2:TIDIG_COMP_CNT: 0
	.section	.text._ZN7rocprim17ROCPRIM_400000_NS6detail17trampoline_kernelINS0_14default_configENS1_22reduce_config_selectorIN6thrust23THRUST_200600_302600_NS5tupleIblNS6_9null_typeES8_S8_S8_S8_S8_S8_S8_EEEEZNS1_11reduce_implILb1ES3_NS6_12zip_iteratorINS7_INS6_11hip_rocprim26transform_input_iterator_tIbNSD_35transform_pair_of_input_iterators_tIbNS6_6detail15normal_iteratorINS6_10device_ptrIKsEEEESL_NS6_8equal_toIsEEEENSG_9not_fun_tINSD_8identityEEEEENSD_19counting_iterator_tIlEES8_S8_S8_S8_S8_S8_S8_S8_EEEEPS9_S9_NSD_9__find_if7functorIS9_EEEE10hipError_tPvRmT1_T2_T3_mT4_P12ihipStream_tbEUlT_E0_NS1_11comp_targetILNS1_3genE10ELNS1_11target_archE1200ELNS1_3gpuE4ELNS1_3repE0EEENS1_30default_config_static_selectorELNS0_4arch9wavefront6targetE1EEEvS14_,"axG",@progbits,_ZN7rocprim17ROCPRIM_400000_NS6detail17trampoline_kernelINS0_14default_configENS1_22reduce_config_selectorIN6thrust23THRUST_200600_302600_NS5tupleIblNS6_9null_typeES8_S8_S8_S8_S8_S8_S8_EEEEZNS1_11reduce_implILb1ES3_NS6_12zip_iteratorINS7_INS6_11hip_rocprim26transform_input_iterator_tIbNSD_35transform_pair_of_input_iterators_tIbNS6_6detail15normal_iteratorINS6_10device_ptrIKsEEEESL_NS6_8equal_toIsEEEENSG_9not_fun_tINSD_8identityEEEEENSD_19counting_iterator_tIlEES8_S8_S8_S8_S8_S8_S8_S8_EEEEPS9_S9_NSD_9__find_if7functorIS9_EEEE10hipError_tPvRmT1_T2_T3_mT4_P12ihipStream_tbEUlT_E0_NS1_11comp_targetILNS1_3genE10ELNS1_11target_archE1200ELNS1_3gpuE4ELNS1_3repE0EEENS1_30default_config_static_selectorELNS0_4arch9wavefront6targetE1EEEvS14_,comdat
	.protected	_ZN7rocprim17ROCPRIM_400000_NS6detail17trampoline_kernelINS0_14default_configENS1_22reduce_config_selectorIN6thrust23THRUST_200600_302600_NS5tupleIblNS6_9null_typeES8_S8_S8_S8_S8_S8_S8_EEEEZNS1_11reduce_implILb1ES3_NS6_12zip_iteratorINS7_INS6_11hip_rocprim26transform_input_iterator_tIbNSD_35transform_pair_of_input_iterators_tIbNS6_6detail15normal_iteratorINS6_10device_ptrIKsEEEESL_NS6_8equal_toIsEEEENSG_9not_fun_tINSD_8identityEEEEENSD_19counting_iterator_tIlEES8_S8_S8_S8_S8_S8_S8_S8_EEEEPS9_S9_NSD_9__find_if7functorIS9_EEEE10hipError_tPvRmT1_T2_T3_mT4_P12ihipStream_tbEUlT_E0_NS1_11comp_targetILNS1_3genE10ELNS1_11target_archE1200ELNS1_3gpuE4ELNS1_3repE0EEENS1_30default_config_static_selectorELNS0_4arch9wavefront6targetE1EEEvS14_ ; -- Begin function _ZN7rocprim17ROCPRIM_400000_NS6detail17trampoline_kernelINS0_14default_configENS1_22reduce_config_selectorIN6thrust23THRUST_200600_302600_NS5tupleIblNS6_9null_typeES8_S8_S8_S8_S8_S8_S8_EEEEZNS1_11reduce_implILb1ES3_NS6_12zip_iteratorINS7_INS6_11hip_rocprim26transform_input_iterator_tIbNSD_35transform_pair_of_input_iterators_tIbNS6_6detail15normal_iteratorINS6_10device_ptrIKsEEEESL_NS6_8equal_toIsEEEENSG_9not_fun_tINSD_8identityEEEEENSD_19counting_iterator_tIlEES8_S8_S8_S8_S8_S8_S8_S8_EEEEPS9_S9_NSD_9__find_if7functorIS9_EEEE10hipError_tPvRmT1_T2_T3_mT4_P12ihipStream_tbEUlT_E0_NS1_11comp_targetILNS1_3genE10ELNS1_11target_archE1200ELNS1_3gpuE4ELNS1_3repE0EEENS1_30default_config_static_selectorELNS0_4arch9wavefront6targetE1EEEvS14_
	.globl	_ZN7rocprim17ROCPRIM_400000_NS6detail17trampoline_kernelINS0_14default_configENS1_22reduce_config_selectorIN6thrust23THRUST_200600_302600_NS5tupleIblNS6_9null_typeES8_S8_S8_S8_S8_S8_S8_EEEEZNS1_11reduce_implILb1ES3_NS6_12zip_iteratorINS7_INS6_11hip_rocprim26transform_input_iterator_tIbNSD_35transform_pair_of_input_iterators_tIbNS6_6detail15normal_iteratorINS6_10device_ptrIKsEEEESL_NS6_8equal_toIsEEEENSG_9not_fun_tINSD_8identityEEEEENSD_19counting_iterator_tIlEES8_S8_S8_S8_S8_S8_S8_S8_EEEEPS9_S9_NSD_9__find_if7functorIS9_EEEE10hipError_tPvRmT1_T2_T3_mT4_P12ihipStream_tbEUlT_E0_NS1_11comp_targetILNS1_3genE10ELNS1_11target_archE1200ELNS1_3gpuE4ELNS1_3repE0EEENS1_30default_config_static_selectorELNS0_4arch9wavefront6targetE1EEEvS14_
	.p2align	8
	.type	_ZN7rocprim17ROCPRIM_400000_NS6detail17trampoline_kernelINS0_14default_configENS1_22reduce_config_selectorIN6thrust23THRUST_200600_302600_NS5tupleIblNS6_9null_typeES8_S8_S8_S8_S8_S8_S8_EEEEZNS1_11reduce_implILb1ES3_NS6_12zip_iteratorINS7_INS6_11hip_rocprim26transform_input_iterator_tIbNSD_35transform_pair_of_input_iterators_tIbNS6_6detail15normal_iteratorINS6_10device_ptrIKsEEEESL_NS6_8equal_toIsEEEENSG_9not_fun_tINSD_8identityEEEEENSD_19counting_iterator_tIlEES8_S8_S8_S8_S8_S8_S8_S8_EEEEPS9_S9_NSD_9__find_if7functorIS9_EEEE10hipError_tPvRmT1_T2_T3_mT4_P12ihipStream_tbEUlT_E0_NS1_11comp_targetILNS1_3genE10ELNS1_11target_archE1200ELNS1_3gpuE4ELNS1_3repE0EEENS1_30default_config_static_selectorELNS0_4arch9wavefront6targetE1EEEvS14_,@function
_ZN7rocprim17ROCPRIM_400000_NS6detail17trampoline_kernelINS0_14default_configENS1_22reduce_config_selectorIN6thrust23THRUST_200600_302600_NS5tupleIblNS6_9null_typeES8_S8_S8_S8_S8_S8_S8_EEEEZNS1_11reduce_implILb1ES3_NS6_12zip_iteratorINS7_INS6_11hip_rocprim26transform_input_iterator_tIbNSD_35transform_pair_of_input_iterators_tIbNS6_6detail15normal_iteratorINS6_10device_ptrIKsEEEESL_NS6_8equal_toIsEEEENSG_9not_fun_tINSD_8identityEEEEENSD_19counting_iterator_tIlEES8_S8_S8_S8_S8_S8_S8_S8_EEEEPS9_S9_NSD_9__find_if7functorIS9_EEEE10hipError_tPvRmT1_T2_T3_mT4_P12ihipStream_tbEUlT_E0_NS1_11comp_targetILNS1_3genE10ELNS1_11target_archE1200ELNS1_3gpuE4ELNS1_3repE0EEENS1_30default_config_static_selectorELNS0_4arch9wavefront6targetE1EEEvS14_: ; @_ZN7rocprim17ROCPRIM_400000_NS6detail17trampoline_kernelINS0_14default_configENS1_22reduce_config_selectorIN6thrust23THRUST_200600_302600_NS5tupleIblNS6_9null_typeES8_S8_S8_S8_S8_S8_S8_EEEEZNS1_11reduce_implILb1ES3_NS6_12zip_iteratorINS7_INS6_11hip_rocprim26transform_input_iterator_tIbNSD_35transform_pair_of_input_iterators_tIbNS6_6detail15normal_iteratorINS6_10device_ptrIKsEEEESL_NS6_8equal_toIsEEEENSG_9not_fun_tINSD_8identityEEEEENSD_19counting_iterator_tIlEES8_S8_S8_S8_S8_S8_S8_S8_EEEEPS9_S9_NSD_9__find_if7functorIS9_EEEE10hipError_tPvRmT1_T2_T3_mT4_P12ihipStream_tbEUlT_E0_NS1_11comp_targetILNS1_3genE10ELNS1_11target_archE1200ELNS1_3gpuE4ELNS1_3repE0EEENS1_30default_config_static_selectorELNS0_4arch9wavefront6targetE1EEEvS14_
; %bb.0:
	.section	.rodata,"a",@progbits
	.p2align	6, 0x0
	.amdhsa_kernel _ZN7rocprim17ROCPRIM_400000_NS6detail17trampoline_kernelINS0_14default_configENS1_22reduce_config_selectorIN6thrust23THRUST_200600_302600_NS5tupleIblNS6_9null_typeES8_S8_S8_S8_S8_S8_S8_EEEEZNS1_11reduce_implILb1ES3_NS6_12zip_iteratorINS7_INS6_11hip_rocprim26transform_input_iterator_tIbNSD_35transform_pair_of_input_iterators_tIbNS6_6detail15normal_iteratorINS6_10device_ptrIKsEEEESL_NS6_8equal_toIsEEEENSG_9not_fun_tINSD_8identityEEEEENSD_19counting_iterator_tIlEES8_S8_S8_S8_S8_S8_S8_S8_EEEEPS9_S9_NSD_9__find_if7functorIS9_EEEE10hipError_tPvRmT1_T2_T3_mT4_P12ihipStream_tbEUlT_E0_NS1_11comp_targetILNS1_3genE10ELNS1_11target_archE1200ELNS1_3gpuE4ELNS1_3repE0EEENS1_30default_config_static_selectorELNS0_4arch9wavefront6targetE1EEEvS14_
		.amdhsa_group_segment_fixed_size 0
		.amdhsa_private_segment_fixed_size 0
		.amdhsa_kernarg_size 104
		.amdhsa_user_sgpr_count 6
		.amdhsa_user_sgpr_private_segment_buffer 1
		.amdhsa_user_sgpr_dispatch_ptr 0
		.amdhsa_user_sgpr_queue_ptr 0
		.amdhsa_user_sgpr_kernarg_segment_ptr 1
		.amdhsa_user_sgpr_dispatch_id 0
		.amdhsa_user_sgpr_flat_scratch_init 0
		.amdhsa_user_sgpr_private_segment_size 0
		.amdhsa_uses_dynamic_stack 0
		.amdhsa_system_sgpr_private_segment_wavefront_offset 0
		.amdhsa_system_sgpr_workgroup_id_x 1
		.amdhsa_system_sgpr_workgroup_id_y 0
		.amdhsa_system_sgpr_workgroup_id_z 0
		.amdhsa_system_sgpr_workgroup_info 0
		.amdhsa_system_vgpr_workitem_id 0
		.amdhsa_next_free_vgpr 1
		.amdhsa_next_free_sgpr 0
		.amdhsa_reserve_vcc 0
		.amdhsa_reserve_flat_scratch 0
		.amdhsa_float_round_mode_32 0
		.amdhsa_float_round_mode_16_64 0
		.amdhsa_float_denorm_mode_32 3
		.amdhsa_float_denorm_mode_16_64 3
		.amdhsa_dx10_clamp 1
		.amdhsa_ieee_mode 1
		.amdhsa_fp16_overflow 0
		.amdhsa_exception_fp_ieee_invalid_op 0
		.amdhsa_exception_fp_denorm_src 0
		.amdhsa_exception_fp_ieee_div_zero 0
		.amdhsa_exception_fp_ieee_overflow 0
		.amdhsa_exception_fp_ieee_underflow 0
		.amdhsa_exception_fp_ieee_inexact 0
		.amdhsa_exception_int_div_zero 0
	.end_amdhsa_kernel
	.section	.text._ZN7rocprim17ROCPRIM_400000_NS6detail17trampoline_kernelINS0_14default_configENS1_22reduce_config_selectorIN6thrust23THRUST_200600_302600_NS5tupleIblNS6_9null_typeES8_S8_S8_S8_S8_S8_S8_EEEEZNS1_11reduce_implILb1ES3_NS6_12zip_iteratorINS7_INS6_11hip_rocprim26transform_input_iterator_tIbNSD_35transform_pair_of_input_iterators_tIbNS6_6detail15normal_iteratorINS6_10device_ptrIKsEEEESL_NS6_8equal_toIsEEEENSG_9not_fun_tINSD_8identityEEEEENSD_19counting_iterator_tIlEES8_S8_S8_S8_S8_S8_S8_S8_EEEEPS9_S9_NSD_9__find_if7functorIS9_EEEE10hipError_tPvRmT1_T2_T3_mT4_P12ihipStream_tbEUlT_E0_NS1_11comp_targetILNS1_3genE10ELNS1_11target_archE1200ELNS1_3gpuE4ELNS1_3repE0EEENS1_30default_config_static_selectorELNS0_4arch9wavefront6targetE1EEEvS14_,"axG",@progbits,_ZN7rocprim17ROCPRIM_400000_NS6detail17trampoline_kernelINS0_14default_configENS1_22reduce_config_selectorIN6thrust23THRUST_200600_302600_NS5tupleIblNS6_9null_typeES8_S8_S8_S8_S8_S8_S8_EEEEZNS1_11reduce_implILb1ES3_NS6_12zip_iteratorINS7_INS6_11hip_rocprim26transform_input_iterator_tIbNSD_35transform_pair_of_input_iterators_tIbNS6_6detail15normal_iteratorINS6_10device_ptrIKsEEEESL_NS6_8equal_toIsEEEENSG_9not_fun_tINSD_8identityEEEEENSD_19counting_iterator_tIlEES8_S8_S8_S8_S8_S8_S8_S8_EEEEPS9_S9_NSD_9__find_if7functorIS9_EEEE10hipError_tPvRmT1_T2_T3_mT4_P12ihipStream_tbEUlT_E0_NS1_11comp_targetILNS1_3genE10ELNS1_11target_archE1200ELNS1_3gpuE4ELNS1_3repE0EEENS1_30default_config_static_selectorELNS0_4arch9wavefront6targetE1EEEvS14_,comdat
.Lfunc_end561:
	.size	_ZN7rocprim17ROCPRIM_400000_NS6detail17trampoline_kernelINS0_14default_configENS1_22reduce_config_selectorIN6thrust23THRUST_200600_302600_NS5tupleIblNS6_9null_typeES8_S8_S8_S8_S8_S8_S8_EEEEZNS1_11reduce_implILb1ES3_NS6_12zip_iteratorINS7_INS6_11hip_rocprim26transform_input_iterator_tIbNSD_35transform_pair_of_input_iterators_tIbNS6_6detail15normal_iteratorINS6_10device_ptrIKsEEEESL_NS6_8equal_toIsEEEENSG_9not_fun_tINSD_8identityEEEEENSD_19counting_iterator_tIlEES8_S8_S8_S8_S8_S8_S8_S8_EEEEPS9_S9_NSD_9__find_if7functorIS9_EEEE10hipError_tPvRmT1_T2_T3_mT4_P12ihipStream_tbEUlT_E0_NS1_11comp_targetILNS1_3genE10ELNS1_11target_archE1200ELNS1_3gpuE4ELNS1_3repE0EEENS1_30default_config_static_selectorELNS0_4arch9wavefront6targetE1EEEvS14_, .Lfunc_end561-_ZN7rocprim17ROCPRIM_400000_NS6detail17trampoline_kernelINS0_14default_configENS1_22reduce_config_selectorIN6thrust23THRUST_200600_302600_NS5tupleIblNS6_9null_typeES8_S8_S8_S8_S8_S8_S8_EEEEZNS1_11reduce_implILb1ES3_NS6_12zip_iteratorINS7_INS6_11hip_rocprim26transform_input_iterator_tIbNSD_35transform_pair_of_input_iterators_tIbNS6_6detail15normal_iteratorINS6_10device_ptrIKsEEEESL_NS6_8equal_toIsEEEENSG_9not_fun_tINSD_8identityEEEEENSD_19counting_iterator_tIlEES8_S8_S8_S8_S8_S8_S8_S8_EEEEPS9_S9_NSD_9__find_if7functorIS9_EEEE10hipError_tPvRmT1_T2_T3_mT4_P12ihipStream_tbEUlT_E0_NS1_11comp_targetILNS1_3genE10ELNS1_11target_archE1200ELNS1_3gpuE4ELNS1_3repE0EEENS1_30default_config_static_selectorELNS0_4arch9wavefront6targetE1EEEvS14_
                                        ; -- End function
	.set _ZN7rocprim17ROCPRIM_400000_NS6detail17trampoline_kernelINS0_14default_configENS1_22reduce_config_selectorIN6thrust23THRUST_200600_302600_NS5tupleIblNS6_9null_typeES8_S8_S8_S8_S8_S8_S8_EEEEZNS1_11reduce_implILb1ES3_NS6_12zip_iteratorINS7_INS6_11hip_rocprim26transform_input_iterator_tIbNSD_35transform_pair_of_input_iterators_tIbNS6_6detail15normal_iteratorINS6_10device_ptrIKsEEEESL_NS6_8equal_toIsEEEENSG_9not_fun_tINSD_8identityEEEEENSD_19counting_iterator_tIlEES8_S8_S8_S8_S8_S8_S8_S8_EEEEPS9_S9_NSD_9__find_if7functorIS9_EEEE10hipError_tPvRmT1_T2_T3_mT4_P12ihipStream_tbEUlT_E0_NS1_11comp_targetILNS1_3genE10ELNS1_11target_archE1200ELNS1_3gpuE4ELNS1_3repE0EEENS1_30default_config_static_selectorELNS0_4arch9wavefront6targetE1EEEvS14_.num_vgpr, 0
	.set _ZN7rocprim17ROCPRIM_400000_NS6detail17trampoline_kernelINS0_14default_configENS1_22reduce_config_selectorIN6thrust23THRUST_200600_302600_NS5tupleIblNS6_9null_typeES8_S8_S8_S8_S8_S8_S8_EEEEZNS1_11reduce_implILb1ES3_NS6_12zip_iteratorINS7_INS6_11hip_rocprim26transform_input_iterator_tIbNSD_35transform_pair_of_input_iterators_tIbNS6_6detail15normal_iteratorINS6_10device_ptrIKsEEEESL_NS6_8equal_toIsEEEENSG_9not_fun_tINSD_8identityEEEEENSD_19counting_iterator_tIlEES8_S8_S8_S8_S8_S8_S8_S8_EEEEPS9_S9_NSD_9__find_if7functorIS9_EEEE10hipError_tPvRmT1_T2_T3_mT4_P12ihipStream_tbEUlT_E0_NS1_11comp_targetILNS1_3genE10ELNS1_11target_archE1200ELNS1_3gpuE4ELNS1_3repE0EEENS1_30default_config_static_selectorELNS0_4arch9wavefront6targetE1EEEvS14_.num_agpr, 0
	.set _ZN7rocprim17ROCPRIM_400000_NS6detail17trampoline_kernelINS0_14default_configENS1_22reduce_config_selectorIN6thrust23THRUST_200600_302600_NS5tupleIblNS6_9null_typeES8_S8_S8_S8_S8_S8_S8_EEEEZNS1_11reduce_implILb1ES3_NS6_12zip_iteratorINS7_INS6_11hip_rocprim26transform_input_iterator_tIbNSD_35transform_pair_of_input_iterators_tIbNS6_6detail15normal_iteratorINS6_10device_ptrIKsEEEESL_NS6_8equal_toIsEEEENSG_9not_fun_tINSD_8identityEEEEENSD_19counting_iterator_tIlEES8_S8_S8_S8_S8_S8_S8_S8_EEEEPS9_S9_NSD_9__find_if7functorIS9_EEEE10hipError_tPvRmT1_T2_T3_mT4_P12ihipStream_tbEUlT_E0_NS1_11comp_targetILNS1_3genE10ELNS1_11target_archE1200ELNS1_3gpuE4ELNS1_3repE0EEENS1_30default_config_static_selectorELNS0_4arch9wavefront6targetE1EEEvS14_.numbered_sgpr, 0
	.set _ZN7rocprim17ROCPRIM_400000_NS6detail17trampoline_kernelINS0_14default_configENS1_22reduce_config_selectorIN6thrust23THRUST_200600_302600_NS5tupleIblNS6_9null_typeES8_S8_S8_S8_S8_S8_S8_EEEEZNS1_11reduce_implILb1ES3_NS6_12zip_iteratorINS7_INS6_11hip_rocprim26transform_input_iterator_tIbNSD_35transform_pair_of_input_iterators_tIbNS6_6detail15normal_iteratorINS6_10device_ptrIKsEEEESL_NS6_8equal_toIsEEEENSG_9not_fun_tINSD_8identityEEEEENSD_19counting_iterator_tIlEES8_S8_S8_S8_S8_S8_S8_S8_EEEEPS9_S9_NSD_9__find_if7functorIS9_EEEE10hipError_tPvRmT1_T2_T3_mT4_P12ihipStream_tbEUlT_E0_NS1_11comp_targetILNS1_3genE10ELNS1_11target_archE1200ELNS1_3gpuE4ELNS1_3repE0EEENS1_30default_config_static_selectorELNS0_4arch9wavefront6targetE1EEEvS14_.num_named_barrier, 0
	.set _ZN7rocprim17ROCPRIM_400000_NS6detail17trampoline_kernelINS0_14default_configENS1_22reduce_config_selectorIN6thrust23THRUST_200600_302600_NS5tupleIblNS6_9null_typeES8_S8_S8_S8_S8_S8_S8_EEEEZNS1_11reduce_implILb1ES3_NS6_12zip_iteratorINS7_INS6_11hip_rocprim26transform_input_iterator_tIbNSD_35transform_pair_of_input_iterators_tIbNS6_6detail15normal_iteratorINS6_10device_ptrIKsEEEESL_NS6_8equal_toIsEEEENSG_9not_fun_tINSD_8identityEEEEENSD_19counting_iterator_tIlEES8_S8_S8_S8_S8_S8_S8_S8_EEEEPS9_S9_NSD_9__find_if7functorIS9_EEEE10hipError_tPvRmT1_T2_T3_mT4_P12ihipStream_tbEUlT_E0_NS1_11comp_targetILNS1_3genE10ELNS1_11target_archE1200ELNS1_3gpuE4ELNS1_3repE0EEENS1_30default_config_static_selectorELNS0_4arch9wavefront6targetE1EEEvS14_.private_seg_size, 0
	.set _ZN7rocprim17ROCPRIM_400000_NS6detail17trampoline_kernelINS0_14default_configENS1_22reduce_config_selectorIN6thrust23THRUST_200600_302600_NS5tupleIblNS6_9null_typeES8_S8_S8_S8_S8_S8_S8_EEEEZNS1_11reduce_implILb1ES3_NS6_12zip_iteratorINS7_INS6_11hip_rocprim26transform_input_iterator_tIbNSD_35transform_pair_of_input_iterators_tIbNS6_6detail15normal_iteratorINS6_10device_ptrIKsEEEESL_NS6_8equal_toIsEEEENSG_9not_fun_tINSD_8identityEEEEENSD_19counting_iterator_tIlEES8_S8_S8_S8_S8_S8_S8_S8_EEEEPS9_S9_NSD_9__find_if7functorIS9_EEEE10hipError_tPvRmT1_T2_T3_mT4_P12ihipStream_tbEUlT_E0_NS1_11comp_targetILNS1_3genE10ELNS1_11target_archE1200ELNS1_3gpuE4ELNS1_3repE0EEENS1_30default_config_static_selectorELNS0_4arch9wavefront6targetE1EEEvS14_.uses_vcc, 0
	.set _ZN7rocprim17ROCPRIM_400000_NS6detail17trampoline_kernelINS0_14default_configENS1_22reduce_config_selectorIN6thrust23THRUST_200600_302600_NS5tupleIblNS6_9null_typeES8_S8_S8_S8_S8_S8_S8_EEEEZNS1_11reduce_implILb1ES3_NS6_12zip_iteratorINS7_INS6_11hip_rocprim26transform_input_iterator_tIbNSD_35transform_pair_of_input_iterators_tIbNS6_6detail15normal_iteratorINS6_10device_ptrIKsEEEESL_NS6_8equal_toIsEEEENSG_9not_fun_tINSD_8identityEEEEENSD_19counting_iterator_tIlEES8_S8_S8_S8_S8_S8_S8_S8_EEEEPS9_S9_NSD_9__find_if7functorIS9_EEEE10hipError_tPvRmT1_T2_T3_mT4_P12ihipStream_tbEUlT_E0_NS1_11comp_targetILNS1_3genE10ELNS1_11target_archE1200ELNS1_3gpuE4ELNS1_3repE0EEENS1_30default_config_static_selectorELNS0_4arch9wavefront6targetE1EEEvS14_.uses_flat_scratch, 0
	.set _ZN7rocprim17ROCPRIM_400000_NS6detail17trampoline_kernelINS0_14default_configENS1_22reduce_config_selectorIN6thrust23THRUST_200600_302600_NS5tupleIblNS6_9null_typeES8_S8_S8_S8_S8_S8_S8_EEEEZNS1_11reduce_implILb1ES3_NS6_12zip_iteratorINS7_INS6_11hip_rocprim26transform_input_iterator_tIbNSD_35transform_pair_of_input_iterators_tIbNS6_6detail15normal_iteratorINS6_10device_ptrIKsEEEESL_NS6_8equal_toIsEEEENSG_9not_fun_tINSD_8identityEEEEENSD_19counting_iterator_tIlEES8_S8_S8_S8_S8_S8_S8_S8_EEEEPS9_S9_NSD_9__find_if7functorIS9_EEEE10hipError_tPvRmT1_T2_T3_mT4_P12ihipStream_tbEUlT_E0_NS1_11comp_targetILNS1_3genE10ELNS1_11target_archE1200ELNS1_3gpuE4ELNS1_3repE0EEENS1_30default_config_static_selectorELNS0_4arch9wavefront6targetE1EEEvS14_.has_dyn_sized_stack, 0
	.set _ZN7rocprim17ROCPRIM_400000_NS6detail17trampoline_kernelINS0_14default_configENS1_22reduce_config_selectorIN6thrust23THRUST_200600_302600_NS5tupleIblNS6_9null_typeES8_S8_S8_S8_S8_S8_S8_EEEEZNS1_11reduce_implILb1ES3_NS6_12zip_iteratorINS7_INS6_11hip_rocprim26transform_input_iterator_tIbNSD_35transform_pair_of_input_iterators_tIbNS6_6detail15normal_iteratorINS6_10device_ptrIKsEEEESL_NS6_8equal_toIsEEEENSG_9not_fun_tINSD_8identityEEEEENSD_19counting_iterator_tIlEES8_S8_S8_S8_S8_S8_S8_S8_EEEEPS9_S9_NSD_9__find_if7functorIS9_EEEE10hipError_tPvRmT1_T2_T3_mT4_P12ihipStream_tbEUlT_E0_NS1_11comp_targetILNS1_3genE10ELNS1_11target_archE1200ELNS1_3gpuE4ELNS1_3repE0EEENS1_30default_config_static_selectorELNS0_4arch9wavefront6targetE1EEEvS14_.has_recursion, 0
	.set _ZN7rocprim17ROCPRIM_400000_NS6detail17trampoline_kernelINS0_14default_configENS1_22reduce_config_selectorIN6thrust23THRUST_200600_302600_NS5tupleIblNS6_9null_typeES8_S8_S8_S8_S8_S8_S8_EEEEZNS1_11reduce_implILb1ES3_NS6_12zip_iteratorINS7_INS6_11hip_rocprim26transform_input_iterator_tIbNSD_35transform_pair_of_input_iterators_tIbNS6_6detail15normal_iteratorINS6_10device_ptrIKsEEEESL_NS6_8equal_toIsEEEENSG_9not_fun_tINSD_8identityEEEEENSD_19counting_iterator_tIlEES8_S8_S8_S8_S8_S8_S8_S8_EEEEPS9_S9_NSD_9__find_if7functorIS9_EEEE10hipError_tPvRmT1_T2_T3_mT4_P12ihipStream_tbEUlT_E0_NS1_11comp_targetILNS1_3genE10ELNS1_11target_archE1200ELNS1_3gpuE4ELNS1_3repE0EEENS1_30default_config_static_selectorELNS0_4arch9wavefront6targetE1EEEvS14_.has_indirect_call, 0
	.section	.AMDGPU.csdata,"",@progbits
; Kernel info:
; codeLenInByte = 0
; TotalNumSgprs: 4
; NumVgprs: 0
; ScratchSize: 0
; MemoryBound: 0
; FloatMode: 240
; IeeeMode: 1
; LDSByteSize: 0 bytes/workgroup (compile time only)
; SGPRBlocks: 0
; VGPRBlocks: 0
; NumSGPRsForWavesPerEU: 4
; NumVGPRsForWavesPerEU: 1
; Occupancy: 10
; WaveLimiterHint : 0
; COMPUTE_PGM_RSRC2:SCRATCH_EN: 0
; COMPUTE_PGM_RSRC2:USER_SGPR: 6
; COMPUTE_PGM_RSRC2:TRAP_HANDLER: 0
; COMPUTE_PGM_RSRC2:TGID_X_EN: 1
; COMPUTE_PGM_RSRC2:TGID_Y_EN: 0
; COMPUTE_PGM_RSRC2:TGID_Z_EN: 0
; COMPUTE_PGM_RSRC2:TIDIG_COMP_CNT: 0
	.section	.text._ZN7rocprim17ROCPRIM_400000_NS6detail17trampoline_kernelINS0_14default_configENS1_22reduce_config_selectorIN6thrust23THRUST_200600_302600_NS5tupleIblNS6_9null_typeES8_S8_S8_S8_S8_S8_S8_EEEEZNS1_11reduce_implILb1ES3_NS6_12zip_iteratorINS7_INS6_11hip_rocprim26transform_input_iterator_tIbNSD_35transform_pair_of_input_iterators_tIbNS6_6detail15normal_iteratorINS6_10device_ptrIKsEEEESL_NS6_8equal_toIsEEEENSG_9not_fun_tINSD_8identityEEEEENSD_19counting_iterator_tIlEES8_S8_S8_S8_S8_S8_S8_S8_EEEEPS9_S9_NSD_9__find_if7functorIS9_EEEE10hipError_tPvRmT1_T2_T3_mT4_P12ihipStream_tbEUlT_E0_NS1_11comp_targetILNS1_3genE9ELNS1_11target_archE1100ELNS1_3gpuE3ELNS1_3repE0EEENS1_30default_config_static_selectorELNS0_4arch9wavefront6targetE1EEEvS14_,"axG",@progbits,_ZN7rocprim17ROCPRIM_400000_NS6detail17trampoline_kernelINS0_14default_configENS1_22reduce_config_selectorIN6thrust23THRUST_200600_302600_NS5tupleIblNS6_9null_typeES8_S8_S8_S8_S8_S8_S8_EEEEZNS1_11reduce_implILb1ES3_NS6_12zip_iteratorINS7_INS6_11hip_rocprim26transform_input_iterator_tIbNSD_35transform_pair_of_input_iterators_tIbNS6_6detail15normal_iteratorINS6_10device_ptrIKsEEEESL_NS6_8equal_toIsEEEENSG_9not_fun_tINSD_8identityEEEEENSD_19counting_iterator_tIlEES8_S8_S8_S8_S8_S8_S8_S8_EEEEPS9_S9_NSD_9__find_if7functorIS9_EEEE10hipError_tPvRmT1_T2_T3_mT4_P12ihipStream_tbEUlT_E0_NS1_11comp_targetILNS1_3genE9ELNS1_11target_archE1100ELNS1_3gpuE3ELNS1_3repE0EEENS1_30default_config_static_selectorELNS0_4arch9wavefront6targetE1EEEvS14_,comdat
	.protected	_ZN7rocprim17ROCPRIM_400000_NS6detail17trampoline_kernelINS0_14default_configENS1_22reduce_config_selectorIN6thrust23THRUST_200600_302600_NS5tupleIblNS6_9null_typeES8_S8_S8_S8_S8_S8_S8_EEEEZNS1_11reduce_implILb1ES3_NS6_12zip_iteratorINS7_INS6_11hip_rocprim26transform_input_iterator_tIbNSD_35transform_pair_of_input_iterators_tIbNS6_6detail15normal_iteratorINS6_10device_ptrIKsEEEESL_NS6_8equal_toIsEEEENSG_9not_fun_tINSD_8identityEEEEENSD_19counting_iterator_tIlEES8_S8_S8_S8_S8_S8_S8_S8_EEEEPS9_S9_NSD_9__find_if7functorIS9_EEEE10hipError_tPvRmT1_T2_T3_mT4_P12ihipStream_tbEUlT_E0_NS1_11comp_targetILNS1_3genE9ELNS1_11target_archE1100ELNS1_3gpuE3ELNS1_3repE0EEENS1_30default_config_static_selectorELNS0_4arch9wavefront6targetE1EEEvS14_ ; -- Begin function _ZN7rocprim17ROCPRIM_400000_NS6detail17trampoline_kernelINS0_14default_configENS1_22reduce_config_selectorIN6thrust23THRUST_200600_302600_NS5tupleIblNS6_9null_typeES8_S8_S8_S8_S8_S8_S8_EEEEZNS1_11reduce_implILb1ES3_NS6_12zip_iteratorINS7_INS6_11hip_rocprim26transform_input_iterator_tIbNSD_35transform_pair_of_input_iterators_tIbNS6_6detail15normal_iteratorINS6_10device_ptrIKsEEEESL_NS6_8equal_toIsEEEENSG_9not_fun_tINSD_8identityEEEEENSD_19counting_iterator_tIlEES8_S8_S8_S8_S8_S8_S8_S8_EEEEPS9_S9_NSD_9__find_if7functorIS9_EEEE10hipError_tPvRmT1_T2_T3_mT4_P12ihipStream_tbEUlT_E0_NS1_11comp_targetILNS1_3genE9ELNS1_11target_archE1100ELNS1_3gpuE3ELNS1_3repE0EEENS1_30default_config_static_selectorELNS0_4arch9wavefront6targetE1EEEvS14_
	.globl	_ZN7rocprim17ROCPRIM_400000_NS6detail17trampoline_kernelINS0_14default_configENS1_22reduce_config_selectorIN6thrust23THRUST_200600_302600_NS5tupleIblNS6_9null_typeES8_S8_S8_S8_S8_S8_S8_EEEEZNS1_11reduce_implILb1ES3_NS6_12zip_iteratorINS7_INS6_11hip_rocprim26transform_input_iterator_tIbNSD_35transform_pair_of_input_iterators_tIbNS6_6detail15normal_iteratorINS6_10device_ptrIKsEEEESL_NS6_8equal_toIsEEEENSG_9not_fun_tINSD_8identityEEEEENSD_19counting_iterator_tIlEES8_S8_S8_S8_S8_S8_S8_S8_EEEEPS9_S9_NSD_9__find_if7functorIS9_EEEE10hipError_tPvRmT1_T2_T3_mT4_P12ihipStream_tbEUlT_E0_NS1_11comp_targetILNS1_3genE9ELNS1_11target_archE1100ELNS1_3gpuE3ELNS1_3repE0EEENS1_30default_config_static_selectorELNS0_4arch9wavefront6targetE1EEEvS14_
	.p2align	8
	.type	_ZN7rocprim17ROCPRIM_400000_NS6detail17trampoline_kernelINS0_14default_configENS1_22reduce_config_selectorIN6thrust23THRUST_200600_302600_NS5tupleIblNS6_9null_typeES8_S8_S8_S8_S8_S8_S8_EEEEZNS1_11reduce_implILb1ES3_NS6_12zip_iteratorINS7_INS6_11hip_rocprim26transform_input_iterator_tIbNSD_35transform_pair_of_input_iterators_tIbNS6_6detail15normal_iteratorINS6_10device_ptrIKsEEEESL_NS6_8equal_toIsEEEENSG_9not_fun_tINSD_8identityEEEEENSD_19counting_iterator_tIlEES8_S8_S8_S8_S8_S8_S8_S8_EEEEPS9_S9_NSD_9__find_if7functorIS9_EEEE10hipError_tPvRmT1_T2_T3_mT4_P12ihipStream_tbEUlT_E0_NS1_11comp_targetILNS1_3genE9ELNS1_11target_archE1100ELNS1_3gpuE3ELNS1_3repE0EEENS1_30default_config_static_selectorELNS0_4arch9wavefront6targetE1EEEvS14_,@function
_ZN7rocprim17ROCPRIM_400000_NS6detail17trampoline_kernelINS0_14default_configENS1_22reduce_config_selectorIN6thrust23THRUST_200600_302600_NS5tupleIblNS6_9null_typeES8_S8_S8_S8_S8_S8_S8_EEEEZNS1_11reduce_implILb1ES3_NS6_12zip_iteratorINS7_INS6_11hip_rocprim26transform_input_iterator_tIbNSD_35transform_pair_of_input_iterators_tIbNS6_6detail15normal_iteratorINS6_10device_ptrIKsEEEESL_NS6_8equal_toIsEEEENSG_9not_fun_tINSD_8identityEEEEENSD_19counting_iterator_tIlEES8_S8_S8_S8_S8_S8_S8_S8_EEEEPS9_S9_NSD_9__find_if7functorIS9_EEEE10hipError_tPvRmT1_T2_T3_mT4_P12ihipStream_tbEUlT_E0_NS1_11comp_targetILNS1_3genE9ELNS1_11target_archE1100ELNS1_3gpuE3ELNS1_3repE0EEENS1_30default_config_static_selectorELNS0_4arch9wavefront6targetE1EEEvS14_: ; @_ZN7rocprim17ROCPRIM_400000_NS6detail17trampoline_kernelINS0_14default_configENS1_22reduce_config_selectorIN6thrust23THRUST_200600_302600_NS5tupleIblNS6_9null_typeES8_S8_S8_S8_S8_S8_S8_EEEEZNS1_11reduce_implILb1ES3_NS6_12zip_iteratorINS7_INS6_11hip_rocprim26transform_input_iterator_tIbNSD_35transform_pair_of_input_iterators_tIbNS6_6detail15normal_iteratorINS6_10device_ptrIKsEEEESL_NS6_8equal_toIsEEEENSG_9not_fun_tINSD_8identityEEEEENSD_19counting_iterator_tIlEES8_S8_S8_S8_S8_S8_S8_S8_EEEEPS9_S9_NSD_9__find_if7functorIS9_EEEE10hipError_tPvRmT1_T2_T3_mT4_P12ihipStream_tbEUlT_E0_NS1_11comp_targetILNS1_3genE9ELNS1_11target_archE1100ELNS1_3gpuE3ELNS1_3repE0EEENS1_30default_config_static_selectorELNS0_4arch9wavefront6targetE1EEEvS14_
; %bb.0:
	.section	.rodata,"a",@progbits
	.p2align	6, 0x0
	.amdhsa_kernel _ZN7rocprim17ROCPRIM_400000_NS6detail17trampoline_kernelINS0_14default_configENS1_22reduce_config_selectorIN6thrust23THRUST_200600_302600_NS5tupleIblNS6_9null_typeES8_S8_S8_S8_S8_S8_S8_EEEEZNS1_11reduce_implILb1ES3_NS6_12zip_iteratorINS7_INS6_11hip_rocprim26transform_input_iterator_tIbNSD_35transform_pair_of_input_iterators_tIbNS6_6detail15normal_iteratorINS6_10device_ptrIKsEEEESL_NS6_8equal_toIsEEEENSG_9not_fun_tINSD_8identityEEEEENSD_19counting_iterator_tIlEES8_S8_S8_S8_S8_S8_S8_S8_EEEEPS9_S9_NSD_9__find_if7functorIS9_EEEE10hipError_tPvRmT1_T2_T3_mT4_P12ihipStream_tbEUlT_E0_NS1_11comp_targetILNS1_3genE9ELNS1_11target_archE1100ELNS1_3gpuE3ELNS1_3repE0EEENS1_30default_config_static_selectorELNS0_4arch9wavefront6targetE1EEEvS14_
		.amdhsa_group_segment_fixed_size 0
		.amdhsa_private_segment_fixed_size 0
		.amdhsa_kernarg_size 104
		.amdhsa_user_sgpr_count 6
		.amdhsa_user_sgpr_private_segment_buffer 1
		.amdhsa_user_sgpr_dispatch_ptr 0
		.amdhsa_user_sgpr_queue_ptr 0
		.amdhsa_user_sgpr_kernarg_segment_ptr 1
		.amdhsa_user_sgpr_dispatch_id 0
		.amdhsa_user_sgpr_flat_scratch_init 0
		.amdhsa_user_sgpr_private_segment_size 0
		.amdhsa_uses_dynamic_stack 0
		.amdhsa_system_sgpr_private_segment_wavefront_offset 0
		.amdhsa_system_sgpr_workgroup_id_x 1
		.amdhsa_system_sgpr_workgroup_id_y 0
		.amdhsa_system_sgpr_workgroup_id_z 0
		.amdhsa_system_sgpr_workgroup_info 0
		.amdhsa_system_vgpr_workitem_id 0
		.amdhsa_next_free_vgpr 1
		.amdhsa_next_free_sgpr 0
		.amdhsa_reserve_vcc 0
		.amdhsa_reserve_flat_scratch 0
		.amdhsa_float_round_mode_32 0
		.amdhsa_float_round_mode_16_64 0
		.amdhsa_float_denorm_mode_32 3
		.amdhsa_float_denorm_mode_16_64 3
		.amdhsa_dx10_clamp 1
		.amdhsa_ieee_mode 1
		.amdhsa_fp16_overflow 0
		.amdhsa_exception_fp_ieee_invalid_op 0
		.amdhsa_exception_fp_denorm_src 0
		.amdhsa_exception_fp_ieee_div_zero 0
		.amdhsa_exception_fp_ieee_overflow 0
		.amdhsa_exception_fp_ieee_underflow 0
		.amdhsa_exception_fp_ieee_inexact 0
		.amdhsa_exception_int_div_zero 0
	.end_amdhsa_kernel
	.section	.text._ZN7rocprim17ROCPRIM_400000_NS6detail17trampoline_kernelINS0_14default_configENS1_22reduce_config_selectorIN6thrust23THRUST_200600_302600_NS5tupleIblNS6_9null_typeES8_S8_S8_S8_S8_S8_S8_EEEEZNS1_11reduce_implILb1ES3_NS6_12zip_iteratorINS7_INS6_11hip_rocprim26transform_input_iterator_tIbNSD_35transform_pair_of_input_iterators_tIbNS6_6detail15normal_iteratorINS6_10device_ptrIKsEEEESL_NS6_8equal_toIsEEEENSG_9not_fun_tINSD_8identityEEEEENSD_19counting_iterator_tIlEES8_S8_S8_S8_S8_S8_S8_S8_EEEEPS9_S9_NSD_9__find_if7functorIS9_EEEE10hipError_tPvRmT1_T2_T3_mT4_P12ihipStream_tbEUlT_E0_NS1_11comp_targetILNS1_3genE9ELNS1_11target_archE1100ELNS1_3gpuE3ELNS1_3repE0EEENS1_30default_config_static_selectorELNS0_4arch9wavefront6targetE1EEEvS14_,"axG",@progbits,_ZN7rocprim17ROCPRIM_400000_NS6detail17trampoline_kernelINS0_14default_configENS1_22reduce_config_selectorIN6thrust23THRUST_200600_302600_NS5tupleIblNS6_9null_typeES8_S8_S8_S8_S8_S8_S8_EEEEZNS1_11reduce_implILb1ES3_NS6_12zip_iteratorINS7_INS6_11hip_rocprim26transform_input_iterator_tIbNSD_35transform_pair_of_input_iterators_tIbNS6_6detail15normal_iteratorINS6_10device_ptrIKsEEEESL_NS6_8equal_toIsEEEENSG_9not_fun_tINSD_8identityEEEEENSD_19counting_iterator_tIlEES8_S8_S8_S8_S8_S8_S8_S8_EEEEPS9_S9_NSD_9__find_if7functorIS9_EEEE10hipError_tPvRmT1_T2_T3_mT4_P12ihipStream_tbEUlT_E0_NS1_11comp_targetILNS1_3genE9ELNS1_11target_archE1100ELNS1_3gpuE3ELNS1_3repE0EEENS1_30default_config_static_selectorELNS0_4arch9wavefront6targetE1EEEvS14_,comdat
.Lfunc_end562:
	.size	_ZN7rocprim17ROCPRIM_400000_NS6detail17trampoline_kernelINS0_14default_configENS1_22reduce_config_selectorIN6thrust23THRUST_200600_302600_NS5tupleIblNS6_9null_typeES8_S8_S8_S8_S8_S8_S8_EEEEZNS1_11reduce_implILb1ES3_NS6_12zip_iteratorINS7_INS6_11hip_rocprim26transform_input_iterator_tIbNSD_35transform_pair_of_input_iterators_tIbNS6_6detail15normal_iteratorINS6_10device_ptrIKsEEEESL_NS6_8equal_toIsEEEENSG_9not_fun_tINSD_8identityEEEEENSD_19counting_iterator_tIlEES8_S8_S8_S8_S8_S8_S8_S8_EEEEPS9_S9_NSD_9__find_if7functorIS9_EEEE10hipError_tPvRmT1_T2_T3_mT4_P12ihipStream_tbEUlT_E0_NS1_11comp_targetILNS1_3genE9ELNS1_11target_archE1100ELNS1_3gpuE3ELNS1_3repE0EEENS1_30default_config_static_selectorELNS0_4arch9wavefront6targetE1EEEvS14_, .Lfunc_end562-_ZN7rocprim17ROCPRIM_400000_NS6detail17trampoline_kernelINS0_14default_configENS1_22reduce_config_selectorIN6thrust23THRUST_200600_302600_NS5tupleIblNS6_9null_typeES8_S8_S8_S8_S8_S8_S8_EEEEZNS1_11reduce_implILb1ES3_NS6_12zip_iteratorINS7_INS6_11hip_rocprim26transform_input_iterator_tIbNSD_35transform_pair_of_input_iterators_tIbNS6_6detail15normal_iteratorINS6_10device_ptrIKsEEEESL_NS6_8equal_toIsEEEENSG_9not_fun_tINSD_8identityEEEEENSD_19counting_iterator_tIlEES8_S8_S8_S8_S8_S8_S8_S8_EEEEPS9_S9_NSD_9__find_if7functorIS9_EEEE10hipError_tPvRmT1_T2_T3_mT4_P12ihipStream_tbEUlT_E0_NS1_11comp_targetILNS1_3genE9ELNS1_11target_archE1100ELNS1_3gpuE3ELNS1_3repE0EEENS1_30default_config_static_selectorELNS0_4arch9wavefront6targetE1EEEvS14_
                                        ; -- End function
	.set _ZN7rocprim17ROCPRIM_400000_NS6detail17trampoline_kernelINS0_14default_configENS1_22reduce_config_selectorIN6thrust23THRUST_200600_302600_NS5tupleIblNS6_9null_typeES8_S8_S8_S8_S8_S8_S8_EEEEZNS1_11reduce_implILb1ES3_NS6_12zip_iteratorINS7_INS6_11hip_rocprim26transform_input_iterator_tIbNSD_35transform_pair_of_input_iterators_tIbNS6_6detail15normal_iteratorINS6_10device_ptrIKsEEEESL_NS6_8equal_toIsEEEENSG_9not_fun_tINSD_8identityEEEEENSD_19counting_iterator_tIlEES8_S8_S8_S8_S8_S8_S8_S8_EEEEPS9_S9_NSD_9__find_if7functorIS9_EEEE10hipError_tPvRmT1_T2_T3_mT4_P12ihipStream_tbEUlT_E0_NS1_11comp_targetILNS1_3genE9ELNS1_11target_archE1100ELNS1_3gpuE3ELNS1_3repE0EEENS1_30default_config_static_selectorELNS0_4arch9wavefront6targetE1EEEvS14_.num_vgpr, 0
	.set _ZN7rocprim17ROCPRIM_400000_NS6detail17trampoline_kernelINS0_14default_configENS1_22reduce_config_selectorIN6thrust23THRUST_200600_302600_NS5tupleIblNS6_9null_typeES8_S8_S8_S8_S8_S8_S8_EEEEZNS1_11reduce_implILb1ES3_NS6_12zip_iteratorINS7_INS6_11hip_rocprim26transform_input_iterator_tIbNSD_35transform_pair_of_input_iterators_tIbNS6_6detail15normal_iteratorINS6_10device_ptrIKsEEEESL_NS6_8equal_toIsEEEENSG_9not_fun_tINSD_8identityEEEEENSD_19counting_iterator_tIlEES8_S8_S8_S8_S8_S8_S8_S8_EEEEPS9_S9_NSD_9__find_if7functorIS9_EEEE10hipError_tPvRmT1_T2_T3_mT4_P12ihipStream_tbEUlT_E0_NS1_11comp_targetILNS1_3genE9ELNS1_11target_archE1100ELNS1_3gpuE3ELNS1_3repE0EEENS1_30default_config_static_selectorELNS0_4arch9wavefront6targetE1EEEvS14_.num_agpr, 0
	.set _ZN7rocprim17ROCPRIM_400000_NS6detail17trampoline_kernelINS0_14default_configENS1_22reduce_config_selectorIN6thrust23THRUST_200600_302600_NS5tupleIblNS6_9null_typeES8_S8_S8_S8_S8_S8_S8_EEEEZNS1_11reduce_implILb1ES3_NS6_12zip_iteratorINS7_INS6_11hip_rocprim26transform_input_iterator_tIbNSD_35transform_pair_of_input_iterators_tIbNS6_6detail15normal_iteratorINS6_10device_ptrIKsEEEESL_NS6_8equal_toIsEEEENSG_9not_fun_tINSD_8identityEEEEENSD_19counting_iterator_tIlEES8_S8_S8_S8_S8_S8_S8_S8_EEEEPS9_S9_NSD_9__find_if7functorIS9_EEEE10hipError_tPvRmT1_T2_T3_mT4_P12ihipStream_tbEUlT_E0_NS1_11comp_targetILNS1_3genE9ELNS1_11target_archE1100ELNS1_3gpuE3ELNS1_3repE0EEENS1_30default_config_static_selectorELNS0_4arch9wavefront6targetE1EEEvS14_.numbered_sgpr, 0
	.set _ZN7rocprim17ROCPRIM_400000_NS6detail17trampoline_kernelINS0_14default_configENS1_22reduce_config_selectorIN6thrust23THRUST_200600_302600_NS5tupleIblNS6_9null_typeES8_S8_S8_S8_S8_S8_S8_EEEEZNS1_11reduce_implILb1ES3_NS6_12zip_iteratorINS7_INS6_11hip_rocprim26transform_input_iterator_tIbNSD_35transform_pair_of_input_iterators_tIbNS6_6detail15normal_iteratorINS6_10device_ptrIKsEEEESL_NS6_8equal_toIsEEEENSG_9not_fun_tINSD_8identityEEEEENSD_19counting_iterator_tIlEES8_S8_S8_S8_S8_S8_S8_S8_EEEEPS9_S9_NSD_9__find_if7functorIS9_EEEE10hipError_tPvRmT1_T2_T3_mT4_P12ihipStream_tbEUlT_E0_NS1_11comp_targetILNS1_3genE9ELNS1_11target_archE1100ELNS1_3gpuE3ELNS1_3repE0EEENS1_30default_config_static_selectorELNS0_4arch9wavefront6targetE1EEEvS14_.num_named_barrier, 0
	.set _ZN7rocprim17ROCPRIM_400000_NS6detail17trampoline_kernelINS0_14default_configENS1_22reduce_config_selectorIN6thrust23THRUST_200600_302600_NS5tupleIblNS6_9null_typeES8_S8_S8_S8_S8_S8_S8_EEEEZNS1_11reduce_implILb1ES3_NS6_12zip_iteratorINS7_INS6_11hip_rocprim26transform_input_iterator_tIbNSD_35transform_pair_of_input_iterators_tIbNS6_6detail15normal_iteratorINS6_10device_ptrIKsEEEESL_NS6_8equal_toIsEEEENSG_9not_fun_tINSD_8identityEEEEENSD_19counting_iterator_tIlEES8_S8_S8_S8_S8_S8_S8_S8_EEEEPS9_S9_NSD_9__find_if7functorIS9_EEEE10hipError_tPvRmT1_T2_T3_mT4_P12ihipStream_tbEUlT_E0_NS1_11comp_targetILNS1_3genE9ELNS1_11target_archE1100ELNS1_3gpuE3ELNS1_3repE0EEENS1_30default_config_static_selectorELNS0_4arch9wavefront6targetE1EEEvS14_.private_seg_size, 0
	.set _ZN7rocprim17ROCPRIM_400000_NS6detail17trampoline_kernelINS0_14default_configENS1_22reduce_config_selectorIN6thrust23THRUST_200600_302600_NS5tupleIblNS6_9null_typeES8_S8_S8_S8_S8_S8_S8_EEEEZNS1_11reduce_implILb1ES3_NS6_12zip_iteratorINS7_INS6_11hip_rocprim26transform_input_iterator_tIbNSD_35transform_pair_of_input_iterators_tIbNS6_6detail15normal_iteratorINS6_10device_ptrIKsEEEESL_NS6_8equal_toIsEEEENSG_9not_fun_tINSD_8identityEEEEENSD_19counting_iterator_tIlEES8_S8_S8_S8_S8_S8_S8_S8_EEEEPS9_S9_NSD_9__find_if7functorIS9_EEEE10hipError_tPvRmT1_T2_T3_mT4_P12ihipStream_tbEUlT_E0_NS1_11comp_targetILNS1_3genE9ELNS1_11target_archE1100ELNS1_3gpuE3ELNS1_3repE0EEENS1_30default_config_static_selectorELNS0_4arch9wavefront6targetE1EEEvS14_.uses_vcc, 0
	.set _ZN7rocprim17ROCPRIM_400000_NS6detail17trampoline_kernelINS0_14default_configENS1_22reduce_config_selectorIN6thrust23THRUST_200600_302600_NS5tupleIblNS6_9null_typeES8_S8_S8_S8_S8_S8_S8_EEEEZNS1_11reduce_implILb1ES3_NS6_12zip_iteratorINS7_INS6_11hip_rocprim26transform_input_iterator_tIbNSD_35transform_pair_of_input_iterators_tIbNS6_6detail15normal_iteratorINS6_10device_ptrIKsEEEESL_NS6_8equal_toIsEEEENSG_9not_fun_tINSD_8identityEEEEENSD_19counting_iterator_tIlEES8_S8_S8_S8_S8_S8_S8_S8_EEEEPS9_S9_NSD_9__find_if7functorIS9_EEEE10hipError_tPvRmT1_T2_T3_mT4_P12ihipStream_tbEUlT_E0_NS1_11comp_targetILNS1_3genE9ELNS1_11target_archE1100ELNS1_3gpuE3ELNS1_3repE0EEENS1_30default_config_static_selectorELNS0_4arch9wavefront6targetE1EEEvS14_.uses_flat_scratch, 0
	.set _ZN7rocprim17ROCPRIM_400000_NS6detail17trampoline_kernelINS0_14default_configENS1_22reduce_config_selectorIN6thrust23THRUST_200600_302600_NS5tupleIblNS6_9null_typeES8_S8_S8_S8_S8_S8_S8_EEEEZNS1_11reduce_implILb1ES3_NS6_12zip_iteratorINS7_INS6_11hip_rocprim26transform_input_iterator_tIbNSD_35transform_pair_of_input_iterators_tIbNS6_6detail15normal_iteratorINS6_10device_ptrIKsEEEESL_NS6_8equal_toIsEEEENSG_9not_fun_tINSD_8identityEEEEENSD_19counting_iterator_tIlEES8_S8_S8_S8_S8_S8_S8_S8_EEEEPS9_S9_NSD_9__find_if7functorIS9_EEEE10hipError_tPvRmT1_T2_T3_mT4_P12ihipStream_tbEUlT_E0_NS1_11comp_targetILNS1_3genE9ELNS1_11target_archE1100ELNS1_3gpuE3ELNS1_3repE0EEENS1_30default_config_static_selectorELNS0_4arch9wavefront6targetE1EEEvS14_.has_dyn_sized_stack, 0
	.set _ZN7rocprim17ROCPRIM_400000_NS6detail17trampoline_kernelINS0_14default_configENS1_22reduce_config_selectorIN6thrust23THRUST_200600_302600_NS5tupleIblNS6_9null_typeES8_S8_S8_S8_S8_S8_S8_EEEEZNS1_11reduce_implILb1ES3_NS6_12zip_iteratorINS7_INS6_11hip_rocprim26transform_input_iterator_tIbNSD_35transform_pair_of_input_iterators_tIbNS6_6detail15normal_iteratorINS6_10device_ptrIKsEEEESL_NS6_8equal_toIsEEEENSG_9not_fun_tINSD_8identityEEEEENSD_19counting_iterator_tIlEES8_S8_S8_S8_S8_S8_S8_S8_EEEEPS9_S9_NSD_9__find_if7functorIS9_EEEE10hipError_tPvRmT1_T2_T3_mT4_P12ihipStream_tbEUlT_E0_NS1_11comp_targetILNS1_3genE9ELNS1_11target_archE1100ELNS1_3gpuE3ELNS1_3repE0EEENS1_30default_config_static_selectorELNS0_4arch9wavefront6targetE1EEEvS14_.has_recursion, 0
	.set _ZN7rocprim17ROCPRIM_400000_NS6detail17trampoline_kernelINS0_14default_configENS1_22reduce_config_selectorIN6thrust23THRUST_200600_302600_NS5tupleIblNS6_9null_typeES8_S8_S8_S8_S8_S8_S8_EEEEZNS1_11reduce_implILb1ES3_NS6_12zip_iteratorINS7_INS6_11hip_rocprim26transform_input_iterator_tIbNSD_35transform_pair_of_input_iterators_tIbNS6_6detail15normal_iteratorINS6_10device_ptrIKsEEEESL_NS6_8equal_toIsEEEENSG_9not_fun_tINSD_8identityEEEEENSD_19counting_iterator_tIlEES8_S8_S8_S8_S8_S8_S8_S8_EEEEPS9_S9_NSD_9__find_if7functorIS9_EEEE10hipError_tPvRmT1_T2_T3_mT4_P12ihipStream_tbEUlT_E0_NS1_11comp_targetILNS1_3genE9ELNS1_11target_archE1100ELNS1_3gpuE3ELNS1_3repE0EEENS1_30default_config_static_selectorELNS0_4arch9wavefront6targetE1EEEvS14_.has_indirect_call, 0
	.section	.AMDGPU.csdata,"",@progbits
; Kernel info:
; codeLenInByte = 0
; TotalNumSgprs: 4
; NumVgprs: 0
; ScratchSize: 0
; MemoryBound: 0
; FloatMode: 240
; IeeeMode: 1
; LDSByteSize: 0 bytes/workgroup (compile time only)
; SGPRBlocks: 0
; VGPRBlocks: 0
; NumSGPRsForWavesPerEU: 4
; NumVGPRsForWavesPerEU: 1
; Occupancy: 10
; WaveLimiterHint : 0
; COMPUTE_PGM_RSRC2:SCRATCH_EN: 0
; COMPUTE_PGM_RSRC2:USER_SGPR: 6
; COMPUTE_PGM_RSRC2:TRAP_HANDLER: 0
; COMPUTE_PGM_RSRC2:TGID_X_EN: 1
; COMPUTE_PGM_RSRC2:TGID_Y_EN: 0
; COMPUTE_PGM_RSRC2:TGID_Z_EN: 0
; COMPUTE_PGM_RSRC2:TIDIG_COMP_CNT: 0
	.section	.text._ZN7rocprim17ROCPRIM_400000_NS6detail17trampoline_kernelINS0_14default_configENS1_22reduce_config_selectorIN6thrust23THRUST_200600_302600_NS5tupleIblNS6_9null_typeES8_S8_S8_S8_S8_S8_S8_EEEEZNS1_11reduce_implILb1ES3_NS6_12zip_iteratorINS7_INS6_11hip_rocprim26transform_input_iterator_tIbNSD_35transform_pair_of_input_iterators_tIbNS6_6detail15normal_iteratorINS6_10device_ptrIKsEEEESL_NS6_8equal_toIsEEEENSG_9not_fun_tINSD_8identityEEEEENSD_19counting_iterator_tIlEES8_S8_S8_S8_S8_S8_S8_S8_EEEEPS9_S9_NSD_9__find_if7functorIS9_EEEE10hipError_tPvRmT1_T2_T3_mT4_P12ihipStream_tbEUlT_E0_NS1_11comp_targetILNS1_3genE8ELNS1_11target_archE1030ELNS1_3gpuE2ELNS1_3repE0EEENS1_30default_config_static_selectorELNS0_4arch9wavefront6targetE1EEEvS14_,"axG",@progbits,_ZN7rocprim17ROCPRIM_400000_NS6detail17trampoline_kernelINS0_14default_configENS1_22reduce_config_selectorIN6thrust23THRUST_200600_302600_NS5tupleIblNS6_9null_typeES8_S8_S8_S8_S8_S8_S8_EEEEZNS1_11reduce_implILb1ES3_NS6_12zip_iteratorINS7_INS6_11hip_rocprim26transform_input_iterator_tIbNSD_35transform_pair_of_input_iterators_tIbNS6_6detail15normal_iteratorINS6_10device_ptrIKsEEEESL_NS6_8equal_toIsEEEENSG_9not_fun_tINSD_8identityEEEEENSD_19counting_iterator_tIlEES8_S8_S8_S8_S8_S8_S8_S8_EEEEPS9_S9_NSD_9__find_if7functorIS9_EEEE10hipError_tPvRmT1_T2_T3_mT4_P12ihipStream_tbEUlT_E0_NS1_11comp_targetILNS1_3genE8ELNS1_11target_archE1030ELNS1_3gpuE2ELNS1_3repE0EEENS1_30default_config_static_selectorELNS0_4arch9wavefront6targetE1EEEvS14_,comdat
	.protected	_ZN7rocprim17ROCPRIM_400000_NS6detail17trampoline_kernelINS0_14default_configENS1_22reduce_config_selectorIN6thrust23THRUST_200600_302600_NS5tupleIblNS6_9null_typeES8_S8_S8_S8_S8_S8_S8_EEEEZNS1_11reduce_implILb1ES3_NS6_12zip_iteratorINS7_INS6_11hip_rocprim26transform_input_iterator_tIbNSD_35transform_pair_of_input_iterators_tIbNS6_6detail15normal_iteratorINS6_10device_ptrIKsEEEESL_NS6_8equal_toIsEEEENSG_9not_fun_tINSD_8identityEEEEENSD_19counting_iterator_tIlEES8_S8_S8_S8_S8_S8_S8_S8_EEEEPS9_S9_NSD_9__find_if7functorIS9_EEEE10hipError_tPvRmT1_T2_T3_mT4_P12ihipStream_tbEUlT_E0_NS1_11comp_targetILNS1_3genE8ELNS1_11target_archE1030ELNS1_3gpuE2ELNS1_3repE0EEENS1_30default_config_static_selectorELNS0_4arch9wavefront6targetE1EEEvS14_ ; -- Begin function _ZN7rocprim17ROCPRIM_400000_NS6detail17trampoline_kernelINS0_14default_configENS1_22reduce_config_selectorIN6thrust23THRUST_200600_302600_NS5tupleIblNS6_9null_typeES8_S8_S8_S8_S8_S8_S8_EEEEZNS1_11reduce_implILb1ES3_NS6_12zip_iteratorINS7_INS6_11hip_rocprim26transform_input_iterator_tIbNSD_35transform_pair_of_input_iterators_tIbNS6_6detail15normal_iteratorINS6_10device_ptrIKsEEEESL_NS6_8equal_toIsEEEENSG_9not_fun_tINSD_8identityEEEEENSD_19counting_iterator_tIlEES8_S8_S8_S8_S8_S8_S8_S8_EEEEPS9_S9_NSD_9__find_if7functorIS9_EEEE10hipError_tPvRmT1_T2_T3_mT4_P12ihipStream_tbEUlT_E0_NS1_11comp_targetILNS1_3genE8ELNS1_11target_archE1030ELNS1_3gpuE2ELNS1_3repE0EEENS1_30default_config_static_selectorELNS0_4arch9wavefront6targetE1EEEvS14_
	.globl	_ZN7rocprim17ROCPRIM_400000_NS6detail17trampoline_kernelINS0_14default_configENS1_22reduce_config_selectorIN6thrust23THRUST_200600_302600_NS5tupleIblNS6_9null_typeES8_S8_S8_S8_S8_S8_S8_EEEEZNS1_11reduce_implILb1ES3_NS6_12zip_iteratorINS7_INS6_11hip_rocprim26transform_input_iterator_tIbNSD_35transform_pair_of_input_iterators_tIbNS6_6detail15normal_iteratorINS6_10device_ptrIKsEEEESL_NS6_8equal_toIsEEEENSG_9not_fun_tINSD_8identityEEEEENSD_19counting_iterator_tIlEES8_S8_S8_S8_S8_S8_S8_S8_EEEEPS9_S9_NSD_9__find_if7functorIS9_EEEE10hipError_tPvRmT1_T2_T3_mT4_P12ihipStream_tbEUlT_E0_NS1_11comp_targetILNS1_3genE8ELNS1_11target_archE1030ELNS1_3gpuE2ELNS1_3repE0EEENS1_30default_config_static_selectorELNS0_4arch9wavefront6targetE1EEEvS14_
	.p2align	8
	.type	_ZN7rocprim17ROCPRIM_400000_NS6detail17trampoline_kernelINS0_14default_configENS1_22reduce_config_selectorIN6thrust23THRUST_200600_302600_NS5tupleIblNS6_9null_typeES8_S8_S8_S8_S8_S8_S8_EEEEZNS1_11reduce_implILb1ES3_NS6_12zip_iteratorINS7_INS6_11hip_rocprim26transform_input_iterator_tIbNSD_35transform_pair_of_input_iterators_tIbNS6_6detail15normal_iteratorINS6_10device_ptrIKsEEEESL_NS6_8equal_toIsEEEENSG_9not_fun_tINSD_8identityEEEEENSD_19counting_iterator_tIlEES8_S8_S8_S8_S8_S8_S8_S8_EEEEPS9_S9_NSD_9__find_if7functorIS9_EEEE10hipError_tPvRmT1_T2_T3_mT4_P12ihipStream_tbEUlT_E0_NS1_11comp_targetILNS1_3genE8ELNS1_11target_archE1030ELNS1_3gpuE2ELNS1_3repE0EEENS1_30default_config_static_selectorELNS0_4arch9wavefront6targetE1EEEvS14_,@function
_ZN7rocprim17ROCPRIM_400000_NS6detail17trampoline_kernelINS0_14default_configENS1_22reduce_config_selectorIN6thrust23THRUST_200600_302600_NS5tupleIblNS6_9null_typeES8_S8_S8_S8_S8_S8_S8_EEEEZNS1_11reduce_implILb1ES3_NS6_12zip_iteratorINS7_INS6_11hip_rocprim26transform_input_iterator_tIbNSD_35transform_pair_of_input_iterators_tIbNS6_6detail15normal_iteratorINS6_10device_ptrIKsEEEESL_NS6_8equal_toIsEEEENSG_9not_fun_tINSD_8identityEEEEENSD_19counting_iterator_tIlEES8_S8_S8_S8_S8_S8_S8_S8_EEEEPS9_S9_NSD_9__find_if7functorIS9_EEEE10hipError_tPvRmT1_T2_T3_mT4_P12ihipStream_tbEUlT_E0_NS1_11comp_targetILNS1_3genE8ELNS1_11target_archE1030ELNS1_3gpuE2ELNS1_3repE0EEENS1_30default_config_static_selectorELNS0_4arch9wavefront6targetE1EEEvS14_: ; @_ZN7rocprim17ROCPRIM_400000_NS6detail17trampoline_kernelINS0_14default_configENS1_22reduce_config_selectorIN6thrust23THRUST_200600_302600_NS5tupleIblNS6_9null_typeES8_S8_S8_S8_S8_S8_S8_EEEEZNS1_11reduce_implILb1ES3_NS6_12zip_iteratorINS7_INS6_11hip_rocprim26transform_input_iterator_tIbNSD_35transform_pair_of_input_iterators_tIbNS6_6detail15normal_iteratorINS6_10device_ptrIKsEEEESL_NS6_8equal_toIsEEEENSG_9not_fun_tINSD_8identityEEEEENSD_19counting_iterator_tIlEES8_S8_S8_S8_S8_S8_S8_S8_EEEEPS9_S9_NSD_9__find_if7functorIS9_EEEE10hipError_tPvRmT1_T2_T3_mT4_P12ihipStream_tbEUlT_E0_NS1_11comp_targetILNS1_3genE8ELNS1_11target_archE1030ELNS1_3gpuE2ELNS1_3repE0EEENS1_30default_config_static_selectorELNS0_4arch9wavefront6targetE1EEEvS14_
; %bb.0:
	.section	.rodata,"a",@progbits
	.p2align	6, 0x0
	.amdhsa_kernel _ZN7rocprim17ROCPRIM_400000_NS6detail17trampoline_kernelINS0_14default_configENS1_22reduce_config_selectorIN6thrust23THRUST_200600_302600_NS5tupleIblNS6_9null_typeES8_S8_S8_S8_S8_S8_S8_EEEEZNS1_11reduce_implILb1ES3_NS6_12zip_iteratorINS7_INS6_11hip_rocprim26transform_input_iterator_tIbNSD_35transform_pair_of_input_iterators_tIbNS6_6detail15normal_iteratorINS6_10device_ptrIKsEEEESL_NS6_8equal_toIsEEEENSG_9not_fun_tINSD_8identityEEEEENSD_19counting_iterator_tIlEES8_S8_S8_S8_S8_S8_S8_S8_EEEEPS9_S9_NSD_9__find_if7functorIS9_EEEE10hipError_tPvRmT1_T2_T3_mT4_P12ihipStream_tbEUlT_E0_NS1_11comp_targetILNS1_3genE8ELNS1_11target_archE1030ELNS1_3gpuE2ELNS1_3repE0EEENS1_30default_config_static_selectorELNS0_4arch9wavefront6targetE1EEEvS14_
		.amdhsa_group_segment_fixed_size 0
		.amdhsa_private_segment_fixed_size 0
		.amdhsa_kernarg_size 104
		.amdhsa_user_sgpr_count 6
		.amdhsa_user_sgpr_private_segment_buffer 1
		.amdhsa_user_sgpr_dispatch_ptr 0
		.amdhsa_user_sgpr_queue_ptr 0
		.amdhsa_user_sgpr_kernarg_segment_ptr 1
		.amdhsa_user_sgpr_dispatch_id 0
		.amdhsa_user_sgpr_flat_scratch_init 0
		.amdhsa_user_sgpr_private_segment_size 0
		.amdhsa_uses_dynamic_stack 0
		.amdhsa_system_sgpr_private_segment_wavefront_offset 0
		.amdhsa_system_sgpr_workgroup_id_x 1
		.amdhsa_system_sgpr_workgroup_id_y 0
		.amdhsa_system_sgpr_workgroup_id_z 0
		.amdhsa_system_sgpr_workgroup_info 0
		.amdhsa_system_vgpr_workitem_id 0
		.amdhsa_next_free_vgpr 1
		.amdhsa_next_free_sgpr 0
		.amdhsa_reserve_vcc 0
		.amdhsa_reserve_flat_scratch 0
		.amdhsa_float_round_mode_32 0
		.amdhsa_float_round_mode_16_64 0
		.amdhsa_float_denorm_mode_32 3
		.amdhsa_float_denorm_mode_16_64 3
		.amdhsa_dx10_clamp 1
		.amdhsa_ieee_mode 1
		.amdhsa_fp16_overflow 0
		.amdhsa_exception_fp_ieee_invalid_op 0
		.amdhsa_exception_fp_denorm_src 0
		.amdhsa_exception_fp_ieee_div_zero 0
		.amdhsa_exception_fp_ieee_overflow 0
		.amdhsa_exception_fp_ieee_underflow 0
		.amdhsa_exception_fp_ieee_inexact 0
		.amdhsa_exception_int_div_zero 0
	.end_amdhsa_kernel
	.section	.text._ZN7rocprim17ROCPRIM_400000_NS6detail17trampoline_kernelINS0_14default_configENS1_22reduce_config_selectorIN6thrust23THRUST_200600_302600_NS5tupleIblNS6_9null_typeES8_S8_S8_S8_S8_S8_S8_EEEEZNS1_11reduce_implILb1ES3_NS6_12zip_iteratorINS7_INS6_11hip_rocprim26transform_input_iterator_tIbNSD_35transform_pair_of_input_iterators_tIbNS6_6detail15normal_iteratorINS6_10device_ptrIKsEEEESL_NS6_8equal_toIsEEEENSG_9not_fun_tINSD_8identityEEEEENSD_19counting_iterator_tIlEES8_S8_S8_S8_S8_S8_S8_S8_EEEEPS9_S9_NSD_9__find_if7functorIS9_EEEE10hipError_tPvRmT1_T2_T3_mT4_P12ihipStream_tbEUlT_E0_NS1_11comp_targetILNS1_3genE8ELNS1_11target_archE1030ELNS1_3gpuE2ELNS1_3repE0EEENS1_30default_config_static_selectorELNS0_4arch9wavefront6targetE1EEEvS14_,"axG",@progbits,_ZN7rocprim17ROCPRIM_400000_NS6detail17trampoline_kernelINS0_14default_configENS1_22reduce_config_selectorIN6thrust23THRUST_200600_302600_NS5tupleIblNS6_9null_typeES8_S8_S8_S8_S8_S8_S8_EEEEZNS1_11reduce_implILb1ES3_NS6_12zip_iteratorINS7_INS6_11hip_rocprim26transform_input_iterator_tIbNSD_35transform_pair_of_input_iterators_tIbNS6_6detail15normal_iteratorINS6_10device_ptrIKsEEEESL_NS6_8equal_toIsEEEENSG_9not_fun_tINSD_8identityEEEEENSD_19counting_iterator_tIlEES8_S8_S8_S8_S8_S8_S8_S8_EEEEPS9_S9_NSD_9__find_if7functorIS9_EEEE10hipError_tPvRmT1_T2_T3_mT4_P12ihipStream_tbEUlT_E0_NS1_11comp_targetILNS1_3genE8ELNS1_11target_archE1030ELNS1_3gpuE2ELNS1_3repE0EEENS1_30default_config_static_selectorELNS0_4arch9wavefront6targetE1EEEvS14_,comdat
.Lfunc_end563:
	.size	_ZN7rocprim17ROCPRIM_400000_NS6detail17trampoline_kernelINS0_14default_configENS1_22reduce_config_selectorIN6thrust23THRUST_200600_302600_NS5tupleIblNS6_9null_typeES8_S8_S8_S8_S8_S8_S8_EEEEZNS1_11reduce_implILb1ES3_NS6_12zip_iteratorINS7_INS6_11hip_rocprim26transform_input_iterator_tIbNSD_35transform_pair_of_input_iterators_tIbNS6_6detail15normal_iteratorINS6_10device_ptrIKsEEEESL_NS6_8equal_toIsEEEENSG_9not_fun_tINSD_8identityEEEEENSD_19counting_iterator_tIlEES8_S8_S8_S8_S8_S8_S8_S8_EEEEPS9_S9_NSD_9__find_if7functorIS9_EEEE10hipError_tPvRmT1_T2_T3_mT4_P12ihipStream_tbEUlT_E0_NS1_11comp_targetILNS1_3genE8ELNS1_11target_archE1030ELNS1_3gpuE2ELNS1_3repE0EEENS1_30default_config_static_selectorELNS0_4arch9wavefront6targetE1EEEvS14_, .Lfunc_end563-_ZN7rocprim17ROCPRIM_400000_NS6detail17trampoline_kernelINS0_14default_configENS1_22reduce_config_selectorIN6thrust23THRUST_200600_302600_NS5tupleIblNS6_9null_typeES8_S8_S8_S8_S8_S8_S8_EEEEZNS1_11reduce_implILb1ES3_NS6_12zip_iteratorINS7_INS6_11hip_rocprim26transform_input_iterator_tIbNSD_35transform_pair_of_input_iterators_tIbNS6_6detail15normal_iteratorINS6_10device_ptrIKsEEEESL_NS6_8equal_toIsEEEENSG_9not_fun_tINSD_8identityEEEEENSD_19counting_iterator_tIlEES8_S8_S8_S8_S8_S8_S8_S8_EEEEPS9_S9_NSD_9__find_if7functorIS9_EEEE10hipError_tPvRmT1_T2_T3_mT4_P12ihipStream_tbEUlT_E0_NS1_11comp_targetILNS1_3genE8ELNS1_11target_archE1030ELNS1_3gpuE2ELNS1_3repE0EEENS1_30default_config_static_selectorELNS0_4arch9wavefront6targetE1EEEvS14_
                                        ; -- End function
	.set _ZN7rocprim17ROCPRIM_400000_NS6detail17trampoline_kernelINS0_14default_configENS1_22reduce_config_selectorIN6thrust23THRUST_200600_302600_NS5tupleIblNS6_9null_typeES8_S8_S8_S8_S8_S8_S8_EEEEZNS1_11reduce_implILb1ES3_NS6_12zip_iteratorINS7_INS6_11hip_rocprim26transform_input_iterator_tIbNSD_35transform_pair_of_input_iterators_tIbNS6_6detail15normal_iteratorINS6_10device_ptrIKsEEEESL_NS6_8equal_toIsEEEENSG_9not_fun_tINSD_8identityEEEEENSD_19counting_iterator_tIlEES8_S8_S8_S8_S8_S8_S8_S8_EEEEPS9_S9_NSD_9__find_if7functorIS9_EEEE10hipError_tPvRmT1_T2_T3_mT4_P12ihipStream_tbEUlT_E0_NS1_11comp_targetILNS1_3genE8ELNS1_11target_archE1030ELNS1_3gpuE2ELNS1_3repE0EEENS1_30default_config_static_selectorELNS0_4arch9wavefront6targetE1EEEvS14_.num_vgpr, 0
	.set _ZN7rocprim17ROCPRIM_400000_NS6detail17trampoline_kernelINS0_14default_configENS1_22reduce_config_selectorIN6thrust23THRUST_200600_302600_NS5tupleIblNS6_9null_typeES8_S8_S8_S8_S8_S8_S8_EEEEZNS1_11reduce_implILb1ES3_NS6_12zip_iteratorINS7_INS6_11hip_rocprim26transform_input_iterator_tIbNSD_35transform_pair_of_input_iterators_tIbNS6_6detail15normal_iteratorINS6_10device_ptrIKsEEEESL_NS6_8equal_toIsEEEENSG_9not_fun_tINSD_8identityEEEEENSD_19counting_iterator_tIlEES8_S8_S8_S8_S8_S8_S8_S8_EEEEPS9_S9_NSD_9__find_if7functorIS9_EEEE10hipError_tPvRmT1_T2_T3_mT4_P12ihipStream_tbEUlT_E0_NS1_11comp_targetILNS1_3genE8ELNS1_11target_archE1030ELNS1_3gpuE2ELNS1_3repE0EEENS1_30default_config_static_selectorELNS0_4arch9wavefront6targetE1EEEvS14_.num_agpr, 0
	.set _ZN7rocprim17ROCPRIM_400000_NS6detail17trampoline_kernelINS0_14default_configENS1_22reduce_config_selectorIN6thrust23THRUST_200600_302600_NS5tupleIblNS6_9null_typeES8_S8_S8_S8_S8_S8_S8_EEEEZNS1_11reduce_implILb1ES3_NS6_12zip_iteratorINS7_INS6_11hip_rocprim26transform_input_iterator_tIbNSD_35transform_pair_of_input_iterators_tIbNS6_6detail15normal_iteratorINS6_10device_ptrIKsEEEESL_NS6_8equal_toIsEEEENSG_9not_fun_tINSD_8identityEEEEENSD_19counting_iterator_tIlEES8_S8_S8_S8_S8_S8_S8_S8_EEEEPS9_S9_NSD_9__find_if7functorIS9_EEEE10hipError_tPvRmT1_T2_T3_mT4_P12ihipStream_tbEUlT_E0_NS1_11comp_targetILNS1_3genE8ELNS1_11target_archE1030ELNS1_3gpuE2ELNS1_3repE0EEENS1_30default_config_static_selectorELNS0_4arch9wavefront6targetE1EEEvS14_.numbered_sgpr, 0
	.set _ZN7rocprim17ROCPRIM_400000_NS6detail17trampoline_kernelINS0_14default_configENS1_22reduce_config_selectorIN6thrust23THRUST_200600_302600_NS5tupleIblNS6_9null_typeES8_S8_S8_S8_S8_S8_S8_EEEEZNS1_11reduce_implILb1ES3_NS6_12zip_iteratorINS7_INS6_11hip_rocprim26transform_input_iterator_tIbNSD_35transform_pair_of_input_iterators_tIbNS6_6detail15normal_iteratorINS6_10device_ptrIKsEEEESL_NS6_8equal_toIsEEEENSG_9not_fun_tINSD_8identityEEEEENSD_19counting_iterator_tIlEES8_S8_S8_S8_S8_S8_S8_S8_EEEEPS9_S9_NSD_9__find_if7functorIS9_EEEE10hipError_tPvRmT1_T2_T3_mT4_P12ihipStream_tbEUlT_E0_NS1_11comp_targetILNS1_3genE8ELNS1_11target_archE1030ELNS1_3gpuE2ELNS1_3repE0EEENS1_30default_config_static_selectorELNS0_4arch9wavefront6targetE1EEEvS14_.num_named_barrier, 0
	.set _ZN7rocprim17ROCPRIM_400000_NS6detail17trampoline_kernelINS0_14default_configENS1_22reduce_config_selectorIN6thrust23THRUST_200600_302600_NS5tupleIblNS6_9null_typeES8_S8_S8_S8_S8_S8_S8_EEEEZNS1_11reduce_implILb1ES3_NS6_12zip_iteratorINS7_INS6_11hip_rocprim26transform_input_iterator_tIbNSD_35transform_pair_of_input_iterators_tIbNS6_6detail15normal_iteratorINS6_10device_ptrIKsEEEESL_NS6_8equal_toIsEEEENSG_9not_fun_tINSD_8identityEEEEENSD_19counting_iterator_tIlEES8_S8_S8_S8_S8_S8_S8_S8_EEEEPS9_S9_NSD_9__find_if7functorIS9_EEEE10hipError_tPvRmT1_T2_T3_mT4_P12ihipStream_tbEUlT_E0_NS1_11comp_targetILNS1_3genE8ELNS1_11target_archE1030ELNS1_3gpuE2ELNS1_3repE0EEENS1_30default_config_static_selectorELNS0_4arch9wavefront6targetE1EEEvS14_.private_seg_size, 0
	.set _ZN7rocprim17ROCPRIM_400000_NS6detail17trampoline_kernelINS0_14default_configENS1_22reduce_config_selectorIN6thrust23THRUST_200600_302600_NS5tupleIblNS6_9null_typeES8_S8_S8_S8_S8_S8_S8_EEEEZNS1_11reduce_implILb1ES3_NS6_12zip_iteratorINS7_INS6_11hip_rocprim26transform_input_iterator_tIbNSD_35transform_pair_of_input_iterators_tIbNS6_6detail15normal_iteratorINS6_10device_ptrIKsEEEESL_NS6_8equal_toIsEEEENSG_9not_fun_tINSD_8identityEEEEENSD_19counting_iterator_tIlEES8_S8_S8_S8_S8_S8_S8_S8_EEEEPS9_S9_NSD_9__find_if7functorIS9_EEEE10hipError_tPvRmT1_T2_T3_mT4_P12ihipStream_tbEUlT_E0_NS1_11comp_targetILNS1_3genE8ELNS1_11target_archE1030ELNS1_3gpuE2ELNS1_3repE0EEENS1_30default_config_static_selectorELNS0_4arch9wavefront6targetE1EEEvS14_.uses_vcc, 0
	.set _ZN7rocprim17ROCPRIM_400000_NS6detail17trampoline_kernelINS0_14default_configENS1_22reduce_config_selectorIN6thrust23THRUST_200600_302600_NS5tupleIblNS6_9null_typeES8_S8_S8_S8_S8_S8_S8_EEEEZNS1_11reduce_implILb1ES3_NS6_12zip_iteratorINS7_INS6_11hip_rocprim26transform_input_iterator_tIbNSD_35transform_pair_of_input_iterators_tIbNS6_6detail15normal_iteratorINS6_10device_ptrIKsEEEESL_NS6_8equal_toIsEEEENSG_9not_fun_tINSD_8identityEEEEENSD_19counting_iterator_tIlEES8_S8_S8_S8_S8_S8_S8_S8_EEEEPS9_S9_NSD_9__find_if7functorIS9_EEEE10hipError_tPvRmT1_T2_T3_mT4_P12ihipStream_tbEUlT_E0_NS1_11comp_targetILNS1_3genE8ELNS1_11target_archE1030ELNS1_3gpuE2ELNS1_3repE0EEENS1_30default_config_static_selectorELNS0_4arch9wavefront6targetE1EEEvS14_.uses_flat_scratch, 0
	.set _ZN7rocprim17ROCPRIM_400000_NS6detail17trampoline_kernelINS0_14default_configENS1_22reduce_config_selectorIN6thrust23THRUST_200600_302600_NS5tupleIblNS6_9null_typeES8_S8_S8_S8_S8_S8_S8_EEEEZNS1_11reduce_implILb1ES3_NS6_12zip_iteratorINS7_INS6_11hip_rocprim26transform_input_iterator_tIbNSD_35transform_pair_of_input_iterators_tIbNS6_6detail15normal_iteratorINS6_10device_ptrIKsEEEESL_NS6_8equal_toIsEEEENSG_9not_fun_tINSD_8identityEEEEENSD_19counting_iterator_tIlEES8_S8_S8_S8_S8_S8_S8_S8_EEEEPS9_S9_NSD_9__find_if7functorIS9_EEEE10hipError_tPvRmT1_T2_T3_mT4_P12ihipStream_tbEUlT_E0_NS1_11comp_targetILNS1_3genE8ELNS1_11target_archE1030ELNS1_3gpuE2ELNS1_3repE0EEENS1_30default_config_static_selectorELNS0_4arch9wavefront6targetE1EEEvS14_.has_dyn_sized_stack, 0
	.set _ZN7rocprim17ROCPRIM_400000_NS6detail17trampoline_kernelINS0_14default_configENS1_22reduce_config_selectorIN6thrust23THRUST_200600_302600_NS5tupleIblNS6_9null_typeES8_S8_S8_S8_S8_S8_S8_EEEEZNS1_11reduce_implILb1ES3_NS6_12zip_iteratorINS7_INS6_11hip_rocprim26transform_input_iterator_tIbNSD_35transform_pair_of_input_iterators_tIbNS6_6detail15normal_iteratorINS6_10device_ptrIKsEEEESL_NS6_8equal_toIsEEEENSG_9not_fun_tINSD_8identityEEEEENSD_19counting_iterator_tIlEES8_S8_S8_S8_S8_S8_S8_S8_EEEEPS9_S9_NSD_9__find_if7functorIS9_EEEE10hipError_tPvRmT1_T2_T3_mT4_P12ihipStream_tbEUlT_E0_NS1_11comp_targetILNS1_3genE8ELNS1_11target_archE1030ELNS1_3gpuE2ELNS1_3repE0EEENS1_30default_config_static_selectorELNS0_4arch9wavefront6targetE1EEEvS14_.has_recursion, 0
	.set _ZN7rocprim17ROCPRIM_400000_NS6detail17trampoline_kernelINS0_14default_configENS1_22reduce_config_selectorIN6thrust23THRUST_200600_302600_NS5tupleIblNS6_9null_typeES8_S8_S8_S8_S8_S8_S8_EEEEZNS1_11reduce_implILb1ES3_NS6_12zip_iteratorINS7_INS6_11hip_rocprim26transform_input_iterator_tIbNSD_35transform_pair_of_input_iterators_tIbNS6_6detail15normal_iteratorINS6_10device_ptrIKsEEEESL_NS6_8equal_toIsEEEENSG_9not_fun_tINSD_8identityEEEEENSD_19counting_iterator_tIlEES8_S8_S8_S8_S8_S8_S8_S8_EEEEPS9_S9_NSD_9__find_if7functorIS9_EEEE10hipError_tPvRmT1_T2_T3_mT4_P12ihipStream_tbEUlT_E0_NS1_11comp_targetILNS1_3genE8ELNS1_11target_archE1030ELNS1_3gpuE2ELNS1_3repE0EEENS1_30default_config_static_selectorELNS0_4arch9wavefront6targetE1EEEvS14_.has_indirect_call, 0
	.section	.AMDGPU.csdata,"",@progbits
; Kernel info:
; codeLenInByte = 0
; TotalNumSgprs: 4
; NumVgprs: 0
; ScratchSize: 0
; MemoryBound: 0
; FloatMode: 240
; IeeeMode: 1
; LDSByteSize: 0 bytes/workgroup (compile time only)
; SGPRBlocks: 0
; VGPRBlocks: 0
; NumSGPRsForWavesPerEU: 4
; NumVGPRsForWavesPerEU: 1
; Occupancy: 10
; WaveLimiterHint : 0
; COMPUTE_PGM_RSRC2:SCRATCH_EN: 0
; COMPUTE_PGM_RSRC2:USER_SGPR: 6
; COMPUTE_PGM_RSRC2:TRAP_HANDLER: 0
; COMPUTE_PGM_RSRC2:TGID_X_EN: 1
; COMPUTE_PGM_RSRC2:TGID_Y_EN: 0
; COMPUTE_PGM_RSRC2:TGID_Z_EN: 0
; COMPUTE_PGM_RSRC2:TIDIG_COMP_CNT: 0
	.section	.text._ZN7rocprim17ROCPRIM_400000_NS6detail17trampoline_kernelINS0_14default_configENS1_22reduce_config_selectorIN6thrust23THRUST_200600_302600_NS5tupleIblNS6_9null_typeES8_S8_S8_S8_S8_S8_S8_EEEEZNS1_11reduce_implILb1ES3_NS6_12zip_iteratorINS7_INS6_11hip_rocprim26transform_input_iterator_tIbNSD_35transform_pair_of_input_iterators_tIbNS6_6detail15normal_iteratorINS6_10device_ptrIKsEEEESL_NS6_8equal_toIsEEEENSG_9not_fun_tINSD_8identityEEEEENSD_19counting_iterator_tIlEES8_S8_S8_S8_S8_S8_S8_S8_EEEEPS9_S9_NSD_9__find_if7functorIS9_EEEE10hipError_tPvRmT1_T2_T3_mT4_P12ihipStream_tbEUlT_E1_NS1_11comp_targetILNS1_3genE0ELNS1_11target_archE4294967295ELNS1_3gpuE0ELNS1_3repE0EEENS1_30default_config_static_selectorELNS0_4arch9wavefront6targetE1EEEvS14_,"axG",@progbits,_ZN7rocprim17ROCPRIM_400000_NS6detail17trampoline_kernelINS0_14default_configENS1_22reduce_config_selectorIN6thrust23THRUST_200600_302600_NS5tupleIblNS6_9null_typeES8_S8_S8_S8_S8_S8_S8_EEEEZNS1_11reduce_implILb1ES3_NS6_12zip_iteratorINS7_INS6_11hip_rocprim26transform_input_iterator_tIbNSD_35transform_pair_of_input_iterators_tIbNS6_6detail15normal_iteratorINS6_10device_ptrIKsEEEESL_NS6_8equal_toIsEEEENSG_9not_fun_tINSD_8identityEEEEENSD_19counting_iterator_tIlEES8_S8_S8_S8_S8_S8_S8_S8_EEEEPS9_S9_NSD_9__find_if7functorIS9_EEEE10hipError_tPvRmT1_T2_T3_mT4_P12ihipStream_tbEUlT_E1_NS1_11comp_targetILNS1_3genE0ELNS1_11target_archE4294967295ELNS1_3gpuE0ELNS1_3repE0EEENS1_30default_config_static_selectorELNS0_4arch9wavefront6targetE1EEEvS14_,comdat
	.protected	_ZN7rocprim17ROCPRIM_400000_NS6detail17trampoline_kernelINS0_14default_configENS1_22reduce_config_selectorIN6thrust23THRUST_200600_302600_NS5tupleIblNS6_9null_typeES8_S8_S8_S8_S8_S8_S8_EEEEZNS1_11reduce_implILb1ES3_NS6_12zip_iteratorINS7_INS6_11hip_rocprim26transform_input_iterator_tIbNSD_35transform_pair_of_input_iterators_tIbNS6_6detail15normal_iteratorINS6_10device_ptrIKsEEEESL_NS6_8equal_toIsEEEENSG_9not_fun_tINSD_8identityEEEEENSD_19counting_iterator_tIlEES8_S8_S8_S8_S8_S8_S8_S8_EEEEPS9_S9_NSD_9__find_if7functorIS9_EEEE10hipError_tPvRmT1_T2_T3_mT4_P12ihipStream_tbEUlT_E1_NS1_11comp_targetILNS1_3genE0ELNS1_11target_archE4294967295ELNS1_3gpuE0ELNS1_3repE0EEENS1_30default_config_static_selectorELNS0_4arch9wavefront6targetE1EEEvS14_ ; -- Begin function _ZN7rocprim17ROCPRIM_400000_NS6detail17trampoline_kernelINS0_14default_configENS1_22reduce_config_selectorIN6thrust23THRUST_200600_302600_NS5tupleIblNS6_9null_typeES8_S8_S8_S8_S8_S8_S8_EEEEZNS1_11reduce_implILb1ES3_NS6_12zip_iteratorINS7_INS6_11hip_rocprim26transform_input_iterator_tIbNSD_35transform_pair_of_input_iterators_tIbNS6_6detail15normal_iteratorINS6_10device_ptrIKsEEEESL_NS6_8equal_toIsEEEENSG_9not_fun_tINSD_8identityEEEEENSD_19counting_iterator_tIlEES8_S8_S8_S8_S8_S8_S8_S8_EEEEPS9_S9_NSD_9__find_if7functorIS9_EEEE10hipError_tPvRmT1_T2_T3_mT4_P12ihipStream_tbEUlT_E1_NS1_11comp_targetILNS1_3genE0ELNS1_11target_archE4294967295ELNS1_3gpuE0ELNS1_3repE0EEENS1_30default_config_static_selectorELNS0_4arch9wavefront6targetE1EEEvS14_
	.globl	_ZN7rocprim17ROCPRIM_400000_NS6detail17trampoline_kernelINS0_14default_configENS1_22reduce_config_selectorIN6thrust23THRUST_200600_302600_NS5tupleIblNS6_9null_typeES8_S8_S8_S8_S8_S8_S8_EEEEZNS1_11reduce_implILb1ES3_NS6_12zip_iteratorINS7_INS6_11hip_rocprim26transform_input_iterator_tIbNSD_35transform_pair_of_input_iterators_tIbNS6_6detail15normal_iteratorINS6_10device_ptrIKsEEEESL_NS6_8equal_toIsEEEENSG_9not_fun_tINSD_8identityEEEEENSD_19counting_iterator_tIlEES8_S8_S8_S8_S8_S8_S8_S8_EEEEPS9_S9_NSD_9__find_if7functorIS9_EEEE10hipError_tPvRmT1_T2_T3_mT4_P12ihipStream_tbEUlT_E1_NS1_11comp_targetILNS1_3genE0ELNS1_11target_archE4294967295ELNS1_3gpuE0ELNS1_3repE0EEENS1_30default_config_static_selectorELNS0_4arch9wavefront6targetE1EEEvS14_
	.p2align	8
	.type	_ZN7rocprim17ROCPRIM_400000_NS6detail17trampoline_kernelINS0_14default_configENS1_22reduce_config_selectorIN6thrust23THRUST_200600_302600_NS5tupleIblNS6_9null_typeES8_S8_S8_S8_S8_S8_S8_EEEEZNS1_11reduce_implILb1ES3_NS6_12zip_iteratorINS7_INS6_11hip_rocprim26transform_input_iterator_tIbNSD_35transform_pair_of_input_iterators_tIbNS6_6detail15normal_iteratorINS6_10device_ptrIKsEEEESL_NS6_8equal_toIsEEEENSG_9not_fun_tINSD_8identityEEEEENSD_19counting_iterator_tIlEES8_S8_S8_S8_S8_S8_S8_S8_EEEEPS9_S9_NSD_9__find_if7functorIS9_EEEE10hipError_tPvRmT1_T2_T3_mT4_P12ihipStream_tbEUlT_E1_NS1_11comp_targetILNS1_3genE0ELNS1_11target_archE4294967295ELNS1_3gpuE0ELNS1_3repE0EEENS1_30default_config_static_selectorELNS0_4arch9wavefront6targetE1EEEvS14_,@function
_ZN7rocprim17ROCPRIM_400000_NS6detail17trampoline_kernelINS0_14default_configENS1_22reduce_config_selectorIN6thrust23THRUST_200600_302600_NS5tupleIblNS6_9null_typeES8_S8_S8_S8_S8_S8_S8_EEEEZNS1_11reduce_implILb1ES3_NS6_12zip_iteratorINS7_INS6_11hip_rocprim26transform_input_iterator_tIbNSD_35transform_pair_of_input_iterators_tIbNS6_6detail15normal_iteratorINS6_10device_ptrIKsEEEESL_NS6_8equal_toIsEEEENSG_9not_fun_tINSD_8identityEEEEENSD_19counting_iterator_tIlEES8_S8_S8_S8_S8_S8_S8_S8_EEEEPS9_S9_NSD_9__find_if7functorIS9_EEEE10hipError_tPvRmT1_T2_T3_mT4_P12ihipStream_tbEUlT_E1_NS1_11comp_targetILNS1_3genE0ELNS1_11target_archE4294967295ELNS1_3gpuE0ELNS1_3repE0EEENS1_30default_config_static_selectorELNS0_4arch9wavefront6targetE1EEEvS14_: ; @_ZN7rocprim17ROCPRIM_400000_NS6detail17trampoline_kernelINS0_14default_configENS1_22reduce_config_selectorIN6thrust23THRUST_200600_302600_NS5tupleIblNS6_9null_typeES8_S8_S8_S8_S8_S8_S8_EEEEZNS1_11reduce_implILb1ES3_NS6_12zip_iteratorINS7_INS6_11hip_rocprim26transform_input_iterator_tIbNSD_35transform_pair_of_input_iterators_tIbNS6_6detail15normal_iteratorINS6_10device_ptrIKsEEEESL_NS6_8equal_toIsEEEENSG_9not_fun_tINSD_8identityEEEEENSD_19counting_iterator_tIlEES8_S8_S8_S8_S8_S8_S8_S8_EEEEPS9_S9_NSD_9__find_if7functorIS9_EEEE10hipError_tPvRmT1_T2_T3_mT4_P12ihipStream_tbEUlT_E1_NS1_11comp_targetILNS1_3genE0ELNS1_11target_archE4294967295ELNS1_3gpuE0ELNS1_3repE0EEENS1_30default_config_static_selectorELNS0_4arch9wavefront6targetE1EEEvS14_
; %bb.0:
	.section	.rodata,"a",@progbits
	.p2align	6, 0x0
	.amdhsa_kernel _ZN7rocprim17ROCPRIM_400000_NS6detail17trampoline_kernelINS0_14default_configENS1_22reduce_config_selectorIN6thrust23THRUST_200600_302600_NS5tupleIblNS6_9null_typeES8_S8_S8_S8_S8_S8_S8_EEEEZNS1_11reduce_implILb1ES3_NS6_12zip_iteratorINS7_INS6_11hip_rocprim26transform_input_iterator_tIbNSD_35transform_pair_of_input_iterators_tIbNS6_6detail15normal_iteratorINS6_10device_ptrIKsEEEESL_NS6_8equal_toIsEEEENSG_9not_fun_tINSD_8identityEEEEENSD_19counting_iterator_tIlEES8_S8_S8_S8_S8_S8_S8_S8_EEEEPS9_S9_NSD_9__find_if7functorIS9_EEEE10hipError_tPvRmT1_T2_T3_mT4_P12ihipStream_tbEUlT_E1_NS1_11comp_targetILNS1_3genE0ELNS1_11target_archE4294967295ELNS1_3gpuE0ELNS1_3repE0EEENS1_30default_config_static_selectorELNS0_4arch9wavefront6targetE1EEEvS14_
		.amdhsa_group_segment_fixed_size 0
		.amdhsa_private_segment_fixed_size 0
		.amdhsa_kernarg_size 88
		.amdhsa_user_sgpr_count 6
		.amdhsa_user_sgpr_private_segment_buffer 1
		.amdhsa_user_sgpr_dispatch_ptr 0
		.amdhsa_user_sgpr_queue_ptr 0
		.amdhsa_user_sgpr_kernarg_segment_ptr 1
		.amdhsa_user_sgpr_dispatch_id 0
		.amdhsa_user_sgpr_flat_scratch_init 0
		.amdhsa_user_sgpr_private_segment_size 0
		.amdhsa_uses_dynamic_stack 0
		.amdhsa_system_sgpr_private_segment_wavefront_offset 0
		.amdhsa_system_sgpr_workgroup_id_x 1
		.amdhsa_system_sgpr_workgroup_id_y 0
		.amdhsa_system_sgpr_workgroup_id_z 0
		.amdhsa_system_sgpr_workgroup_info 0
		.amdhsa_system_vgpr_workitem_id 0
		.amdhsa_next_free_vgpr 1
		.amdhsa_next_free_sgpr 0
		.amdhsa_reserve_vcc 0
		.amdhsa_reserve_flat_scratch 0
		.amdhsa_float_round_mode_32 0
		.amdhsa_float_round_mode_16_64 0
		.amdhsa_float_denorm_mode_32 3
		.amdhsa_float_denorm_mode_16_64 3
		.amdhsa_dx10_clamp 1
		.amdhsa_ieee_mode 1
		.amdhsa_fp16_overflow 0
		.amdhsa_exception_fp_ieee_invalid_op 0
		.amdhsa_exception_fp_denorm_src 0
		.amdhsa_exception_fp_ieee_div_zero 0
		.amdhsa_exception_fp_ieee_overflow 0
		.amdhsa_exception_fp_ieee_underflow 0
		.amdhsa_exception_fp_ieee_inexact 0
		.amdhsa_exception_int_div_zero 0
	.end_amdhsa_kernel
	.section	.text._ZN7rocprim17ROCPRIM_400000_NS6detail17trampoline_kernelINS0_14default_configENS1_22reduce_config_selectorIN6thrust23THRUST_200600_302600_NS5tupleIblNS6_9null_typeES8_S8_S8_S8_S8_S8_S8_EEEEZNS1_11reduce_implILb1ES3_NS6_12zip_iteratorINS7_INS6_11hip_rocprim26transform_input_iterator_tIbNSD_35transform_pair_of_input_iterators_tIbNS6_6detail15normal_iteratorINS6_10device_ptrIKsEEEESL_NS6_8equal_toIsEEEENSG_9not_fun_tINSD_8identityEEEEENSD_19counting_iterator_tIlEES8_S8_S8_S8_S8_S8_S8_S8_EEEEPS9_S9_NSD_9__find_if7functorIS9_EEEE10hipError_tPvRmT1_T2_T3_mT4_P12ihipStream_tbEUlT_E1_NS1_11comp_targetILNS1_3genE0ELNS1_11target_archE4294967295ELNS1_3gpuE0ELNS1_3repE0EEENS1_30default_config_static_selectorELNS0_4arch9wavefront6targetE1EEEvS14_,"axG",@progbits,_ZN7rocprim17ROCPRIM_400000_NS6detail17trampoline_kernelINS0_14default_configENS1_22reduce_config_selectorIN6thrust23THRUST_200600_302600_NS5tupleIblNS6_9null_typeES8_S8_S8_S8_S8_S8_S8_EEEEZNS1_11reduce_implILb1ES3_NS6_12zip_iteratorINS7_INS6_11hip_rocprim26transform_input_iterator_tIbNSD_35transform_pair_of_input_iterators_tIbNS6_6detail15normal_iteratorINS6_10device_ptrIKsEEEESL_NS6_8equal_toIsEEEENSG_9not_fun_tINSD_8identityEEEEENSD_19counting_iterator_tIlEES8_S8_S8_S8_S8_S8_S8_S8_EEEEPS9_S9_NSD_9__find_if7functorIS9_EEEE10hipError_tPvRmT1_T2_T3_mT4_P12ihipStream_tbEUlT_E1_NS1_11comp_targetILNS1_3genE0ELNS1_11target_archE4294967295ELNS1_3gpuE0ELNS1_3repE0EEENS1_30default_config_static_selectorELNS0_4arch9wavefront6targetE1EEEvS14_,comdat
.Lfunc_end564:
	.size	_ZN7rocprim17ROCPRIM_400000_NS6detail17trampoline_kernelINS0_14default_configENS1_22reduce_config_selectorIN6thrust23THRUST_200600_302600_NS5tupleIblNS6_9null_typeES8_S8_S8_S8_S8_S8_S8_EEEEZNS1_11reduce_implILb1ES3_NS6_12zip_iteratorINS7_INS6_11hip_rocprim26transform_input_iterator_tIbNSD_35transform_pair_of_input_iterators_tIbNS6_6detail15normal_iteratorINS6_10device_ptrIKsEEEESL_NS6_8equal_toIsEEEENSG_9not_fun_tINSD_8identityEEEEENSD_19counting_iterator_tIlEES8_S8_S8_S8_S8_S8_S8_S8_EEEEPS9_S9_NSD_9__find_if7functorIS9_EEEE10hipError_tPvRmT1_T2_T3_mT4_P12ihipStream_tbEUlT_E1_NS1_11comp_targetILNS1_3genE0ELNS1_11target_archE4294967295ELNS1_3gpuE0ELNS1_3repE0EEENS1_30default_config_static_selectorELNS0_4arch9wavefront6targetE1EEEvS14_, .Lfunc_end564-_ZN7rocprim17ROCPRIM_400000_NS6detail17trampoline_kernelINS0_14default_configENS1_22reduce_config_selectorIN6thrust23THRUST_200600_302600_NS5tupleIblNS6_9null_typeES8_S8_S8_S8_S8_S8_S8_EEEEZNS1_11reduce_implILb1ES3_NS6_12zip_iteratorINS7_INS6_11hip_rocprim26transform_input_iterator_tIbNSD_35transform_pair_of_input_iterators_tIbNS6_6detail15normal_iteratorINS6_10device_ptrIKsEEEESL_NS6_8equal_toIsEEEENSG_9not_fun_tINSD_8identityEEEEENSD_19counting_iterator_tIlEES8_S8_S8_S8_S8_S8_S8_S8_EEEEPS9_S9_NSD_9__find_if7functorIS9_EEEE10hipError_tPvRmT1_T2_T3_mT4_P12ihipStream_tbEUlT_E1_NS1_11comp_targetILNS1_3genE0ELNS1_11target_archE4294967295ELNS1_3gpuE0ELNS1_3repE0EEENS1_30default_config_static_selectorELNS0_4arch9wavefront6targetE1EEEvS14_
                                        ; -- End function
	.set _ZN7rocprim17ROCPRIM_400000_NS6detail17trampoline_kernelINS0_14default_configENS1_22reduce_config_selectorIN6thrust23THRUST_200600_302600_NS5tupleIblNS6_9null_typeES8_S8_S8_S8_S8_S8_S8_EEEEZNS1_11reduce_implILb1ES3_NS6_12zip_iteratorINS7_INS6_11hip_rocprim26transform_input_iterator_tIbNSD_35transform_pair_of_input_iterators_tIbNS6_6detail15normal_iteratorINS6_10device_ptrIKsEEEESL_NS6_8equal_toIsEEEENSG_9not_fun_tINSD_8identityEEEEENSD_19counting_iterator_tIlEES8_S8_S8_S8_S8_S8_S8_S8_EEEEPS9_S9_NSD_9__find_if7functorIS9_EEEE10hipError_tPvRmT1_T2_T3_mT4_P12ihipStream_tbEUlT_E1_NS1_11comp_targetILNS1_3genE0ELNS1_11target_archE4294967295ELNS1_3gpuE0ELNS1_3repE0EEENS1_30default_config_static_selectorELNS0_4arch9wavefront6targetE1EEEvS14_.num_vgpr, 0
	.set _ZN7rocprim17ROCPRIM_400000_NS6detail17trampoline_kernelINS0_14default_configENS1_22reduce_config_selectorIN6thrust23THRUST_200600_302600_NS5tupleIblNS6_9null_typeES8_S8_S8_S8_S8_S8_S8_EEEEZNS1_11reduce_implILb1ES3_NS6_12zip_iteratorINS7_INS6_11hip_rocprim26transform_input_iterator_tIbNSD_35transform_pair_of_input_iterators_tIbNS6_6detail15normal_iteratorINS6_10device_ptrIKsEEEESL_NS6_8equal_toIsEEEENSG_9not_fun_tINSD_8identityEEEEENSD_19counting_iterator_tIlEES8_S8_S8_S8_S8_S8_S8_S8_EEEEPS9_S9_NSD_9__find_if7functorIS9_EEEE10hipError_tPvRmT1_T2_T3_mT4_P12ihipStream_tbEUlT_E1_NS1_11comp_targetILNS1_3genE0ELNS1_11target_archE4294967295ELNS1_3gpuE0ELNS1_3repE0EEENS1_30default_config_static_selectorELNS0_4arch9wavefront6targetE1EEEvS14_.num_agpr, 0
	.set _ZN7rocprim17ROCPRIM_400000_NS6detail17trampoline_kernelINS0_14default_configENS1_22reduce_config_selectorIN6thrust23THRUST_200600_302600_NS5tupleIblNS6_9null_typeES8_S8_S8_S8_S8_S8_S8_EEEEZNS1_11reduce_implILb1ES3_NS6_12zip_iteratorINS7_INS6_11hip_rocprim26transform_input_iterator_tIbNSD_35transform_pair_of_input_iterators_tIbNS6_6detail15normal_iteratorINS6_10device_ptrIKsEEEESL_NS6_8equal_toIsEEEENSG_9not_fun_tINSD_8identityEEEEENSD_19counting_iterator_tIlEES8_S8_S8_S8_S8_S8_S8_S8_EEEEPS9_S9_NSD_9__find_if7functorIS9_EEEE10hipError_tPvRmT1_T2_T3_mT4_P12ihipStream_tbEUlT_E1_NS1_11comp_targetILNS1_3genE0ELNS1_11target_archE4294967295ELNS1_3gpuE0ELNS1_3repE0EEENS1_30default_config_static_selectorELNS0_4arch9wavefront6targetE1EEEvS14_.numbered_sgpr, 0
	.set _ZN7rocprim17ROCPRIM_400000_NS6detail17trampoline_kernelINS0_14default_configENS1_22reduce_config_selectorIN6thrust23THRUST_200600_302600_NS5tupleIblNS6_9null_typeES8_S8_S8_S8_S8_S8_S8_EEEEZNS1_11reduce_implILb1ES3_NS6_12zip_iteratorINS7_INS6_11hip_rocprim26transform_input_iterator_tIbNSD_35transform_pair_of_input_iterators_tIbNS6_6detail15normal_iteratorINS6_10device_ptrIKsEEEESL_NS6_8equal_toIsEEEENSG_9not_fun_tINSD_8identityEEEEENSD_19counting_iterator_tIlEES8_S8_S8_S8_S8_S8_S8_S8_EEEEPS9_S9_NSD_9__find_if7functorIS9_EEEE10hipError_tPvRmT1_T2_T3_mT4_P12ihipStream_tbEUlT_E1_NS1_11comp_targetILNS1_3genE0ELNS1_11target_archE4294967295ELNS1_3gpuE0ELNS1_3repE0EEENS1_30default_config_static_selectorELNS0_4arch9wavefront6targetE1EEEvS14_.num_named_barrier, 0
	.set _ZN7rocprim17ROCPRIM_400000_NS6detail17trampoline_kernelINS0_14default_configENS1_22reduce_config_selectorIN6thrust23THRUST_200600_302600_NS5tupleIblNS6_9null_typeES8_S8_S8_S8_S8_S8_S8_EEEEZNS1_11reduce_implILb1ES3_NS6_12zip_iteratorINS7_INS6_11hip_rocprim26transform_input_iterator_tIbNSD_35transform_pair_of_input_iterators_tIbNS6_6detail15normal_iteratorINS6_10device_ptrIKsEEEESL_NS6_8equal_toIsEEEENSG_9not_fun_tINSD_8identityEEEEENSD_19counting_iterator_tIlEES8_S8_S8_S8_S8_S8_S8_S8_EEEEPS9_S9_NSD_9__find_if7functorIS9_EEEE10hipError_tPvRmT1_T2_T3_mT4_P12ihipStream_tbEUlT_E1_NS1_11comp_targetILNS1_3genE0ELNS1_11target_archE4294967295ELNS1_3gpuE0ELNS1_3repE0EEENS1_30default_config_static_selectorELNS0_4arch9wavefront6targetE1EEEvS14_.private_seg_size, 0
	.set _ZN7rocprim17ROCPRIM_400000_NS6detail17trampoline_kernelINS0_14default_configENS1_22reduce_config_selectorIN6thrust23THRUST_200600_302600_NS5tupleIblNS6_9null_typeES8_S8_S8_S8_S8_S8_S8_EEEEZNS1_11reduce_implILb1ES3_NS6_12zip_iteratorINS7_INS6_11hip_rocprim26transform_input_iterator_tIbNSD_35transform_pair_of_input_iterators_tIbNS6_6detail15normal_iteratorINS6_10device_ptrIKsEEEESL_NS6_8equal_toIsEEEENSG_9not_fun_tINSD_8identityEEEEENSD_19counting_iterator_tIlEES8_S8_S8_S8_S8_S8_S8_S8_EEEEPS9_S9_NSD_9__find_if7functorIS9_EEEE10hipError_tPvRmT1_T2_T3_mT4_P12ihipStream_tbEUlT_E1_NS1_11comp_targetILNS1_3genE0ELNS1_11target_archE4294967295ELNS1_3gpuE0ELNS1_3repE0EEENS1_30default_config_static_selectorELNS0_4arch9wavefront6targetE1EEEvS14_.uses_vcc, 0
	.set _ZN7rocprim17ROCPRIM_400000_NS6detail17trampoline_kernelINS0_14default_configENS1_22reduce_config_selectorIN6thrust23THRUST_200600_302600_NS5tupleIblNS6_9null_typeES8_S8_S8_S8_S8_S8_S8_EEEEZNS1_11reduce_implILb1ES3_NS6_12zip_iteratorINS7_INS6_11hip_rocprim26transform_input_iterator_tIbNSD_35transform_pair_of_input_iterators_tIbNS6_6detail15normal_iteratorINS6_10device_ptrIKsEEEESL_NS6_8equal_toIsEEEENSG_9not_fun_tINSD_8identityEEEEENSD_19counting_iterator_tIlEES8_S8_S8_S8_S8_S8_S8_S8_EEEEPS9_S9_NSD_9__find_if7functorIS9_EEEE10hipError_tPvRmT1_T2_T3_mT4_P12ihipStream_tbEUlT_E1_NS1_11comp_targetILNS1_3genE0ELNS1_11target_archE4294967295ELNS1_3gpuE0ELNS1_3repE0EEENS1_30default_config_static_selectorELNS0_4arch9wavefront6targetE1EEEvS14_.uses_flat_scratch, 0
	.set _ZN7rocprim17ROCPRIM_400000_NS6detail17trampoline_kernelINS0_14default_configENS1_22reduce_config_selectorIN6thrust23THRUST_200600_302600_NS5tupleIblNS6_9null_typeES8_S8_S8_S8_S8_S8_S8_EEEEZNS1_11reduce_implILb1ES3_NS6_12zip_iteratorINS7_INS6_11hip_rocprim26transform_input_iterator_tIbNSD_35transform_pair_of_input_iterators_tIbNS6_6detail15normal_iteratorINS6_10device_ptrIKsEEEESL_NS6_8equal_toIsEEEENSG_9not_fun_tINSD_8identityEEEEENSD_19counting_iterator_tIlEES8_S8_S8_S8_S8_S8_S8_S8_EEEEPS9_S9_NSD_9__find_if7functorIS9_EEEE10hipError_tPvRmT1_T2_T3_mT4_P12ihipStream_tbEUlT_E1_NS1_11comp_targetILNS1_3genE0ELNS1_11target_archE4294967295ELNS1_3gpuE0ELNS1_3repE0EEENS1_30default_config_static_selectorELNS0_4arch9wavefront6targetE1EEEvS14_.has_dyn_sized_stack, 0
	.set _ZN7rocprim17ROCPRIM_400000_NS6detail17trampoline_kernelINS0_14default_configENS1_22reduce_config_selectorIN6thrust23THRUST_200600_302600_NS5tupleIblNS6_9null_typeES8_S8_S8_S8_S8_S8_S8_EEEEZNS1_11reduce_implILb1ES3_NS6_12zip_iteratorINS7_INS6_11hip_rocprim26transform_input_iterator_tIbNSD_35transform_pair_of_input_iterators_tIbNS6_6detail15normal_iteratorINS6_10device_ptrIKsEEEESL_NS6_8equal_toIsEEEENSG_9not_fun_tINSD_8identityEEEEENSD_19counting_iterator_tIlEES8_S8_S8_S8_S8_S8_S8_S8_EEEEPS9_S9_NSD_9__find_if7functorIS9_EEEE10hipError_tPvRmT1_T2_T3_mT4_P12ihipStream_tbEUlT_E1_NS1_11comp_targetILNS1_3genE0ELNS1_11target_archE4294967295ELNS1_3gpuE0ELNS1_3repE0EEENS1_30default_config_static_selectorELNS0_4arch9wavefront6targetE1EEEvS14_.has_recursion, 0
	.set _ZN7rocprim17ROCPRIM_400000_NS6detail17trampoline_kernelINS0_14default_configENS1_22reduce_config_selectorIN6thrust23THRUST_200600_302600_NS5tupleIblNS6_9null_typeES8_S8_S8_S8_S8_S8_S8_EEEEZNS1_11reduce_implILb1ES3_NS6_12zip_iteratorINS7_INS6_11hip_rocprim26transform_input_iterator_tIbNSD_35transform_pair_of_input_iterators_tIbNS6_6detail15normal_iteratorINS6_10device_ptrIKsEEEESL_NS6_8equal_toIsEEEENSG_9not_fun_tINSD_8identityEEEEENSD_19counting_iterator_tIlEES8_S8_S8_S8_S8_S8_S8_S8_EEEEPS9_S9_NSD_9__find_if7functorIS9_EEEE10hipError_tPvRmT1_T2_T3_mT4_P12ihipStream_tbEUlT_E1_NS1_11comp_targetILNS1_3genE0ELNS1_11target_archE4294967295ELNS1_3gpuE0ELNS1_3repE0EEENS1_30default_config_static_selectorELNS0_4arch9wavefront6targetE1EEEvS14_.has_indirect_call, 0
	.section	.AMDGPU.csdata,"",@progbits
; Kernel info:
; codeLenInByte = 0
; TotalNumSgprs: 4
; NumVgprs: 0
; ScratchSize: 0
; MemoryBound: 0
; FloatMode: 240
; IeeeMode: 1
; LDSByteSize: 0 bytes/workgroup (compile time only)
; SGPRBlocks: 0
; VGPRBlocks: 0
; NumSGPRsForWavesPerEU: 4
; NumVGPRsForWavesPerEU: 1
; Occupancy: 10
; WaveLimiterHint : 0
; COMPUTE_PGM_RSRC2:SCRATCH_EN: 0
; COMPUTE_PGM_RSRC2:USER_SGPR: 6
; COMPUTE_PGM_RSRC2:TRAP_HANDLER: 0
; COMPUTE_PGM_RSRC2:TGID_X_EN: 1
; COMPUTE_PGM_RSRC2:TGID_Y_EN: 0
; COMPUTE_PGM_RSRC2:TGID_Z_EN: 0
; COMPUTE_PGM_RSRC2:TIDIG_COMP_CNT: 0
	.section	.text._ZN7rocprim17ROCPRIM_400000_NS6detail17trampoline_kernelINS0_14default_configENS1_22reduce_config_selectorIN6thrust23THRUST_200600_302600_NS5tupleIblNS6_9null_typeES8_S8_S8_S8_S8_S8_S8_EEEEZNS1_11reduce_implILb1ES3_NS6_12zip_iteratorINS7_INS6_11hip_rocprim26transform_input_iterator_tIbNSD_35transform_pair_of_input_iterators_tIbNS6_6detail15normal_iteratorINS6_10device_ptrIKsEEEESL_NS6_8equal_toIsEEEENSG_9not_fun_tINSD_8identityEEEEENSD_19counting_iterator_tIlEES8_S8_S8_S8_S8_S8_S8_S8_EEEEPS9_S9_NSD_9__find_if7functorIS9_EEEE10hipError_tPvRmT1_T2_T3_mT4_P12ihipStream_tbEUlT_E1_NS1_11comp_targetILNS1_3genE5ELNS1_11target_archE942ELNS1_3gpuE9ELNS1_3repE0EEENS1_30default_config_static_selectorELNS0_4arch9wavefront6targetE1EEEvS14_,"axG",@progbits,_ZN7rocprim17ROCPRIM_400000_NS6detail17trampoline_kernelINS0_14default_configENS1_22reduce_config_selectorIN6thrust23THRUST_200600_302600_NS5tupleIblNS6_9null_typeES8_S8_S8_S8_S8_S8_S8_EEEEZNS1_11reduce_implILb1ES3_NS6_12zip_iteratorINS7_INS6_11hip_rocprim26transform_input_iterator_tIbNSD_35transform_pair_of_input_iterators_tIbNS6_6detail15normal_iteratorINS6_10device_ptrIKsEEEESL_NS6_8equal_toIsEEEENSG_9not_fun_tINSD_8identityEEEEENSD_19counting_iterator_tIlEES8_S8_S8_S8_S8_S8_S8_S8_EEEEPS9_S9_NSD_9__find_if7functorIS9_EEEE10hipError_tPvRmT1_T2_T3_mT4_P12ihipStream_tbEUlT_E1_NS1_11comp_targetILNS1_3genE5ELNS1_11target_archE942ELNS1_3gpuE9ELNS1_3repE0EEENS1_30default_config_static_selectorELNS0_4arch9wavefront6targetE1EEEvS14_,comdat
	.protected	_ZN7rocprim17ROCPRIM_400000_NS6detail17trampoline_kernelINS0_14default_configENS1_22reduce_config_selectorIN6thrust23THRUST_200600_302600_NS5tupleIblNS6_9null_typeES8_S8_S8_S8_S8_S8_S8_EEEEZNS1_11reduce_implILb1ES3_NS6_12zip_iteratorINS7_INS6_11hip_rocprim26transform_input_iterator_tIbNSD_35transform_pair_of_input_iterators_tIbNS6_6detail15normal_iteratorINS6_10device_ptrIKsEEEESL_NS6_8equal_toIsEEEENSG_9not_fun_tINSD_8identityEEEEENSD_19counting_iterator_tIlEES8_S8_S8_S8_S8_S8_S8_S8_EEEEPS9_S9_NSD_9__find_if7functorIS9_EEEE10hipError_tPvRmT1_T2_T3_mT4_P12ihipStream_tbEUlT_E1_NS1_11comp_targetILNS1_3genE5ELNS1_11target_archE942ELNS1_3gpuE9ELNS1_3repE0EEENS1_30default_config_static_selectorELNS0_4arch9wavefront6targetE1EEEvS14_ ; -- Begin function _ZN7rocprim17ROCPRIM_400000_NS6detail17trampoline_kernelINS0_14default_configENS1_22reduce_config_selectorIN6thrust23THRUST_200600_302600_NS5tupleIblNS6_9null_typeES8_S8_S8_S8_S8_S8_S8_EEEEZNS1_11reduce_implILb1ES3_NS6_12zip_iteratorINS7_INS6_11hip_rocprim26transform_input_iterator_tIbNSD_35transform_pair_of_input_iterators_tIbNS6_6detail15normal_iteratorINS6_10device_ptrIKsEEEESL_NS6_8equal_toIsEEEENSG_9not_fun_tINSD_8identityEEEEENSD_19counting_iterator_tIlEES8_S8_S8_S8_S8_S8_S8_S8_EEEEPS9_S9_NSD_9__find_if7functorIS9_EEEE10hipError_tPvRmT1_T2_T3_mT4_P12ihipStream_tbEUlT_E1_NS1_11comp_targetILNS1_3genE5ELNS1_11target_archE942ELNS1_3gpuE9ELNS1_3repE0EEENS1_30default_config_static_selectorELNS0_4arch9wavefront6targetE1EEEvS14_
	.globl	_ZN7rocprim17ROCPRIM_400000_NS6detail17trampoline_kernelINS0_14default_configENS1_22reduce_config_selectorIN6thrust23THRUST_200600_302600_NS5tupleIblNS6_9null_typeES8_S8_S8_S8_S8_S8_S8_EEEEZNS1_11reduce_implILb1ES3_NS6_12zip_iteratorINS7_INS6_11hip_rocprim26transform_input_iterator_tIbNSD_35transform_pair_of_input_iterators_tIbNS6_6detail15normal_iteratorINS6_10device_ptrIKsEEEESL_NS6_8equal_toIsEEEENSG_9not_fun_tINSD_8identityEEEEENSD_19counting_iterator_tIlEES8_S8_S8_S8_S8_S8_S8_S8_EEEEPS9_S9_NSD_9__find_if7functorIS9_EEEE10hipError_tPvRmT1_T2_T3_mT4_P12ihipStream_tbEUlT_E1_NS1_11comp_targetILNS1_3genE5ELNS1_11target_archE942ELNS1_3gpuE9ELNS1_3repE0EEENS1_30default_config_static_selectorELNS0_4arch9wavefront6targetE1EEEvS14_
	.p2align	8
	.type	_ZN7rocprim17ROCPRIM_400000_NS6detail17trampoline_kernelINS0_14default_configENS1_22reduce_config_selectorIN6thrust23THRUST_200600_302600_NS5tupleIblNS6_9null_typeES8_S8_S8_S8_S8_S8_S8_EEEEZNS1_11reduce_implILb1ES3_NS6_12zip_iteratorINS7_INS6_11hip_rocprim26transform_input_iterator_tIbNSD_35transform_pair_of_input_iterators_tIbNS6_6detail15normal_iteratorINS6_10device_ptrIKsEEEESL_NS6_8equal_toIsEEEENSG_9not_fun_tINSD_8identityEEEEENSD_19counting_iterator_tIlEES8_S8_S8_S8_S8_S8_S8_S8_EEEEPS9_S9_NSD_9__find_if7functorIS9_EEEE10hipError_tPvRmT1_T2_T3_mT4_P12ihipStream_tbEUlT_E1_NS1_11comp_targetILNS1_3genE5ELNS1_11target_archE942ELNS1_3gpuE9ELNS1_3repE0EEENS1_30default_config_static_selectorELNS0_4arch9wavefront6targetE1EEEvS14_,@function
_ZN7rocprim17ROCPRIM_400000_NS6detail17trampoline_kernelINS0_14default_configENS1_22reduce_config_selectorIN6thrust23THRUST_200600_302600_NS5tupleIblNS6_9null_typeES8_S8_S8_S8_S8_S8_S8_EEEEZNS1_11reduce_implILb1ES3_NS6_12zip_iteratorINS7_INS6_11hip_rocprim26transform_input_iterator_tIbNSD_35transform_pair_of_input_iterators_tIbNS6_6detail15normal_iteratorINS6_10device_ptrIKsEEEESL_NS6_8equal_toIsEEEENSG_9not_fun_tINSD_8identityEEEEENSD_19counting_iterator_tIlEES8_S8_S8_S8_S8_S8_S8_S8_EEEEPS9_S9_NSD_9__find_if7functorIS9_EEEE10hipError_tPvRmT1_T2_T3_mT4_P12ihipStream_tbEUlT_E1_NS1_11comp_targetILNS1_3genE5ELNS1_11target_archE942ELNS1_3gpuE9ELNS1_3repE0EEENS1_30default_config_static_selectorELNS0_4arch9wavefront6targetE1EEEvS14_: ; @_ZN7rocprim17ROCPRIM_400000_NS6detail17trampoline_kernelINS0_14default_configENS1_22reduce_config_selectorIN6thrust23THRUST_200600_302600_NS5tupleIblNS6_9null_typeES8_S8_S8_S8_S8_S8_S8_EEEEZNS1_11reduce_implILb1ES3_NS6_12zip_iteratorINS7_INS6_11hip_rocprim26transform_input_iterator_tIbNSD_35transform_pair_of_input_iterators_tIbNS6_6detail15normal_iteratorINS6_10device_ptrIKsEEEESL_NS6_8equal_toIsEEEENSG_9not_fun_tINSD_8identityEEEEENSD_19counting_iterator_tIlEES8_S8_S8_S8_S8_S8_S8_S8_EEEEPS9_S9_NSD_9__find_if7functorIS9_EEEE10hipError_tPvRmT1_T2_T3_mT4_P12ihipStream_tbEUlT_E1_NS1_11comp_targetILNS1_3genE5ELNS1_11target_archE942ELNS1_3gpuE9ELNS1_3repE0EEENS1_30default_config_static_selectorELNS0_4arch9wavefront6targetE1EEEvS14_
; %bb.0:
	.section	.rodata,"a",@progbits
	.p2align	6, 0x0
	.amdhsa_kernel _ZN7rocprim17ROCPRIM_400000_NS6detail17trampoline_kernelINS0_14default_configENS1_22reduce_config_selectorIN6thrust23THRUST_200600_302600_NS5tupleIblNS6_9null_typeES8_S8_S8_S8_S8_S8_S8_EEEEZNS1_11reduce_implILb1ES3_NS6_12zip_iteratorINS7_INS6_11hip_rocprim26transform_input_iterator_tIbNSD_35transform_pair_of_input_iterators_tIbNS6_6detail15normal_iteratorINS6_10device_ptrIKsEEEESL_NS6_8equal_toIsEEEENSG_9not_fun_tINSD_8identityEEEEENSD_19counting_iterator_tIlEES8_S8_S8_S8_S8_S8_S8_S8_EEEEPS9_S9_NSD_9__find_if7functorIS9_EEEE10hipError_tPvRmT1_T2_T3_mT4_P12ihipStream_tbEUlT_E1_NS1_11comp_targetILNS1_3genE5ELNS1_11target_archE942ELNS1_3gpuE9ELNS1_3repE0EEENS1_30default_config_static_selectorELNS0_4arch9wavefront6targetE1EEEvS14_
		.amdhsa_group_segment_fixed_size 0
		.amdhsa_private_segment_fixed_size 0
		.amdhsa_kernarg_size 88
		.amdhsa_user_sgpr_count 6
		.amdhsa_user_sgpr_private_segment_buffer 1
		.amdhsa_user_sgpr_dispatch_ptr 0
		.amdhsa_user_sgpr_queue_ptr 0
		.amdhsa_user_sgpr_kernarg_segment_ptr 1
		.amdhsa_user_sgpr_dispatch_id 0
		.amdhsa_user_sgpr_flat_scratch_init 0
		.amdhsa_user_sgpr_private_segment_size 0
		.amdhsa_uses_dynamic_stack 0
		.amdhsa_system_sgpr_private_segment_wavefront_offset 0
		.amdhsa_system_sgpr_workgroup_id_x 1
		.amdhsa_system_sgpr_workgroup_id_y 0
		.amdhsa_system_sgpr_workgroup_id_z 0
		.amdhsa_system_sgpr_workgroup_info 0
		.amdhsa_system_vgpr_workitem_id 0
		.amdhsa_next_free_vgpr 1
		.amdhsa_next_free_sgpr 0
		.amdhsa_reserve_vcc 0
		.amdhsa_reserve_flat_scratch 0
		.amdhsa_float_round_mode_32 0
		.amdhsa_float_round_mode_16_64 0
		.amdhsa_float_denorm_mode_32 3
		.amdhsa_float_denorm_mode_16_64 3
		.amdhsa_dx10_clamp 1
		.amdhsa_ieee_mode 1
		.amdhsa_fp16_overflow 0
		.amdhsa_exception_fp_ieee_invalid_op 0
		.amdhsa_exception_fp_denorm_src 0
		.amdhsa_exception_fp_ieee_div_zero 0
		.amdhsa_exception_fp_ieee_overflow 0
		.amdhsa_exception_fp_ieee_underflow 0
		.amdhsa_exception_fp_ieee_inexact 0
		.amdhsa_exception_int_div_zero 0
	.end_amdhsa_kernel
	.section	.text._ZN7rocprim17ROCPRIM_400000_NS6detail17trampoline_kernelINS0_14default_configENS1_22reduce_config_selectorIN6thrust23THRUST_200600_302600_NS5tupleIblNS6_9null_typeES8_S8_S8_S8_S8_S8_S8_EEEEZNS1_11reduce_implILb1ES3_NS6_12zip_iteratorINS7_INS6_11hip_rocprim26transform_input_iterator_tIbNSD_35transform_pair_of_input_iterators_tIbNS6_6detail15normal_iteratorINS6_10device_ptrIKsEEEESL_NS6_8equal_toIsEEEENSG_9not_fun_tINSD_8identityEEEEENSD_19counting_iterator_tIlEES8_S8_S8_S8_S8_S8_S8_S8_EEEEPS9_S9_NSD_9__find_if7functorIS9_EEEE10hipError_tPvRmT1_T2_T3_mT4_P12ihipStream_tbEUlT_E1_NS1_11comp_targetILNS1_3genE5ELNS1_11target_archE942ELNS1_3gpuE9ELNS1_3repE0EEENS1_30default_config_static_selectorELNS0_4arch9wavefront6targetE1EEEvS14_,"axG",@progbits,_ZN7rocprim17ROCPRIM_400000_NS6detail17trampoline_kernelINS0_14default_configENS1_22reduce_config_selectorIN6thrust23THRUST_200600_302600_NS5tupleIblNS6_9null_typeES8_S8_S8_S8_S8_S8_S8_EEEEZNS1_11reduce_implILb1ES3_NS6_12zip_iteratorINS7_INS6_11hip_rocprim26transform_input_iterator_tIbNSD_35transform_pair_of_input_iterators_tIbNS6_6detail15normal_iteratorINS6_10device_ptrIKsEEEESL_NS6_8equal_toIsEEEENSG_9not_fun_tINSD_8identityEEEEENSD_19counting_iterator_tIlEES8_S8_S8_S8_S8_S8_S8_S8_EEEEPS9_S9_NSD_9__find_if7functorIS9_EEEE10hipError_tPvRmT1_T2_T3_mT4_P12ihipStream_tbEUlT_E1_NS1_11comp_targetILNS1_3genE5ELNS1_11target_archE942ELNS1_3gpuE9ELNS1_3repE0EEENS1_30default_config_static_selectorELNS0_4arch9wavefront6targetE1EEEvS14_,comdat
.Lfunc_end565:
	.size	_ZN7rocprim17ROCPRIM_400000_NS6detail17trampoline_kernelINS0_14default_configENS1_22reduce_config_selectorIN6thrust23THRUST_200600_302600_NS5tupleIblNS6_9null_typeES8_S8_S8_S8_S8_S8_S8_EEEEZNS1_11reduce_implILb1ES3_NS6_12zip_iteratorINS7_INS6_11hip_rocprim26transform_input_iterator_tIbNSD_35transform_pair_of_input_iterators_tIbNS6_6detail15normal_iteratorINS6_10device_ptrIKsEEEESL_NS6_8equal_toIsEEEENSG_9not_fun_tINSD_8identityEEEEENSD_19counting_iterator_tIlEES8_S8_S8_S8_S8_S8_S8_S8_EEEEPS9_S9_NSD_9__find_if7functorIS9_EEEE10hipError_tPvRmT1_T2_T3_mT4_P12ihipStream_tbEUlT_E1_NS1_11comp_targetILNS1_3genE5ELNS1_11target_archE942ELNS1_3gpuE9ELNS1_3repE0EEENS1_30default_config_static_selectorELNS0_4arch9wavefront6targetE1EEEvS14_, .Lfunc_end565-_ZN7rocprim17ROCPRIM_400000_NS6detail17trampoline_kernelINS0_14default_configENS1_22reduce_config_selectorIN6thrust23THRUST_200600_302600_NS5tupleIblNS6_9null_typeES8_S8_S8_S8_S8_S8_S8_EEEEZNS1_11reduce_implILb1ES3_NS6_12zip_iteratorINS7_INS6_11hip_rocprim26transform_input_iterator_tIbNSD_35transform_pair_of_input_iterators_tIbNS6_6detail15normal_iteratorINS6_10device_ptrIKsEEEESL_NS6_8equal_toIsEEEENSG_9not_fun_tINSD_8identityEEEEENSD_19counting_iterator_tIlEES8_S8_S8_S8_S8_S8_S8_S8_EEEEPS9_S9_NSD_9__find_if7functorIS9_EEEE10hipError_tPvRmT1_T2_T3_mT4_P12ihipStream_tbEUlT_E1_NS1_11comp_targetILNS1_3genE5ELNS1_11target_archE942ELNS1_3gpuE9ELNS1_3repE0EEENS1_30default_config_static_selectorELNS0_4arch9wavefront6targetE1EEEvS14_
                                        ; -- End function
	.set _ZN7rocprim17ROCPRIM_400000_NS6detail17trampoline_kernelINS0_14default_configENS1_22reduce_config_selectorIN6thrust23THRUST_200600_302600_NS5tupleIblNS6_9null_typeES8_S8_S8_S8_S8_S8_S8_EEEEZNS1_11reduce_implILb1ES3_NS6_12zip_iteratorINS7_INS6_11hip_rocprim26transform_input_iterator_tIbNSD_35transform_pair_of_input_iterators_tIbNS6_6detail15normal_iteratorINS6_10device_ptrIKsEEEESL_NS6_8equal_toIsEEEENSG_9not_fun_tINSD_8identityEEEEENSD_19counting_iterator_tIlEES8_S8_S8_S8_S8_S8_S8_S8_EEEEPS9_S9_NSD_9__find_if7functorIS9_EEEE10hipError_tPvRmT1_T2_T3_mT4_P12ihipStream_tbEUlT_E1_NS1_11comp_targetILNS1_3genE5ELNS1_11target_archE942ELNS1_3gpuE9ELNS1_3repE0EEENS1_30default_config_static_selectorELNS0_4arch9wavefront6targetE1EEEvS14_.num_vgpr, 0
	.set _ZN7rocprim17ROCPRIM_400000_NS6detail17trampoline_kernelINS0_14default_configENS1_22reduce_config_selectorIN6thrust23THRUST_200600_302600_NS5tupleIblNS6_9null_typeES8_S8_S8_S8_S8_S8_S8_EEEEZNS1_11reduce_implILb1ES3_NS6_12zip_iteratorINS7_INS6_11hip_rocprim26transform_input_iterator_tIbNSD_35transform_pair_of_input_iterators_tIbNS6_6detail15normal_iteratorINS6_10device_ptrIKsEEEESL_NS6_8equal_toIsEEEENSG_9not_fun_tINSD_8identityEEEEENSD_19counting_iterator_tIlEES8_S8_S8_S8_S8_S8_S8_S8_EEEEPS9_S9_NSD_9__find_if7functorIS9_EEEE10hipError_tPvRmT1_T2_T3_mT4_P12ihipStream_tbEUlT_E1_NS1_11comp_targetILNS1_3genE5ELNS1_11target_archE942ELNS1_3gpuE9ELNS1_3repE0EEENS1_30default_config_static_selectorELNS0_4arch9wavefront6targetE1EEEvS14_.num_agpr, 0
	.set _ZN7rocprim17ROCPRIM_400000_NS6detail17trampoline_kernelINS0_14default_configENS1_22reduce_config_selectorIN6thrust23THRUST_200600_302600_NS5tupleIblNS6_9null_typeES8_S8_S8_S8_S8_S8_S8_EEEEZNS1_11reduce_implILb1ES3_NS6_12zip_iteratorINS7_INS6_11hip_rocprim26transform_input_iterator_tIbNSD_35transform_pair_of_input_iterators_tIbNS6_6detail15normal_iteratorINS6_10device_ptrIKsEEEESL_NS6_8equal_toIsEEEENSG_9not_fun_tINSD_8identityEEEEENSD_19counting_iterator_tIlEES8_S8_S8_S8_S8_S8_S8_S8_EEEEPS9_S9_NSD_9__find_if7functorIS9_EEEE10hipError_tPvRmT1_T2_T3_mT4_P12ihipStream_tbEUlT_E1_NS1_11comp_targetILNS1_3genE5ELNS1_11target_archE942ELNS1_3gpuE9ELNS1_3repE0EEENS1_30default_config_static_selectorELNS0_4arch9wavefront6targetE1EEEvS14_.numbered_sgpr, 0
	.set _ZN7rocprim17ROCPRIM_400000_NS6detail17trampoline_kernelINS0_14default_configENS1_22reduce_config_selectorIN6thrust23THRUST_200600_302600_NS5tupleIblNS6_9null_typeES8_S8_S8_S8_S8_S8_S8_EEEEZNS1_11reduce_implILb1ES3_NS6_12zip_iteratorINS7_INS6_11hip_rocprim26transform_input_iterator_tIbNSD_35transform_pair_of_input_iterators_tIbNS6_6detail15normal_iteratorINS6_10device_ptrIKsEEEESL_NS6_8equal_toIsEEEENSG_9not_fun_tINSD_8identityEEEEENSD_19counting_iterator_tIlEES8_S8_S8_S8_S8_S8_S8_S8_EEEEPS9_S9_NSD_9__find_if7functorIS9_EEEE10hipError_tPvRmT1_T2_T3_mT4_P12ihipStream_tbEUlT_E1_NS1_11comp_targetILNS1_3genE5ELNS1_11target_archE942ELNS1_3gpuE9ELNS1_3repE0EEENS1_30default_config_static_selectorELNS0_4arch9wavefront6targetE1EEEvS14_.num_named_barrier, 0
	.set _ZN7rocprim17ROCPRIM_400000_NS6detail17trampoline_kernelINS0_14default_configENS1_22reduce_config_selectorIN6thrust23THRUST_200600_302600_NS5tupleIblNS6_9null_typeES8_S8_S8_S8_S8_S8_S8_EEEEZNS1_11reduce_implILb1ES3_NS6_12zip_iteratorINS7_INS6_11hip_rocprim26transform_input_iterator_tIbNSD_35transform_pair_of_input_iterators_tIbNS6_6detail15normal_iteratorINS6_10device_ptrIKsEEEESL_NS6_8equal_toIsEEEENSG_9not_fun_tINSD_8identityEEEEENSD_19counting_iterator_tIlEES8_S8_S8_S8_S8_S8_S8_S8_EEEEPS9_S9_NSD_9__find_if7functorIS9_EEEE10hipError_tPvRmT1_T2_T3_mT4_P12ihipStream_tbEUlT_E1_NS1_11comp_targetILNS1_3genE5ELNS1_11target_archE942ELNS1_3gpuE9ELNS1_3repE0EEENS1_30default_config_static_selectorELNS0_4arch9wavefront6targetE1EEEvS14_.private_seg_size, 0
	.set _ZN7rocprim17ROCPRIM_400000_NS6detail17trampoline_kernelINS0_14default_configENS1_22reduce_config_selectorIN6thrust23THRUST_200600_302600_NS5tupleIblNS6_9null_typeES8_S8_S8_S8_S8_S8_S8_EEEEZNS1_11reduce_implILb1ES3_NS6_12zip_iteratorINS7_INS6_11hip_rocprim26transform_input_iterator_tIbNSD_35transform_pair_of_input_iterators_tIbNS6_6detail15normal_iteratorINS6_10device_ptrIKsEEEESL_NS6_8equal_toIsEEEENSG_9not_fun_tINSD_8identityEEEEENSD_19counting_iterator_tIlEES8_S8_S8_S8_S8_S8_S8_S8_EEEEPS9_S9_NSD_9__find_if7functorIS9_EEEE10hipError_tPvRmT1_T2_T3_mT4_P12ihipStream_tbEUlT_E1_NS1_11comp_targetILNS1_3genE5ELNS1_11target_archE942ELNS1_3gpuE9ELNS1_3repE0EEENS1_30default_config_static_selectorELNS0_4arch9wavefront6targetE1EEEvS14_.uses_vcc, 0
	.set _ZN7rocprim17ROCPRIM_400000_NS6detail17trampoline_kernelINS0_14default_configENS1_22reduce_config_selectorIN6thrust23THRUST_200600_302600_NS5tupleIblNS6_9null_typeES8_S8_S8_S8_S8_S8_S8_EEEEZNS1_11reduce_implILb1ES3_NS6_12zip_iteratorINS7_INS6_11hip_rocprim26transform_input_iterator_tIbNSD_35transform_pair_of_input_iterators_tIbNS6_6detail15normal_iteratorINS6_10device_ptrIKsEEEESL_NS6_8equal_toIsEEEENSG_9not_fun_tINSD_8identityEEEEENSD_19counting_iterator_tIlEES8_S8_S8_S8_S8_S8_S8_S8_EEEEPS9_S9_NSD_9__find_if7functorIS9_EEEE10hipError_tPvRmT1_T2_T3_mT4_P12ihipStream_tbEUlT_E1_NS1_11comp_targetILNS1_3genE5ELNS1_11target_archE942ELNS1_3gpuE9ELNS1_3repE0EEENS1_30default_config_static_selectorELNS0_4arch9wavefront6targetE1EEEvS14_.uses_flat_scratch, 0
	.set _ZN7rocprim17ROCPRIM_400000_NS6detail17trampoline_kernelINS0_14default_configENS1_22reduce_config_selectorIN6thrust23THRUST_200600_302600_NS5tupleIblNS6_9null_typeES8_S8_S8_S8_S8_S8_S8_EEEEZNS1_11reduce_implILb1ES3_NS6_12zip_iteratorINS7_INS6_11hip_rocprim26transform_input_iterator_tIbNSD_35transform_pair_of_input_iterators_tIbNS6_6detail15normal_iteratorINS6_10device_ptrIKsEEEESL_NS6_8equal_toIsEEEENSG_9not_fun_tINSD_8identityEEEEENSD_19counting_iterator_tIlEES8_S8_S8_S8_S8_S8_S8_S8_EEEEPS9_S9_NSD_9__find_if7functorIS9_EEEE10hipError_tPvRmT1_T2_T3_mT4_P12ihipStream_tbEUlT_E1_NS1_11comp_targetILNS1_3genE5ELNS1_11target_archE942ELNS1_3gpuE9ELNS1_3repE0EEENS1_30default_config_static_selectorELNS0_4arch9wavefront6targetE1EEEvS14_.has_dyn_sized_stack, 0
	.set _ZN7rocprim17ROCPRIM_400000_NS6detail17trampoline_kernelINS0_14default_configENS1_22reduce_config_selectorIN6thrust23THRUST_200600_302600_NS5tupleIblNS6_9null_typeES8_S8_S8_S8_S8_S8_S8_EEEEZNS1_11reduce_implILb1ES3_NS6_12zip_iteratorINS7_INS6_11hip_rocprim26transform_input_iterator_tIbNSD_35transform_pair_of_input_iterators_tIbNS6_6detail15normal_iteratorINS6_10device_ptrIKsEEEESL_NS6_8equal_toIsEEEENSG_9not_fun_tINSD_8identityEEEEENSD_19counting_iterator_tIlEES8_S8_S8_S8_S8_S8_S8_S8_EEEEPS9_S9_NSD_9__find_if7functorIS9_EEEE10hipError_tPvRmT1_T2_T3_mT4_P12ihipStream_tbEUlT_E1_NS1_11comp_targetILNS1_3genE5ELNS1_11target_archE942ELNS1_3gpuE9ELNS1_3repE0EEENS1_30default_config_static_selectorELNS0_4arch9wavefront6targetE1EEEvS14_.has_recursion, 0
	.set _ZN7rocprim17ROCPRIM_400000_NS6detail17trampoline_kernelINS0_14default_configENS1_22reduce_config_selectorIN6thrust23THRUST_200600_302600_NS5tupleIblNS6_9null_typeES8_S8_S8_S8_S8_S8_S8_EEEEZNS1_11reduce_implILb1ES3_NS6_12zip_iteratorINS7_INS6_11hip_rocprim26transform_input_iterator_tIbNSD_35transform_pair_of_input_iterators_tIbNS6_6detail15normal_iteratorINS6_10device_ptrIKsEEEESL_NS6_8equal_toIsEEEENSG_9not_fun_tINSD_8identityEEEEENSD_19counting_iterator_tIlEES8_S8_S8_S8_S8_S8_S8_S8_EEEEPS9_S9_NSD_9__find_if7functorIS9_EEEE10hipError_tPvRmT1_T2_T3_mT4_P12ihipStream_tbEUlT_E1_NS1_11comp_targetILNS1_3genE5ELNS1_11target_archE942ELNS1_3gpuE9ELNS1_3repE0EEENS1_30default_config_static_selectorELNS0_4arch9wavefront6targetE1EEEvS14_.has_indirect_call, 0
	.section	.AMDGPU.csdata,"",@progbits
; Kernel info:
; codeLenInByte = 0
; TotalNumSgprs: 4
; NumVgprs: 0
; ScratchSize: 0
; MemoryBound: 0
; FloatMode: 240
; IeeeMode: 1
; LDSByteSize: 0 bytes/workgroup (compile time only)
; SGPRBlocks: 0
; VGPRBlocks: 0
; NumSGPRsForWavesPerEU: 4
; NumVGPRsForWavesPerEU: 1
; Occupancy: 10
; WaveLimiterHint : 0
; COMPUTE_PGM_RSRC2:SCRATCH_EN: 0
; COMPUTE_PGM_RSRC2:USER_SGPR: 6
; COMPUTE_PGM_RSRC2:TRAP_HANDLER: 0
; COMPUTE_PGM_RSRC2:TGID_X_EN: 1
; COMPUTE_PGM_RSRC2:TGID_Y_EN: 0
; COMPUTE_PGM_RSRC2:TGID_Z_EN: 0
; COMPUTE_PGM_RSRC2:TIDIG_COMP_CNT: 0
	.section	.text._ZN7rocprim17ROCPRIM_400000_NS6detail17trampoline_kernelINS0_14default_configENS1_22reduce_config_selectorIN6thrust23THRUST_200600_302600_NS5tupleIblNS6_9null_typeES8_S8_S8_S8_S8_S8_S8_EEEEZNS1_11reduce_implILb1ES3_NS6_12zip_iteratorINS7_INS6_11hip_rocprim26transform_input_iterator_tIbNSD_35transform_pair_of_input_iterators_tIbNS6_6detail15normal_iteratorINS6_10device_ptrIKsEEEESL_NS6_8equal_toIsEEEENSG_9not_fun_tINSD_8identityEEEEENSD_19counting_iterator_tIlEES8_S8_S8_S8_S8_S8_S8_S8_EEEEPS9_S9_NSD_9__find_if7functorIS9_EEEE10hipError_tPvRmT1_T2_T3_mT4_P12ihipStream_tbEUlT_E1_NS1_11comp_targetILNS1_3genE4ELNS1_11target_archE910ELNS1_3gpuE8ELNS1_3repE0EEENS1_30default_config_static_selectorELNS0_4arch9wavefront6targetE1EEEvS14_,"axG",@progbits,_ZN7rocprim17ROCPRIM_400000_NS6detail17trampoline_kernelINS0_14default_configENS1_22reduce_config_selectorIN6thrust23THRUST_200600_302600_NS5tupleIblNS6_9null_typeES8_S8_S8_S8_S8_S8_S8_EEEEZNS1_11reduce_implILb1ES3_NS6_12zip_iteratorINS7_INS6_11hip_rocprim26transform_input_iterator_tIbNSD_35transform_pair_of_input_iterators_tIbNS6_6detail15normal_iteratorINS6_10device_ptrIKsEEEESL_NS6_8equal_toIsEEEENSG_9not_fun_tINSD_8identityEEEEENSD_19counting_iterator_tIlEES8_S8_S8_S8_S8_S8_S8_S8_EEEEPS9_S9_NSD_9__find_if7functorIS9_EEEE10hipError_tPvRmT1_T2_T3_mT4_P12ihipStream_tbEUlT_E1_NS1_11comp_targetILNS1_3genE4ELNS1_11target_archE910ELNS1_3gpuE8ELNS1_3repE0EEENS1_30default_config_static_selectorELNS0_4arch9wavefront6targetE1EEEvS14_,comdat
	.protected	_ZN7rocprim17ROCPRIM_400000_NS6detail17trampoline_kernelINS0_14default_configENS1_22reduce_config_selectorIN6thrust23THRUST_200600_302600_NS5tupleIblNS6_9null_typeES8_S8_S8_S8_S8_S8_S8_EEEEZNS1_11reduce_implILb1ES3_NS6_12zip_iteratorINS7_INS6_11hip_rocprim26transform_input_iterator_tIbNSD_35transform_pair_of_input_iterators_tIbNS6_6detail15normal_iteratorINS6_10device_ptrIKsEEEESL_NS6_8equal_toIsEEEENSG_9not_fun_tINSD_8identityEEEEENSD_19counting_iterator_tIlEES8_S8_S8_S8_S8_S8_S8_S8_EEEEPS9_S9_NSD_9__find_if7functorIS9_EEEE10hipError_tPvRmT1_T2_T3_mT4_P12ihipStream_tbEUlT_E1_NS1_11comp_targetILNS1_3genE4ELNS1_11target_archE910ELNS1_3gpuE8ELNS1_3repE0EEENS1_30default_config_static_selectorELNS0_4arch9wavefront6targetE1EEEvS14_ ; -- Begin function _ZN7rocprim17ROCPRIM_400000_NS6detail17trampoline_kernelINS0_14default_configENS1_22reduce_config_selectorIN6thrust23THRUST_200600_302600_NS5tupleIblNS6_9null_typeES8_S8_S8_S8_S8_S8_S8_EEEEZNS1_11reduce_implILb1ES3_NS6_12zip_iteratorINS7_INS6_11hip_rocprim26transform_input_iterator_tIbNSD_35transform_pair_of_input_iterators_tIbNS6_6detail15normal_iteratorINS6_10device_ptrIKsEEEESL_NS6_8equal_toIsEEEENSG_9not_fun_tINSD_8identityEEEEENSD_19counting_iterator_tIlEES8_S8_S8_S8_S8_S8_S8_S8_EEEEPS9_S9_NSD_9__find_if7functorIS9_EEEE10hipError_tPvRmT1_T2_T3_mT4_P12ihipStream_tbEUlT_E1_NS1_11comp_targetILNS1_3genE4ELNS1_11target_archE910ELNS1_3gpuE8ELNS1_3repE0EEENS1_30default_config_static_selectorELNS0_4arch9wavefront6targetE1EEEvS14_
	.globl	_ZN7rocprim17ROCPRIM_400000_NS6detail17trampoline_kernelINS0_14default_configENS1_22reduce_config_selectorIN6thrust23THRUST_200600_302600_NS5tupleIblNS6_9null_typeES8_S8_S8_S8_S8_S8_S8_EEEEZNS1_11reduce_implILb1ES3_NS6_12zip_iteratorINS7_INS6_11hip_rocprim26transform_input_iterator_tIbNSD_35transform_pair_of_input_iterators_tIbNS6_6detail15normal_iteratorINS6_10device_ptrIKsEEEESL_NS6_8equal_toIsEEEENSG_9not_fun_tINSD_8identityEEEEENSD_19counting_iterator_tIlEES8_S8_S8_S8_S8_S8_S8_S8_EEEEPS9_S9_NSD_9__find_if7functorIS9_EEEE10hipError_tPvRmT1_T2_T3_mT4_P12ihipStream_tbEUlT_E1_NS1_11comp_targetILNS1_3genE4ELNS1_11target_archE910ELNS1_3gpuE8ELNS1_3repE0EEENS1_30default_config_static_selectorELNS0_4arch9wavefront6targetE1EEEvS14_
	.p2align	8
	.type	_ZN7rocprim17ROCPRIM_400000_NS6detail17trampoline_kernelINS0_14default_configENS1_22reduce_config_selectorIN6thrust23THRUST_200600_302600_NS5tupleIblNS6_9null_typeES8_S8_S8_S8_S8_S8_S8_EEEEZNS1_11reduce_implILb1ES3_NS6_12zip_iteratorINS7_INS6_11hip_rocprim26transform_input_iterator_tIbNSD_35transform_pair_of_input_iterators_tIbNS6_6detail15normal_iteratorINS6_10device_ptrIKsEEEESL_NS6_8equal_toIsEEEENSG_9not_fun_tINSD_8identityEEEEENSD_19counting_iterator_tIlEES8_S8_S8_S8_S8_S8_S8_S8_EEEEPS9_S9_NSD_9__find_if7functorIS9_EEEE10hipError_tPvRmT1_T2_T3_mT4_P12ihipStream_tbEUlT_E1_NS1_11comp_targetILNS1_3genE4ELNS1_11target_archE910ELNS1_3gpuE8ELNS1_3repE0EEENS1_30default_config_static_selectorELNS0_4arch9wavefront6targetE1EEEvS14_,@function
_ZN7rocprim17ROCPRIM_400000_NS6detail17trampoline_kernelINS0_14default_configENS1_22reduce_config_selectorIN6thrust23THRUST_200600_302600_NS5tupleIblNS6_9null_typeES8_S8_S8_S8_S8_S8_S8_EEEEZNS1_11reduce_implILb1ES3_NS6_12zip_iteratorINS7_INS6_11hip_rocprim26transform_input_iterator_tIbNSD_35transform_pair_of_input_iterators_tIbNS6_6detail15normal_iteratorINS6_10device_ptrIKsEEEESL_NS6_8equal_toIsEEEENSG_9not_fun_tINSD_8identityEEEEENSD_19counting_iterator_tIlEES8_S8_S8_S8_S8_S8_S8_S8_EEEEPS9_S9_NSD_9__find_if7functorIS9_EEEE10hipError_tPvRmT1_T2_T3_mT4_P12ihipStream_tbEUlT_E1_NS1_11comp_targetILNS1_3genE4ELNS1_11target_archE910ELNS1_3gpuE8ELNS1_3repE0EEENS1_30default_config_static_selectorELNS0_4arch9wavefront6targetE1EEEvS14_: ; @_ZN7rocprim17ROCPRIM_400000_NS6detail17trampoline_kernelINS0_14default_configENS1_22reduce_config_selectorIN6thrust23THRUST_200600_302600_NS5tupleIblNS6_9null_typeES8_S8_S8_S8_S8_S8_S8_EEEEZNS1_11reduce_implILb1ES3_NS6_12zip_iteratorINS7_INS6_11hip_rocprim26transform_input_iterator_tIbNSD_35transform_pair_of_input_iterators_tIbNS6_6detail15normal_iteratorINS6_10device_ptrIKsEEEESL_NS6_8equal_toIsEEEENSG_9not_fun_tINSD_8identityEEEEENSD_19counting_iterator_tIlEES8_S8_S8_S8_S8_S8_S8_S8_EEEEPS9_S9_NSD_9__find_if7functorIS9_EEEE10hipError_tPvRmT1_T2_T3_mT4_P12ihipStream_tbEUlT_E1_NS1_11comp_targetILNS1_3genE4ELNS1_11target_archE910ELNS1_3gpuE8ELNS1_3repE0EEENS1_30default_config_static_selectorELNS0_4arch9wavefront6targetE1EEEvS14_
; %bb.0:
	.section	.rodata,"a",@progbits
	.p2align	6, 0x0
	.amdhsa_kernel _ZN7rocprim17ROCPRIM_400000_NS6detail17trampoline_kernelINS0_14default_configENS1_22reduce_config_selectorIN6thrust23THRUST_200600_302600_NS5tupleIblNS6_9null_typeES8_S8_S8_S8_S8_S8_S8_EEEEZNS1_11reduce_implILb1ES3_NS6_12zip_iteratorINS7_INS6_11hip_rocprim26transform_input_iterator_tIbNSD_35transform_pair_of_input_iterators_tIbNS6_6detail15normal_iteratorINS6_10device_ptrIKsEEEESL_NS6_8equal_toIsEEEENSG_9not_fun_tINSD_8identityEEEEENSD_19counting_iterator_tIlEES8_S8_S8_S8_S8_S8_S8_S8_EEEEPS9_S9_NSD_9__find_if7functorIS9_EEEE10hipError_tPvRmT1_T2_T3_mT4_P12ihipStream_tbEUlT_E1_NS1_11comp_targetILNS1_3genE4ELNS1_11target_archE910ELNS1_3gpuE8ELNS1_3repE0EEENS1_30default_config_static_selectorELNS0_4arch9wavefront6targetE1EEEvS14_
		.amdhsa_group_segment_fixed_size 0
		.amdhsa_private_segment_fixed_size 0
		.amdhsa_kernarg_size 88
		.amdhsa_user_sgpr_count 6
		.amdhsa_user_sgpr_private_segment_buffer 1
		.amdhsa_user_sgpr_dispatch_ptr 0
		.amdhsa_user_sgpr_queue_ptr 0
		.amdhsa_user_sgpr_kernarg_segment_ptr 1
		.amdhsa_user_sgpr_dispatch_id 0
		.amdhsa_user_sgpr_flat_scratch_init 0
		.amdhsa_user_sgpr_private_segment_size 0
		.amdhsa_uses_dynamic_stack 0
		.amdhsa_system_sgpr_private_segment_wavefront_offset 0
		.amdhsa_system_sgpr_workgroup_id_x 1
		.amdhsa_system_sgpr_workgroup_id_y 0
		.amdhsa_system_sgpr_workgroup_id_z 0
		.amdhsa_system_sgpr_workgroup_info 0
		.amdhsa_system_vgpr_workitem_id 0
		.amdhsa_next_free_vgpr 1
		.amdhsa_next_free_sgpr 0
		.amdhsa_reserve_vcc 0
		.amdhsa_reserve_flat_scratch 0
		.amdhsa_float_round_mode_32 0
		.amdhsa_float_round_mode_16_64 0
		.amdhsa_float_denorm_mode_32 3
		.amdhsa_float_denorm_mode_16_64 3
		.amdhsa_dx10_clamp 1
		.amdhsa_ieee_mode 1
		.amdhsa_fp16_overflow 0
		.amdhsa_exception_fp_ieee_invalid_op 0
		.amdhsa_exception_fp_denorm_src 0
		.amdhsa_exception_fp_ieee_div_zero 0
		.amdhsa_exception_fp_ieee_overflow 0
		.amdhsa_exception_fp_ieee_underflow 0
		.amdhsa_exception_fp_ieee_inexact 0
		.amdhsa_exception_int_div_zero 0
	.end_amdhsa_kernel
	.section	.text._ZN7rocprim17ROCPRIM_400000_NS6detail17trampoline_kernelINS0_14default_configENS1_22reduce_config_selectorIN6thrust23THRUST_200600_302600_NS5tupleIblNS6_9null_typeES8_S8_S8_S8_S8_S8_S8_EEEEZNS1_11reduce_implILb1ES3_NS6_12zip_iteratorINS7_INS6_11hip_rocprim26transform_input_iterator_tIbNSD_35transform_pair_of_input_iterators_tIbNS6_6detail15normal_iteratorINS6_10device_ptrIKsEEEESL_NS6_8equal_toIsEEEENSG_9not_fun_tINSD_8identityEEEEENSD_19counting_iterator_tIlEES8_S8_S8_S8_S8_S8_S8_S8_EEEEPS9_S9_NSD_9__find_if7functorIS9_EEEE10hipError_tPvRmT1_T2_T3_mT4_P12ihipStream_tbEUlT_E1_NS1_11comp_targetILNS1_3genE4ELNS1_11target_archE910ELNS1_3gpuE8ELNS1_3repE0EEENS1_30default_config_static_selectorELNS0_4arch9wavefront6targetE1EEEvS14_,"axG",@progbits,_ZN7rocprim17ROCPRIM_400000_NS6detail17trampoline_kernelINS0_14default_configENS1_22reduce_config_selectorIN6thrust23THRUST_200600_302600_NS5tupleIblNS6_9null_typeES8_S8_S8_S8_S8_S8_S8_EEEEZNS1_11reduce_implILb1ES3_NS6_12zip_iteratorINS7_INS6_11hip_rocprim26transform_input_iterator_tIbNSD_35transform_pair_of_input_iterators_tIbNS6_6detail15normal_iteratorINS6_10device_ptrIKsEEEESL_NS6_8equal_toIsEEEENSG_9not_fun_tINSD_8identityEEEEENSD_19counting_iterator_tIlEES8_S8_S8_S8_S8_S8_S8_S8_EEEEPS9_S9_NSD_9__find_if7functorIS9_EEEE10hipError_tPvRmT1_T2_T3_mT4_P12ihipStream_tbEUlT_E1_NS1_11comp_targetILNS1_3genE4ELNS1_11target_archE910ELNS1_3gpuE8ELNS1_3repE0EEENS1_30default_config_static_selectorELNS0_4arch9wavefront6targetE1EEEvS14_,comdat
.Lfunc_end566:
	.size	_ZN7rocprim17ROCPRIM_400000_NS6detail17trampoline_kernelINS0_14default_configENS1_22reduce_config_selectorIN6thrust23THRUST_200600_302600_NS5tupleIblNS6_9null_typeES8_S8_S8_S8_S8_S8_S8_EEEEZNS1_11reduce_implILb1ES3_NS6_12zip_iteratorINS7_INS6_11hip_rocprim26transform_input_iterator_tIbNSD_35transform_pair_of_input_iterators_tIbNS6_6detail15normal_iteratorINS6_10device_ptrIKsEEEESL_NS6_8equal_toIsEEEENSG_9not_fun_tINSD_8identityEEEEENSD_19counting_iterator_tIlEES8_S8_S8_S8_S8_S8_S8_S8_EEEEPS9_S9_NSD_9__find_if7functorIS9_EEEE10hipError_tPvRmT1_T2_T3_mT4_P12ihipStream_tbEUlT_E1_NS1_11comp_targetILNS1_3genE4ELNS1_11target_archE910ELNS1_3gpuE8ELNS1_3repE0EEENS1_30default_config_static_selectorELNS0_4arch9wavefront6targetE1EEEvS14_, .Lfunc_end566-_ZN7rocprim17ROCPRIM_400000_NS6detail17trampoline_kernelINS0_14default_configENS1_22reduce_config_selectorIN6thrust23THRUST_200600_302600_NS5tupleIblNS6_9null_typeES8_S8_S8_S8_S8_S8_S8_EEEEZNS1_11reduce_implILb1ES3_NS6_12zip_iteratorINS7_INS6_11hip_rocprim26transform_input_iterator_tIbNSD_35transform_pair_of_input_iterators_tIbNS6_6detail15normal_iteratorINS6_10device_ptrIKsEEEESL_NS6_8equal_toIsEEEENSG_9not_fun_tINSD_8identityEEEEENSD_19counting_iterator_tIlEES8_S8_S8_S8_S8_S8_S8_S8_EEEEPS9_S9_NSD_9__find_if7functorIS9_EEEE10hipError_tPvRmT1_T2_T3_mT4_P12ihipStream_tbEUlT_E1_NS1_11comp_targetILNS1_3genE4ELNS1_11target_archE910ELNS1_3gpuE8ELNS1_3repE0EEENS1_30default_config_static_selectorELNS0_4arch9wavefront6targetE1EEEvS14_
                                        ; -- End function
	.set _ZN7rocprim17ROCPRIM_400000_NS6detail17trampoline_kernelINS0_14default_configENS1_22reduce_config_selectorIN6thrust23THRUST_200600_302600_NS5tupleIblNS6_9null_typeES8_S8_S8_S8_S8_S8_S8_EEEEZNS1_11reduce_implILb1ES3_NS6_12zip_iteratorINS7_INS6_11hip_rocprim26transform_input_iterator_tIbNSD_35transform_pair_of_input_iterators_tIbNS6_6detail15normal_iteratorINS6_10device_ptrIKsEEEESL_NS6_8equal_toIsEEEENSG_9not_fun_tINSD_8identityEEEEENSD_19counting_iterator_tIlEES8_S8_S8_S8_S8_S8_S8_S8_EEEEPS9_S9_NSD_9__find_if7functorIS9_EEEE10hipError_tPvRmT1_T2_T3_mT4_P12ihipStream_tbEUlT_E1_NS1_11comp_targetILNS1_3genE4ELNS1_11target_archE910ELNS1_3gpuE8ELNS1_3repE0EEENS1_30default_config_static_selectorELNS0_4arch9wavefront6targetE1EEEvS14_.num_vgpr, 0
	.set _ZN7rocprim17ROCPRIM_400000_NS6detail17trampoline_kernelINS0_14default_configENS1_22reduce_config_selectorIN6thrust23THRUST_200600_302600_NS5tupleIblNS6_9null_typeES8_S8_S8_S8_S8_S8_S8_EEEEZNS1_11reduce_implILb1ES3_NS6_12zip_iteratorINS7_INS6_11hip_rocprim26transform_input_iterator_tIbNSD_35transform_pair_of_input_iterators_tIbNS6_6detail15normal_iteratorINS6_10device_ptrIKsEEEESL_NS6_8equal_toIsEEEENSG_9not_fun_tINSD_8identityEEEEENSD_19counting_iterator_tIlEES8_S8_S8_S8_S8_S8_S8_S8_EEEEPS9_S9_NSD_9__find_if7functorIS9_EEEE10hipError_tPvRmT1_T2_T3_mT4_P12ihipStream_tbEUlT_E1_NS1_11comp_targetILNS1_3genE4ELNS1_11target_archE910ELNS1_3gpuE8ELNS1_3repE0EEENS1_30default_config_static_selectorELNS0_4arch9wavefront6targetE1EEEvS14_.num_agpr, 0
	.set _ZN7rocprim17ROCPRIM_400000_NS6detail17trampoline_kernelINS0_14default_configENS1_22reduce_config_selectorIN6thrust23THRUST_200600_302600_NS5tupleIblNS6_9null_typeES8_S8_S8_S8_S8_S8_S8_EEEEZNS1_11reduce_implILb1ES3_NS6_12zip_iteratorINS7_INS6_11hip_rocprim26transform_input_iterator_tIbNSD_35transform_pair_of_input_iterators_tIbNS6_6detail15normal_iteratorINS6_10device_ptrIKsEEEESL_NS6_8equal_toIsEEEENSG_9not_fun_tINSD_8identityEEEEENSD_19counting_iterator_tIlEES8_S8_S8_S8_S8_S8_S8_S8_EEEEPS9_S9_NSD_9__find_if7functorIS9_EEEE10hipError_tPvRmT1_T2_T3_mT4_P12ihipStream_tbEUlT_E1_NS1_11comp_targetILNS1_3genE4ELNS1_11target_archE910ELNS1_3gpuE8ELNS1_3repE0EEENS1_30default_config_static_selectorELNS0_4arch9wavefront6targetE1EEEvS14_.numbered_sgpr, 0
	.set _ZN7rocprim17ROCPRIM_400000_NS6detail17trampoline_kernelINS0_14default_configENS1_22reduce_config_selectorIN6thrust23THRUST_200600_302600_NS5tupleIblNS6_9null_typeES8_S8_S8_S8_S8_S8_S8_EEEEZNS1_11reduce_implILb1ES3_NS6_12zip_iteratorINS7_INS6_11hip_rocprim26transform_input_iterator_tIbNSD_35transform_pair_of_input_iterators_tIbNS6_6detail15normal_iteratorINS6_10device_ptrIKsEEEESL_NS6_8equal_toIsEEEENSG_9not_fun_tINSD_8identityEEEEENSD_19counting_iterator_tIlEES8_S8_S8_S8_S8_S8_S8_S8_EEEEPS9_S9_NSD_9__find_if7functorIS9_EEEE10hipError_tPvRmT1_T2_T3_mT4_P12ihipStream_tbEUlT_E1_NS1_11comp_targetILNS1_3genE4ELNS1_11target_archE910ELNS1_3gpuE8ELNS1_3repE0EEENS1_30default_config_static_selectorELNS0_4arch9wavefront6targetE1EEEvS14_.num_named_barrier, 0
	.set _ZN7rocprim17ROCPRIM_400000_NS6detail17trampoline_kernelINS0_14default_configENS1_22reduce_config_selectorIN6thrust23THRUST_200600_302600_NS5tupleIblNS6_9null_typeES8_S8_S8_S8_S8_S8_S8_EEEEZNS1_11reduce_implILb1ES3_NS6_12zip_iteratorINS7_INS6_11hip_rocprim26transform_input_iterator_tIbNSD_35transform_pair_of_input_iterators_tIbNS6_6detail15normal_iteratorINS6_10device_ptrIKsEEEESL_NS6_8equal_toIsEEEENSG_9not_fun_tINSD_8identityEEEEENSD_19counting_iterator_tIlEES8_S8_S8_S8_S8_S8_S8_S8_EEEEPS9_S9_NSD_9__find_if7functorIS9_EEEE10hipError_tPvRmT1_T2_T3_mT4_P12ihipStream_tbEUlT_E1_NS1_11comp_targetILNS1_3genE4ELNS1_11target_archE910ELNS1_3gpuE8ELNS1_3repE0EEENS1_30default_config_static_selectorELNS0_4arch9wavefront6targetE1EEEvS14_.private_seg_size, 0
	.set _ZN7rocprim17ROCPRIM_400000_NS6detail17trampoline_kernelINS0_14default_configENS1_22reduce_config_selectorIN6thrust23THRUST_200600_302600_NS5tupleIblNS6_9null_typeES8_S8_S8_S8_S8_S8_S8_EEEEZNS1_11reduce_implILb1ES3_NS6_12zip_iteratorINS7_INS6_11hip_rocprim26transform_input_iterator_tIbNSD_35transform_pair_of_input_iterators_tIbNS6_6detail15normal_iteratorINS6_10device_ptrIKsEEEESL_NS6_8equal_toIsEEEENSG_9not_fun_tINSD_8identityEEEEENSD_19counting_iterator_tIlEES8_S8_S8_S8_S8_S8_S8_S8_EEEEPS9_S9_NSD_9__find_if7functorIS9_EEEE10hipError_tPvRmT1_T2_T3_mT4_P12ihipStream_tbEUlT_E1_NS1_11comp_targetILNS1_3genE4ELNS1_11target_archE910ELNS1_3gpuE8ELNS1_3repE0EEENS1_30default_config_static_selectorELNS0_4arch9wavefront6targetE1EEEvS14_.uses_vcc, 0
	.set _ZN7rocprim17ROCPRIM_400000_NS6detail17trampoline_kernelINS0_14default_configENS1_22reduce_config_selectorIN6thrust23THRUST_200600_302600_NS5tupleIblNS6_9null_typeES8_S8_S8_S8_S8_S8_S8_EEEEZNS1_11reduce_implILb1ES3_NS6_12zip_iteratorINS7_INS6_11hip_rocprim26transform_input_iterator_tIbNSD_35transform_pair_of_input_iterators_tIbNS6_6detail15normal_iteratorINS6_10device_ptrIKsEEEESL_NS6_8equal_toIsEEEENSG_9not_fun_tINSD_8identityEEEEENSD_19counting_iterator_tIlEES8_S8_S8_S8_S8_S8_S8_S8_EEEEPS9_S9_NSD_9__find_if7functorIS9_EEEE10hipError_tPvRmT1_T2_T3_mT4_P12ihipStream_tbEUlT_E1_NS1_11comp_targetILNS1_3genE4ELNS1_11target_archE910ELNS1_3gpuE8ELNS1_3repE0EEENS1_30default_config_static_selectorELNS0_4arch9wavefront6targetE1EEEvS14_.uses_flat_scratch, 0
	.set _ZN7rocprim17ROCPRIM_400000_NS6detail17trampoline_kernelINS0_14default_configENS1_22reduce_config_selectorIN6thrust23THRUST_200600_302600_NS5tupleIblNS6_9null_typeES8_S8_S8_S8_S8_S8_S8_EEEEZNS1_11reduce_implILb1ES3_NS6_12zip_iteratorINS7_INS6_11hip_rocprim26transform_input_iterator_tIbNSD_35transform_pair_of_input_iterators_tIbNS6_6detail15normal_iteratorINS6_10device_ptrIKsEEEESL_NS6_8equal_toIsEEEENSG_9not_fun_tINSD_8identityEEEEENSD_19counting_iterator_tIlEES8_S8_S8_S8_S8_S8_S8_S8_EEEEPS9_S9_NSD_9__find_if7functorIS9_EEEE10hipError_tPvRmT1_T2_T3_mT4_P12ihipStream_tbEUlT_E1_NS1_11comp_targetILNS1_3genE4ELNS1_11target_archE910ELNS1_3gpuE8ELNS1_3repE0EEENS1_30default_config_static_selectorELNS0_4arch9wavefront6targetE1EEEvS14_.has_dyn_sized_stack, 0
	.set _ZN7rocprim17ROCPRIM_400000_NS6detail17trampoline_kernelINS0_14default_configENS1_22reduce_config_selectorIN6thrust23THRUST_200600_302600_NS5tupleIblNS6_9null_typeES8_S8_S8_S8_S8_S8_S8_EEEEZNS1_11reduce_implILb1ES3_NS6_12zip_iteratorINS7_INS6_11hip_rocprim26transform_input_iterator_tIbNSD_35transform_pair_of_input_iterators_tIbNS6_6detail15normal_iteratorINS6_10device_ptrIKsEEEESL_NS6_8equal_toIsEEEENSG_9not_fun_tINSD_8identityEEEEENSD_19counting_iterator_tIlEES8_S8_S8_S8_S8_S8_S8_S8_EEEEPS9_S9_NSD_9__find_if7functorIS9_EEEE10hipError_tPvRmT1_T2_T3_mT4_P12ihipStream_tbEUlT_E1_NS1_11comp_targetILNS1_3genE4ELNS1_11target_archE910ELNS1_3gpuE8ELNS1_3repE0EEENS1_30default_config_static_selectorELNS0_4arch9wavefront6targetE1EEEvS14_.has_recursion, 0
	.set _ZN7rocprim17ROCPRIM_400000_NS6detail17trampoline_kernelINS0_14default_configENS1_22reduce_config_selectorIN6thrust23THRUST_200600_302600_NS5tupleIblNS6_9null_typeES8_S8_S8_S8_S8_S8_S8_EEEEZNS1_11reduce_implILb1ES3_NS6_12zip_iteratorINS7_INS6_11hip_rocprim26transform_input_iterator_tIbNSD_35transform_pair_of_input_iterators_tIbNS6_6detail15normal_iteratorINS6_10device_ptrIKsEEEESL_NS6_8equal_toIsEEEENSG_9not_fun_tINSD_8identityEEEEENSD_19counting_iterator_tIlEES8_S8_S8_S8_S8_S8_S8_S8_EEEEPS9_S9_NSD_9__find_if7functorIS9_EEEE10hipError_tPvRmT1_T2_T3_mT4_P12ihipStream_tbEUlT_E1_NS1_11comp_targetILNS1_3genE4ELNS1_11target_archE910ELNS1_3gpuE8ELNS1_3repE0EEENS1_30default_config_static_selectorELNS0_4arch9wavefront6targetE1EEEvS14_.has_indirect_call, 0
	.section	.AMDGPU.csdata,"",@progbits
; Kernel info:
; codeLenInByte = 0
; TotalNumSgprs: 4
; NumVgprs: 0
; ScratchSize: 0
; MemoryBound: 0
; FloatMode: 240
; IeeeMode: 1
; LDSByteSize: 0 bytes/workgroup (compile time only)
; SGPRBlocks: 0
; VGPRBlocks: 0
; NumSGPRsForWavesPerEU: 4
; NumVGPRsForWavesPerEU: 1
; Occupancy: 10
; WaveLimiterHint : 0
; COMPUTE_PGM_RSRC2:SCRATCH_EN: 0
; COMPUTE_PGM_RSRC2:USER_SGPR: 6
; COMPUTE_PGM_RSRC2:TRAP_HANDLER: 0
; COMPUTE_PGM_RSRC2:TGID_X_EN: 1
; COMPUTE_PGM_RSRC2:TGID_Y_EN: 0
; COMPUTE_PGM_RSRC2:TGID_Z_EN: 0
; COMPUTE_PGM_RSRC2:TIDIG_COMP_CNT: 0
	.section	.text._ZN7rocprim17ROCPRIM_400000_NS6detail17trampoline_kernelINS0_14default_configENS1_22reduce_config_selectorIN6thrust23THRUST_200600_302600_NS5tupleIblNS6_9null_typeES8_S8_S8_S8_S8_S8_S8_EEEEZNS1_11reduce_implILb1ES3_NS6_12zip_iteratorINS7_INS6_11hip_rocprim26transform_input_iterator_tIbNSD_35transform_pair_of_input_iterators_tIbNS6_6detail15normal_iteratorINS6_10device_ptrIKsEEEESL_NS6_8equal_toIsEEEENSG_9not_fun_tINSD_8identityEEEEENSD_19counting_iterator_tIlEES8_S8_S8_S8_S8_S8_S8_S8_EEEEPS9_S9_NSD_9__find_if7functorIS9_EEEE10hipError_tPvRmT1_T2_T3_mT4_P12ihipStream_tbEUlT_E1_NS1_11comp_targetILNS1_3genE3ELNS1_11target_archE908ELNS1_3gpuE7ELNS1_3repE0EEENS1_30default_config_static_selectorELNS0_4arch9wavefront6targetE1EEEvS14_,"axG",@progbits,_ZN7rocprim17ROCPRIM_400000_NS6detail17trampoline_kernelINS0_14default_configENS1_22reduce_config_selectorIN6thrust23THRUST_200600_302600_NS5tupleIblNS6_9null_typeES8_S8_S8_S8_S8_S8_S8_EEEEZNS1_11reduce_implILb1ES3_NS6_12zip_iteratorINS7_INS6_11hip_rocprim26transform_input_iterator_tIbNSD_35transform_pair_of_input_iterators_tIbNS6_6detail15normal_iteratorINS6_10device_ptrIKsEEEESL_NS6_8equal_toIsEEEENSG_9not_fun_tINSD_8identityEEEEENSD_19counting_iterator_tIlEES8_S8_S8_S8_S8_S8_S8_S8_EEEEPS9_S9_NSD_9__find_if7functorIS9_EEEE10hipError_tPvRmT1_T2_T3_mT4_P12ihipStream_tbEUlT_E1_NS1_11comp_targetILNS1_3genE3ELNS1_11target_archE908ELNS1_3gpuE7ELNS1_3repE0EEENS1_30default_config_static_selectorELNS0_4arch9wavefront6targetE1EEEvS14_,comdat
	.protected	_ZN7rocprim17ROCPRIM_400000_NS6detail17trampoline_kernelINS0_14default_configENS1_22reduce_config_selectorIN6thrust23THRUST_200600_302600_NS5tupleIblNS6_9null_typeES8_S8_S8_S8_S8_S8_S8_EEEEZNS1_11reduce_implILb1ES3_NS6_12zip_iteratorINS7_INS6_11hip_rocprim26transform_input_iterator_tIbNSD_35transform_pair_of_input_iterators_tIbNS6_6detail15normal_iteratorINS6_10device_ptrIKsEEEESL_NS6_8equal_toIsEEEENSG_9not_fun_tINSD_8identityEEEEENSD_19counting_iterator_tIlEES8_S8_S8_S8_S8_S8_S8_S8_EEEEPS9_S9_NSD_9__find_if7functorIS9_EEEE10hipError_tPvRmT1_T2_T3_mT4_P12ihipStream_tbEUlT_E1_NS1_11comp_targetILNS1_3genE3ELNS1_11target_archE908ELNS1_3gpuE7ELNS1_3repE0EEENS1_30default_config_static_selectorELNS0_4arch9wavefront6targetE1EEEvS14_ ; -- Begin function _ZN7rocprim17ROCPRIM_400000_NS6detail17trampoline_kernelINS0_14default_configENS1_22reduce_config_selectorIN6thrust23THRUST_200600_302600_NS5tupleIblNS6_9null_typeES8_S8_S8_S8_S8_S8_S8_EEEEZNS1_11reduce_implILb1ES3_NS6_12zip_iteratorINS7_INS6_11hip_rocprim26transform_input_iterator_tIbNSD_35transform_pair_of_input_iterators_tIbNS6_6detail15normal_iteratorINS6_10device_ptrIKsEEEESL_NS6_8equal_toIsEEEENSG_9not_fun_tINSD_8identityEEEEENSD_19counting_iterator_tIlEES8_S8_S8_S8_S8_S8_S8_S8_EEEEPS9_S9_NSD_9__find_if7functorIS9_EEEE10hipError_tPvRmT1_T2_T3_mT4_P12ihipStream_tbEUlT_E1_NS1_11comp_targetILNS1_3genE3ELNS1_11target_archE908ELNS1_3gpuE7ELNS1_3repE0EEENS1_30default_config_static_selectorELNS0_4arch9wavefront6targetE1EEEvS14_
	.globl	_ZN7rocprim17ROCPRIM_400000_NS6detail17trampoline_kernelINS0_14default_configENS1_22reduce_config_selectorIN6thrust23THRUST_200600_302600_NS5tupleIblNS6_9null_typeES8_S8_S8_S8_S8_S8_S8_EEEEZNS1_11reduce_implILb1ES3_NS6_12zip_iteratorINS7_INS6_11hip_rocprim26transform_input_iterator_tIbNSD_35transform_pair_of_input_iterators_tIbNS6_6detail15normal_iteratorINS6_10device_ptrIKsEEEESL_NS6_8equal_toIsEEEENSG_9not_fun_tINSD_8identityEEEEENSD_19counting_iterator_tIlEES8_S8_S8_S8_S8_S8_S8_S8_EEEEPS9_S9_NSD_9__find_if7functorIS9_EEEE10hipError_tPvRmT1_T2_T3_mT4_P12ihipStream_tbEUlT_E1_NS1_11comp_targetILNS1_3genE3ELNS1_11target_archE908ELNS1_3gpuE7ELNS1_3repE0EEENS1_30default_config_static_selectorELNS0_4arch9wavefront6targetE1EEEvS14_
	.p2align	8
	.type	_ZN7rocprim17ROCPRIM_400000_NS6detail17trampoline_kernelINS0_14default_configENS1_22reduce_config_selectorIN6thrust23THRUST_200600_302600_NS5tupleIblNS6_9null_typeES8_S8_S8_S8_S8_S8_S8_EEEEZNS1_11reduce_implILb1ES3_NS6_12zip_iteratorINS7_INS6_11hip_rocprim26transform_input_iterator_tIbNSD_35transform_pair_of_input_iterators_tIbNS6_6detail15normal_iteratorINS6_10device_ptrIKsEEEESL_NS6_8equal_toIsEEEENSG_9not_fun_tINSD_8identityEEEEENSD_19counting_iterator_tIlEES8_S8_S8_S8_S8_S8_S8_S8_EEEEPS9_S9_NSD_9__find_if7functorIS9_EEEE10hipError_tPvRmT1_T2_T3_mT4_P12ihipStream_tbEUlT_E1_NS1_11comp_targetILNS1_3genE3ELNS1_11target_archE908ELNS1_3gpuE7ELNS1_3repE0EEENS1_30default_config_static_selectorELNS0_4arch9wavefront6targetE1EEEvS14_,@function
_ZN7rocprim17ROCPRIM_400000_NS6detail17trampoline_kernelINS0_14default_configENS1_22reduce_config_selectorIN6thrust23THRUST_200600_302600_NS5tupleIblNS6_9null_typeES8_S8_S8_S8_S8_S8_S8_EEEEZNS1_11reduce_implILb1ES3_NS6_12zip_iteratorINS7_INS6_11hip_rocprim26transform_input_iterator_tIbNSD_35transform_pair_of_input_iterators_tIbNS6_6detail15normal_iteratorINS6_10device_ptrIKsEEEESL_NS6_8equal_toIsEEEENSG_9not_fun_tINSD_8identityEEEEENSD_19counting_iterator_tIlEES8_S8_S8_S8_S8_S8_S8_S8_EEEEPS9_S9_NSD_9__find_if7functorIS9_EEEE10hipError_tPvRmT1_T2_T3_mT4_P12ihipStream_tbEUlT_E1_NS1_11comp_targetILNS1_3genE3ELNS1_11target_archE908ELNS1_3gpuE7ELNS1_3repE0EEENS1_30default_config_static_selectorELNS0_4arch9wavefront6targetE1EEEvS14_: ; @_ZN7rocprim17ROCPRIM_400000_NS6detail17trampoline_kernelINS0_14default_configENS1_22reduce_config_selectorIN6thrust23THRUST_200600_302600_NS5tupleIblNS6_9null_typeES8_S8_S8_S8_S8_S8_S8_EEEEZNS1_11reduce_implILb1ES3_NS6_12zip_iteratorINS7_INS6_11hip_rocprim26transform_input_iterator_tIbNSD_35transform_pair_of_input_iterators_tIbNS6_6detail15normal_iteratorINS6_10device_ptrIKsEEEESL_NS6_8equal_toIsEEEENSG_9not_fun_tINSD_8identityEEEEENSD_19counting_iterator_tIlEES8_S8_S8_S8_S8_S8_S8_S8_EEEEPS9_S9_NSD_9__find_if7functorIS9_EEEE10hipError_tPvRmT1_T2_T3_mT4_P12ihipStream_tbEUlT_E1_NS1_11comp_targetILNS1_3genE3ELNS1_11target_archE908ELNS1_3gpuE7ELNS1_3repE0EEENS1_30default_config_static_selectorELNS0_4arch9wavefront6targetE1EEEvS14_
; %bb.0:
	.section	.rodata,"a",@progbits
	.p2align	6, 0x0
	.amdhsa_kernel _ZN7rocprim17ROCPRIM_400000_NS6detail17trampoline_kernelINS0_14default_configENS1_22reduce_config_selectorIN6thrust23THRUST_200600_302600_NS5tupleIblNS6_9null_typeES8_S8_S8_S8_S8_S8_S8_EEEEZNS1_11reduce_implILb1ES3_NS6_12zip_iteratorINS7_INS6_11hip_rocprim26transform_input_iterator_tIbNSD_35transform_pair_of_input_iterators_tIbNS6_6detail15normal_iteratorINS6_10device_ptrIKsEEEESL_NS6_8equal_toIsEEEENSG_9not_fun_tINSD_8identityEEEEENSD_19counting_iterator_tIlEES8_S8_S8_S8_S8_S8_S8_S8_EEEEPS9_S9_NSD_9__find_if7functorIS9_EEEE10hipError_tPvRmT1_T2_T3_mT4_P12ihipStream_tbEUlT_E1_NS1_11comp_targetILNS1_3genE3ELNS1_11target_archE908ELNS1_3gpuE7ELNS1_3repE0EEENS1_30default_config_static_selectorELNS0_4arch9wavefront6targetE1EEEvS14_
		.amdhsa_group_segment_fixed_size 0
		.amdhsa_private_segment_fixed_size 0
		.amdhsa_kernarg_size 88
		.amdhsa_user_sgpr_count 6
		.amdhsa_user_sgpr_private_segment_buffer 1
		.amdhsa_user_sgpr_dispatch_ptr 0
		.amdhsa_user_sgpr_queue_ptr 0
		.amdhsa_user_sgpr_kernarg_segment_ptr 1
		.amdhsa_user_sgpr_dispatch_id 0
		.amdhsa_user_sgpr_flat_scratch_init 0
		.amdhsa_user_sgpr_private_segment_size 0
		.amdhsa_uses_dynamic_stack 0
		.amdhsa_system_sgpr_private_segment_wavefront_offset 0
		.amdhsa_system_sgpr_workgroup_id_x 1
		.amdhsa_system_sgpr_workgroup_id_y 0
		.amdhsa_system_sgpr_workgroup_id_z 0
		.amdhsa_system_sgpr_workgroup_info 0
		.amdhsa_system_vgpr_workitem_id 0
		.amdhsa_next_free_vgpr 1
		.amdhsa_next_free_sgpr 0
		.amdhsa_reserve_vcc 0
		.amdhsa_reserve_flat_scratch 0
		.amdhsa_float_round_mode_32 0
		.amdhsa_float_round_mode_16_64 0
		.amdhsa_float_denorm_mode_32 3
		.amdhsa_float_denorm_mode_16_64 3
		.amdhsa_dx10_clamp 1
		.amdhsa_ieee_mode 1
		.amdhsa_fp16_overflow 0
		.amdhsa_exception_fp_ieee_invalid_op 0
		.amdhsa_exception_fp_denorm_src 0
		.amdhsa_exception_fp_ieee_div_zero 0
		.amdhsa_exception_fp_ieee_overflow 0
		.amdhsa_exception_fp_ieee_underflow 0
		.amdhsa_exception_fp_ieee_inexact 0
		.amdhsa_exception_int_div_zero 0
	.end_amdhsa_kernel
	.section	.text._ZN7rocprim17ROCPRIM_400000_NS6detail17trampoline_kernelINS0_14default_configENS1_22reduce_config_selectorIN6thrust23THRUST_200600_302600_NS5tupleIblNS6_9null_typeES8_S8_S8_S8_S8_S8_S8_EEEEZNS1_11reduce_implILb1ES3_NS6_12zip_iteratorINS7_INS6_11hip_rocprim26transform_input_iterator_tIbNSD_35transform_pair_of_input_iterators_tIbNS6_6detail15normal_iteratorINS6_10device_ptrIKsEEEESL_NS6_8equal_toIsEEEENSG_9not_fun_tINSD_8identityEEEEENSD_19counting_iterator_tIlEES8_S8_S8_S8_S8_S8_S8_S8_EEEEPS9_S9_NSD_9__find_if7functorIS9_EEEE10hipError_tPvRmT1_T2_T3_mT4_P12ihipStream_tbEUlT_E1_NS1_11comp_targetILNS1_3genE3ELNS1_11target_archE908ELNS1_3gpuE7ELNS1_3repE0EEENS1_30default_config_static_selectorELNS0_4arch9wavefront6targetE1EEEvS14_,"axG",@progbits,_ZN7rocprim17ROCPRIM_400000_NS6detail17trampoline_kernelINS0_14default_configENS1_22reduce_config_selectorIN6thrust23THRUST_200600_302600_NS5tupleIblNS6_9null_typeES8_S8_S8_S8_S8_S8_S8_EEEEZNS1_11reduce_implILb1ES3_NS6_12zip_iteratorINS7_INS6_11hip_rocprim26transform_input_iterator_tIbNSD_35transform_pair_of_input_iterators_tIbNS6_6detail15normal_iteratorINS6_10device_ptrIKsEEEESL_NS6_8equal_toIsEEEENSG_9not_fun_tINSD_8identityEEEEENSD_19counting_iterator_tIlEES8_S8_S8_S8_S8_S8_S8_S8_EEEEPS9_S9_NSD_9__find_if7functorIS9_EEEE10hipError_tPvRmT1_T2_T3_mT4_P12ihipStream_tbEUlT_E1_NS1_11comp_targetILNS1_3genE3ELNS1_11target_archE908ELNS1_3gpuE7ELNS1_3repE0EEENS1_30default_config_static_selectorELNS0_4arch9wavefront6targetE1EEEvS14_,comdat
.Lfunc_end567:
	.size	_ZN7rocprim17ROCPRIM_400000_NS6detail17trampoline_kernelINS0_14default_configENS1_22reduce_config_selectorIN6thrust23THRUST_200600_302600_NS5tupleIblNS6_9null_typeES8_S8_S8_S8_S8_S8_S8_EEEEZNS1_11reduce_implILb1ES3_NS6_12zip_iteratorINS7_INS6_11hip_rocprim26transform_input_iterator_tIbNSD_35transform_pair_of_input_iterators_tIbNS6_6detail15normal_iteratorINS6_10device_ptrIKsEEEESL_NS6_8equal_toIsEEEENSG_9not_fun_tINSD_8identityEEEEENSD_19counting_iterator_tIlEES8_S8_S8_S8_S8_S8_S8_S8_EEEEPS9_S9_NSD_9__find_if7functorIS9_EEEE10hipError_tPvRmT1_T2_T3_mT4_P12ihipStream_tbEUlT_E1_NS1_11comp_targetILNS1_3genE3ELNS1_11target_archE908ELNS1_3gpuE7ELNS1_3repE0EEENS1_30default_config_static_selectorELNS0_4arch9wavefront6targetE1EEEvS14_, .Lfunc_end567-_ZN7rocprim17ROCPRIM_400000_NS6detail17trampoline_kernelINS0_14default_configENS1_22reduce_config_selectorIN6thrust23THRUST_200600_302600_NS5tupleIblNS6_9null_typeES8_S8_S8_S8_S8_S8_S8_EEEEZNS1_11reduce_implILb1ES3_NS6_12zip_iteratorINS7_INS6_11hip_rocprim26transform_input_iterator_tIbNSD_35transform_pair_of_input_iterators_tIbNS6_6detail15normal_iteratorINS6_10device_ptrIKsEEEESL_NS6_8equal_toIsEEEENSG_9not_fun_tINSD_8identityEEEEENSD_19counting_iterator_tIlEES8_S8_S8_S8_S8_S8_S8_S8_EEEEPS9_S9_NSD_9__find_if7functorIS9_EEEE10hipError_tPvRmT1_T2_T3_mT4_P12ihipStream_tbEUlT_E1_NS1_11comp_targetILNS1_3genE3ELNS1_11target_archE908ELNS1_3gpuE7ELNS1_3repE0EEENS1_30default_config_static_selectorELNS0_4arch9wavefront6targetE1EEEvS14_
                                        ; -- End function
	.set _ZN7rocprim17ROCPRIM_400000_NS6detail17trampoline_kernelINS0_14default_configENS1_22reduce_config_selectorIN6thrust23THRUST_200600_302600_NS5tupleIblNS6_9null_typeES8_S8_S8_S8_S8_S8_S8_EEEEZNS1_11reduce_implILb1ES3_NS6_12zip_iteratorINS7_INS6_11hip_rocprim26transform_input_iterator_tIbNSD_35transform_pair_of_input_iterators_tIbNS6_6detail15normal_iteratorINS6_10device_ptrIKsEEEESL_NS6_8equal_toIsEEEENSG_9not_fun_tINSD_8identityEEEEENSD_19counting_iterator_tIlEES8_S8_S8_S8_S8_S8_S8_S8_EEEEPS9_S9_NSD_9__find_if7functorIS9_EEEE10hipError_tPvRmT1_T2_T3_mT4_P12ihipStream_tbEUlT_E1_NS1_11comp_targetILNS1_3genE3ELNS1_11target_archE908ELNS1_3gpuE7ELNS1_3repE0EEENS1_30default_config_static_selectorELNS0_4arch9wavefront6targetE1EEEvS14_.num_vgpr, 0
	.set _ZN7rocprim17ROCPRIM_400000_NS6detail17trampoline_kernelINS0_14default_configENS1_22reduce_config_selectorIN6thrust23THRUST_200600_302600_NS5tupleIblNS6_9null_typeES8_S8_S8_S8_S8_S8_S8_EEEEZNS1_11reduce_implILb1ES3_NS6_12zip_iteratorINS7_INS6_11hip_rocprim26transform_input_iterator_tIbNSD_35transform_pair_of_input_iterators_tIbNS6_6detail15normal_iteratorINS6_10device_ptrIKsEEEESL_NS6_8equal_toIsEEEENSG_9not_fun_tINSD_8identityEEEEENSD_19counting_iterator_tIlEES8_S8_S8_S8_S8_S8_S8_S8_EEEEPS9_S9_NSD_9__find_if7functorIS9_EEEE10hipError_tPvRmT1_T2_T3_mT4_P12ihipStream_tbEUlT_E1_NS1_11comp_targetILNS1_3genE3ELNS1_11target_archE908ELNS1_3gpuE7ELNS1_3repE0EEENS1_30default_config_static_selectorELNS0_4arch9wavefront6targetE1EEEvS14_.num_agpr, 0
	.set _ZN7rocprim17ROCPRIM_400000_NS6detail17trampoline_kernelINS0_14default_configENS1_22reduce_config_selectorIN6thrust23THRUST_200600_302600_NS5tupleIblNS6_9null_typeES8_S8_S8_S8_S8_S8_S8_EEEEZNS1_11reduce_implILb1ES3_NS6_12zip_iteratorINS7_INS6_11hip_rocprim26transform_input_iterator_tIbNSD_35transform_pair_of_input_iterators_tIbNS6_6detail15normal_iteratorINS6_10device_ptrIKsEEEESL_NS6_8equal_toIsEEEENSG_9not_fun_tINSD_8identityEEEEENSD_19counting_iterator_tIlEES8_S8_S8_S8_S8_S8_S8_S8_EEEEPS9_S9_NSD_9__find_if7functorIS9_EEEE10hipError_tPvRmT1_T2_T3_mT4_P12ihipStream_tbEUlT_E1_NS1_11comp_targetILNS1_3genE3ELNS1_11target_archE908ELNS1_3gpuE7ELNS1_3repE0EEENS1_30default_config_static_selectorELNS0_4arch9wavefront6targetE1EEEvS14_.numbered_sgpr, 0
	.set _ZN7rocprim17ROCPRIM_400000_NS6detail17trampoline_kernelINS0_14default_configENS1_22reduce_config_selectorIN6thrust23THRUST_200600_302600_NS5tupleIblNS6_9null_typeES8_S8_S8_S8_S8_S8_S8_EEEEZNS1_11reduce_implILb1ES3_NS6_12zip_iteratorINS7_INS6_11hip_rocprim26transform_input_iterator_tIbNSD_35transform_pair_of_input_iterators_tIbNS6_6detail15normal_iteratorINS6_10device_ptrIKsEEEESL_NS6_8equal_toIsEEEENSG_9not_fun_tINSD_8identityEEEEENSD_19counting_iterator_tIlEES8_S8_S8_S8_S8_S8_S8_S8_EEEEPS9_S9_NSD_9__find_if7functorIS9_EEEE10hipError_tPvRmT1_T2_T3_mT4_P12ihipStream_tbEUlT_E1_NS1_11comp_targetILNS1_3genE3ELNS1_11target_archE908ELNS1_3gpuE7ELNS1_3repE0EEENS1_30default_config_static_selectorELNS0_4arch9wavefront6targetE1EEEvS14_.num_named_barrier, 0
	.set _ZN7rocprim17ROCPRIM_400000_NS6detail17trampoline_kernelINS0_14default_configENS1_22reduce_config_selectorIN6thrust23THRUST_200600_302600_NS5tupleIblNS6_9null_typeES8_S8_S8_S8_S8_S8_S8_EEEEZNS1_11reduce_implILb1ES3_NS6_12zip_iteratorINS7_INS6_11hip_rocprim26transform_input_iterator_tIbNSD_35transform_pair_of_input_iterators_tIbNS6_6detail15normal_iteratorINS6_10device_ptrIKsEEEESL_NS6_8equal_toIsEEEENSG_9not_fun_tINSD_8identityEEEEENSD_19counting_iterator_tIlEES8_S8_S8_S8_S8_S8_S8_S8_EEEEPS9_S9_NSD_9__find_if7functorIS9_EEEE10hipError_tPvRmT1_T2_T3_mT4_P12ihipStream_tbEUlT_E1_NS1_11comp_targetILNS1_3genE3ELNS1_11target_archE908ELNS1_3gpuE7ELNS1_3repE0EEENS1_30default_config_static_selectorELNS0_4arch9wavefront6targetE1EEEvS14_.private_seg_size, 0
	.set _ZN7rocprim17ROCPRIM_400000_NS6detail17trampoline_kernelINS0_14default_configENS1_22reduce_config_selectorIN6thrust23THRUST_200600_302600_NS5tupleIblNS6_9null_typeES8_S8_S8_S8_S8_S8_S8_EEEEZNS1_11reduce_implILb1ES3_NS6_12zip_iteratorINS7_INS6_11hip_rocprim26transform_input_iterator_tIbNSD_35transform_pair_of_input_iterators_tIbNS6_6detail15normal_iteratorINS6_10device_ptrIKsEEEESL_NS6_8equal_toIsEEEENSG_9not_fun_tINSD_8identityEEEEENSD_19counting_iterator_tIlEES8_S8_S8_S8_S8_S8_S8_S8_EEEEPS9_S9_NSD_9__find_if7functorIS9_EEEE10hipError_tPvRmT1_T2_T3_mT4_P12ihipStream_tbEUlT_E1_NS1_11comp_targetILNS1_3genE3ELNS1_11target_archE908ELNS1_3gpuE7ELNS1_3repE0EEENS1_30default_config_static_selectorELNS0_4arch9wavefront6targetE1EEEvS14_.uses_vcc, 0
	.set _ZN7rocprim17ROCPRIM_400000_NS6detail17trampoline_kernelINS0_14default_configENS1_22reduce_config_selectorIN6thrust23THRUST_200600_302600_NS5tupleIblNS6_9null_typeES8_S8_S8_S8_S8_S8_S8_EEEEZNS1_11reduce_implILb1ES3_NS6_12zip_iteratorINS7_INS6_11hip_rocprim26transform_input_iterator_tIbNSD_35transform_pair_of_input_iterators_tIbNS6_6detail15normal_iteratorINS6_10device_ptrIKsEEEESL_NS6_8equal_toIsEEEENSG_9not_fun_tINSD_8identityEEEEENSD_19counting_iterator_tIlEES8_S8_S8_S8_S8_S8_S8_S8_EEEEPS9_S9_NSD_9__find_if7functorIS9_EEEE10hipError_tPvRmT1_T2_T3_mT4_P12ihipStream_tbEUlT_E1_NS1_11comp_targetILNS1_3genE3ELNS1_11target_archE908ELNS1_3gpuE7ELNS1_3repE0EEENS1_30default_config_static_selectorELNS0_4arch9wavefront6targetE1EEEvS14_.uses_flat_scratch, 0
	.set _ZN7rocprim17ROCPRIM_400000_NS6detail17trampoline_kernelINS0_14default_configENS1_22reduce_config_selectorIN6thrust23THRUST_200600_302600_NS5tupleIblNS6_9null_typeES8_S8_S8_S8_S8_S8_S8_EEEEZNS1_11reduce_implILb1ES3_NS6_12zip_iteratorINS7_INS6_11hip_rocprim26transform_input_iterator_tIbNSD_35transform_pair_of_input_iterators_tIbNS6_6detail15normal_iteratorINS6_10device_ptrIKsEEEESL_NS6_8equal_toIsEEEENSG_9not_fun_tINSD_8identityEEEEENSD_19counting_iterator_tIlEES8_S8_S8_S8_S8_S8_S8_S8_EEEEPS9_S9_NSD_9__find_if7functorIS9_EEEE10hipError_tPvRmT1_T2_T3_mT4_P12ihipStream_tbEUlT_E1_NS1_11comp_targetILNS1_3genE3ELNS1_11target_archE908ELNS1_3gpuE7ELNS1_3repE0EEENS1_30default_config_static_selectorELNS0_4arch9wavefront6targetE1EEEvS14_.has_dyn_sized_stack, 0
	.set _ZN7rocprim17ROCPRIM_400000_NS6detail17trampoline_kernelINS0_14default_configENS1_22reduce_config_selectorIN6thrust23THRUST_200600_302600_NS5tupleIblNS6_9null_typeES8_S8_S8_S8_S8_S8_S8_EEEEZNS1_11reduce_implILb1ES3_NS6_12zip_iteratorINS7_INS6_11hip_rocprim26transform_input_iterator_tIbNSD_35transform_pair_of_input_iterators_tIbNS6_6detail15normal_iteratorINS6_10device_ptrIKsEEEESL_NS6_8equal_toIsEEEENSG_9not_fun_tINSD_8identityEEEEENSD_19counting_iterator_tIlEES8_S8_S8_S8_S8_S8_S8_S8_EEEEPS9_S9_NSD_9__find_if7functorIS9_EEEE10hipError_tPvRmT1_T2_T3_mT4_P12ihipStream_tbEUlT_E1_NS1_11comp_targetILNS1_3genE3ELNS1_11target_archE908ELNS1_3gpuE7ELNS1_3repE0EEENS1_30default_config_static_selectorELNS0_4arch9wavefront6targetE1EEEvS14_.has_recursion, 0
	.set _ZN7rocprim17ROCPRIM_400000_NS6detail17trampoline_kernelINS0_14default_configENS1_22reduce_config_selectorIN6thrust23THRUST_200600_302600_NS5tupleIblNS6_9null_typeES8_S8_S8_S8_S8_S8_S8_EEEEZNS1_11reduce_implILb1ES3_NS6_12zip_iteratorINS7_INS6_11hip_rocprim26transform_input_iterator_tIbNSD_35transform_pair_of_input_iterators_tIbNS6_6detail15normal_iteratorINS6_10device_ptrIKsEEEESL_NS6_8equal_toIsEEEENSG_9not_fun_tINSD_8identityEEEEENSD_19counting_iterator_tIlEES8_S8_S8_S8_S8_S8_S8_S8_EEEEPS9_S9_NSD_9__find_if7functorIS9_EEEE10hipError_tPvRmT1_T2_T3_mT4_P12ihipStream_tbEUlT_E1_NS1_11comp_targetILNS1_3genE3ELNS1_11target_archE908ELNS1_3gpuE7ELNS1_3repE0EEENS1_30default_config_static_selectorELNS0_4arch9wavefront6targetE1EEEvS14_.has_indirect_call, 0
	.section	.AMDGPU.csdata,"",@progbits
; Kernel info:
; codeLenInByte = 0
; TotalNumSgprs: 4
; NumVgprs: 0
; ScratchSize: 0
; MemoryBound: 0
; FloatMode: 240
; IeeeMode: 1
; LDSByteSize: 0 bytes/workgroup (compile time only)
; SGPRBlocks: 0
; VGPRBlocks: 0
; NumSGPRsForWavesPerEU: 4
; NumVGPRsForWavesPerEU: 1
; Occupancy: 10
; WaveLimiterHint : 0
; COMPUTE_PGM_RSRC2:SCRATCH_EN: 0
; COMPUTE_PGM_RSRC2:USER_SGPR: 6
; COMPUTE_PGM_RSRC2:TRAP_HANDLER: 0
; COMPUTE_PGM_RSRC2:TGID_X_EN: 1
; COMPUTE_PGM_RSRC2:TGID_Y_EN: 0
; COMPUTE_PGM_RSRC2:TGID_Z_EN: 0
; COMPUTE_PGM_RSRC2:TIDIG_COMP_CNT: 0
	.section	.text._ZN7rocprim17ROCPRIM_400000_NS6detail17trampoline_kernelINS0_14default_configENS1_22reduce_config_selectorIN6thrust23THRUST_200600_302600_NS5tupleIblNS6_9null_typeES8_S8_S8_S8_S8_S8_S8_EEEEZNS1_11reduce_implILb1ES3_NS6_12zip_iteratorINS7_INS6_11hip_rocprim26transform_input_iterator_tIbNSD_35transform_pair_of_input_iterators_tIbNS6_6detail15normal_iteratorINS6_10device_ptrIKsEEEESL_NS6_8equal_toIsEEEENSG_9not_fun_tINSD_8identityEEEEENSD_19counting_iterator_tIlEES8_S8_S8_S8_S8_S8_S8_S8_EEEEPS9_S9_NSD_9__find_if7functorIS9_EEEE10hipError_tPvRmT1_T2_T3_mT4_P12ihipStream_tbEUlT_E1_NS1_11comp_targetILNS1_3genE2ELNS1_11target_archE906ELNS1_3gpuE6ELNS1_3repE0EEENS1_30default_config_static_selectorELNS0_4arch9wavefront6targetE1EEEvS14_,"axG",@progbits,_ZN7rocprim17ROCPRIM_400000_NS6detail17trampoline_kernelINS0_14default_configENS1_22reduce_config_selectorIN6thrust23THRUST_200600_302600_NS5tupleIblNS6_9null_typeES8_S8_S8_S8_S8_S8_S8_EEEEZNS1_11reduce_implILb1ES3_NS6_12zip_iteratorINS7_INS6_11hip_rocprim26transform_input_iterator_tIbNSD_35transform_pair_of_input_iterators_tIbNS6_6detail15normal_iteratorINS6_10device_ptrIKsEEEESL_NS6_8equal_toIsEEEENSG_9not_fun_tINSD_8identityEEEEENSD_19counting_iterator_tIlEES8_S8_S8_S8_S8_S8_S8_S8_EEEEPS9_S9_NSD_9__find_if7functorIS9_EEEE10hipError_tPvRmT1_T2_T3_mT4_P12ihipStream_tbEUlT_E1_NS1_11comp_targetILNS1_3genE2ELNS1_11target_archE906ELNS1_3gpuE6ELNS1_3repE0EEENS1_30default_config_static_selectorELNS0_4arch9wavefront6targetE1EEEvS14_,comdat
	.protected	_ZN7rocprim17ROCPRIM_400000_NS6detail17trampoline_kernelINS0_14default_configENS1_22reduce_config_selectorIN6thrust23THRUST_200600_302600_NS5tupleIblNS6_9null_typeES8_S8_S8_S8_S8_S8_S8_EEEEZNS1_11reduce_implILb1ES3_NS6_12zip_iteratorINS7_INS6_11hip_rocprim26transform_input_iterator_tIbNSD_35transform_pair_of_input_iterators_tIbNS6_6detail15normal_iteratorINS6_10device_ptrIKsEEEESL_NS6_8equal_toIsEEEENSG_9not_fun_tINSD_8identityEEEEENSD_19counting_iterator_tIlEES8_S8_S8_S8_S8_S8_S8_S8_EEEEPS9_S9_NSD_9__find_if7functorIS9_EEEE10hipError_tPvRmT1_T2_T3_mT4_P12ihipStream_tbEUlT_E1_NS1_11comp_targetILNS1_3genE2ELNS1_11target_archE906ELNS1_3gpuE6ELNS1_3repE0EEENS1_30default_config_static_selectorELNS0_4arch9wavefront6targetE1EEEvS14_ ; -- Begin function _ZN7rocprim17ROCPRIM_400000_NS6detail17trampoline_kernelINS0_14default_configENS1_22reduce_config_selectorIN6thrust23THRUST_200600_302600_NS5tupleIblNS6_9null_typeES8_S8_S8_S8_S8_S8_S8_EEEEZNS1_11reduce_implILb1ES3_NS6_12zip_iteratorINS7_INS6_11hip_rocprim26transform_input_iterator_tIbNSD_35transform_pair_of_input_iterators_tIbNS6_6detail15normal_iteratorINS6_10device_ptrIKsEEEESL_NS6_8equal_toIsEEEENSG_9not_fun_tINSD_8identityEEEEENSD_19counting_iterator_tIlEES8_S8_S8_S8_S8_S8_S8_S8_EEEEPS9_S9_NSD_9__find_if7functorIS9_EEEE10hipError_tPvRmT1_T2_T3_mT4_P12ihipStream_tbEUlT_E1_NS1_11comp_targetILNS1_3genE2ELNS1_11target_archE906ELNS1_3gpuE6ELNS1_3repE0EEENS1_30default_config_static_selectorELNS0_4arch9wavefront6targetE1EEEvS14_
	.globl	_ZN7rocprim17ROCPRIM_400000_NS6detail17trampoline_kernelINS0_14default_configENS1_22reduce_config_selectorIN6thrust23THRUST_200600_302600_NS5tupleIblNS6_9null_typeES8_S8_S8_S8_S8_S8_S8_EEEEZNS1_11reduce_implILb1ES3_NS6_12zip_iteratorINS7_INS6_11hip_rocprim26transform_input_iterator_tIbNSD_35transform_pair_of_input_iterators_tIbNS6_6detail15normal_iteratorINS6_10device_ptrIKsEEEESL_NS6_8equal_toIsEEEENSG_9not_fun_tINSD_8identityEEEEENSD_19counting_iterator_tIlEES8_S8_S8_S8_S8_S8_S8_S8_EEEEPS9_S9_NSD_9__find_if7functorIS9_EEEE10hipError_tPvRmT1_T2_T3_mT4_P12ihipStream_tbEUlT_E1_NS1_11comp_targetILNS1_3genE2ELNS1_11target_archE906ELNS1_3gpuE6ELNS1_3repE0EEENS1_30default_config_static_selectorELNS0_4arch9wavefront6targetE1EEEvS14_
	.p2align	8
	.type	_ZN7rocprim17ROCPRIM_400000_NS6detail17trampoline_kernelINS0_14default_configENS1_22reduce_config_selectorIN6thrust23THRUST_200600_302600_NS5tupleIblNS6_9null_typeES8_S8_S8_S8_S8_S8_S8_EEEEZNS1_11reduce_implILb1ES3_NS6_12zip_iteratorINS7_INS6_11hip_rocprim26transform_input_iterator_tIbNSD_35transform_pair_of_input_iterators_tIbNS6_6detail15normal_iteratorINS6_10device_ptrIKsEEEESL_NS6_8equal_toIsEEEENSG_9not_fun_tINSD_8identityEEEEENSD_19counting_iterator_tIlEES8_S8_S8_S8_S8_S8_S8_S8_EEEEPS9_S9_NSD_9__find_if7functorIS9_EEEE10hipError_tPvRmT1_T2_T3_mT4_P12ihipStream_tbEUlT_E1_NS1_11comp_targetILNS1_3genE2ELNS1_11target_archE906ELNS1_3gpuE6ELNS1_3repE0EEENS1_30default_config_static_selectorELNS0_4arch9wavefront6targetE1EEEvS14_,@function
_ZN7rocprim17ROCPRIM_400000_NS6detail17trampoline_kernelINS0_14default_configENS1_22reduce_config_selectorIN6thrust23THRUST_200600_302600_NS5tupleIblNS6_9null_typeES8_S8_S8_S8_S8_S8_S8_EEEEZNS1_11reduce_implILb1ES3_NS6_12zip_iteratorINS7_INS6_11hip_rocprim26transform_input_iterator_tIbNSD_35transform_pair_of_input_iterators_tIbNS6_6detail15normal_iteratorINS6_10device_ptrIKsEEEESL_NS6_8equal_toIsEEEENSG_9not_fun_tINSD_8identityEEEEENSD_19counting_iterator_tIlEES8_S8_S8_S8_S8_S8_S8_S8_EEEEPS9_S9_NSD_9__find_if7functorIS9_EEEE10hipError_tPvRmT1_T2_T3_mT4_P12ihipStream_tbEUlT_E1_NS1_11comp_targetILNS1_3genE2ELNS1_11target_archE906ELNS1_3gpuE6ELNS1_3repE0EEENS1_30default_config_static_selectorELNS0_4arch9wavefront6targetE1EEEvS14_: ; @_ZN7rocprim17ROCPRIM_400000_NS6detail17trampoline_kernelINS0_14default_configENS1_22reduce_config_selectorIN6thrust23THRUST_200600_302600_NS5tupleIblNS6_9null_typeES8_S8_S8_S8_S8_S8_S8_EEEEZNS1_11reduce_implILb1ES3_NS6_12zip_iteratorINS7_INS6_11hip_rocprim26transform_input_iterator_tIbNSD_35transform_pair_of_input_iterators_tIbNS6_6detail15normal_iteratorINS6_10device_ptrIKsEEEESL_NS6_8equal_toIsEEEENSG_9not_fun_tINSD_8identityEEEEENSD_19counting_iterator_tIlEES8_S8_S8_S8_S8_S8_S8_S8_EEEEPS9_S9_NSD_9__find_if7functorIS9_EEEE10hipError_tPvRmT1_T2_T3_mT4_P12ihipStream_tbEUlT_E1_NS1_11comp_targetILNS1_3genE2ELNS1_11target_archE906ELNS1_3gpuE6ELNS1_3repE0EEENS1_30default_config_static_selectorELNS0_4arch9wavefront6targetE1EEEvS14_
; %bb.0:
	s_load_dword s38, s[4:5], 0x4
	s_load_dwordx4 s[24:27], s[4:5], 0x8
	s_load_dwordx4 s[20:23], s[4:5], 0x28
	s_load_dword s33, s[4:5], 0x40
	s_load_dwordx2 s[18:19], s[4:5], 0x48
	s_waitcnt lgkmcnt(0)
	s_cmp_lt_i32 s38, 4
	s_cbranch_scc1 .LBB568_13
; %bb.1:
	s_cmp_gt_i32 s38, 7
	s_cbranch_scc0 .LBB568_14
; %bb.2:
	s_cmp_eq_u32 s38, 8
	s_mov_b64 s[28:29], 0
	s_cbranch_scc0 .LBB568_15
; %bb.3:
	s_mov_b32 s7, 0
	s_lshl_b32 s36, s6, 10
	s_mov_b32 s37, s7
	s_lshr_b64 s[0:1], s[22:23], 10
	s_lshl_b64 s[2:3], s[36:37], 1
	s_add_u32 s30, s24, s2
	s_addc_u32 s31, s25, s3
	s_add_u32 s34, s26, s2
	s_addc_u32 s35, s27, s3
	s_add_u32 s40, s20, s36
	s_addc_u32 s41, s21, 0
	s_cmp_lg_u64 s[0:1], s[6:7]
	s_cbranch_scc0 .LBB568_28
; %bb.4:
	v_lshlrev_b32_e32 v1, 1, v0
	global_load_ushort v2, v1, s[30:31] offset:512
	global_load_ushort v3, v1, s[30:31] offset:1024
	;; [unrolled: 1-line block ×14, first 2 shown]
	global_load_ushort v16, v1, s[30:31]
	s_nop 0
	global_load_ushort v1, v1, s[34:35]
	v_mov_b32_e32 v18, 0x100
	v_mov_b32_e32 v19, 0x80
	;; [unrolled: 1-line block ×7, first 2 shown]
	s_waitcnt vmcnt(13)
	v_cmp_ne_u16_e32 vcc, v2, v4
	v_mbcnt_lo_u32_b32 v4, -1, 0
	s_waitcnt vmcnt(12)
	v_cmp_ne_u16_e64 s[0:1], v3, v5
	v_add_co_u32_e64 v5, s[2:3], s40, v0
	v_mbcnt_hi_u32_b32 v3, -1, v4
	v_addc_co_u32_e64 v17, s[2:3], 0, v17, s[2:3]
	s_waitcnt vmcnt(6)
	v_cmp_ne_u16_e64 s[2:3], v11, v6
	s_waitcnt vmcnt(4)
	v_cmp_ne_u16_e64 s[14:15], v13, v8
	s_waitcnt vmcnt(3)
	v_cmp_ne_u16_e64 s[12:13], v14, v9
	s_waitcnt vmcnt(2)
	v_cmp_ne_u16_e64 s[10:11], v15, v10
	v_cndmask_b32_e64 v4, v18, v19, s[10:11]
	s_waitcnt vmcnt(0)
	v_cmp_ne_u16_e64 s[16:17], v16, v1
	s_or_b64 s[10:11], s[16:17], s[10:11]
	s_or_b64 vcc, s[10:11], vcc
	v_cndmask_b32_e64 v6, v20, v21, s[12:13]
	v_cndmask_b32_e64 v1, v4, 0, s[16:17]
	s_or_b64 s[10:11], vcc, s[12:13]
	v_cndmask_b32_e32 v1, v6, v1, vcc
	s_or_b64 vcc, s[10:11], s[0:1]
	v_cmp_ne_u16_e64 s[8:9], v12, v7
	v_cndmask_b32_e64 v7, v22, v23, s[14:15]
	s_or_b64 s[0:1], vcc, s[14:15]
	v_mov_b32_e32 v2, 0x380
	v_cndmask_b32_e32 v1, v7, v1, vcc
	s_or_b64 vcc, s[0:1], s[2:3]
	v_cndmask_b32_e32 v1, v2, v1, vcc
	v_add_co_u32_e64 v1, s[0:1], v5, v1
	v_addc_co_u32_e64 v2, s[0:1], 0, v17, s[0:1]
	s_or_b64 s[0:1], vcc, s[8:9]
	v_mov_b32_dpp v4, v1 quad_perm:[1,0,3,2] row_mask:0xf bank_mask:0xf bound_ctrl:1
	v_mov_b32_dpp v5, v2 quad_perm:[1,0,3,2] row_mask:0xf bank_mask:0xf bound_ctrl:1
	v_cndmask_b32_e64 v6, 0, 1, s[0:1]
	v_cmp_lt_i64_e32 vcc, v[1:2], v[4:5]
	s_and_b64 vcc, s[0:1], vcc
	v_mov_b32_dpp v7, v6 quad_perm:[1,0,3,2] row_mask:0xf bank_mask:0xf bound_ctrl:1
	v_and_b32_e32 v7, 1, v7
	v_cndmask_b32_e32 v4, v4, v1, vcc
	v_cndmask_b32_e32 v5, v5, v2, vcc
	v_cmp_eq_u32_e32 vcc, 1, v7
	v_cndmask_b32_e32 v2, v2, v5, vcc
	v_cndmask_b32_e32 v1, v1, v4, vcc
	v_cndmask_b32_e64 v6, v6, 1, vcc
	v_mov_b32_dpp v5, v2 quad_perm:[2,3,0,1] row_mask:0xf bank_mask:0xf bound_ctrl:1
	v_mov_b32_dpp v4, v1 quad_perm:[2,3,0,1] row_mask:0xf bank_mask:0xf bound_ctrl:1
	v_and_b32_e32 v8, 1, v6
	v_cmp_lt_i64_e64 s[0:1], v[1:2], v[4:5]
	v_mov_b32_dpp v7, v6 quad_perm:[2,3,0,1] row_mask:0xf bank_mask:0xf bound_ctrl:1
	v_cmp_eq_u32_e32 vcc, 1, v8
	v_and_b32_e32 v7, 1, v7
	s_and_b64 vcc, vcc, s[0:1]
	v_cmp_eq_u32_e64 s[2:3], 1, v7
	v_cndmask_b32_e32 v4, v4, v1, vcc
	v_cndmask_b32_e32 v5, v5, v2, vcc
	v_cndmask_b32_e64 v1, v1, v4, s[2:3]
	v_cndmask_b32_e64 v2, v2, v5, s[2:3]
	;; [unrolled: 1-line block ×3, first 2 shown]
	v_mov_b32_dpp v4, v1 row_ror:4 row_mask:0xf bank_mask:0xf bound_ctrl:1
	v_mov_b32_dpp v5, v2 row_ror:4 row_mask:0xf bank_mask:0xf bound_ctrl:1
	v_and_b32_e32 v8, 1, v6
	v_cmp_lt_i64_e64 s[2:3], v[1:2], v[4:5]
	v_mov_b32_dpp v7, v6 row_ror:4 row_mask:0xf bank_mask:0xf bound_ctrl:1
	v_cmp_eq_u32_e32 vcc, 1, v8
	v_and_b32_e32 v7, 1, v7
	s_and_b64 vcc, vcc, s[2:3]
	v_cmp_eq_u32_e64 s[0:1], 1, v7
	v_cndmask_b32_e32 v4, v4, v1, vcc
	v_cndmask_b32_e32 v5, v5, v2, vcc
	v_cndmask_b32_e64 v1, v1, v4, s[0:1]
	v_cndmask_b32_e64 v2, v2, v5, s[0:1]
	;; [unrolled: 1-line block ×3, first 2 shown]
	v_mov_b32_dpp v4, v1 row_ror:8 row_mask:0xf bank_mask:0xf bound_ctrl:1
	v_mov_b32_dpp v5, v2 row_ror:8 row_mask:0xf bank_mask:0xf bound_ctrl:1
	v_and_b32_e32 v8, 1, v6
	v_cmp_lt_i64_e32 vcc, v[1:2], v[4:5]
	v_mov_b32_dpp v7, v6 row_ror:8 row_mask:0xf bank_mask:0xf bound_ctrl:1
	v_cmp_eq_u32_e64 s[8:9], 1, v8
	v_and_b32_e32 v7, 1, v7
	s_and_b64 vcc, s[8:9], vcc
	v_cmp_eq_u32_e64 s[10:11], 1, v7
	v_cndmask_b32_e32 v4, v4, v1, vcc
	v_cndmask_b32_e32 v5, v5, v2, vcc
	v_cndmask_b32_e64 v1, v1, v4, s[10:11]
	v_cndmask_b32_e64 v2, v2, v5, s[10:11]
	;; [unrolled: 1-line block ×3, first 2 shown]
	v_mov_b32_dpp v4, v1 row_bcast:15 row_mask:0xf bank_mask:0xf bound_ctrl:1
	v_mov_b32_dpp v5, v2 row_bcast:15 row_mask:0xf bank_mask:0xf bound_ctrl:1
	v_and_b32_e32 v8, 1, v6
	v_cmp_lt_i64_e64 s[0:1], v[1:2], v[4:5]
	v_mov_b32_dpp v7, v6 row_bcast:15 row_mask:0xf bank_mask:0xf bound_ctrl:1
	v_cmp_eq_u32_e32 vcc, 1, v8
	v_and_b32_e32 v7, 1, v7
	s_and_b64 vcc, vcc, s[0:1]
	v_cmp_eq_u32_e64 s[2:3], 1, v7
	v_cndmask_b32_e32 v4, v4, v1, vcc
	v_cndmask_b32_e32 v5, v5, v2, vcc
	v_cndmask_b32_e64 v2, v2, v5, s[2:3]
	v_cndmask_b32_e64 v1, v1, v4, s[2:3]
	;; [unrolled: 1-line block ×3, first 2 shown]
	v_mov_b32_dpp v5, v2 row_bcast:31 row_mask:0xf bank_mask:0xf bound_ctrl:1
	v_mov_b32_dpp v4, v1 row_bcast:31 row_mask:0xf bank_mask:0xf bound_ctrl:1
	v_and_b32_e32 v8, 1, v6
	v_cmp_lt_i64_e64 s[0:1], v[1:2], v[4:5]
	v_mov_b32_dpp v7, v6 row_bcast:31 row_mask:0xf bank_mask:0xf bound_ctrl:1
	v_cmp_eq_u32_e32 vcc, 1, v8
	v_and_b32_e32 v7, 1, v7
	s_and_b64 vcc, vcc, s[0:1]
	v_cmp_eq_u32_e64 s[2:3], 1, v7
	v_cndmask_b32_e32 v5, v5, v2, vcc
	v_cndmask_b32_e32 v4, v4, v1, vcc
	v_cndmask_b32_e64 v2, v2, v5, s[2:3]
	v_lshlrev_b32_e32 v5, 2, v3
	v_cndmask_b32_e64 v6, v6, 1, s[2:3]
	v_cndmask_b32_e64 v1, v1, v4, s[2:3]
	v_or_b32_e32 v4, 0xfc, v5
	ds_bpermute_b32 v17, v4, v6
	ds_bpermute_b32 v1, v4, v1
	;; [unrolled: 1-line block ×3, first 2 shown]
	v_cmp_eq_u32_e32 vcc, 0, v3
	s_and_saveexec_b64 s[0:1], vcc
	s_cbranch_execz .LBB568_6
; %bb.5:
	v_lshrrev_b32_e32 v4, 2, v0
	v_and_b32_e32 v4, 16, v4
	s_waitcnt lgkmcnt(2)
	ds_write_b8 v4, v17 offset:96
	s_waitcnt lgkmcnt(1)
	ds_write_b64 v4, v[1:2] offset:104
.LBB568_6:
	s_or_b64 exec, exec, s[0:1]
	v_cmp_gt_u32_e32 vcc, 64, v0
	s_waitcnt lgkmcnt(0)
	s_barrier
	s_and_saveexec_b64 s[0:1], vcc
	s_cbranch_execz .LBB568_12
; %bb.7:
	v_and_b32_e32 v1, 1, v3
	v_lshlrev_b32_e32 v1, 4, v1
	ds_read_u8 v7, v1 offset:96
	ds_read_b64 v[3:4], v1 offset:104
	v_or_b32_e32 v2, 4, v5
	s_waitcnt lgkmcnt(1)
	v_and_b32_e32 v1, 0xff, v7
	ds_bpermute_b32 v8, v2, v1
	s_waitcnt lgkmcnt(1)
	ds_bpermute_b32 v5, v2, v3
	ds_bpermute_b32 v6, v2, v4
	s_waitcnt lgkmcnt(2)
	v_and_b32_e32 v1, v7, v8
	v_and_b32_e32 v1, 1, v1
	v_cmp_eq_u32_e32 vcc, 1, v1
                                        ; implicit-def: $vgpr1_vgpr2
	s_and_saveexec_b64 s[2:3], vcc
	s_xor_b64 s[2:3], exec, s[2:3]
	s_cbranch_execz .LBB568_9
; %bb.8:
	s_waitcnt lgkmcnt(0)
	v_cmp_lt_i64_e32 vcc, v[5:6], v[3:4]
                                        ; implicit-def: $vgpr7
                                        ; implicit-def: $vgpr8
	v_cndmask_b32_e32 v2, v4, v6, vcc
	v_cndmask_b32_e32 v1, v3, v5, vcc
                                        ; implicit-def: $vgpr5_vgpr6
                                        ; implicit-def: $vgpr3_vgpr4
.LBB568_9:
	s_or_saveexec_b64 s[2:3], s[2:3]
	v_mov_b32_e32 v17, 1
	s_xor_b64 exec, exec, s[2:3]
	s_cbranch_execz .LBB568_11
; %bb.10:
	v_and_b32_e32 v1, 1, v7
	v_cmp_eq_u32_e32 vcc, 1, v1
	s_waitcnt lgkmcnt(0)
	v_cndmask_b32_e32 v2, v6, v4, vcc
	v_cndmask_b32_e32 v1, v5, v3, vcc
	v_cndmask_b32_e64 v17, v8, 1, vcc
.LBB568_11:
	s_or_b64 exec, exec, s[2:3]
.LBB568_12:
	s_or_b64 exec, exec, s[0:1]
	s_branch .LBB568_145
.LBB568_13:
	s_mov_b64 s[14:15], 0
                                        ; implicit-def: $vgpr3_vgpr4
                                        ; implicit-def: $vgpr5
                                        ; implicit-def: $vgpr1_vgpr2
	s_cbranch_execnz .LBB568_219
	s_branch .LBB568_306
.LBB568_14:
	s_mov_b64 s[28:29], -1
.LBB568_15:
	s_mov_b64 s[14:15], 0
                                        ; implicit-def: $vgpr3_vgpr4
                                        ; implicit-def: $vgpr5
                                        ; implicit-def: $vgpr1_vgpr2
	s_and_b64 vcc, exec, s[28:29]
	s_cbranch_vccz .LBB568_150
.LBB568_16:
	s_cmp_eq_u32 s38, 4
	s_cbranch_scc0 .LBB568_27
; %bb.17:
	s_mov_b32 s7, 0
	s_lshl_b32 s30, s6, 9
	s_mov_b32 s31, s7
	s_lshr_b64 s[0:1], s[22:23], 9
	s_lshl_b64 s[2:3], s[30:31], 1
	s_add_u32 s16, s24, s2
	s_addc_u32 s17, s25, s3
	s_add_u32 s28, s26, s2
	s_addc_u32 s29, s27, s3
	;; [unrolled: 2-line block ×3, first 2 shown]
	s_cmp_lg_u64 s[0:1], s[6:7]
	s_cbranch_scc0 .LBB568_51
; %bb.18:
	v_lshlrev_b32_e32 v1, 1, v0
	global_load_ushort v2, v1, s[28:29] offset:256
	s_waitcnt lgkmcnt(0)
	global_load_ushort v4, v1, s[16:17] offset:512
	global_load_ushort v6, v1, s[28:29] offset:512
	;; [unrolled: 1-line block ×5, first 2 shown]
	global_load_ushort v10, v1, s[28:29]
	global_load_ushort v11, v1, s[16:17]
	v_mov_b32_e32 v1, s34
	v_add_co_u32_e32 v15, vcc, s31, v0
	v_mov_b32_e32 v12, 0x100
	v_mov_b32_e32 v13, 0x80
	v_addc_co_u32_e32 v16, vcc, 0, v1, vcc
	v_mov_b32_e32 v14, 0x180
	v_mbcnt_lo_u32_b32 v3, -1, 0
	v_mbcnt_hi_u32_b32 v3, -1, v3
	v_lshlrev_b32_e32 v5, 2, v3
	v_or_b32_e32 v17, 0xfc, v5
	s_waitcnt vmcnt(5)
	v_cmp_ne_u16_e32 vcc, v4, v6
	s_waitcnt vmcnt(3)
	v_cmp_ne_u16_e64 s[0:1], v8, v7
	s_waitcnt vmcnt(2)
	v_cmp_ne_u16_e64 s[2:3], v9, v2
	v_cndmask_b32_e64 v1, v12, v13, s[2:3]
	s_waitcnt vmcnt(0)
	v_cmp_ne_u16_e64 s[8:9], v11, v10
	s_or_b64 s[2:3], s[8:9], s[2:3]
	v_cndmask_b32_e64 v1, v1, 0, s[8:9]
	s_or_b64 vcc, s[2:3], vcc
	v_cndmask_b32_e32 v1, v14, v1, vcc
	v_add_co_u32_e64 v1, s[2:3], v15, v1
	v_addc_co_u32_e64 v2, s[2:3], 0, v16, s[2:3]
	s_or_b64 s[0:1], vcc, s[0:1]
	v_mov_b32_dpp v6, v1 quad_perm:[1,0,3,2] row_mask:0xf bank_mask:0xf bound_ctrl:1
	v_mov_b32_dpp v7, v2 quad_perm:[1,0,3,2] row_mask:0xf bank_mask:0xf bound_ctrl:1
	v_cndmask_b32_e64 v4, 0, 1, s[0:1]
	v_cmp_lt_i64_e32 vcc, v[1:2], v[6:7]
	s_and_b64 vcc, s[0:1], vcc
	v_mov_b32_dpp v8, v4 quad_perm:[1,0,3,2] row_mask:0xf bank_mask:0xf bound_ctrl:1
	v_and_b32_e32 v8, 1, v8
	v_cndmask_b32_e32 v6, v6, v1, vcc
	v_cndmask_b32_e32 v7, v7, v2, vcc
	v_cmp_eq_u32_e32 vcc, 1, v8
	v_cndmask_b32_e32 v2, v2, v7, vcc
	v_cndmask_b32_e32 v1, v1, v6, vcc
	v_cndmask_b32_e64 v4, v4, 1, vcc
	v_mov_b32_dpp v7, v2 quad_perm:[2,3,0,1] row_mask:0xf bank_mask:0xf bound_ctrl:1
	v_mov_b32_dpp v6, v1 quad_perm:[2,3,0,1] row_mask:0xf bank_mask:0xf bound_ctrl:1
	v_and_b32_e32 v9, 1, v4
	v_cmp_lt_i64_e64 s[0:1], v[1:2], v[6:7]
	v_mov_b32_dpp v8, v4 quad_perm:[2,3,0,1] row_mask:0xf bank_mask:0xf bound_ctrl:1
	v_cmp_eq_u32_e32 vcc, 1, v9
	v_and_b32_e32 v8, 1, v8
	s_and_b64 vcc, vcc, s[0:1]
	v_cmp_eq_u32_e64 s[2:3], 1, v8
	v_cndmask_b32_e32 v6, v6, v1, vcc
	v_cndmask_b32_e32 v7, v7, v2, vcc
	v_cndmask_b32_e64 v1, v1, v6, s[2:3]
	v_cndmask_b32_e64 v2, v2, v7, s[2:3]
	;; [unrolled: 1-line block ×3, first 2 shown]
	v_mov_b32_dpp v6, v1 row_ror:4 row_mask:0xf bank_mask:0xf bound_ctrl:1
	v_mov_b32_dpp v7, v2 row_ror:4 row_mask:0xf bank_mask:0xf bound_ctrl:1
	v_and_b32_e32 v9, 1, v4
	v_cmp_lt_i64_e64 s[2:3], v[1:2], v[6:7]
	v_mov_b32_dpp v8, v4 row_ror:4 row_mask:0xf bank_mask:0xf bound_ctrl:1
	v_cmp_eq_u32_e32 vcc, 1, v9
	v_and_b32_e32 v8, 1, v8
	s_and_b64 vcc, vcc, s[2:3]
	v_cmp_eq_u32_e64 s[0:1], 1, v8
	v_cndmask_b32_e32 v6, v6, v1, vcc
	v_cndmask_b32_e32 v7, v7, v2, vcc
	v_cndmask_b32_e64 v1, v1, v6, s[0:1]
	v_cndmask_b32_e64 v2, v2, v7, s[0:1]
	;; [unrolled: 1-line block ×3, first 2 shown]
	v_mov_b32_dpp v6, v1 row_ror:8 row_mask:0xf bank_mask:0xf bound_ctrl:1
	v_mov_b32_dpp v7, v2 row_ror:8 row_mask:0xf bank_mask:0xf bound_ctrl:1
	v_and_b32_e32 v9, 1, v4
	v_cmp_lt_i64_e64 s[2:3], v[1:2], v[6:7]
	v_mov_b32_dpp v8, v4 row_ror:8 row_mask:0xf bank_mask:0xf bound_ctrl:1
	v_cmp_eq_u32_e64 s[8:9], 1, v9
	v_and_b32_e32 v8, 1, v8
	s_and_b64 s[2:3], s[8:9], s[2:3]
	v_cmp_eq_u32_e64 s[10:11], 1, v8
	v_cndmask_b32_e64 v6, v6, v1, s[2:3]
	v_cndmask_b32_e64 v7, v7, v2, s[2:3]
	;; [unrolled: 1-line block ×5, first 2 shown]
	v_mov_b32_dpp v6, v1 row_bcast:15 row_mask:0xf bank_mask:0xf bound_ctrl:1
	v_mov_b32_dpp v7, v2 row_bcast:15 row_mask:0xf bank_mask:0xf bound_ctrl:1
	v_and_b32_e32 v9, 1, v4
	v_cmp_lt_i64_e64 s[2:3], v[1:2], v[6:7]
	v_mov_b32_dpp v8, v4 row_bcast:15 row_mask:0xf bank_mask:0xf bound_ctrl:1
	v_cmp_eq_u32_e32 vcc, 1, v9
	v_and_b32_e32 v8, 1, v8
	s_and_b64 vcc, vcc, s[2:3]
	v_cmp_eq_u32_e64 s[0:1], 1, v8
	v_cndmask_b32_e32 v6, v6, v1, vcc
	v_cndmask_b32_e32 v7, v7, v2, vcc
	v_cndmask_b32_e64 v4, v4, 1, s[0:1]
	v_cndmask_b32_e64 v1, v1, v6, s[0:1]
	;; [unrolled: 1-line block ×3, first 2 shown]
	v_mov_b32_dpp v8, v4 row_bcast:31 row_mask:0xf bank_mask:0xf bound_ctrl:1
	v_mov_b32_dpp v6, v1 row_bcast:31 row_mask:0xf bank_mask:0xf bound_ctrl:1
	;; [unrolled: 1-line block ×3, first 2 shown]
	v_and_b32_e32 v9, 1, v4
	v_and_b32_e32 v8, 1, v8
	v_cmp_lt_i64_e32 vcc, v[1:2], v[6:7]
	v_cmp_eq_u32_e64 s[12:13], 1, v9
	v_cmp_eq_u32_e64 s[8:9], 1, v8
	v_cndmask_b32_e64 v4, v4, 1, s[8:9]
	s_and_b64 vcc, s[12:13], vcc
	ds_bpermute_b32 v9, v17, v4
	v_cndmask_b32_e32 v4, v6, v1, vcc
	v_cndmask_b32_e32 v6, v7, v2, vcc
	v_cndmask_b32_e64 v1, v1, v4, s[8:9]
	v_cndmask_b32_e64 v2, v2, v6, s[8:9]
	ds_bpermute_b32 v1, v17, v1
	ds_bpermute_b32 v2, v17, v2
	v_cmp_eq_u32_e32 vcc, 0, v3
	s_and_saveexec_b64 s[0:1], vcc
	s_cbranch_execz .LBB568_20
; %bb.19:
	v_lshrrev_b32_e32 v4, 2, v0
	v_and_b32_e32 v4, 16, v4
	s_waitcnt lgkmcnt(2)
	ds_write_b8 v4, v9 offset:64
	s_waitcnt lgkmcnt(1)
	ds_write_b64 v4, v[1:2] offset:72
.LBB568_20:
	s_or_b64 exec, exec, s[0:1]
	v_cmp_gt_u32_e32 vcc, 64, v0
	s_waitcnt lgkmcnt(0)
	s_barrier
	s_and_saveexec_b64 s[0:1], vcc
	s_cbranch_execz .LBB568_26
; %bb.21:
	v_and_b32_e32 v1, 1, v3
	v_lshlrev_b32_e32 v1, 4, v1
	ds_read_u8 v7, v1 offset:64
	ds_read_b64 v[3:4], v1 offset:72
	v_or_b32_e32 v2, 4, v5
	s_waitcnt lgkmcnt(1)
	v_and_b32_e32 v1, 0xff, v7
	ds_bpermute_b32 v8, v2, v1
	s_waitcnt lgkmcnt(1)
	ds_bpermute_b32 v5, v2, v3
	ds_bpermute_b32 v6, v2, v4
	s_waitcnt lgkmcnt(2)
	v_and_b32_e32 v1, v7, v8
	v_and_b32_e32 v1, 1, v1
	v_cmp_eq_u32_e32 vcc, 1, v1
                                        ; implicit-def: $vgpr1_vgpr2
	s_and_saveexec_b64 s[2:3], vcc
	s_xor_b64 s[2:3], exec, s[2:3]
	s_cbranch_execz .LBB568_23
; %bb.22:
	s_waitcnt lgkmcnt(0)
	v_cmp_lt_i64_e32 vcc, v[5:6], v[3:4]
                                        ; implicit-def: $vgpr7
                                        ; implicit-def: $vgpr8
	v_cndmask_b32_e32 v2, v4, v6, vcc
	v_cndmask_b32_e32 v1, v3, v5, vcc
                                        ; implicit-def: $vgpr5_vgpr6
                                        ; implicit-def: $vgpr3_vgpr4
.LBB568_23:
	s_or_saveexec_b64 s[2:3], s[2:3]
	v_mov_b32_e32 v9, 1
	s_xor_b64 exec, exec, s[2:3]
	s_cbranch_execz .LBB568_25
; %bb.24:
	v_and_b32_e32 v1, 1, v7
	v_cmp_eq_u32_e32 vcc, 1, v1
	s_waitcnt lgkmcnt(0)
	v_cndmask_b32_e32 v2, v6, v4, vcc
	v_cndmask_b32_e32 v1, v5, v3, vcc
	v_cndmask_b32_e64 v9, v8, 1, vcc
.LBB568_25:
	s_or_b64 exec, exec, s[2:3]
.LBB568_26:
	s_or_b64 exec, exec, s[0:1]
	s_branch .LBB568_214
.LBB568_27:
                                        ; implicit-def: $vgpr3_vgpr4
                                        ; implicit-def: $vgpr5
                                        ; implicit-def: $vgpr1_vgpr2
	s_branch .LBB568_306
.LBB568_28:
                                        ; implicit-def: $vgpr1_vgpr2
                                        ; implicit-def: $vgpr17
	s_cbranch_execz .LBB568_145
; %bb.29:
	s_sub_i32 s39, s22, s36
	v_mov_b32_e32 v15, 0
	v_mov_b32_e32 v1, 0
	v_cmp_gt_u32_e32 vcc, s39, v0
	v_mov_b32_e32 v24, 0
	v_mov_b32_e32 v16, 0
	;; [unrolled: 1-line block ×4, first 2 shown]
	s_and_saveexec_b64 s[0:1], vcc
	s_cbranch_execz .LBB568_31
; %bb.30:
	v_lshlrev_b32_e32 v1, 1, v0
	global_load_ushort v3, v1, s[30:31]
	global_load_ushort v4, v1, s[34:35]
	v_mov_b32_e32 v2, s41
	v_add_co_u32_e32 v1, vcc, s40, v0
	v_addc_co_u32_e32 v2, vcc, 0, v2, vcc
	s_waitcnt vmcnt(0)
	v_cmp_ne_u16_e32 vcc, v3, v4
	v_cndmask_b32_e64 v17, 0, 1, vcc
.LBB568_31:
	s_or_b64 exec, exec, s[0:1]
	v_or_b32_e32 v3, 0x80, v0
	v_cmp_gt_u32_e64 s[14:15], s39, v3
	s_and_saveexec_b64 s[0:1], s[14:15]
	s_cbranch_execz .LBB568_33
; %bb.32:
	v_lshlrev_b32_e32 v4, 1, v0
	s_waitcnt lgkmcnt(1)
	global_load_ushort v5, v4, s[30:31] offset:256
	s_waitcnt lgkmcnt(0)
	global_load_ushort v6, v4, s[34:35] offset:256
	v_mov_b32_e32 v4, s41
	v_add_co_u32_e32 v15, vcc, s40, v3
	v_addc_co_u32_e32 v16, vcc, 0, v4, vcc
	s_waitcnt vmcnt(0)
	v_cmp_ne_u16_e32 vcc, v5, v6
	v_cndmask_b32_e64 v24, 0, 1, vcc
.LBB568_33:
	s_or_b64 exec, exec, s[0:1]
	v_or_b32_e32 v3, 0x100, v0
	v_mov_b32_e32 v11, 0
	v_mov_b32_e32 v13, 0
	v_cmp_gt_u32_e64 s[12:13], s39, v3
	v_mov_b32_e32 v22, 0
	v_mov_b32_e32 v12, 0
	;; [unrolled: 1-line block ×4, first 2 shown]
	s_and_saveexec_b64 s[0:1], s[12:13]
	s_cbranch_execz .LBB568_35
; %bb.34:
	v_lshlrev_b32_e32 v4, 1, v0
	s_waitcnt lgkmcnt(1)
	global_load_ushort v5, v4, s[30:31] offset:512
	s_waitcnt lgkmcnt(0)
	global_load_ushort v6, v4, s[34:35] offset:512
	v_mov_b32_e32 v4, s41
	v_add_co_u32_e32 v13, vcc, s40, v3
	v_addc_co_u32_e32 v14, vcc, 0, v4, vcc
	s_waitcnt vmcnt(0)
	v_cmp_ne_u16_e32 vcc, v5, v6
	v_cndmask_b32_e64 v23, 0, 1, vcc
.LBB568_35:
	s_or_b64 exec, exec, s[0:1]
	v_or_b32_e32 v3, 0x180, v0
	v_cmp_gt_u32_e64 s[10:11], s39, v3
	s_and_saveexec_b64 s[0:1], s[10:11]
	s_cbranch_execz .LBB568_37
; %bb.36:
	v_lshlrev_b32_e32 v4, 1, v0
	s_waitcnt lgkmcnt(1)
	global_load_ushort v5, v4, s[30:31] offset:768
	s_waitcnt lgkmcnt(0)
	global_load_ushort v6, v4, s[34:35] offset:768
	v_mov_b32_e32 v4, s41
	v_add_co_u32_e32 v11, vcc, s40, v3
	v_addc_co_u32_e32 v12, vcc, 0, v4, vcc
	s_waitcnt vmcnt(0)
	v_cmp_ne_u16_e32 vcc, v5, v6
	v_cndmask_b32_e64 v22, 0, 1, vcc
.LBB568_37:
	s_or_b64 exec, exec, s[0:1]
	v_or_b32_e32 v3, 0x200, v0
	v_mov_b32_e32 v7, 0
	v_mov_b32_e32 v9, 0
	v_cmp_gt_u32_e64 s[8:9], s39, v3
	v_mov_b32_e32 v20, 0
	v_mov_b32_e32 v8, 0
	;; [unrolled: 1-line block ×4, first 2 shown]
	s_and_saveexec_b64 s[0:1], s[8:9]
	s_cbranch_execz .LBB568_39
; %bb.38:
	v_lshlrev_b32_e32 v4, 1, v0
	s_waitcnt lgkmcnt(1)
	global_load_ushort v5, v4, s[30:31] offset:1024
	s_waitcnt lgkmcnt(0)
	global_load_ushort v6, v4, s[34:35] offset:1024
	v_mov_b32_e32 v4, s41
	v_add_co_u32_e32 v9, vcc, s40, v3
	v_addc_co_u32_e32 v10, vcc, 0, v4, vcc
	s_waitcnt vmcnt(0)
	v_cmp_ne_u16_e32 vcc, v5, v6
	v_cndmask_b32_e64 v21, 0, 1, vcc
.LBB568_39:
	s_or_b64 exec, exec, s[0:1]
	v_or_b32_e32 v3, 0x280, v0
	v_cmp_gt_u32_e64 s[2:3], s39, v3
	s_and_saveexec_b64 s[0:1], s[2:3]
	s_cbranch_execz .LBB568_41
; %bb.40:
	v_lshlrev_b32_e32 v4, 1, v0
	s_waitcnt lgkmcnt(1)
	global_load_ushort v5, v4, s[30:31] offset:1280
	s_waitcnt lgkmcnt(0)
	global_load_ushort v6, v4, s[34:35] offset:1280
	v_mov_b32_e32 v4, s41
	v_add_co_u32_e32 v7, vcc, s40, v3
	v_addc_co_u32_e32 v8, vcc, 0, v4, vcc
	s_waitcnt vmcnt(0)
	v_cmp_ne_u16_e32 vcc, v5, v6
	v_cndmask_b32_e64 v20, 0, 1, vcc
.LBB568_41:
	s_or_b64 exec, exec, s[0:1]
	v_or_b32_e32 v25, 0x300, v0
	v_mov_b32_e32 v3, 0
	s_waitcnt lgkmcnt(0)
	v_mov_b32_e32 v5, 0
	v_cmp_gt_u32_e64 s[0:1], s39, v25
	v_mov_b32_e32 v4, 0
	v_mov_b32_e32 v18, 0
	;; [unrolled: 1-line block ×4, first 2 shown]
	s_and_saveexec_b64 s[16:17], s[0:1]
	s_cbranch_execz .LBB568_43
; %bb.42:
	v_lshlrev_b32_e32 v5, 1, v0
	global_load_ushort v19, v5, s[30:31] offset:1536
	global_load_ushort v26, v5, s[34:35] offset:1536
	v_mov_b32_e32 v6, s41
	v_add_co_u32_e32 v5, vcc, s40, v25
	v_addc_co_u32_e32 v6, vcc, 0, v6, vcc
	s_waitcnt vmcnt(0)
	v_cmp_ne_u16_e32 vcc, v19, v26
	v_cndmask_b32_e64 v19, 0, 1, vcc
.LBB568_43:
	s_or_b64 exec, exec, s[16:17]
	v_or_b32_e32 v25, 0x380, v0
	v_cmp_gt_u32_e32 vcc, s39, v25
	s_and_saveexec_b64 s[36:37], vcc
	s_cbranch_execnz .LBB568_62
; %bb.44:
	s_or_b64 exec, exec, s[36:37]
	s_and_saveexec_b64 s[30:31], s[14:15]
	s_cbranch_execnz .LBB568_63
.LBB568_45:
	s_or_b64 exec, exec, s[30:31]
	s_and_saveexec_b64 s[16:17], s[12:13]
	s_cbranch_execnz .LBB568_68
.LBB568_46:
	s_or_b64 exec, exec, s[16:17]
	s_and_saveexec_b64 s[14:15], s[10:11]
	s_cbranch_execnz .LBB568_73
.LBB568_47:
	s_or_b64 exec, exec, s[14:15]
	s_and_saveexec_b64 s[12:13], s[8:9]
	s_cbranch_execnz .LBB568_78
.LBB568_48:
	s_or_b64 exec, exec, s[12:13]
	s_and_saveexec_b64 s[10:11], s[2:3]
	s_cbranch_execnz .LBB568_83
.LBB568_49:
	s_or_b64 exec, exec, s[10:11]
	s_and_saveexec_b64 s[8:9], s[0:1]
	s_cbranch_execnz .LBB568_88
.LBB568_50:
	s_or_b64 exec, exec, s[8:9]
	s_and_saveexec_b64 s[2:3], vcc
	s_cbranch_execnz .LBB568_93
	s_branch .LBB568_98
.LBB568_51:
                                        ; implicit-def: $vgpr1_vgpr2
                                        ; implicit-def: $vgpr9
	s_cbranch_execz .LBB568_214
; %bb.52:
	s_sub_i32 s12, s22, s30
	s_waitcnt lgkmcnt(1)
	v_mov_b32_e32 v7, 0
	v_mov_b32_e32 v1, 0
	v_cmp_gt_u32_e32 vcc, s12, v0
	v_mov_b32_e32 v12, 0
	v_mov_b32_e32 v8, 0
	v_mov_b32_e32 v2, 0
	v_mov_b32_e32 v9, 0
	s_and_saveexec_b64 s[0:1], vcc
	s_cbranch_execz .LBB568_54
; %bb.53:
	v_lshlrev_b32_e32 v1, 1, v0
	global_load_ushort v3, v1, s[16:17]
	s_waitcnt lgkmcnt(0)
	global_load_ushort v4, v1, s[28:29]
	v_mov_b32_e32 v2, s34
	v_add_co_u32_e32 v1, vcc, s31, v0
	v_addc_co_u32_e32 v2, vcc, 0, v2, vcc
	s_waitcnt vmcnt(0)
	v_cmp_ne_u16_e32 vcc, v3, v4
	v_cndmask_b32_e64 v9, 0, 1, vcc
.LBB568_54:
	s_or_b64 exec, exec, s[0:1]
	v_or_b32_e32 v3, 0x80, v0
	v_cmp_gt_u32_e64 s[2:3], s12, v3
	s_and_saveexec_b64 s[0:1], s[2:3]
	s_cbranch_execz .LBB568_56
; %bb.55:
	s_waitcnt lgkmcnt(0)
	v_lshlrev_b32_e32 v4, 1, v0
	global_load_ushort v5, v4, s[16:17] offset:256
	global_load_ushort v6, v4, s[28:29] offset:256
	v_mov_b32_e32 v4, s34
	v_add_co_u32_e32 v7, vcc, s31, v3
	v_addc_co_u32_e32 v8, vcc, 0, v4, vcc
	s_waitcnt vmcnt(0)
	v_cmp_ne_u16_e32 vcc, v5, v6
	v_cndmask_b32_e64 v12, 0, 1, vcc
.LBB568_56:
	s_or_b64 exec, exec, s[0:1]
	v_or_b32_e32 v13, 0x100, v0
	s_waitcnt lgkmcnt(0)
	v_mov_b32_e32 v3, 0
	v_mov_b32_e32 v5, 0
	v_cmp_gt_u32_e64 s[0:1], s12, v13
	v_mov_b32_e32 v10, 0
	v_mov_b32_e32 v4, 0
	;; [unrolled: 1-line block ×4, first 2 shown]
	s_and_saveexec_b64 s[8:9], s[0:1]
	s_cbranch_execz .LBB568_58
; %bb.57:
	v_lshlrev_b32_e32 v5, 1, v0
	global_load_ushort v11, v5, s[16:17] offset:512
	global_load_ushort v14, v5, s[28:29] offset:512
	v_mov_b32_e32 v6, s34
	v_add_co_u32_e32 v5, vcc, s31, v13
	v_addc_co_u32_e32 v6, vcc, 0, v6, vcc
	s_waitcnt vmcnt(0)
	v_cmp_ne_u16_e32 vcc, v11, v14
	v_cndmask_b32_e64 v11, 0, 1, vcc
.LBB568_58:
	s_or_b64 exec, exec, s[8:9]
	v_or_b32_e32 v13, 0x180, v0
	v_cmp_gt_u32_e32 vcc, s12, v13
	s_and_saveexec_b64 s[10:11], vcc
	s_cbranch_execnz .LBB568_151
; %bb.59:
	s_or_b64 exec, exec, s[10:11]
	s_and_saveexec_b64 s[10:11], s[2:3]
	s_cbranch_execnz .LBB568_152
.LBB568_60:
	s_or_b64 exec, exec, s[10:11]
	s_and_saveexec_b64 s[8:9], s[0:1]
	s_cbranch_execnz .LBB568_157
.LBB568_61:
	s_or_b64 exec, exec, s[8:9]
	s_and_saveexec_b64 s[2:3], vcc
	s_cbranch_execnz .LBB568_162
	s_branch .LBB568_167
.LBB568_62:
	v_lshlrev_b32_e32 v3, 1, v0
	global_load_ushort v18, v3, s[30:31] offset:1792
	global_load_ushort v26, v3, s[34:35] offset:1792
	v_mov_b32_e32 v4, s41
	v_add_co_u32_e64 v3, s[16:17], s40, v25
	v_addc_co_u32_e64 v4, s[16:17], 0, v4, s[16:17]
	s_waitcnt vmcnt(0)
	v_cmp_ne_u16_e64 s[16:17], v18, v26
	v_cndmask_b32_e64 v18, 0, 1, s[16:17]
	s_or_b64 exec, exec, s[36:37]
	s_and_saveexec_b64 s[30:31], s[14:15]
	s_cbranch_execz .LBB568_45
.LBB568_63:
	v_and_b32_e32 v17, 1, v17
	v_cmp_eq_u32_e64 s[14:15], 1, v17
	v_and_b32_e32 v17, 1, v24
	v_cmp_eq_u32_e64 s[16:17], 1, v17
	s_and_b64 s[16:17], s[14:15], s[16:17]
	s_xor_b64 s[16:17], s[16:17], -1
                                        ; implicit-def: $vgpr17
	s_and_saveexec_b64 s[34:35], s[16:17]
	s_xor_b64 s[16:17], exec, s[34:35]
; %bb.64:
	v_and_b32_e32 v17, 0xffff, v24
	v_cndmask_b32_e64 v17, v17, 1, s[14:15]
	v_cndmask_b32_e64 v2, v16, v2, s[14:15]
	v_cndmask_b32_e64 v1, v15, v1, s[14:15]
                                        ; implicit-def: $vgpr15_vgpr16
; %bb.65:
	s_andn2_saveexec_b64 s[16:17], s[16:17]
; %bb.66:
	v_cmp_lt_i64_e64 s[14:15], v[15:16], v[1:2]
	v_mov_b32_e32 v17, 1
	v_cndmask_b32_e64 v2, v2, v16, s[14:15]
	v_cndmask_b32_e64 v1, v1, v15, s[14:15]
; %bb.67:
	s_or_b64 exec, exec, s[16:17]
	s_or_b64 exec, exec, s[30:31]
	s_and_saveexec_b64 s[16:17], s[12:13]
	s_cbranch_execz .LBB568_46
.LBB568_68:
	v_and_b32_e32 v15, 1, v17
	v_cmp_eq_u32_e64 s[12:13], 1, v15
	v_and_b32_e32 v15, 1, v23
	v_cmp_eq_u32_e64 s[14:15], 1, v15
	s_and_b64 s[14:15], s[12:13], s[14:15]
	s_xor_b64 s[14:15], s[14:15], -1
                                        ; implicit-def: $vgpr17
	s_and_saveexec_b64 s[30:31], s[14:15]
	s_xor_b64 s[14:15], exec, s[30:31]
; %bb.69:
	v_and_b32_e32 v15, 0xffff, v23
	v_cndmask_b32_e64 v17, v15, 1, s[12:13]
	v_cndmask_b32_e64 v2, v14, v2, s[12:13]
	;; [unrolled: 1-line block ×3, first 2 shown]
                                        ; implicit-def: $vgpr13_vgpr14
; %bb.70:
	s_andn2_saveexec_b64 s[14:15], s[14:15]
; %bb.71:
	v_cmp_lt_i64_e64 s[12:13], v[13:14], v[1:2]
	v_mov_b32_e32 v17, 1
	v_cndmask_b32_e64 v2, v2, v14, s[12:13]
	v_cndmask_b32_e64 v1, v1, v13, s[12:13]
; %bb.72:
	s_or_b64 exec, exec, s[14:15]
	s_or_b64 exec, exec, s[16:17]
	s_and_saveexec_b64 s[14:15], s[10:11]
	s_cbranch_execz .LBB568_47
.LBB568_73:
	v_and_b32_e32 v13, 1, v17
	v_cmp_eq_u32_e64 s[10:11], 1, v13
	v_and_b32_e32 v13, 1, v22
	v_cmp_eq_u32_e64 s[12:13], 1, v13
	s_and_b64 s[12:13], s[10:11], s[12:13]
	s_xor_b64 s[12:13], s[12:13], -1
                                        ; implicit-def: $vgpr17
	s_and_saveexec_b64 s[16:17], s[12:13]
	s_xor_b64 s[12:13], exec, s[16:17]
; %bb.74:
	v_and_b32_e32 v13, 0xffff, v22
	v_cndmask_b32_e64 v17, v13, 1, s[10:11]
	v_cndmask_b32_e64 v2, v12, v2, s[10:11]
	;; [unrolled: 1-line block ×3, first 2 shown]
                                        ; implicit-def: $vgpr11_vgpr12
; %bb.75:
	s_andn2_saveexec_b64 s[12:13], s[12:13]
; %bb.76:
	v_cmp_lt_i64_e64 s[10:11], v[11:12], v[1:2]
	v_mov_b32_e32 v17, 1
	v_cndmask_b32_e64 v2, v2, v12, s[10:11]
	v_cndmask_b32_e64 v1, v1, v11, s[10:11]
; %bb.77:
	s_or_b64 exec, exec, s[12:13]
	s_or_b64 exec, exec, s[14:15]
	s_and_saveexec_b64 s[12:13], s[8:9]
	s_cbranch_execz .LBB568_48
.LBB568_78:
	v_and_b32_e32 v11, 1, v17
	v_cmp_eq_u32_e64 s[8:9], 1, v11
	v_and_b32_e32 v11, 1, v21
	v_cmp_eq_u32_e64 s[10:11], 1, v11
	s_and_b64 s[10:11], s[8:9], s[10:11]
	s_xor_b64 s[10:11], s[10:11], -1
                                        ; implicit-def: $vgpr17
	s_and_saveexec_b64 s[14:15], s[10:11]
	s_xor_b64 s[10:11], exec, s[14:15]
; %bb.79:
	v_and_b32_e32 v11, 0xffff, v21
	v_cndmask_b32_e64 v17, v11, 1, s[8:9]
	v_cndmask_b32_e64 v2, v10, v2, s[8:9]
	;; [unrolled: 1-line block ×3, first 2 shown]
                                        ; implicit-def: $vgpr9_vgpr10
; %bb.80:
	s_andn2_saveexec_b64 s[10:11], s[10:11]
; %bb.81:
	v_cmp_lt_i64_e64 s[8:9], v[9:10], v[1:2]
	v_mov_b32_e32 v17, 1
	v_cndmask_b32_e64 v2, v2, v10, s[8:9]
	v_cndmask_b32_e64 v1, v1, v9, s[8:9]
; %bb.82:
	s_or_b64 exec, exec, s[10:11]
	s_or_b64 exec, exec, s[12:13]
	s_and_saveexec_b64 s[10:11], s[2:3]
	s_cbranch_execz .LBB568_49
.LBB568_83:
	v_and_b32_e32 v9, 1, v17
	v_cmp_eq_u32_e64 s[2:3], 1, v9
	v_and_b32_e32 v9, 1, v20
	v_cmp_eq_u32_e64 s[8:9], 1, v9
	s_and_b64 s[8:9], s[2:3], s[8:9]
	s_xor_b64 s[8:9], s[8:9], -1
                                        ; implicit-def: $vgpr17
	s_and_saveexec_b64 s[12:13], s[8:9]
	s_xor_b64 s[8:9], exec, s[12:13]
; %bb.84:
	v_and_b32_e32 v9, 0xffff, v20
	v_cndmask_b32_e64 v17, v9, 1, s[2:3]
	v_cndmask_b32_e64 v2, v8, v2, s[2:3]
	;; [unrolled: 1-line block ×3, first 2 shown]
                                        ; implicit-def: $vgpr7_vgpr8
; %bb.85:
	s_andn2_saveexec_b64 s[8:9], s[8:9]
; %bb.86:
	v_cmp_lt_i64_e64 s[2:3], v[7:8], v[1:2]
	v_mov_b32_e32 v17, 1
	v_cndmask_b32_e64 v2, v2, v8, s[2:3]
	v_cndmask_b32_e64 v1, v1, v7, s[2:3]
; %bb.87:
	s_or_b64 exec, exec, s[8:9]
	s_or_b64 exec, exec, s[10:11]
	s_and_saveexec_b64 s[8:9], s[0:1]
	s_cbranch_execz .LBB568_50
.LBB568_88:
	v_and_b32_e32 v7, 1, v17
	v_cmp_eq_u32_e64 s[0:1], 1, v7
	v_and_b32_e32 v7, 1, v19
	v_cmp_eq_u32_e64 s[2:3], 1, v7
	s_and_b64 s[2:3], s[0:1], s[2:3]
	s_xor_b64 s[2:3], s[2:3], -1
                                        ; implicit-def: $vgpr17
	s_and_saveexec_b64 s[10:11], s[2:3]
	s_xor_b64 s[2:3], exec, s[10:11]
; %bb.89:
	v_and_b32_e32 v7, 0xffff, v19
	v_cndmask_b32_e64 v17, v7, 1, s[0:1]
	v_cndmask_b32_e64 v2, v6, v2, s[0:1]
	;; [unrolled: 1-line block ×3, first 2 shown]
                                        ; implicit-def: $vgpr5_vgpr6
; %bb.90:
	s_andn2_saveexec_b64 s[2:3], s[2:3]
; %bb.91:
	v_cmp_lt_i64_e64 s[0:1], v[5:6], v[1:2]
	v_mov_b32_e32 v17, 1
	v_cndmask_b32_e64 v2, v2, v6, s[0:1]
	v_cndmask_b32_e64 v1, v1, v5, s[0:1]
; %bb.92:
	s_or_b64 exec, exec, s[2:3]
	s_or_b64 exec, exec, s[8:9]
	s_and_saveexec_b64 s[2:3], vcc
	s_cbranch_execz .LBB568_98
.LBB568_93:
	v_and_b32_e32 v5, 1, v17
	v_cmp_eq_u32_e32 vcc, 1, v5
	v_and_b32_e32 v5, 1, v18
	v_cmp_eq_u32_e64 s[0:1], 1, v5
	s_and_b64 s[0:1], vcc, s[0:1]
	s_xor_b64 s[0:1], s[0:1], -1
                                        ; implicit-def: $vgpr17
	s_and_saveexec_b64 s[8:9], s[0:1]
	s_xor_b64 s[0:1], exec, s[8:9]
; %bb.94:
	v_and_b32_e32 v5, 0xffff, v18
	v_cndmask_b32_e64 v17, v5, 1, vcc
	v_cndmask_b32_e32 v2, v4, v2, vcc
	v_cndmask_b32_e32 v1, v3, v1, vcc
                                        ; implicit-def: $vgpr3_vgpr4
; %bb.95:
	s_andn2_saveexec_b64 s[0:1], s[0:1]
; %bb.96:
	v_cmp_lt_i64_e32 vcc, v[3:4], v[1:2]
	v_mov_b32_e32 v17, 1
	v_cndmask_b32_e32 v2, v2, v4, vcc
	v_cndmask_b32_e32 v1, v1, v3, vcc
; %bb.97:
	s_or_b64 exec, exec, s[0:1]
.LBB568_98:
	s_or_b64 exec, exec, s[2:3]
	v_mbcnt_lo_u32_b32 v3, -1, 0
	v_mbcnt_hi_u32_b32 v5, -1, v3
	v_and_b32_e32 v6, 63, v5
	v_cmp_ne_u32_e32 vcc, 63, v6
	v_addc_co_u32_e32 v3, vcc, 0, v5, vcc
	v_lshlrev_b32_e32 v4, 2, v3
	ds_bpermute_b32 v8, v4, v17
	ds_bpermute_b32 v3, v4, v1
	;; [unrolled: 1-line block ×3, first 2 shown]
	s_min_u32 s8, s39, 0x80
	v_and_b32_e32 v7, 64, v0
	v_sub_u32_e64 v7, s8, v7 clamp
	v_add_u32_e32 v9, 1, v6
	v_cmp_lt_u32_e32 vcc, v9, v7
	s_and_saveexec_b64 s[0:1], vcc
	s_xor_b64 s[0:1], exec, s[0:1]
	s_cbranch_execz .LBB568_104
; %bb.99:
	s_waitcnt lgkmcnt(2)
	v_and_b32_e32 v9, v8, v17
	v_cmp_ne_u32_e32 vcc, 0, v9
	s_and_saveexec_b64 s[2:3], vcc
	s_xor_b64 s[2:3], exec, s[2:3]
	s_cbranch_execz .LBB568_101
; %bb.100:
	s_waitcnt lgkmcnt(0)
	v_cmp_lt_i64_e32 vcc, v[3:4], v[1:2]
                                        ; implicit-def: $vgpr17
                                        ; implicit-def: $vgpr8
	v_cndmask_b32_e32 v2, v2, v4, vcc
	v_cndmask_b32_e32 v1, v1, v3, vcc
                                        ; implicit-def: $vgpr3_vgpr4
.LBB568_101:
	s_or_saveexec_b64 s[2:3], s[2:3]
	v_mov_b32_e32 v9, 1
	s_xor_b64 exec, exec, s[2:3]
	s_cbranch_execz .LBB568_103
; %bb.102:
	v_and_b32_e32 v9, 1, v17
	v_cmp_eq_u32_e32 vcc, 1, v9
	s_waitcnt lgkmcnt(1)
	v_cndmask_b32_e32 v1, v3, v1, vcc
	v_and_b32_e32 v3, 0xff, v8
	s_waitcnt lgkmcnt(0)
	v_cndmask_b32_e32 v2, v4, v2, vcc
	v_cndmask_b32_e64 v9, v3, 1, vcc
.LBB568_103:
	s_or_b64 exec, exec, s[2:3]
	v_mov_b32_e32 v17, v9
.LBB568_104:
	s_or_b64 exec, exec, s[0:1]
	v_cmp_gt_u32_e32 vcc, 62, v6
	s_waitcnt lgkmcnt(1)
	v_cndmask_b32_e64 v3, 0, 2, vcc
	s_waitcnt lgkmcnt(0)
	v_add_lshl_u32 v4, v3, v5, 2
	ds_bpermute_b32 v8, v4, v17
	ds_bpermute_b32 v3, v4, v1
	ds_bpermute_b32 v4, v4, v2
	v_add_u32_e32 v9, 2, v6
	v_cmp_lt_u32_e32 vcc, v9, v7
	s_and_saveexec_b64 s[0:1], vcc
	s_cbranch_execz .LBB568_110
; %bb.105:
	s_waitcnt lgkmcnt(2)
	v_and_b32_e32 v9, v17, v8
	v_and_b32_e32 v9, 1, v9
	v_cmp_eq_u32_e32 vcc, 1, v9
	s_and_saveexec_b64 s[2:3], vcc
	s_xor_b64 s[2:3], exec, s[2:3]
	s_cbranch_execz .LBB568_107
; %bb.106:
	s_waitcnt lgkmcnt(0)
	v_cmp_lt_i64_e32 vcc, v[3:4], v[1:2]
                                        ; implicit-def: $vgpr17
                                        ; implicit-def: $vgpr8
	v_cndmask_b32_e32 v2, v2, v4, vcc
	v_cndmask_b32_e32 v1, v1, v3, vcc
                                        ; implicit-def: $vgpr3_vgpr4
.LBB568_107:
	s_or_saveexec_b64 s[2:3], s[2:3]
	v_mov_b32_e32 v9, 1
	s_xor_b64 exec, exec, s[2:3]
	s_cbranch_execz .LBB568_109
; %bb.108:
	v_and_b32_e32 v9, 1, v17
	v_cmp_eq_u32_e32 vcc, 1, v9
	s_waitcnt lgkmcnt(1)
	v_cndmask_b32_e32 v1, v3, v1, vcc
	v_and_b32_e32 v3, 0xff, v8
	s_waitcnt lgkmcnt(0)
	v_cndmask_b32_e32 v2, v4, v2, vcc
	v_cndmask_b32_e64 v9, v3, 1, vcc
.LBB568_109:
	s_or_b64 exec, exec, s[2:3]
	v_mov_b32_e32 v17, v9
.LBB568_110:
	s_or_b64 exec, exec, s[0:1]
	v_cmp_gt_u32_e32 vcc, 60, v6
	s_waitcnt lgkmcnt(1)
	v_cndmask_b32_e64 v3, 0, 4, vcc
	s_waitcnt lgkmcnt(0)
	v_add_lshl_u32 v4, v3, v5, 2
	ds_bpermute_b32 v8, v4, v17
	ds_bpermute_b32 v3, v4, v1
	ds_bpermute_b32 v4, v4, v2
	v_add_u32_e32 v9, 4, v6
	v_cmp_lt_u32_e32 vcc, v9, v7
	s_and_saveexec_b64 s[0:1], vcc
	s_cbranch_execz .LBB568_116
; %bb.111:
	s_waitcnt lgkmcnt(2)
	v_and_b32_e32 v9, v17, v8
	v_and_b32_e32 v9, 1, v9
	v_cmp_eq_u32_e32 vcc, 1, v9
	s_and_saveexec_b64 s[2:3], vcc
	s_xor_b64 s[2:3], exec, s[2:3]
	s_cbranch_execz .LBB568_113
; %bb.112:
	s_waitcnt lgkmcnt(0)
	v_cmp_lt_i64_e32 vcc, v[3:4], v[1:2]
                                        ; implicit-def: $vgpr17
                                        ; implicit-def: $vgpr8
	v_cndmask_b32_e32 v2, v2, v4, vcc
	v_cndmask_b32_e32 v1, v1, v3, vcc
                                        ; implicit-def: $vgpr3_vgpr4
.LBB568_113:
	s_or_saveexec_b64 s[2:3], s[2:3]
	v_mov_b32_e32 v9, 1
	s_xor_b64 exec, exec, s[2:3]
	s_cbranch_execz .LBB568_115
; %bb.114:
	v_and_b32_e32 v9, 1, v17
	v_cmp_eq_u32_e32 vcc, 1, v9
	s_waitcnt lgkmcnt(1)
	v_cndmask_b32_e32 v1, v3, v1, vcc
	v_and_b32_e32 v3, 0xff, v8
	s_waitcnt lgkmcnt(0)
	v_cndmask_b32_e32 v2, v4, v2, vcc
	v_cndmask_b32_e64 v9, v3, 1, vcc
.LBB568_115:
	s_or_b64 exec, exec, s[2:3]
	v_mov_b32_e32 v17, v9
.LBB568_116:
	;; [unrolled: 47-line block ×4, first 2 shown]
	s_or_b64 exec, exec, s[0:1]
	s_waitcnt lgkmcnt(2)
	v_lshlrev_b32_e32 v8, 2, v5
	s_waitcnt lgkmcnt(0)
	v_or_b32_e32 v4, 0x80, v8
	ds_bpermute_b32 v9, v4, v17
	ds_bpermute_b32 v3, v4, v1
	ds_bpermute_b32 v4, v4, v2
	v_add_u32_e32 v6, 32, v6
	v_cmp_lt_u32_e32 vcc, v6, v7
	v_mov_b32_e32 v6, v17
	s_and_saveexec_b64 s[0:1], vcc
	s_cbranch_execz .LBB568_134
; %bb.129:
	s_waitcnt lgkmcnt(2)
	v_and_b32_e32 v6, v17, v9
	v_and_b32_e32 v6, 1, v6
	v_cmp_eq_u32_e32 vcc, 1, v6
	s_and_saveexec_b64 s[2:3], vcc
	s_xor_b64 s[2:3], exec, s[2:3]
	s_cbranch_execz .LBB568_131
; %bb.130:
	s_waitcnt lgkmcnt(0)
	v_cmp_lt_i64_e32 vcc, v[3:4], v[1:2]
                                        ; implicit-def: $vgpr17
                                        ; implicit-def: $vgpr9
	v_cndmask_b32_e32 v2, v2, v4, vcc
	v_cndmask_b32_e32 v1, v1, v3, vcc
                                        ; implicit-def: $vgpr3_vgpr4
.LBB568_131:
	s_or_saveexec_b64 s[2:3], s[2:3]
	v_mov_b32_e32 v6, 1
	s_xor_b64 exec, exec, s[2:3]
	s_cbranch_execz .LBB568_133
; %bb.132:
	v_and_b32_e32 v6, 1, v17
	v_cmp_eq_u32_e32 vcc, 1, v6
	v_cndmask_b32_e64 v6, v9, 1, vcc
	s_waitcnt lgkmcnt(0)
	v_cndmask_b32_e32 v2, v4, v2, vcc
	v_cndmask_b32_e32 v1, v3, v1, vcc
.LBB568_133:
	s_or_b64 exec, exec, s[2:3]
	v_and_b32_e32 v17, 0xff, v6
.LBB568_134:
	s_or_b64 exec, exec, s[0:1]
	v_cmp_eq_u32_e32 vcc, 0, v5
	s_and_saveexec_b64 s[0:1], vcc
	s_cbranch_execz .LBB568_136
; %bb.135:
	s_waitcnt lgkmcnt(1)
	v_lshrrev_b32_e32 v3, 2, v0
	v_and_b32_e32 v3, 16, v3
	ds_write_b8 v3, v6 offset:128
	ds_write_b64 v3, v[1:2] offset:136
.LBB568_136:
	s_or_b64 exec, exec, s[0:1]
	v_cmp_gt_u32_e32 vcc, 2, v0
	s_waitcnt lgkmcnt(0)
	s_barrier
	s_and_saveexec_b64 s[0:1], vcc
	s_cbranch_execz .LBB568_144
; %bb.137:
	v_lshlrev_b32_e32 v1, 4, v5
	ds_read_u8 v6, v1 offset:128
	ds_read_b64 v[1:2], v1 offset:136
	v_or_b32_e32 v4, 4, v8
	s_add_i32 s8, s8, 63
	v_and_b32_e32 v5, 1, v5
	s_waitcnt lgkmcnt(1)
	v_and_b32_e32 v17, 0xff, v6
	s_waitcnt lgkmcnt(0)
	ds_bpermute_b32 v3, v4, v1
	ds_bpermute_b32 v7, v4, v17
	;; [unrolled: 1-line block ×3, first 2 shown]
	s_lshr_b32 s2, s8, 6
	v_add_u32_e32 v5, 1, v5
	v_cmp_gt_u32_e32 vcc, s2, v5
	s_and_saveexec_b64 s[2:3], vcc
	s_cbranch_execz .LBB568_143
; %bb.138:
	s_waitcnt lgkmcnt(1)
	v_and_b32_e32 v5, v17, v7
	v_and_b32_e32 v5, 1, v5
	v_cmp_eq_u32_e32 vcc, 1, v5
	s_and_saveexec_b64 s[8:9], vcc
	s_xor_b64 s[8:9], exec, s[8:9]
	s_cbranch_execz .LBB568_140
; %bb.139:
	s_waitcnt lgkmcnt(0)
	v_cmp_lt_i64_e32 vcc, v[3:4], v[1:2]
                                        ; implicit-def: $vgpr6
                                        ; implicit-def: $vgpr7
	v_cndmask_b32_e32 v2, v2, v4, vcc
	v_cndmask_b32_e32 v1, v1, v3, vcc
                                        ; implicit-def: $vgpr3_vgpr4
.LBB568_140:
	s_or_saveexec_b64 s[8:9], s[8:9]
	v_mov_b32_e32 v17, 1
	s_xor_b64 exec, exec, s[8:9]
	s_cbranch_execz .LBB568_142
; %bb.141:
	v_and_b32_e32 v5, 1, v6
	v_cmp_eq_u32_e32 vcc, 1, v5
	s_waitcnt lgkmcnt(0)
	v_cndmask_b32_e32 v2, v4, v2, vcc
	v_cndmask_b32_e32 v1, v3, v1, vcc
	v_cndmask_b32_e64 v17, v7, 1, vcc
.LBB568_142:
	s_or_b64 exec, exec, s[8:9]
.LBB568_143:
	s_or_b64 exec, exec, s[2:3]
.LBB568_144:
	s_or_b64 exec, exec, s[0:1]
.LBB568_145:
	v_cmp_eq_u32_e32 vcc, 0, v0
	s_mov_b64 s[14:15], 0
                                        ; implicit-def: $vgpr3_vgpr4
                                        ; implicit-def: $vgpr5
	s_and_saveexec_b64 s[0:1], vcc
	s_xor_b64 s[8:9], exec, s[0:1]
	s_cbranch_execz .LBB568_149
; %bb.146:
	s_waitcnt lgkmcnt(0)
	v_mov_b32_e32 v3, s18
	s_cmp_eq_u64 s[22:23], 0
	v_mov_b32_e32 v4, s19
	v_mov_b32_e32 v5, s33
	s_cbranch_scc1 .LBB568_148
; %bb.147:
	v_and_b32_e32 v3, 1, v17
	v_cmp_gt_i64_e64 s[0:1], s[18:19], v[1:2]
	s_bitcmp1_b32 s33, 0
	v_cmp_eq_u32_e32 vcc, 1, v3
	s_cselect_b64 s[2:3], -1, 0
	v_mov_b32_e32 v3, s18
	s_and_b64 vcc, vcc, s[0:1]
	v_mov_b32_e32 v4, s19
	v_cndmask_b32_e32 v3, v3, v1, vcc
	v_cndmask_b32_e32 v4, v4, v2, vcc
	v_cndmask_b32_e64 v5, v17, 1, s[2:3]
	v_cndmask_b32_e64 v4, v2, v4, s[2:3]
	v_cndmask_b32_e64 v3, v1, v3, s[2:3]
.LBB568_148:
	s_mov_b64 s[14:15], exec
.LBB568_149:
	s_or_b64 exec, exec, s[8:9]
	v_mov_b32_e32 v1, s6
	v_mov_b32_e32 v2, s7
	s_and_b64 vcc, exec, s[28:29]
	s_cbranch_vccnz .LBB568_16
.LBB568_150:
	s_branch .LBB568_306
.LBB568_151:
	v_lshlrev_b32_e32 v3, 1, v0
	global_load_ushort v10, v3, s[16:17] offset:768
	global_load_ushort v14, v3, s[28:29] offset:768
	v_mov_b32_e32 v4, s34
	v_add_co_u32_e64 v3, s[8:9], s31, v13
	v_addc_co_u32_e64 v4, s[8:9], 0, v4, s[8:9]
	s_waitcnt vmcnt(0)
	v_cmp_ne_u16_e64 s[8:9], v10, v14
	v_cndmask_b32_e64 v10, 0, 1, s[8:9]
	s_or_b64 exec, exec, s[10:11]
	s_and_saveexec_b64 s[10:11], s[2:3]
	s_cbranch_execz .LBB568_60
.LBB568_152:
	v_and_b32_e32 v9, 1, v9
	v_cmp_eq_u32_e64 s[2:3], 1, v9
	v_and_b32_e32 v9, 1, v12
	v_cmp_eq_u32_e64 s[8:9], 1, v9
	s_and_b64 s[8:9], s[2:3], s[8:9]
	s_xor_b64 s[8:9], s[8:9], -1
                                        ; implicit-def: $vgpr9
	s_and_saveexec_b64 s[16:17], s[8:9]
	s_xor_b64 s[8:9], exec, s[16:17]
; %bb.153:
	v_and_b32_e32 v9, 0xffff, v12
	v_cndmask_b32_e64 v9, v9, 1, s[2:3]
	v_cndmask_b32_e64 v2, v8, v2, s[2:3]
	;; [unrolled: 1-line block ×3, first 2 shown]
                                        ; implicit-def: $vgpr7_vgpr8
; %bb.154:
	s_andn2_saveexec_b64 s[8:9], s[8:9]
; %bb.155:
	v_cmp_lt_i64_e64 s[2:3], v[7:8], v[1:2]
	v_mov_b32_e32 v9, 1
	v_cndmask_b32_e64 v2, v2, v8, s[2:3]
	v_cndmask_b32_e64 v1, v1, v7, s[2:3]
; %bb.156:
	s_or_b64 exec, exec, s[8:9]
	s_or_b64 exec, exec, s[10:11]
	s_and_saveexec_b64 s[8:9], s[0:1]
	s_cbranch_execz .LBB568_61
.LBB568_157:
	v_and_b32_e32 v7, 1, v9
	v_cmp_eq_u32_e64 s[0:1], 1, v7
	v_and_b32_e32 v7, 1, v11
	v_cmp_eq_u32_e64 s[2:3], 1, v7
	s_and_b64 s[2:3], s[0:1], s[2:3]
	s_xor_b64 s[2:3], s[2:3], -1
                                        ; implicit-def: $vgpr9
	s_and_saveexec_b64 s[10:11], s[2:3]
	s_xor_b64 s[2:3], exec, s[10:11]
; %bb.158:
	v_and_b32_e32 v7, 0xffff, v11
	v_cndmask_b32_e64 v9, v7, 1, s[0:1]
	v_cndmask_b32_e64 v2, v6, v2, s[0:1]
	;; [unrolled: 1-line block ×3, first 2 shown]
                                        ; implicit-def: $vgpr5_vgpr6
; %bb.159:
	s_andn2_saveexec_b64 s[2:3], s[2:3]
; %bb.160:
	v_cmp_lt_i64_e64 s[0:1], v[5:6], v[1:2]
	v_mov_b32_e32 v9, 1
	v_cndmask_b32_e64 v2, v2, v6, s[0:1]
	v_cndmask_b32_e64 v1, v1, v5, s[0:1]
; %bb.161:
	s_or_b64 exec, exec, s[2:3]
	s_or_b64 exec, exec, s[8:9]
	s_and_saveexec_b64 s[2:3], vcc
	s_cbranch_execz .LBB568_167
.LBB568_162:
	v_and_b32_e32 v5, 1, v9
	v_cmp_eq_u32_e32 vcc, 1, v5
	v_and_b32_e32 v5, 1, v10
	v_cmp_eq_u32_e64 s[0:1], 1, v5
	s_and_b64 s[0:1], vcc, s[0:1]
	s_xor_b64 s[0:1], s[0:1], -1
                                        ; implicit-def: $vgpr9
	s_and_saveexec_b64 s[8:9], s[0:1]
	s_xor_b64 s[0:1], exec, s[8:9]
; %bb.163:
	v_and_b32_e32 v5, 0xffff, v10
	v_cndmask_b32_e64 v9, v5, 1, vcc
	v_cndmask_b32_e32 v2, v4, v2, vcc
	v_cndmask_b32_e32 v1, v3, v1, vcc
                                        ; implicit-def: $vgpr3_vgpr4
; %bb.164:
	s_andn2_saveexec_b64 s[0:1], s[0:1]
; %bb.165:
	v_cmp_lt_i64_e32 vcc, v[3:4], v[1:2]
	v_mov_b32_e32 v9, 1
	v_cndmask_b32_e32 v2, v2, v4, vcc
	v_cndmask_b32_e32 v1, v1, v3, vcc
; %bb.166:
	s_or_b64 exec, exec, s[0:1]
.LBB568_167:
	s_or_b64 exec, exec, s[2:3]
	v_mbcnt_lo_u32_b32 v3, -1, 0
	v_mbcnt_hi_u32_b32 v5, -1, v3
	v_and_b32_e32 v6, 63, v5
	v_cmp_ne_u32_e32 vcc, 63, v6
	v_addc_co_u32_e32 v3, vcc, 0, v5, vcc
	v_lshlrev_b32_e32 v4, 2, v3
	ds_bpermute_b32 v8, v4, v9
	ds_bpermute_b32 v3, v4, v1
	;; [unrolled: 1-line block ×3, first 2 shown]
	s_min_u32 s8, s12, 0x80
	v_and_b32_e32 v7, 64, v0
	v_sub_u32_e64 v7, s8, v7 clamp
	v_add_u32_e32 v10, 1, v6
	v_cmp_lt_u32_e32 vcc, v10, v7
	s_and_saveexec_b64 s[0:1], vcc
	s_xor_b64 s[0:1], exec, s[0:1]
	s_cbranch_execz .LBB568_173
; %bb.168:
	s_waitcnt lgkmcnt(2)
	v_and_b32_e32 v10, v8, v9
	v_cmp_ne_u32_e32 vcc, 0, v10
	s_and_saveexec_b64 s[2:3], vcc
	s_xor_b64 s[2:3], exec, s[2:3]
	s_cbranch_execz .LBB568_170
; %bb.169:
	s_waitcnt lgkmcnt(0)
	v_cmp_lt_i64_e32 vcc, v[3:4], v[1:2]
                                        ; implicit-def: $vgpr9
                                        ; implicit-def: $vgpr8
	v_cndmask_b32_e32 v2, v2, v4, vcc
	v_cndmask_b32_e32 v1, v1, v3, vcc
                                        ; implicit-def: $vgpr3_vgpr4
.LBB568_170:
	s_or_saveexec_b64 s[2:3], s[2:3]
	v_mov_b32_e32 v10, 1
	s_xor_b64 exec, exec, s[2:3]
	s_cbranch_execz .LBB568_172
; %bb.171:
	v_and_b32_e32 v9, 1, v9
	v_cmp_eq_u32_e32 vcc, 1, v9
	s_waitcnt lgkmcnt(1)
	v_cndmask_b32_e32 v1, v3, v1, vcc
	v_and_b32_e32 v3, 0xff, v8
	s_waitcnt lgkmcnt(0)
	v_cndmask_b32_e32 v2, v4, v2, vcc
	v_cndmask_b32_e64 v10, v3, 1, vcc
.LBB568_172:
	s_or_b64 exec, exec, s[2:3]
	v_mov_b32_e32 v9, v10
.LBB568_173:
	s_or_b64 exec, exec, s[0:1]
	v_cmp_gt_u32_e32 vcc, 62, v6
	s_waitcnt lgkmcnt(1)
	v_cndmask_b32_e64 v3, 0, 2, vcc
	s_waitcnt lgkmcnt(0)
	v_add_lshl_u32 v4, v3, v5, 2
	ds_bpermute_b32 v8, v4, v9
	ds_bpermute_b32 v3, v4, v1
	ds_bpermute_b32 v4, v4, v2
	v_add_u32_e32 v10, 2, v6
	v_cmp_lt_u32_e32 vcc, v10, v7
	s_and_saveexec_b64 s[0:1], vcc
	s_cbranch_execz .LBB568_179
; %bb.174:
	s_waitcnt lgkmcnt(2)
	v_and_b32_e32 v10, v9, v8
	v_and_b32_e32 v10, 1, v10
	v_cmp_eq_u32_e32 vcc, 1, v10
	s_and_saveexec_b64 s[2:3], vcc
	s_xor_b64 s[2:3], exec, s[2:3]
	s_cbranch_execz .LBB568_176
; %bb.175:
	s_waitcnt lgkmcnt(0)
	v_cmp_lt_i64_e32 vcc, v[3:4], v[1:2]
                                        ; implicit-def: $vgpr9
                                        ; implicit-def: $vgpr8
	v_cndmask_b32_e32 v2, v2, v4, vcc
	v_cndmask_b32_e32 v1, v1, v3, vcc
                                        ; implicit-def: $vgpr3_vgpr4
.LBB568_176:
	s_or_saveexec_b64 s[2:3], s[2:3]
	v_mov_b32_e32 v10, 1
	s_xor_b64 exec, exec, s[2:3]
	s_cbranch_execz .LBB568_178
; %bb.177:
	v_and_b32_e32 v9, 1, v9
	v_cmp_eq_u32_e32 vcc, 1, v9
	s_waitcnt lgkmcnt(1)
	v_cndmask_b32_e32 v1, v3, v1, vcc
	v_and_b32_e32 v3, 0xff, v8
	s_waitcnt lgkmcnt(0)
	v_cndmask_b32_e32 v2, v4, v2, vcc
	v_cndmask_b32_e64 v10, v3, 1, vcc
.LBB568_178:
	s_or_b64 exec, exec, s[2:3]
	v_mov_b32_e32 v9, v10
.LBB568_179:
	s_or_b64 exec, exec, s[0:1]
	v_cmp_gt_u32_e32 vcc, 60, v6
	s_waitcnt lgkmcnt(1)
	v_cndmask_b32_e64 v3, 0, 4, vcc
	s_waitcnt lgkmcnt(0)
	v_add_lshl_u32 v4, v3, v5, 2
	ds_bpermute_b32 v8, v4, v9
	ds_bpermute_b32 v3, v4, v1
	ds_bpermute_b32 v4, v4, v2
	v_add_u32_e32 v10, 4, v6
	v_cmp_lt_u32_e32 vcc, v10, v7
	s_and_saveexec_b64 s[0:1], vcc
	s_cbranch_execz .LBB568_185
; %bb.180:
	s_waitcnt lgkmcnt(2)
	v_and_b32_e32 v10, v9, v8
	v_and_b32_e32 v10, 1, v10
	v_cmp_eq_u32_e32 vcc, 1, v10
	s_and_saveexec_b64 s[2:3], vcc
	s_xor_b64 s[2:3], exec, s[2:3]
	s_cbranch_execz .LBB568_182
; %bb.181:
	s_waitcnt lgkmcnt(0)
	v_cmp_lt_i64_e32 vcc, v[3:4], v[1:2]
                                        ; implicit-def: $vgpr9
                                        ; implicit-def: $vgpr8
	v_cndmask_b32_e32 v2, v2, v4, vcc
	v_cndmask_b32_e32 v1, v1, v3, vcc
                                        ; implicit-def: $vgpr3_vgpr4
.LBB568_182:
	s_or_saveexec_b64 s[2:3], s[2:3]
	v_mov_b32_e32 v10, 1
	s_xor_b64 exec, exec, s[2:3]
	s_cbranch_execz .LBB568_184
; %bb.183:
	v_and_b32_e32 v9, 1, v9
	v_cmp_eq_u32_e32 vcc, 1, v9
	s_waitcnt lgkmcnt(1)
	v_cndmask_b32_e32 v1, v3, v1, vcc
	v_and_b32_e32 v3, 0xff, v8
	s_waitcnt lgkmcnt(0)
	v_cndmask_b32_e32 v2, v4, v2, vcc
	v_cndmask_b32_e64 v10, v3, 1, vcc
.LBB568_184:
	s_or_b64 exec, exec, s[2:3]
	v_mov_b32_e32 v9, v10
.LBB568_185:
	;; [unrolled: 47-line block ×4, first 2 shown]
	s_or_b64 exec, exec, s[0:1]
	s_waitcnt lgkmcnt(2)
	v_lshlrev_b32_e32 v8, 2, v5
	s_waitcnt lgkmcnt(0)
	v_or_b32_e32 v4, 0x80, v8
	ds_bpermute_b32 v10, v4, v9
	ds_bpermute_b32 v3, v4, v1
	ds_bpermute_b32 v4, v4, v2
	v_add_u32_e32 v6, 32, v6
	v_cmp_lt_u32_e32 vcc, v6, v7
	v_mov_b32_e32 v6, v9
	s_and_saveexec_b64 s[0:1], vcc
	s_cbranch_execz .LBB568_203
; %bb.198:
	s_waitcnt lgkmcnt(2)
	v_and_b32_e32 v6, v9, v10
	v_and_b32_e32 v6, 1, v6
	v_cmp_eq_u32_e32 vcc, 1, v6
	s_and_saveexec_b64 s[2:3], vcc
	s_xor_b64 s[2:3], exec, s[2:3]
	s_cbranch_execz .LBB568_200
; %bb.199:
	s_waitcnt lgkmcnt(0)
	v_cmp_lt_i64_e32 vcc, v[3:4], v[1:2]
                                        ; implicit-def: $vgpr9
                                        ; implicit-def: $vgpr10
	v_cndmask_b32_e32 v2, v2, v4, vcc
	v_cndmask_b32_e32 v1, v1, v3, vcc
                                        ; implicit-def: $vgpr3_vgpr4
.LBB568_200:
	s_or_saveexec_b64 s[2:3], s[2:3]
	v_mov_b32_e32 v6, 1
	s_xor_b64 exec, exec, s[2:3]
	s_cbranch_execz .LBB568_202
; %bb.201:
	v_and_b32_e32 v6, 1, v9
	v_cmp_eq_u32_e32 vcc, 1, v6
	v_cndmask_b32_e64 v6, v10, 1, vcc
	s_waitcnt lgkmcnt(0)
	v_cndmask_b32_e32 v2, v4, v2, vcc
	v_cndmask_b32_e32 v1, v3, v1, vcc
.LBB568_202:
	s_or_b64 exec, exec, s[2:3]
	v_and_b32_e32 v9, 0xff, v6
.LBB568_203:
	s_or_b64 exec, exec, s[0:1]
	v_cmp_eq_u32_e32 vcc, 0, v5
	s_and_saveexec_b64 s[0:1], vcc
	s_cbranch_execz .LBB568_205
; %bb.204:
	s_waitcnt lgkmcnt(1)
	v_lshrrev_b32_e32 v3, 2, v0
	v_and_b32_e32 v3, 16, v3
	ds_write_b8 v3, v6 offset:128
	ds_write_b64 v3, v[1:2] offset:136
.LBB568_205:
	s_or_b64 exec, exec, s[0:1]
	v_cmp_gt_u32_e32 vcc, 2, v0
	s_waitcnt lgkmcnt(0)
	s_barrier
	s_and_saveexec_b64 s[0:1], vcc
	s_cbranch_execz .LBB568_213
; %bb.206:
	v_lshlrev_b32_e32 v1, 4, v5
	ds_read_u8 v6, v1 offset:128
	ds_read_b64 v[1:2], v1 offset:136
	v_or_b32_e32 v4, 4, v8
	s_add_i32 s8, s8, 63
	v_and_b32_e32 v5, 1, v5
	s_waitcnt lgkmcnt(1)
	v_and_b32_e32 v9, 0xff, v6
	s_waitcnt lgkmcnt(0)
	ds_bpermute_b32 v3, v4, v1
	ds_bpermute_b32 v7, v4, v9
	;; [unrolled: 1-line block ×3, first 2 shown]
	s_lshr_b32 s2, s8, 6
	v_add_u32_e32 v5, 1, v5
	v_cmp_gt_u32_e32 vcc, s2, v5
	s_and_saveexec_b64 s[2:3], vcc
	s_cbranch_execz .LBB568_212
; %bb.207:
	s_waitcnt lgkmcnt(1)
	v_and_b32_e32 v5, v9, v7
	v_and_b32_e32 v5, 1, v5
	v_cmp_eq_u32_e32 vcc, 1, v5
	s_and_saveexec_b64 s[8:9], vcc
	s_xor_b64 s[8:9], exec, s[8:9]
	s_cbranch_execz .LBB568_209
; %bb.208:
	s_waitcnt lgkmcnt(0)
	v_cmp_lt_i64_e32 vcc, v[3:4], v[1:2]
                                        ; implicit-def: $vgpr6
                                        ; implicit-def: $vgpr7
	v_cndmask_b32_e32 v2, v2, v4, vcc
	v_cndmask_b32_e32 v1, v1, v3, vcc
                                        ; implicit-def: $vgpr3_vgpr4
.LBB568_209:
	s_or_saveexec_b64 s[8:9], s[8:9]
	v_mov_b32_e32 v9, 1
	s_xor_b64 exec, exec, s[8:9]
	s_cbranch_execz .LBB568_211
; %bb.210:
	v_and_b32_e32 v5, 1, v6
	v_cmp_eq_u32_e32 vcc, 1, v5
	s_waitcnt lgkmcnt(0)
	v_cndmask_b32_e32 v2, v4, v2, vcc
	v_cndmask_b32_e32 v1, v3, v1, vcc
	v_cndmask_b32_e64 v9, v7, 1, vcc
.LBB568_211:
	s_or_b64 exec, exec, s[8:9]
.LBB568_212:
	s_or_b64 exec, exec, s[2:3]
.LBB568_213:
	s_or_b64 exec, exec, s[0:1]
.LBB568_214:
	v_cmp_eq_u32_e32 vcc, 0, v0
                                        ; implicit-def: $vgpr3_vgpr4
                                        ; implicit-def: $vgpr5
	s_and_saveexec_b64 s[0:1], vcc
	s_xor_b64 s[8:9], exec, s[0:1]
	s_cbranch_execz .LBB568_218
; %bb.215:
	s_waitcnt lgkmcnt(0)
	v_mov_b32_e32 v3, s18
	s_cmp_eq_u64 s[22:23], 0
	v_mov_b32_e32 v4, s19
	v_mov_b32_e32 v5, s33
	s_cbranch_scc1 .LBB568_217
; %bb.216:
	v_and_b32_e32 v3, 1, v9
	v_cmp_gt_i64_e64 s[0:1], s[18:19], v[1:2]
	s_bitcmp1_b32 s33, 0
	v_cmp_eq_u32_e32 vcc, 1, v3
	s_cselect_b64 s[2:3], -1, 0
	v_mov_b32_e32 v3, s18
	s_and_b64 vcc, vcc, s[0:1]
	v_mov_b32_e32 v4, s19
	v_cndmask_b32_e32 v3, v3, v1, vcc
	v_cndmask_b32_e32 v4, v4, v2, vcc
	v_cndmask_b32_e64 v5, v9, 1, s[2:3]
	v_cndmask_b32_e64 v4, v2, v4, s[2:3]
	;; [unrolled: 1-line block ×3, first 2 shown]
.LBB568_217:
	s_or_b64 s[14:15], s[14:15], exec
.LBB568_218:
	s_or_b64 exec, exec, s[8:9]
	v_mov_b32_e32 v1, s6
	v_mov_b32_e32 v2, s7
	s_branch .LBB568_306
.LBB568_219:
	s_cmp_gt_i32 s38, 1
	s_cbranch_scc0 .LBB568_231
; %bb.220:
	s_cmp_eq_u32 s38, 2
	s_cbranch_scc0 .LBB568_232
; %bb.221:
	s_mov_b32 s7, 0
	s_lshl_b32 s30, s6, 8
	s_mov_b32 s31, s7
	s_lshr_b64 s[0:1], s[22:23], 8
	s_lshl_b64 s[2:3], s[30:31], 1
	s_add_u32 s16, s24, s2
	s_addc_u32 s17, s25, s3
	s_add_u32 s28, s26, s2
	s_addc_u32 s29, s27, s3
	;; [unrolled: 2-line block ×3, first 2 shown]
	s_cmp_lg_u64 s[0:1], s[6:7]
	s_cbranch_scc0 .LBB568_233
; %bb.222:
	v_lshlrev_b32_e32 v1, 1, v0
	global_load_ushort v2, v1, s[28:29]
	s_waitcnt lgkmcnt(0)
	global_load_ushort v4, v1, s[28:29] offset:256
	global_load_ushort v6, v1, s[16:17] offset:256
	global_load_ushort v7, v1, s[16:17]
	v_mov_b32_e32 v1, s34
	v_add_co_u32_e32 v8, vcc, s31, v0
	v_addc_co_u32_e32 v1, vcc, 0, v1, vcc
	v_add_co_u32_e32 v9, vcc, 0x80, v8
	v_addc_co_u32_e32 v10, vcc, 0, v1, vcc
	v_mbcnt_lo_u32_b32 v3, -1, 0
	v_mbcnt_hi_u32_b32 v3, -1, v3
	v_lshlrev_b32_e32 v5, 2, v3
	v_or_b32_e32 v11, 0xfc, v5
	s_waitcnt vmcnt(1)
	v_cmp_ne_u16_e32 vcc, v6, v4
	s_waitcnt vmcnt(0)
	v_cmp_ne_u16_e64 s[0:1], v7, v2
	v_cndmask_b32_e64 v2, v10, v1, s[0:1]
	v_cndmask_b32_e64 v1, v9, v8, s[0:1]
	s_or_b64 s[0:1], s[0:1], vcc
	v_mov_b32_dpp v7, v2 quad_perm:[1,0,3,2] row_mask:0xf bank_mask:0xf bound_ctrl:1
	v_mov_b32_dpp v6, v1 quad_perm:[1,0,3,2] row_mask:0xf bank_mask:0xf bound_ctrl:1
	v_cndmask_b32_e64 v4, 0, 1, s[0:1]
	v_cmp_lt_i64_e32 vcc, v[1:2], v[6:7]
	s_and_b64 vcc, s[0:1], vcc
	v_mov_b32_dpp v8, v4 quad_perm:[1,0,3,2] row_mask:0xf bank_mask:0xf bound_ctrl:1
	v_and_b32_e32 v8, 1, v8
	v_cndmask_b32_e32 v6, v6, v1, vcc
	v_cndmask_b32_e32 v7, v7, v2, vcc
	v_cmp_eq_u32_e32 vcc, 1, v8
	v_cndmask_b32_e32 v2, v2, v7, vcc
	v_cndmask_b32_e32 v1, v1, v6, vcc
	v_cndmask_b32_e64 v4, v4, 1, vcc
	v_mov_b32_dpp v7, v2 quad_perm:[2,3,0,1] row_mask:0xf bank_mask:0xf bound_ctrl:1
	v_mov_b32_dpp v6, v1 quad_perm:[2,3,0,1] row_mask:0xf bank_mask:0xf bound_ctrl:1
	v_and_b32_e32 v9, 1, v4
	v_cmp_lt_i64_e64 s[0:1], v[1:2], v[6:7]
	v_mov_b32_dpp v8, v4 quad_perm:[2,3,0,1] row_mask:0xf bank_mask:0xf bound_ctrl:1
	v_cmp_eq_u32_e32 vcc, 1, v9
	v_and_b32_e32 v8, 1, v8
	s_and_b64 vcc, vcc, s[0:1]
	v_cmp_eq_u32_e64 s[2:3], 1, v8
	v_cndmask_b32_e32 v6, v6, v1, vcc
	v_cndmask_b32_e32 v7, v7, v2, vcc
	v_cndmask_b32_e64 v1, v1, v6, s[2:3]
	v_cndmask_b32_e64 v2, v2, v7, s[2:3]
	;; [unrolled: 1-line block ×3, first 2 shown]
	v_mov_b32_dpp v6, v1 row_ror:4 row_mask:0xf bank_mask:0xf bound_ctrl:1
	v_mov_b32_dpp v7, v2 row_ror:4 row_mask:0xf bank_mask:0xf bound_ctrl:1
	v_and_b32_e32 v9, 1, v4
	v_cmp_lt_i64_e64 s[2:3], v[1:2], v[6:7]
	v_mov_b32_dpp v8, v4 row_ror:4 row_mask:0xf bank_mask:0xf bound_ctrl:1
	v_cmp_eq_u32_e32 vcc, 1, v9
	v_and_b32_e32 v8, 1, v8
	s_and_b64 vcc, vcc, s[2:3]
	v_cmp_eq_u32_e64 s[0:1], 1, v8
	v_cndmask_b32_e32 v6, v6, v1, vcc
	v_cndmask_b32_e32 v7, v7, v2, vcc
	v_cndmask_b32_e64 v1, v1, v6, s[0:1]
	v_cndmask_b32_e64 v2, v2, v7, s[0:1]
	;; [unrolled: 1-line block ×3, first 2 shown]
	v_mov_b32_dpp v6, v1 row_ror:8 row_mask:0xf bank_mask:0xf bound_ctrl:1
	v_mov_b32_dpp v7, v2 row_ror:8 row_mask:0xf bank_mask:0xf bound_ctrl:1
	v_and_b32_e32 v9, 1, v4
	v_cmp_lt_i64_e64 s[2:3], v[1:2], v[6:7]
	v_mov_b32_dpp v8, v4 row_ror:8 row_mask:0xf bank_mask:0xf bound_ctrl:1
	v_cmp_eq_u32_e64 s[8:9], 1, v9
	v_and_b32_e32 v8, 1, v8
	s_and_b64 s[2:3], s[8:9], s[2:3]
	v_cmp_eq_u32_e64 s[10:11], 1, v8
	v_cndmask_b32_e64 v6, v6, v1, s[2:3]
	v_cndmask_b32_e64 v7, v7, v2, s[2:3]
	;; [unrolled: 1-line block ×5, first 2 shown]
	v_mov_b32_dpp v8, v4 row_bcast:15 row_mask:0xf bank_mask:0xf bound_ctrl:1
	v_mov_b32_dpp v6, v1 row_bcast:15 row_mask:0xf bank_mask:0xf bound_ctrl:1
	;; [unrolled: 1-line block ×3, first 2 shown]
	v_and_b32_e32 v9, 1, v4
	v_and_b32_e32 v8, 1, v8
	v_cmp_lt_i64_e64 s[2:3], v[1:2], v[6:7]
	v_cmp_eq_u32_e32 vcc, 1, v9
	v_cmp_eq_u32_e64 s[0:1], 1, v8
	v_cndmask_b32_e64 v4, v4, 1, s[0:1]
	s_and_b64 vcc, vcc, s[2:3]
	v_cndmask_b32_e32 v6, v6, v1, vcc
	v_mov_b32_dpp v8, v4 row_bcast:31 row_mask:0xf bank_mask:0xf bound_ctrl:1
	v_cndmask_b32_e32 v7, v7, v2, vcc
	v_and_b32_e32 v9, 1, v4
	v_and_b32_e32 v8, 1, v8
	v_cndmask_b32_e64 v1, v1, v6, s[0:1]
	v_cndmask_b32_e64 v2, v2, v7, s[0:1]
	v_cmp_eq_u32_e64 s[12:13], 1, v9
	v_cmp_eq_u32_e64 s[8:9], 1, v8
	v_mov_b32_dpp v8, v1 row_bcast:31 row_mask:0xf bank_mask:0xf bound_ctrl:1
	v_mov_b32_dpp v9, v2 row_bcast:31 row_mask:0xf bank_mask:0xf bound_ctrl:1
	v_cmp_lt_i64_e32 vcc, v[1:2], v[8:9]
	v_cndmask_b32_e64 v4, v4, 1, s[8:9]
	s_and_b64 vcc, s[12:13], vcc
	ds_bpermute_b32 v7, v11, v4
	v_cndmask_b32_e32 v4, v8, v1, vcc
	v_cndmask_b32_e32 v6, v9, v2, vcc
	v_cndmask_b32_e64 v1, v1, v4, s[8:9]
	v_cndmask_b32_e64 v2, v2, v6, s[8:9]
	ds_bpermute_b32 v1, v11, v1
	ds_bpermute_b32 v2, v11, v2
	v_cmp_eq_u32_e32 vcc, 0, v3
	s_and_saveexec_b64 s[0:1], vcc
	s_cbranch_execz .LBB568_224
; %bb.223:
	v_lshrrev_b32_e32 v4, 2, v0
	v_and_b32_e32 v4, 16, v4
	s_waitcnt lgkmcnt(2)
	ds_write_b8 v4, v7 offset:32
	s_waitcnt lgkmcnt(1)
	ds_write_b64 v4, v[1:2] offset:40
.LBB568_224:
	s_or_b64 exec, exec, s[0:1]
	v_cmp_gt_u32_e32 vcc, 64, v0
	s_waitcnt lgkmcnt(0)
	s_barrier
	s_and_saveexec_b64 s[0:1], vcc
	s_cbranch_execz .LBB568_230
; %bb.225:
	v_and_b32_e32 v1, 1, v3
	v_lshlrev_b32_e32 v1, 4, v1
	ds_read_u8 v8, v1 offset:32
	ds_read_b64 v[3:4], v1 offset:40
	v_or_b32_e32 v2, 4, v5
	s_waitcnt lgkmcnt(1)
	v_and_b32_e32 v1, 0xff, v8
	ds_bpermute_b32 v9, v2, v1
	s_waitcnt lgkmcnt(1)
	ds_bpermute_b32 v5, v2, v3
	ds_bpermute_b32 v6, v2, v4
	s_waitcnt lgkmcnt(2)
	v_and_b32_e32 v1, v8, v9
	v_and_b32_e32 v1, 1, v1
	v_cmp_eq_u32_e32 vcc, 1, v1
                                        ; implicit-def: $vgpr1_vgpr2
	s_and_saveexec_b64 s[2:3], vcc
	s_xor_b64 s[2:3], exec, s[2:3]
	s_cbranch_execz .LBB568_227
; %bb.226:
	s_waitcnt lgkmcnt(0)
	v_cmp_lt_i64_e32 vcc, v[5:6], v[3:4]
                                        ; implicit-def: $vgpr8
                                        ; implicit-def: $vgpr9
	v_cndmask_b32_e32 v2, v4, v6, vcc
	v_cndmask_b32_e32 v1, v3, v5, vcc
                                        ; implicit-def: $vgpr5_vgpr6
                                        ; implicit-def: $vgpr3_vgpr4
.LBB568_227:
	s_or_saveexec_b64 s[2:3], s[2:3]
	v_mov_b32_e32 v7, 1
	s_xor_b64 exec, exec, s[2:3]
	s_cbranch_execz .LBB568_229
; %bb.228:
	v_and_b32_e32 v1, 1, v8
	v_cmp_eq_u32_e32 vcc, 1, v1
	s_waitcnt lgkmcnt(0)
	v_cndmask_b32_e32 v2, v6, v4, vcc
	v_cndmask_b32_e32 v1, v5, v3, vcc
	v_cndmask_b32_e64 v7, v9, 1, vcc
.LBB568_229:
	s_or_b64 exec, exec, s[2:3]
.LBB568_230:
	s_or_b64 exec, exec, s[0:1]
	s_branch .LBB568_285
.LBB568_231:
                                        ; implicit-def: $vgpr3_vgpr4
                                        ; implicit-def: $vgpr5
                                        ; implicit-def: $vgpr1_vgpr2
	s_cbranch_execnz .LBB568_290
	s_branch .LBB568_306
.LBB568_232:
                                        ; implicit-def: $vgpr3_vgpr4
                                        ; implicit-def: $vgpr5
                                        ; implicit-def: $vgpr1_vgpr2
	s_branch .LBB568_306
.LBB568_233:
                                        ; implicit-def: $vgpr1_vgpr2
                                        ; implicit-def: $vgpr7
	s_cbranch_execz .LBB568_285
; %bb.234:
	s_sub_i32 s10, s22, s30
	s_waitcnt lgkmcnt(0)
	v_mov_b32_e32 v3, 0
	v_mov_b32_e32 v1, 0
	v_cmp_gt_u32_e32 vcc, s10, v0
	v_mov_b32_e32 v6, 0
	v_mov_b32_e32 v4, 0
	;; [unrolled: 1-line block ×4, first 2 shown]
	s_and_saveexec_b64 s[0:1], vcc
	s_cbranch_execz .LBB568_236
; %bb.235:
	v_lshlrev_b32_e32 v1, 1, v0
	global_load_ushort v5, v1, s[16:17]
	global_load_ushort v7, v1, s[28:29]
	v_mov_b32_e32 v2, s34
	v_add_co_u32_e32 v1, vcc, s31, v0
	v_addc_co_u32_e32 v2, vcc, 0, v2, vcc
	s_waitcnt vmcnt(0)
	v_cmp_ne_u16_e32 vcc, v5, v7
	v_cndmask_b32_e64 v5, 0, 1, vcc
.LBB568_236:
	s_or_b64 exec, exec, s[0:1]
	v_or_b32_e32 v7, 0x80, v0
	v_cmp_gt_u32_e32 vcc, s10, v7
	s_and_saveexec_b64 s[2:3], vcc
	s_cbranch_execz .LBB568_238
; %bb.237:
	v_lshlrev_b32_e32 v3, 1, v0
	global_load_ushort v6, v3, s[16:17] offset:256
	global_load_ushort v8, v3, s[28:29] offset:256
	v_mov_b32_e32 v4, s34
	v_add_co_u32_e64 v3, s[0:1], s31, v7
	v_addc_co_u32_e64 v4, s[0:1], 0, v4, s[0:1]
	s_waitcnt vmcnt(0)
	v_cmp_ne_u16_e64 s[0:1], v6, v8
	v_cndmask_b32_e64 v6, 0, 1, s[0:1]
.LBB568_238:
	s_or_b64 exec, exec, s[2:3]
	v_and_b32_e32 v8, 0xffff, v6
	v_and_b32_e32 v6, 1, v6
	v_cmp_lt_i64_e64 s[2:3], v[3:4], v[1:2]
	v_and_b32_e32 v7, 0xffff, v5
	v_cmp_eq_u32_e64 s[0:1], 1, v6
	v_and_b32_e32 v5, 1, v5
	v_cmp_eq_u32_e64 s[8:9], 1, v5
	s_and_b64 s[0:1], s[0:1], s[2:3]
	v_cndmask_b32_e64 v5, v8, 1, s[8:9]
	v_cndmask_b32_e64 v8, v1, v3, s[0:1]
	;; [unrolled: 1-line block ×3, first 2 shown]
	v_cndmask_b32_e32 v1, v1, v3, vcc
	v_mbcnt_lo_u32_b32 v3, -1, 0
	v_cndmask_b32_e64 v6, v2, v4, s[0:1]
	v_cndmask_b32_e32 v7, v7, v5, vcc
	v_mbcnt_hi_u32_b32 v5, -1, v3
	v_cndmask_b32_e64 v4, v4, v6, s[8:9]
	v_and_b32_e32 v6, 63, v5
	v_cndmask_b32_e32 v2, v2, v4, vcc
	v_cmp_ne_u32_e32 vcc, 63, v6
	v_addc_co_u32_e32 v3, vcc, 0, v5, vcc
	v_lshlrev_b32_e32 v4, 2, v3
	ds_bpermute_b32 v9, v4, v7
	ds_bpermute_b32 v3, v4, v1
	;; [unrolled: 1-line block ×3, first 2 shown]
	s_min_u32 s8, s10, 0x80
	v_and_b32_e32 v8, 64, v0
	v_sub_u32_e64 v8, s8, v8 clamp
	v_add_u32_e32 v10, 1, v6
	v_cmp_lt_u32_e32 vcc, v10, v8
	s_and_saveexec_b64 s[0:1], vcc
	s_cbranch_execz .LBB568_244
; %bb.239:
	s_waitcnt lgkmcnt(2)
	v_and_b32_e32 v10, v9, v7
	v_cmp_ne_u32_e32 vcc, 0, v10
	s_and_saveexec_b64 s[2:3], vcc
	s_xor_b64 s[2:3], exec, s[2:3]
	s_cbranch_execz .LBB568_241
; %bb.240:
	s_waitcnt lgkmcnt(0)
	v_cmp_lt_i64_e32 vcc, v[3:4], v[1:2]
                                        ; implicit-def: $vgpr7
                                        ; implicit-def: $vgpr9
	v_cndmask_b32_e32 v2, v2, v4, vcc
	v_cndmask_b32_e32 v1, v1, v3, vcc
                                        ; implicit-def: $vgpr3_vgpr4
.LBB568_241:
	s_or_saveexec_b64 s[2:3], s[2:3]
	v_mov_b32_e32 v10, 1
	s_xor_b64 exec, exec, s[2:3]
	s_cbranch_execz .LBB568_243
; %bb.242:
	v_and_b32_e32 v7, 1, v7
	v_cmp_eq_u32_e32 vcc, 1, v7
	s_waitcnt lgkmcnt(1)
	v_cndmask_b32_e32 v1, v3, v1, vcc
	v_and_b32_e32 v3, 0xff, v9
	s_waitcnt lgkmcnt(0)
	v_cndmask_b32_e32 v2, v4, v2, vcc
	v_cndmask_b32_e64 v10, v3, 1, vcc
.LBB568_243:
	s_or_b64 exec, exec, s[2:3]
	v_mov_b32_e32 v7, v10
.LBB568_244:
	s_or_b64 exec, exec, s[0:1]
	v_cmp_gt_u32_e32 vcc, 62, v6
	s_waitcnt lgkmcnt(1)
	v_cndmask_b32_e64 v3, 0, 2, vcc
	s_waitcnt lgkmcnt(0)
	v_add_lshl_u32 v4, v3, v5, 2
	ds_bpermute_b32 v9, v4, v7
	ds_bpermute_b32 v3, v4, v1
	ds_bpermute_b32 v4, v4, v2
	v_add_u32_e32 v10, 2, v6
	v_cmp_lt_u32_e32 vcc, v10, v8
	s_and_saveexec_b64 s[0:1], vcc
	s_cbranch_execz .LBB568_250
; %bb.245:
	s_waitcnt lgkmcnt(2)
	v_and_b32_e32 v10, v7, v9
	v_and_b32_e32 v10, 1, v10
	v_cmp_eq_u32_e32 vcc, 1, v10
	s_and_saveexec_b64 s[2:3], vcc
	s_xor_b64 s[2:3], exec, s[2:3]
	s_cbranch_execz .LBB568_247
; %bb.246:
	s_waitcnt lgkmcnt(0)
	v_cmp_lt_i64_e32 vcc, v[3:4], v[1:2]
                                        ; implicit-def: $vgpr7
                                        ; implicit-def: $vgpr9
	v_cndmask_b32_e32 v2, v2, v4, vcc
	v_cndmask_b32_e32 v1, v1, v3, vcc
                                        ; implicit-def: $vgpr3_vgpr4
.LBB568_247:
	s_or_saveexec_b64 s[2:3], s[2:3]
	v_mov_b32_e32 v10, 1
	s_xor_b64 exec, exec, s[2:3]
	s_cbranch_execz .LBB568_249
; %bb.248:
	v_and_b32_e32 v7, 1, v7
	v_cmp_eq_u32_e32 vcc, 1, v7
	s_waitcnt lgkmcnt(1)
	v_cndmask_b32_e32 v1, v3, v1, vcc
	v_and_b32_e32 v3, 0xff, v9
	s_waitcnt lgkmcnt(0)
	v_cndmask_b32_e32 v2, v4, v2, vcc
	v_cndmask_b32_e64 v10, v3, 1, vcc
.LBB568_249:
	s_or_b64 exec, exec, s[2:3]
	v_mov_b32_e32 v7, v10
.LBB568_250:
	s_or_b64 exec, exec, s[0:1]
	v_cmp_gt_u32_e32 vcc, 60, v6
	s_waitcnt lgkmcnt(1)
	v_cndmask_b32_e64 v3, 0, 4, vcc
	s_waitcnt lgkmcnt(0)
	v_add_lshl_u32 v4, v3, v5, 2
	ds_bpermute_b32 v9, v4, v7
	ds_bpermute_b32 v3, v4, v1
	ds_bpermute_b32 v4, v4, v2
	v_add_u32_e32 v10, 4, v6
	v_cmp_lt_u32_e32 vcc, v10, v8
	s_and_saveexec_b64 s[0:1], vcc
	s_cbranch_execz .LBB568_256
; %bb.251:
	s_waitcnt lgkmcnt(2)
	v_and_b32_e32 v10, v7, v9
	v_and_b32_e32 v10, 1, v10
	v_cmp_eq_u32_e32 vcc, 1, v10
	s_and_saveexec_b64 s[2:3], vcc
	s_xor_b64 s[2:3], exec, s[2:3]
	s_cbranch_execz .LBB568_253
; %bb.252:
	s_waitcnt lgkmcnt(0)
	v_cmp_lt_i64_e32 vcc, v[3:4], v[1:2]
                                        ; implicit-def: $vgpr7
                                        ; implicit-def: $vgpr9
	v_cndmask_b32_e32 v2, v2, v4, vcc
	v_cndmask_b32_e32 v1, v1, v3, vcc
                                        ; implicit-def: $vgpr3_vgpr4
.LBB568_253:
	s_or_saveexec_b64 s[2:3], s[2:3]
	v_mov_b32_e32 v10, 1
	s_xor_b64 exec, exec, s[2:3]
	s_cbranch_execz .LBB568_255
; %bb.254:
	v_and_b32_e32 v7, 1, v7
	v_cmp_eq_u32_e32 vcc, 1, v7
	s_waitcnt lgkmcnt(1)
	v_cndmask_b32_e32 v1, v3, v1, vcc
	v_and_b32_e32 v3, 0xff, v9
	s_waitcnt lgkmcnt(0)
	v_cndmask_b32_e32 v2, v4, v2, vcc
	v_cndmask_b32_e64 v10, v3, 1, vcc
.LBB568_255:
	s_or_b64 exec, exec, s[2:3]
	v_mov_b32_e32 v7, v10
.LBB568_256:
	;; [unrolled: 47-line block ×4, first 2 shown]
	s_or_b64 exec, exec, s[0:1]
	s_waitcnt lgkmcnt(2)
	v_lshlrev_b32_e32 v9, 2, v5
	s_waitcnt lgkmcnt(0)
	v_or_b32_e32 v4, 0x80, v9
	ds_bpermute_b32 v10, v4, v7
	ds_bpermute_b32 v3, v4, v1
	ds_bpermute_b32 v4, v4, v2
	v_add_u32_e32 v6, 32, v6
	v_cmp_lt_u32_e32 vcc, v6, v8
	v_mov_b32_e32 v6, v7
	s_and_saveexec_b64 s[0:1], vcc
	s_cbranch_execz .LBB568_274
; %bb.269:
	s_waitcnt lgkmcnt(2)
	v_and_b32_e32 v6, v7, v10
	v_and_b32_e32 v6, 1, v6
	v_cmp_eq_u32_e32 vcc, 1, v6
	s_and_saveexec_b64 s[2:3], vcc
	s_xor_b64 s[2:3], exec, s[2:3]
	s_cbranch_execz .LBB568_271
; %bb.270:
	s_waitcnt lgkmcnt(0)
	v_cmp_lt_i64_e32 vcc, v[3:4], v[1:2]
                                        ; implicit-def: $vgpr7
                                        ; implicit-def: $vgpr10
	v_cndmask_b32_e32 v2, v2, v4, vcc
	v_cndmask_b32_e32 v1, v1, v3, vcc
                                        ; implicit-def: $vgpr3_vgpr4
.LBB568_271:
	s_or_saveexec_b64 s[2:3], s[2:3]
	v_mov_b32_e32 v6, 1
	s_xor_b64 exec, exec, s[2:3]
	s_cbranch_execz .LBB568_273
; %bb.272:
	v_and_b32_e32 v6, 1, v7
	v_cmp_eq_u32_e32 vcc, 1, v6
	v_cndmask_b32_e64 v6, v10, 1, vcc
	s_waitcnt lgkmcnt(0)
	v_cndmask_b32_e32 v2, v4, v2, vcc
	v_cndmask_b32_e32 v1, v3, v1, vcc
.LBB568_273:
	s_or_b64 exec, exec, s[2:3]
	v_and_b32_e32 v7, 0xff, v6
.LBB568_274:
	s_or_b64 exec, exec, s[0:1]
	v_cmp_eq_u32_e32 vcc, 0, v5
	s_and_saveexec_b64 s[0:1], vcc
	s_cbranch_execz .LBB568_276
; %bb.275:
	s_waitcnt lgkmcnt(1)
	v_lshrrev_b32_e32 v3, 2, v0
	v_and_b32_e32 v3, 16, v3
	ds_write_b8 v3, v6 offset:128
	ds_write_b64 v3, v[1:2] offset:136
.LBB568_276:
	s_or_b64 exec, exec, s[0:1]
	v_cmp_gt_u32_e32 vcc, 2, v0
	s_waitcnt lgkmcnt(0)
	s_barrier
	s_and_saveexec_b64 s[0:1], vcc
	s_cbranch_execz .LBB568_284
; %bb.277:
	v_lshlrev_b32_e32 v1, 4, v5
	ds_read_u8 v6, v1 offset:128
	ds_read_b64 v[1:2], v1 offset:136
	v_or_b32_e32 v4, 4, v9
	s_add_i32 s8, s8, 63
	v_and_b32_e32 v5, 1, v5
	s_waitcnt lgkmcnt(1)
	v_and_b32_e32 v7, 0xff, v6
	s_waitcnt lgkmcnt(0)
	ds_bpermute_b32 v3, v4, v1
	ds_bpermute_b32 v8, v4, v7
	;; [unrolled: 1-line block ×3, first 2 shown]
	s_lshr_b32 s2, s8, 6
	v_add_u32_e32 v5, 1, v5
	v_cmp_gt_u32_e32 vcc, s2, v5
	s_and_saveexec_b64 s[2:3], vcc
	s_cbranch_execz .LBB568_283
; %bb.278:
	s_waitcnt lgkmcnt(1)
	v_and_b32_e32 v5, v7, v8
	v_and_b32_e32 v5, 1, v5
	v_cmp_eq_u32_e32 vcc, 1, v5
	s_and_saveexec_b64 s[8:9], vcc
	s_xor_b64 s[8:9], exec, s[8:9]
	s_cbranch_execz .LBB568_280
; %bb.279:
	s_waitcnt lgkmcnt(0)
	v_cmp_lt_i64_e32 vcc, v[3:4], v[1:2]
                                        ; implicit-def: $vgpr6
                                        ; implicit-def: $vgpr8
	v_cndmask_b32_e32 v2, v2, v4, vcc
	v_cndmask_b32_e32 v1, v1, v3, vcc
                                        ; implicit-def: $vgpr3_vgpr4
.LBB568_280:
	s_or_saveexec_b64 s[8:9], s[8:9]
	v_mov_b32_e32 v7, 1
	s_xor_b64 exec, exec, s[8:9]
	s_cbranch_execz .LBB568_282
; %bb.281:
	v_and_b32_e32 v5, 1, v6
	v_cmp_eq_u32_e32 vcc, 1, v5
	s_waitcnt lgkmcnt(0)
	v_cndmask_b32_e32 v2, v4, v2, vcc
	v_cndmask_b32_e32 v1, v3, v1, vcc
	v_cndmask_b32_e64 v7, v8, 1, vcc
.LBB568_282:
	s_or_b64 exec, exec, s[8:9]
.LBB568_283:
	s_or_b64 exec, exec, s[2:3]
.LBB568_284:
	s_or_b64 exec, exec, s[0:1]
.LBB568_285:
	v_cmp_eq_u32_e32 vcc, 0, v0
                                        ; implicit-def: $vgpr3_vgpr4
                                        ; implicit-def: $vgpr5
	s_and_saveexec_b64 s[0:1], vcc
	s_xor_b64 s[8:9], exec, s[0:1]
	s_cbranch_execz .LBB568_289
; %bb.286:
	s_waitcnt lgkmcnt(0)
	v_mov_b32_e32 v3, s18
	s_cmp_eq_u64 s[22:23], 0
	v_mov_b32_e32 v4, s19
	v_mov_b32_e32 v5, s33
	s_cbranch_scc1 .LBB568_288
; %bb.287:
	v_and_b32_e32 v3, 1, v7
	v_cmp_gt_i64_e64 s[0:1], s[18:19], v[1:2]
	s_bitcmp1_b32 s33, 0
	v_cmp_eq_u32_e32 vcc, 1, v3
	s_cselect_b64 s[2:3], -1, 0
	v_mov_b32_e32 v3, s18
	s_and_b64 vcc, vcc, s[0:1]
	v_mov_b32_e32 v4, s19
	v_cndmask_b32_e32 v3, v3, v1, vcc
	v_cndmask_b32_e32 v4, v4, v2, vcc
	v_cndmask_b32_e64 v5, v7, 1, s[2:3]
	v_cndmask_b32_e64 v4, v2, v4, s[2:3]
	;; [unrolled: 1-line block ×3, first 2 shown]
.LBB568_288:
	s_or_b64 s[14:15], s[14:15], exec
.LBB568_289:
	s_or_b64 exec, exec, s[8:9]
	v_mov_b32_e32 v1, s6
	v_mov_b32_e32 v2, s7
	s_branch .LBB568_306
.LBB568_290:
	s_cmp_eq_u32 s38, 1
	s_cbranch_scc0 .LBB568_305
; %bb.291:
	s_mov_b32 s9, 0
	s_lshl_b32 s8, s6, 7
	s_mov_b32 s7, s9
	s_lshr_b64 s[0:1], s[22:23], 7
	s_cmp_lg_u64 s[0:1], s[6:7]
	s_cbranch_scc0 .LBB568_309
; %bb.292:
	s_lshl_b64 s[0:1], s[8:9], 1
	s_add_u32 s2, s24, s0
	s_addc_u32 s3, s25, s1
	s_add_u32 s0, s26, s0
	v_lshlrev_b32_e32 v1, 1, v0
	s_addc_u32 s1, s27, s1
	s_waitcnt lgkmcnt(1)
	global_load_ushort v5, v1, s[2:3]
	s_waitcnt lgkmcnt(0)
	global_load_ushort v6, v1, s[0:1]
	s_add_u32 s0, s20, s8
	s_addc_u32 s1, s21, 0
	v_mov_b32_e32 v2, s1
	v_add_co_u32_e32 v1, vcc, s0, v0
	v_addc_co_u32_e32 v2, vcc, 0, v2, vcc
	s_nop 0
	v_mov_b32_dpp v3, v1 quad_perm:[1,0,3,2] row_mask:0xf bank_mask:0xf bound_ctrl:1
	v_mov_b32_dpp v4, v2 quad_perm:[1,0,3,2] row_mask:0xf bank_mask:0xf bound_ctrl:1
	v_cmp_lt_i64_e32 vcc, v[1:2], v[3:4]
                                        ; implicit-def: $vgpr7
	s_waitcnt vmcnt(0)
	v_cmp_ne_u16_e64 s[0:1], v5, v6
	v_cndmask_b32_e64 v5, 0, 1, s[0:1]
	s_and_b64 vcc, s[0:1], vcc
	v_cndmask_b32_e32 v3, v3, v1, vcc
	v_mov_b32_dpp v5, v5 quad_perm:[1,0,3,2] row_mask:0xf bank_mask:0xf bound_ctrl:1
	v_and_b32_e32 v5, 1, v5
	v_cndmask_b32_e32 v4, v4, v2, vcc
	v_cmp_eq_u32_e32 vcc, 1, v5
	s_or_b64 s[0:1], vcc, s[0:1]
	v_cndmask_b32_e32 v3, v1, v3, vcc
	v_cndmask_b32_e64 v1, 0, 1, s[0:1]
	v_cndmask_b32_e32 v4, v2, v4, vcc
	v_mov_b32_dpp v5, v3 quad_perm:[2,3,0,1] row_mask:0xf bank_mask:0xf bound_ctrl:1
	v_mov_b32_dpp v1, v1 quad_perm:[2,3,0,1] row_mask:0xf bank_mask:0xf bound_ctrl:1
	v_and_b32_e32 v1, 1, v1
	v_cmp_eq_u32_e32 vcc, 1, v1
	s_and_b64 s[2:3], vcc, s[0:1]
	v_mov_b32_dpp v6, v4 quad_perm:[2,3,0,1] row_mask:0xf bank_mask:0xf bound_ctrl:1
	s_xor_b64 s[2:3], s[2:3], -1
                                        ; implicit-def: $vgpr1_vgpr2
	s_and_saveexec_b64 s[10:11], s[2:3]
	s_xor_b64 s[2:3], exec, s[10:11]
; %bb.293:
	s_or_b64 s[0:1], vcc, s[0:1]
	v_cndmask_b32_e32 v2, v4, v6, vcc
	v_cndmask_b32_e32 v1, v3, v5, vcc
	v_cndmask_b32_e64 v7, 0, 1, s[0:1]
                                        ; implicit-def: $vgpr3_vgpr4
                                        ; implicit-def: $vgpr5_vgpr6
; %bb.294:
	s_andn2_saveexec_b64 s[0:1], s[2:3]
; %bb.295:
	v_cmp_lt_i64_e32 vcc, v[3:4], v[5:6]
	v_mov_b32_e32 v7, 1
	v_cndmask_b32_e32 v2, v6, v4, vcc
	v_cndmask_b32_e32 v1, v5, v3, vcc
; %bb.296:
	s_or_b64 exec, exec, s[0:1]
	s_nop 0
	v_mov_b32_dpp v4, v1 row_ror:4 row_mask:0xf bank_mask:0xf bound_ctrl:1
	v_mov_b32_dpp v5, v2 row_ror:4 row_mask:0xf bank_mask:0xf bound_ctrl:1
	v_and_b32_e32 v8, 1, v7
	v_cmp_lt_i64_e64 s[0:1], v[1:2], v[4:5]
	v_mov_b32_dpp v6, v7 row_ror:4 row_mask:0xf bank_mask:0xf bound_ctrl:1
	v_cmp_eq_u32_e32 vcc, 1, v8
	v_and_b32_e32 v6, 1, v6
	s_and_b64 vcc, vcc, s[0:1]
	v_cmp_eq_u32_e64 s[2:3], 1, v6
	v_cndmask_b32_e32 v4, v4, v1, vcc
	v_cndmask_b32_e32 v5, v5, v2, vcc
	v_cndmask_b32_e64 v2, v2, v5, s[2:3]
	v_cndmask_b32_e64 v1, v1, v4, s[2:3]
	;; [unrolled: 1-line block ×3, first 2 shown]
	v_mov_b32_dpp v5, v2 row_ror:8 row_mask:0xf bank_mask:0xf bound_ctrl:1
	v_mov_b32_dpp v4, v1 row_ror:8 row_mask:0xf bank_mask:0xf bound_ctrl:1
	v_and_b32_e32 v8, 1, v6
	v_cmp_lt_i64_e64 s[0:1], v[1:2], v[4:5]
	v_mov_b32_dpp v7, v6 row_ror:8 row_mask:0xf bank_mask:0xf bound_ctrl:1
	v_cmp_eq_u32_e32 vcc, 1, v8
	v_and_b32_e32 v7, 1, v7
	s_and_b64 vcc, vcc, s[0:1]
	v_cmp_eq_u32_e64 s[2:3], 1, v7
	v_cndmask_b32_e32 v4, v4, v1, vcc
	v_cndmask_b32_e32 v5, v5, v2, vcc
	v_cndmask_b32_e64 v2, v2, v5, s[2:3]
	v_cndmask_b32_e64 v1, v1, v4, s[2:3]
	;; [unrolled: 1-line block ×3, first 2 shown]
	v_mov_b32_dpp v5, v2 row_bcast:15 row_mask:0xf bank_mask:0xf bound_ctrl:1
	v_mov_b32_dpp v4, v1 row_bcast:15 row_mask:0xf bank_mask:0xf bound_ctrl:1
	v_and_b32_e32 v8, 1, v6
	v_cmp_lt_i64_e64 s[0:1], v[1:2], v[4:5]
	v_mov_b32_dpp v7, v6 row_bcast:15 row_mask:0xf bank_mask:0xf bound_ctrl:1
	v_cmp_eq_u32_e32 vcc, 1, v8
	v_and_b32_e32 v7, 1, v7
	s_and_b64 vcc, vcc, s[0:1]
	v_cmp_eq_u32_e64 s[2:3], 1, v7
	v_cndmask_b32_e32 v4, v4, v1, vcc
	v_cndmask_b32_e32 v5, v5, v2, vcc
	v_cndmask_b32_e64 v2, v2, v5, s[2:3]
	v_cndmask_b32_e64 v1, v1, v4, s[2:3]
	;; [unrolled: 1-line block ×3, first 2 shown]
	v_mov_b32_dpp v5, v2 row_bcast:31 row_mask:0xf bank_mask:0xf bound_ctrl:1
	v_mov_b32_dpp v4, v1 row_bcast:31 row_mask:0xf bank_mask:0xf bound_ctrl:1
	v_and_b32_e32 v8, 1, v6
	v_cmp_lt_i64_e64 s[0:1], v[1:2], v[4:5]
	v_mov_b32_dpp v7, v6 row_bcast:31 row_mask:0xf bank_mask:0xf bound_ctrl:1
	v_cmp_eq_u32_e32 vcc, 1, v8
	v_mbcnt_lo_u32_b32 v3, -1, 0
	v_and_b32_e32 v7, 1, v7
	s_and_b64 vcc, vcc, s[0:1]
	v_mbcnt_hi_u32_b32 v3, -1, v3
	v_cmp_eq_u32_e64 s[2:3], 1, v7
	v_cndmask_b32_e32 v5, v5, v2, vcc
	v_cndmask_b32_e32 v4, v4, v1, vcc
	v_cndmask_b32_e64 v2, v2, v5, s[2:3]
	v_lshlrev_b32_e32 v5, 2, v3
	v_cndmask_b32_e64 v6, v6, 1, s[2:3]
	v_cndmask_b32_e64 v1, v1, v4, s[2:3]
	v_or_b32_e32 v4, 0xfc, v5
	ds_bpermute_b32 v7, v4, v6
	ds_bpermute_b32 v1, v4, v1
	;; [unrolled: 1-line block ×3, first 2 shown]
	v_cmp_eq_u32_e32 vcc, 0, v3
	s_and_saveexec_b64 s[0:1], vcc
	s_cbranch_execz .LBB568_298
; %bb.297:
	v_lshrrev_b32_e32 v4, 2, v0
	v_and_b32_e32 v4, 16, v4
	s_waitcnt lgkmcnt(2)
	ds_write_b8 v4, v7
	s_waitcnt lgkmcnt(1)
	ds_write_b64 v4, v[1:2] offset:8
.LBB568_298:
	s_or_b64 exec, exec, s[0:1]
	v_cmp_gt_u32_e32 vcc, 64, v0
	s_waitcnt lgkmcnt(0)
	s_barrier
	s_and_saveexec_b64 s[0:1], vcc
	s_cbranch_execz .LBB568_304
; %bb.299:
	v_and_b32_e32 v1, 1, v3
	v_lshlrev_b32_e32 v1, 4, v1
	ds_read_u8 v8, v1
	ds_read_b64 v[3:4], v1 offset:8
	v_or_b32_e32 v2, 4, v5
	s_waitcnt lgkmcnt(1)
	v_and_b32_e32 v1, 0xff, v8
	ds_bpermute_b32 v9, v2, v1
	s_waitcnt lgkmcnt(1)
	ds_bpermute_b32 v5, v2, v3
	ds_bpermute_b32 v6, v2, v4
	s_waitcnt lgkmcnt(2)
	v_and_b32_e32 v1, v8, v9
	v_and_b32_e32 v1, 1, v1
	v_cmp_eq_u32_e32 vcc, 1, v1
                                        ; implicit-def: $vgpr1_vgpr2
	s_and_saveexec_b64 s[2:3], vcc
	s_xor_b64 s[2:3], exec, s[2:3]
	s_cbranch_execz .LBB568_301
; %bb.300:
	s_waitcnt lgkmcnt(0)
	v_cmp_lt_i64_e32 vcc, v[5:6], v[3:4]
                                        ; implicit-def: $vgpr8
                                        ; implicit-def: $vgpr9
	v_cndmask_b32_e32 v2, v4, v6, vcc
	v_cndmask_b32_e32 v1, v3, v5, vcc
                                        ; implicit-def: $vgpr5_vgpr6
                                        ; implicit-def: $vgpr3_vgpr4
.LBB568_301:
	s_or_saveexec_b64 s[2:3], s[2:3]
	v_mov_b32_e32 v7, 1
	s_xor_b64 exec, exec, s[2:3]
	s_cbranch_execz .LBB568_303
; %bb.302:
	v_and_b32_e32 v1, 1, v8
	v_cmp_eq_u32_e32 vcc, 1, v1
	s_waitcnt lgkmcnt(0)
	v_cndmask_b32_e32 v2, v6, v4, vcc
	v_cndmask_b32_e32 v1, v5, v3, vcc
	v_cndmask_b32_e64 v7, v9, 1, vcc
.LBB568_303:
	s_or_b64 exec, exec, s[2:3]
.LBB568_304:
	s_or_b64 exec, exec, s[0:1]
	s_branch .LBB568_359
.LBB568_305:
                                        ; implicit-def: $vgpr3_vgpr4
                                        ; implicit-def: $vgpr5
                                        ; implicit-def: $vgpr1_vgpr2
.LBB568_306:
	s_and_saveexec_b64 s[0:1], s[14:15]
	s_cbranch_execz .LBB568_308
.LBB568_307:
	s_load_dwordx2 s[0:1], s[4:5], 0x38
	v_lshlrev_b64 v[0:1], 4, v[1:2]
	s_waitcnt lgkmcnt(0)
	v_mov_b32_e32 v2, s1
	v_add_co_u32_e32 v0, vcc, s0, v0
	v_addc_co_u32_e32 v1, vcc, v2, v1, vcc
	global_store_byte v[0:1], v5, off
	global_store_dwordx2 v[0:1], v[3:4], off offset:8
.LBB568_308:
	s_endpgm
.LBB568_309:
                                        ; implicit-def: $vgpr1_vgpr2
                                        ; implicit-def: $vgpr7
	s_cbranch_execz .LBB568_359
; %bb.310:
	s_sub_i32 s2, s22, s8
	v_mov_b32_e32 v1, 0
	v_cmp_gt_u32_e32 vcc, s2, v0
	v_mov_b32_e32 v2, 0
	v_mov_b32_e32 v9, 0
	s_and_saveexec_b64 s[0:1], vcc
	s_cbranch_execz .LBB568_312
; %bb.311:
	s_lshl_b64 s[10:11], s[8:9], 1
	s_add_u32 s12, s26, s10
	s_addc_u32 s13, s27, s11
	s_add_u32 s10, s24, s10
	s_addc_u32 s11, s25, s11
	v_lshlrev_b32_e32 v1, 1, v0
	s_waitcnt lgkmcnt(2)
	global_load_ushort v3, v1, s[10:11]
	s_waitcnt lgkmcnt(0)
	global_load_ushort v4, v1, s[12:13]
	s_add_u32 s3, s20, s8
	s_addc_u32 s8, s21, 0
	v_mov_b32_e32 v2, s8
	v_add_co_u32_e32 v1, vcc, s3, v0
	v_addc_co_u32_e32 v2, vcc, 0, v2, vcc
	s_waitcnt vmcnt(0)
	v_cmp_ne_u16_e32 vcc, v3, v4
	v_cndmask_b32_e64 v9, 0, 1, vcc
.LBB568_312:
	s_or_b64 exec, exec, s[0:1]
	s_waitcnt lgkmcnt(2)
	v_mbcnt_lo_u32_b32 v3, -1, 0
	s_waitcnt lgkmcnt(1)
	v_mbcnt_hi_u32_b32 v5, -1, v3
	s_waitcnt lgkmcnt(0)
	v_and_b32_e32 v6, 63, v5
	v_cmp_ne_u32_e32 vcc, 63, v6
	v_addc_co_u32_e32 v3, vcc, 0, v5, vcc
	v_and_b32_e32 v7, 0xffff, v9
	v_lshlrev_b32_e32 v4, 2, v3
	ds_bpermute_b32 v10, v4, v7
	ds_bpermute_b32 v3, v4, v1
	;; [unrolled: 1-line block ×3, first 2 shown]
	s_min_u32 s8, s2, 0x80
	v_and_b32_e32 v8, 64, v0
	v_sub_u32_e64 v8, s8, v8 clamp
	v_add_u32_e32 v11, 1, v6
	v_cmp_lt_u32_e32 vcc, v11, v8
	s_and_saveexec_b64 s[0:1], vcc
	s_cbranch_execz .LBB568_318
; %bb.313:
	s_waitcnt lgkmcnt(2)
	v_and_b32_e32 v7, v10, v7
	v_and_b32_e32 v7, 1, v7
	v_cmp_eq_u32_e32 vcc, 1, v7
	s_and_saveexec_b64 s[2:3], vcc
	s_xor_b64 s[2:3], exec, s[2:3]
	s_cbranch_execz .LBB568_315
; %bb.314:
	s_waitcnt lgkmcnt(0)
	v_cmp_lt_i64_e32 vcc, v[3:4], v[1:2]
                                        ; implicit-def: $vgpr9
                                        ; implicit-def: $vgpr10
	v_cndmask_b32_e32 v2, v2, v4, vcc
	v_cndmask_b32_e32 v1, v1, v3, vcc
                                        ; implicit-def: $vgpr3_vgpr4
.LBB568_315:
	s_or_saveexec_b64 s[2:3], s[2:3]
	v_mov_b32_e32 v7, 1
	s_xor_b64 exec, exec, s[2:3]
	s_cbranch_execz .LBB568_317
; %bb.316:
	v_and_b32_e32 v7, 1, v9
	v_cmp_eq_u32_e32 vcc, 1, v7
	s_waitcnt lgkmcnt(1)
	v_cndmask_b32_e32 v1, v3, v1, vcc
	v_and_b32_e32 v3, 0xff, v10
	s_waitcnt lgkmcnt(0)
	v_cndmask_b32_e32 v2, v4, v2, vcc
	v_cndmask_b32_e64 v7, v3, 1, vcc
.LBB568_317:
	s_or_b64 exec, exec, s[2:3]
.LBB568_318:
	s_or_b64 exec, exec, s[0:1]
	v_cmp_gt_u32_e32 vcc, 62, v6
	s_waitcnt lgkmcnt(1)
	v_cndmask_b32_e64 v3, 0, 2, vcc
	s_waitcnt lgkmcnt(0)
	v_add_lshl_u32 v4, v3, v5, 2
	ds_bpermute_b32 v9, v4, v7
	ds_bpermute_b32 v3, v4, v1
	ds_bpermute_b32 v4, v4, v2
	v_add_u32_e32 v10, 2, v6
	v_cmp_lt_u32_e32 vcc, v10, v8
	s_and_saveexec_b64 s[0:1], vcc
	s_cbranch_execz .LBB568_324
; %bb.319:
	s_waitcnt lgkmcnt(2)
	v_and_b32_e32 v10, v7, v9
	v_and_b32_e32 v10, 1, v10
	v_cmp_eq_u32_e32 vcc, 1, v10
	s_and_saveexec_b64 s[2:3], vcc
	s_xor_b64 s[2:3], exec, s[2:3]
	s_cbranch_execz .LBB568_321
; %bb.320:
	s_waitcnt lgkmcnt(0)
	v_cmp_lt_i64_e32 vcc, v[3:4], v[1:2]
                                        ; implicit-def: $vgpr7
                                        ; implicit-def: $vgpr9
	v_cndmask_b32_e32 v2, v2, v4, vcc
	v_cndmask_b32_e32 v1, v1, v3, vcc
                                        ; implicit-def: $vgpr3_vgpr4
.LBB568_321:
	s_or_saveexec_b64 s[2:3], s[2:3]
	v_mov_b32_e32 v10, 1
	s_xor_b64 exec, exec, s[2:3]
	s_cbranch_execz .LBB568_323
; %bb.322:
	v_and_b32_e32 v7, 1, v7
	v_cmp_eq_u32_e32 vcc, 1, v7
	s_waitcnt lgkmcnt(1)
	v_cndmask_b32_e32 v1, v3, v1, vcc
	v_and_b32_e32 v3, 0xff, v9
	s_waitcnt lgkmcnt(0)
	v_cndmask_b32_e32 v2, v4, v2, vcc
	v_cndmask_b32_e64 v10, v3, 1, vcc
.LBB568_323:
	s_or_b64 exec, exec, s[2:3]
	v_mov_b32_e32 v7, v10
.LBB568_324:
	s_or_b64 exec, exec, s[0:1]
	v_cmp_gt_u32_e32 vcc, 60, v6
	s_waitcnt lgkmcnt(1)
	v_cndmask_b32_e64 v3, 0, 4, vcc
	s_waitcnt lgkmcnt(0)
	v_add_lshl_u32 v4, v3, v5, 2
	ds_bpermute_b32 v9, v4, v7
	ds_bpermute_b32 v3, v4, v1
	ds_bpermute_b32 v4, v4, v2
	v_add_u32_e32 v10, 4, v6
	v_cmp_lt_u32_e32 vcc, v10, v8
	s_and_saveexec_b64 s[0:1], vcc
	s_cbranch_execz .LBB568_330
; %bb.325:
	s_waitcnt lgkmcnt(2)
	v_and_b32_e32 v10, v7, v9
	v_and_b32_e32 v10, 1, v10
	v_cmp_eq_u32_e32 vcc, 1, v10
	s_and_saveexec_b64 s[2:3], vcc
	s_xor_b64 s[2:3], exec, s[2:3]
	s_cbranch_execz .LBB568_327
; %bb.326:
	s_waitcnt lgkmcnt(0)
	v_cmp_lt_i64_e32 vcc, v[3:4], v[1:2]
                                        ; implicit-def: $vgpr7
                                        ; implicit-def: $vgpr9
	v_cndmask_b32_e32 v2, v2, v4, vcc
	v_cndmask_b32_e32 v1, v1, v3, vcc
                                        ; implicit-def: $vgpr3_vgpr4
.LBB568_327:
	s_or_saveexec_b64 s[2:3], s[2:3]
	v_mov_b32_e32 v10, 1
	s_xor_b64 exec, exec, s[2:3]
	s_cbranch_execz .LBB568_329
; %bb.328:
	v_and_b32_e32 v7, 1, v7
	v_cmp_eq_u32_e32 vcc, 1, v7
	s_waitcnt lgkmcnt(1)
	v_cndmask_b32_e32 v1, v3, v1, vcc
	v_and_b32_e32 v3, 0xff, v9
	s_waitcnt lgkmcnt(0)
	v_cndmask_b32_e32 v2, v4, v2, vcc
	v_cndmask_b32_e64 v10, v3, 1, vcc
.LBB568_329:
	s_or_b64 exec, exec, s[2:3]
	v_mov_b32_e32 v7, v10
.LBB568_330:
	;; [unrolled: 47-line block ×4, first 2 shown]
	s_or_b64 exec, exec, s[0:1]
	s_waitcnt lgkmcnt(2)
	v_lshlrev_b32_e32 v9, 2, v5
	s_waitcnt lgkmcnt(0)
	v_or_b32_e32 v4, 0x80, v9
	ds_bpermute_b32 v10, v4, v7
	ds_bpermute_b32 v3, v4, v1
	;; [unrolled: 1-line block ×3, first 2 shown]
	v_add_u32_e32 v6, 32, v6
	v_cmp_lt_u32_e32 vcc, v6, v8
	v_mov_b32_e32 v6, v7
	s_and_saveexec_b64 s[0:1], vcc
	s_cbranch_execz .LBB568_348
; %bb.343:
	s_waitcnt lgkmcnt(2)
	v_and_b32_e32 v6, v7, v10
	v_and_b32_e32 v6, 1, v6
	v_cmp_eq_u32_e32 vcc, 1, v6
	s_and_saveexec_b64 s[2:3], vcc
	s_xor_b64 s[2:3], exec, s[2:3]
	s_cbranch_execz .LBB568_345
; %bb.344:
	s_waitcnt lgkmcnt(0)
	v_cmp_lt_i64_e32 vcc, v[3:4], v[1:2]
                                        ; implicit-def: $vgpr7
                                        ; implicit-def: $vgpr10
	v_cndmask_b32_e32 v2, v2, v4, vcc
	v_cndmask_b32_e32 v1, v1, v3, vcc
                                        ; implicit-def: $vgpr3_vgpr4
.LBB568_345:
	s_or_saveexec_b64 s[2:3], s[2:3]
	v_mov_b32_e32 v6, 1
	s_xor_b64 exec, exec, s[2:3]
	s_cbranch_execz .LBB568_347
; %bb.346:
	v_and_b32_e32 v6, 1, v7
	v_cmp_eq_u32_e32 vcc, 1, v6
	v_cndmask_b32_e64 v6, v10, 1, vcc
	s_waitcnt lgkmcnt(0)
	v_cndmask_b32_e32 v2, v4, v2, vcc
	v_cndmask_b32_e32 v1, v3, v1, vcc
.LBB568_347:
	s_or_b64 exec, exec, s[2:3]
	v_and_b32_e32 v7, 0xff, v6
.LBB568_348:
	s_or_b64 exec, exec, s[0:1]
	v_cmp_eq_u32_e32 vcc, 0, v5
	s_and_saveexec_b64 s[0:1], vcc
	s_cbranch_execz .LBB568_350
; %bb.349:
	s_waitcnt lgkmcnt(1)
	v_lshrrev_b32_e32 v3, 2, v0
	v_and_b32_e32 v3, 16, v3
	ds_write_b8 v3, v6 offset:128
	ds_write_b64 v3, v[1:2] offset:136
.LBB568_350:
	s_or_b64 exec, exec, s[0:1]
	v_cmp_gt_u32_e32 vcc, 2, v0
	s_waitcnt lgkmcnt(0)
	s_barrier
	s_and_saveexec_b64 s[0:1], vcc
	s_cbranch_execz .LBB568_358
; %bb.351:
	v_lshlrev_b32_e32 v1, 4, v5
	ds_read_u8 v6, v1 offset:128
	ds_read_b64 v[1:2], v1 offset:136
	v_or_b32_e32 v4, 4, v9
	s_add_i32 s8, s8, 63
	v_and_b32_e32 v5, 1, v5
	s_waitcnt lgkmcnt(1)
	v_and_b32_e32 v7, 0xff, v6
	s_waitcnt lgkmcnt(0)
	ds_bpermute_b32 v3, v4, v1
	ds_bpermute_b32 v8, v4, v7
	;; [unrolled: 1-line block ×3, first 2 shown]
	s_lshr_b32 s2, s8, 6
	v_add_u32_e32 v5, 1, v5
	v_cmp_gt_u32_e32 vcc, s2, v5
	s_and_saveexec_b64 s[2:3], vcc
	s_cbranch_execz .LBB568_357
; %bb.352:
	s_waitcnt lgkmcnt(1)
	v_and_b32_e32 v5, v7, v8
	v_and_b32_e32 v5, 1, v5
	v_cmp_eq_u32_e32 vcc, 1, v5
	s_and_saveexec_b64 s[8:9], vcc
	s_xor_b64 s[8:9], exec, s[8:9]
	s_cbranch_execz .LBB568_354
; %bb.353:
	s_waitcnt lgkmcnt(0)
	v_cmp_lt_i64_e32 vcc, v[3:4], v[1:2]
                                        ; implicit-def: $vgpr6
                                        ; implicit-def: $vgpr8
	v_cndmask_b32_e32 v2, v2, v4, vcc
	v_cndmask_b32_e32 v1, v1, v3, vcc
                                        ; implicit-def: $vgpr3_vgpr4
.LBB568_354:
	s_or_saveexec_b64 s[8:9], s[8:9]
	v_mov_b32_e32 v7, 1
	s_xor_b64 exec, exec, s[8:9]
	s_cbranch_execz .LBB568_356
; %bb.355:
	v_and_b32_e32 v5, 1, v6
	v_cmp_eq_u32_e32 vcc, 1, v5
	s_waitcnt lgkmcnt(0)
	v_cndmask_b32_e32 v2, v4, v2, vcc
	v_cndmask_b32_e32 v1, v3, v1, vcc
	v_cndmask_b32_e64 v7, v8, 1, vcc
.LBB568_356:
	s_or_b64 exec, exec, s[8:9]
.LBB568_357:
	s_or_b64 exec, exec, s[2:3]
.LBB568_358:
	s_or_b64 exec, exec, s[0:1]
.LBB568_359:
	v_cmp_eq_u32_e32 vcc, 0, v0
                                        ; implicit-def: $vgpr3_vgpr4
                                        ; implicit-def: $vgpr5
	s_and_saveexec_b64 s[8:9], vcc
	s_cbranch_execz .LBB568_363
; %bb.360:
	s_waitcnt lgkmcnt(0)
	v_mov_b32_e32 v3, s18
	s_cmp_eq_u64 s[22:23], 0
	v_mov_b32_e32 v4, s19
	v_mov_b32_e32 v5, s33
	s_cbranch_scc1 .LBB568_362
; %bb.361:
	v_and_b32_e32 v0, 1, v7
	v_cmp_gt_i64_e64 s[0:1], s[18:19], v[1:2]
	s_bitcmp1_b32 s33, 0
	v_cmp_eq_u32_e32 vcc, 1, v0
	s_cselect_b64 s[2:3], -1, 0
	v_mov_b32_e32 v0, s18
	s_and_b64 vcc, vcc, s[0:1]
	v_mov_b32_e32 v3, s19
	v_cndmask_b32_e32 v0, v0, v1, vcc
	v_cndmask_b32_e32 v3, v3, v2, vcc
	v_cndmask_b32_e64 v5, v7, 1, s[2:3]
	v_cndmask_b32_e64 v4, v2, v3, s[2:3]
	v_cndmask_b32_e64 v3, v1, v0, s[2:3]
.LBB568_362:
	s_or_b64 s[14:15], s[14:15], exec
.LBB568_363:
	s_or_b64 exec, exec, s[8:9]
	v_mov_b32_e32 v1, s6
	v_mov_b32_e32 v2, s7
	s_and_saveexec_b64 s[0:1], s[14:15]
	s_cbranch_execnz .LBB568_307
	s_branch .LBB568_308
	.section	.rodata,"a",@progbits
	.p2align	6, 0x0
	.amdhsa_kernel _ZN7rocprim17ROCPRIM_400000_NS6detail17trampoline_kernelINS0_14default_configENS1_22reduce_config_selectorIN6thrust23THRUST_200600_302600_NS5tupleIblNS6_9null_typeES8_S8_S8_S8_S8_S8_S8_EEEEZNS1_11reduce_implILb1ES3_NS6_12zip_iteratorINS7_INS6_11hip_rocprim26transform_input_iterator_tIbNSD_35transform_pair_of_input_iterators_tIbNS6_6detail15normal_iteratorINS6_10device_ptrIKsEEEESL_NS6_8equal_toIsEEEENSG_9not_fun_tINSD_8identityEEEEENSD_19counting_iterator_tIlEES8_S8_S8_S8_S8_S8_S8_S8_EEEEPS9_S9_NSD_9__find_if7functorIS9_EEEE10hipError_tPvRmT1_T2_T3_mT4_P12ihipStream_tbEUlT_E1_NS1_11comp_targetILNS1_3genE2ELNS1_11target_archE906ELNS1_3gpuE6ELNS1_3repE0EEENS1_30default_config_static_selectorELNS0_4arch9wavefront6targetE1EEEvS14_
		.amdhsa_group_segment_fixed_size 160
		.amdhsa_private_segment_fixed_size 0
		.amdhsa_kernarg_size 88
		.amdhsa_user_sgpr_count 6
		.amdhsa_user_sgpr_private_segment_buffer 1
		.amdhsa_user_sgpr_dispatch_ptr 0
		.amdhsa_user_sgpr_queue_ptr 0
		.amdhsa_user_sgpr_kernarg_segment_ptr 1
		.amdhsa_user_sgpr_dispatch_id 0
		.amdhsa_user_sgpr_flat_scratch_init 0
		.amdhsa_user_sgpr_private_segment_size 0
		.amdhsa_uses_dynamic_stack 0
		.amdhsa_system_sgpr_private_segment_wavefront_offset 0
		.amdhsa_system_sgpr_workgroup_id_x 1
		.amdhsa_system_sgpr_workgroup_id_y 0
		.amdhsa_system_sgpr_workgroup_id_z 0
		.amdhsa_system_sgpr_workgroup_info 0
		.amdhsa_system_vgpr_workitem_id 0
		.amdhsa_next_free_vgpr 27
		.amdhsa_next_free_sgpr 42
		.amdhsa_reserve_vcc 1
		.amdhsa_reserve_flat_scratch 0
		.amdhsa_float_round_mode_32 0
		.amdhsa_float_round_mode_16_64 0
		.amdhsa_float_denorm_mode_32 3
		.amdhsa_float_denorm_mode_16_64 3
		.amdhsa_dx10_clamp 1
		.amdhsa_ieee_mode 1
		.amdhsa_fp16_overflow 0
		.amdhsa_exception_fp_ieee_invalid_op 0
		.amdhsa_exception_fp_denorm_src 0
		.amdhsa_exception_fp_ieee_div_zero 0
		.amdhsa_exception_fp_ieee_overflow 0
		.amdhsa_exception_fp_ieee_underflow 0
		.amdhsa_exception_fp_ieee_inexact 0
		.amdhsa_exception_int_div_zero 0
	.end_amdhsa_kernel
	.section	.text._ZN7rocprim17ROCPRIM_400000_NS6detail17trampoline_kernelINS0_14default_configENS1_22reduce_config_selectorIN6thrust23THRUST_200600_302600_NS5tupleIblNS6_9null_typeES8_S8_S8_S8_S8_S8_S8_EEEEZNS1_11reduce_implILb1ES3_NS6_12zip_iteratorINS7_INS6_11hip_rocprim26transform_input_iterator_tIbNSD_35transform_pair_of_input_iterators_tIbNS6_6detail15normal_iteratorINS6_10device_ptrIKsEEEESL_NS6_8equal_toIsEEEENSG_9not_fun_tINSD_8identityEEEEENSD_19counting_iterator_tIlEES8_S8_S8_S8_S8_S8_S8_S8_EEEEPS9_S9_NSD_9__find_if7functorIS9_EEEE10hipError_tPvRmT1_T2_T3_mT4_P12ihipStream_tbEUlT_E1_NS1_11comp_targetILNS1_3genE2ELNS1_11target_archE906ELNS1_3gpuE6ELNS1_3repE0EEENS1_30default_config_static_selectorELNS0_4arch9wavefront6targetE1EEEvS14_,"axG",@progbits,_ZN7rocprim17ROCPRIM_400000_NS6detail17trampoline_kernelINS0_14default_configENS1_22reduce_config_selectorIN6thrust23THRUST_200600_302600_NS5tupleIblNS6_9null_typeES8_S8_S8_S8_S8_S8_S8_EEEEZNS1_11reduce_implILb1ES3_NS6_12zip_iteratorINS7_INS6_11hip_rocprim26transform_input_iterator_tIbNSD_35transform_pair_of_input_iterators_tIbNS6_6detail15normal_iteratorINS6_10device_ptrIKsEEEESL_NS6_8equal_toIsEEEENSG_9not_fun_tINSD_8identityEEEEENSD_19counting_iterator_tIlEES8_S8_S8_S8_S8_S8_S8_S8_EEEEPS9_S9_NSD_9__find_if7functorIS9_EEEE10hipError_tPvRmT1_T2_T3_mT4_P12ihipStream_tbEUlT_E1_NS1_11comp_targetILNS1_3genE2ELNS1_11target_archE906ELNS1_3gpuE6ELNS1_3repE0EEENS1_30default_config_static_selectorELNS0_4arch9wavefront6targetE1EEEvS14_,comdat
.Lfunc_end568:
	.size	_ZN7rocprim17ROCPRIM_400000_NS6detail17trampoline_kernelINS0_14default_configENS1_22reduce_config_selectorIN6thrust23THRUST_200600_302600_NS5tupleIblNS6_9null_typeES8_S8_S8_S8_S8_S8_S8_EEEEZNS1_11reduce_implILb1ES3_NS6_12zip_iteratorINS7_INS6_11hip_rocprim26transform_input_iterator_tIbNSD_35transform_pair_of_input_iterators_tIbNS6_6detail15normal_iteratorINS6_10device_ptrIKsEEEESL_NS6_8equal_toIsEEEENSG_9not_fun_tINSD_8identityEEEEENSD_19counting_iterator_tIlEES8_S8_S8_S8_S8_S8_S8_S8_EEEEPS9_S9_NSD_9__find_if7functorIS9_EEEE10hipError_tPvRmT1_T2_T3_mT4_P12ihipStream_tbEUlT_E1_NS1_11comp_targetILNS1_3genE2ELNS1_11target_archE906ELNS1_3gpuE6ELNS1_3repE0EEENS1_30default_config_static_selectorELNS0_4arch9wavefront6targetE1EEEvS14_, .Lfunc_end568-_ZN7rocprim17ROCPRIM_400000_NS6detail17trampoline_kernelINS0_14default_configENS1_22reduce_config_selectorIN6thrust23THRUST_200600_302600_NS5tupleIblNS6_9null_typeES8_S8_S8_S8_S8_S8_S8_EEEEZNS1_11reduce_implILb1ES3_NS6_12zip_iteratorINS7_INS6_11hip_rocprim26transform_input_iterator_tIbNSD_35transform_pair_of_input_iterators_tIbNS6_6detail15normal_iteratorINS6_10device_ptrIKsEEEESL_NS6_8equal_toIsEEEENSG_9not_fun_tINSD_8identityEEEEENSD_19counting_iterator_tIlEES8_S8_S8_S8_S8_S8_S8_S8_EEEEPS9_S9_NSD_9__find_if7functorIS9_EEEE10hipError_tPvRmT1_T2_T3_mT4_P12ihipStream_tbEUlT_E1_NS1_11comp_targetILNS1_3genE2ELNS1_11target_archE906ELNS1_3gpuE6ELNS1_3repE0EEENS1_30default_config_static_selectorELNS0_4arch9wavefront6targetE1EEEvS14_
                                        ; -- End function
	.set _ZN7rocprim17ROCPRIM_400000_NS6detail17trampoline_kernelINS0_14default_configENS1_22reduce_config_selectorIN6thrust23THRUST_200600_302600_NS5tupleIblNS6_9null_typeES8_S8_S8_S8_S8_S8_S8_EEEEZNS1_11reduce_implILb1ES3_NS6_12zip_iteratorINS7_INS6_11hip_rocprim26transform_input_iterator_tIbNSD_35transform_pair_of_input_iterators_tIbNS6_6detail15normal_iteratorINS6_10device_ptrIKsEEEESL_NS6_8equal_toIsEEEENSG_9not_fun_tINSD_8identityEEEEENSD_19counting_iterator_tIlEES8_S8_S8_S8_S8_S8_S8_S8_EEEEPS9_S9_NSD_9__find_if7functorIS9_EEEE10hipError_tPvRmT1_T2_T3_mT4_P12ihipStream_tbEUlT_E1_NS1_11comp_targetILNS1_3genE2ELNS1_11target_archE906ELNS1_3gpuE6ELNS1_3repE0EEENS1_30default_config_static_selectorELNS0_4arch9wavefront6targetE1EEEvS14_.num_vgpr, 27
	.set _ZN7rocprim17ROCPRIM_400000_NS6detail17trampoline_kernelINS0_14default_configENS1_22reduce_config_selectorIN6thrust23THRUST_200600_302600_NS5tupleIblNS6_9null_typeES8_S8_S8_S8_S8_S8_S8_EEEEZNS1_11reduce_implILb1ES3_NS6_12zip_iteratorINS7_INS6_11hip_rocprim26transform_input_iterator_tIbNSD_35transform_pair_of_input_iterators_tIbNS6_6detail15normal_iteratorINS6_10device_ptrIKsEEEESL_NS6_8equal_toIsEEEENSG_9not_fun_tINSD_8identityEEEEENSD_19counting_iterator_tIlEES8_S8_S8_S8_S8_S8_S8_S8_EEEEPS9_S9_NSD_9__find_if7functorIS9_EEEE10hipError_tPvRmT1_T2_T3_mT4_P12ihipStream_tbEUlT_E1_NS1_11comp_targetILNS1_3genE2ELNS1_11target_archE906ELNS1_3gpuE6ELNS1_3repE0EEENS1_30default_config_static_selectorELNS0_4arch9wavefront6targetE1EEEvS14_.num_agpr, 0
	.set _ZN7rocprim17ROCPRIM_400000_NS6detail17trampoline_kernelINS0_14default_configENS1_22reduce_config_selectorIN6thrust23THRUST_200600_302600_NS5tupleIblNS6_9null_typeES8_S8_S8_S8_S8_S8_S8_EEEEZNS1_11reduce_implILb1ES3_NS6_12zip_iteratorINS7_INS6_11hip_rocprim26transform_input_iterator_tIbNSD_35transform_pair_of_input_iterators_tIbNS6_6detail15normal_iteratorINS6_10device_ptrIKsEEEESL_NS6_8equal_toIsEEEENSG_9not_fun_tINSD_8identityEEEEENSD_19counting_iterator_tIlEES8_S8_S8_S8_S8_S8_S8_S8_EEEEPS9_S9_NSD_9__find_if7functorIS9_EEEE10hipError_tPvRmT1_T2_T3_mT4_P12ihipStream_tbEUlT_E1_NS1_11comp_targetILNS1_3genE2ELNS1_11target_archE906ELNS1_3gpuE6ELNS1_3repE0EEENS1_30default_config_static_selectorELNS0_4arch9wavefront6targetE1EEEvS14_.numbered_sgpr, 42
	.set _ZN7rocprim17ROCPRIM_400000_NS6detail17trampoline_kernelINS0_14default_configENS1_22reduce_config_selectorIN6thrust23THRUST_200600_302600_NS5tupleIblNS6_9null_typeES8_S8_S8_S8_S8_S8_S8_EEEEZNS1_11reduce_implILb1ES3_NS6_12zip_iteratorINS7_INS6_11hip_rocprim26transform_input_iterator_tIbNSD_35transform_pair_of_input_iterators_tIbNS6_6detail15normal_iteratorINS6_10device_ptrIKsEEEESL_NS6_8equal_toIsEEEENSG_9not_fun_tINSD_8identityEEEEENSD_19counting_iterator_tIlEES8_S8_S8_S8_S8_S8_S8_S8_EEEEPS9_S9_NSD_9__find_if7functorIS9_EEEE10hipError_tPvRmT1_T2_T3_mT4_P12ihipStream_tbEUlT_E1_NS1_11comp_targetILNS1_3genE2ELNS1_11target_archE906ELNS1_3gpuE6ELNS1_3repE0EEENS1_30default_config_static_selectorELNS0_4arch9wavefront6targetE1EEEvS14_.num_named_barrier, 0
	.set _ZN7rocprim17ROCPRIM_400000_NS6detail17trampoline_kernelINS0_14default_configENS1_22reduce_config_selectorIN6thrust23THRUST_200600_302600_NS5tupleIblNS6_9null_typeES8_S8_S8_S8_S8_S8_S8_EEEEZNS1_11reduce_implILb1ES3_NS6_12zip_iteratorINS7_INS6_11hip_rocprim26transform_input_iterator_tIbNSD_35transform_pair_of_input_iterators_tIbNS6_6detail15normal_iteratorINS6_10device_ptrIKsEEEESL_NS6_8equal_toIsEEEENSG_9not_fun_tINSD_8identityEEEEENSD_19counting_iterator_tIlEES8_S8_S8_S8_S8_S8_S8_S8_EEEEPS9_S9_NSD_9__find_if7functorIS9_EEEE10hipError_tPvRmT1_T2_T3_mT4_P12ihipStream_tbEUlT_E1_NS1_11comp_targetILNS1_3genE2ELNS1_11target_archE906ELNS1_3gpuE6ELNS1_3repE0EEENS1_30default_config_static_selectorELNS0_4arch9wavefront6targetE1EEEvS14_.private_seg_size, 0
	.set _ZN7rocprim17ROCPRIM_400000_NS6detail17trampoline_kernelINS0_14default_configENS1_22reduce_config_selectorIN6thrust23THRUST_200600_302600_NS5tupleIblNS6_9null_typeES8_S8_S8_S8_S8_S8_S8_EEEEZNS1_11reduce_implILb1ES3_NS6_12zip_iteratorINS7_INS6_11hip_rocprim26transform_input_iterator_tIbNSD_35transform_pair_of_input_iterators_tIbNS6_6detail15normal_iteratorINS6_10device_ptrIKsEEEESL_NS6_8equal_toIsEEEENSG_9not_fun_tINSD_8identityEEEEENSD_19counting_iterator_tIlEES8_S8_S8_S8_S8_S8_S8_S8_EEEEPS9_S9_NSD_9__find_if7functorIS9_EEEE10hipError_tPvRmT1_T2_T3_mT4_P12ihipStream_tbEUlT_E1_NS1_11comp_targetILNS1_3genE2ELNS1_11target_archE906ELNS1_3gpuE6ELNS1_3repE0EEENS1_30default_config_static_selectorELNS0_4arch9wavefront6targetE1EEEvS14_.uses_vcc, 1
	.set _ZN7rocprim17ROCPRIM_400000_NS6detail17trampoline_kernelINS0_14default_configENS1_22reduce_config_selectorIN6thrust23THRUST_200600_302600_NS5tupleIblNS6_9null_typeES8_S8_S8_S8_S8_S8_S8_EEEEZNS1_11reduce_implILb1ES3_NS6_12zip_iteratorINS7_INS6_11hip_rocprim26transform_input_iterator_tIbNSD_35transform_pair_of_input_iterators_tIbNS6_6detail15normal_iteratorINS6_10device_ptrIKsEEEESL_NS6_8equal_toIsEEEENSG_9not_fun_tINSD_8identityEEEEENSD_19counting_iterator_tIlEES8_S8_S8_S8_S8_S8_S8_S8_EEEEPS9_S9_NSD_9__find_if7functorIS9_EEEE10hipError_tPvRmT1_T2_T3_mT4_P12ihipStream_tbEUlT_E1_NS1_11comp_targetILNS1_3genE2ELNS1_11target_archE906ELNS1_3gpuE6ELNS1_3repE0EEENS1_30default_config_static_selectorELNS0_4arch9wavefront6targetE1EEEvS14_.uses_flat_scratch, 0
	.set _ZN7rocprim17ROCPRIM_400000_NS6detail17trampoline_kernelINS0_14default_configENS1_22reduce_config_selectorIN6thrust23THRUST_200600_302600_NS5tupleIblNS6_9null_typeES8_S8_S8_S8_S8_S8_S8_EEEEZNS1_11reduce_implILb1ES3_NS6_12zip_iteratorINS7_INS6_11hip_rocprim26transform_input_iterator_tIbNSD_35transform_pair_of_input_iterators_tIbNS6_6detail15normal_iteratorINS6_10device_ptrIKsEEEESL_NS6_8equal_toIsEEEENSG_9not_fun_tINSD_8identityEEEEENSD_19counting_iterator_tIlEES8_S8_S8_S8_S8_S8_S8_S8_EEEEPS9_S9_NSD_9__find_if7functorIS9_EEEE10hipError_tPvRmT1_T2_T3_mT4_P12ihipStream_tbEUlT_E1_NS1_11comp_targetILNS1_3genE2ELNS1_11target_archE906ELNS1_3gpuE6ELNS1_3repE0EEENS1_30default_config_static_selectorELNS0_4arch9wavefront6targetE1EEEvS14_.has_dyn_sized_stack, 0
	.set _ZN7rocprim17ROCPRIM_400000_NS6detail17trampoline_kernelINS0_14default_configENS1_22reduce_config_selectorIN6thrust23THRUST_200600_302600_NS5tupleIblNS6_9null_typeES8_S8_S8_S8_S8_S8_S8_EEEEZNS1_11reduce_implILb1ES3_NS6_12zip_iteratorINS7_INS6_11hip_rocprim26transform_input_iterator_tIbNSD_35transform_pair_of_input_iterators_tIbNS6_6detail15normal_iteratorINS6_10device_ptrIKsEEEESL_NS6_8equal_toIsEEEENSG_9not_fun_tINSD_8identityEEEEENSD_19counting_iterator_tIlEES8_S8_S8_S8_S8_S8_S8_S8_EEEEPS9_S9_NSD_9__find_if7functorIS9_EEEE10hipError_tPvRmT1_T2_T3_mT4_P12ihipStream_tbEUlT_E1_NS1_11comp_targetILNS1_3genE2ELNS1_11target_archE906ELNS1_3gpuE6ELNS1_3repE0EEENS1_30default_config_static_selectorELNS0_4arch9wavefront6targetE1EEEvS14_.has_recursion, 0
	.set _ZN7rocprim17ROCPRIM_400000_NS6detail17trampoline_kernelINS0_14default_configENS1_22reduce_config_selectorIN6thrust23THRUST_200600_302600_NS5tupleIblNS6_9null_typeES8_S8_S8_S8_S8_S8_S8_EEEEZNS1_11reduce_implILb1ES3_NS6_12zip_iteratorINS7_INS6_11hip_rocprim26transform_input_iterator_tIbNSD_35transform_pair_of_input_iterators_tIbNS6_6detail15normal_iteratorINS6_10device_ptrIKsEEEESL_NS6_8equal_toIsEEEENSG_9not_fun_tINSD_8identityEEEEENSD_19counting_iterator_tIlEES8_S8_S8_S8_S8_S8_S8_S8_EEEEPS9_S9_NSD_9__find_if7functorIS9_EEEE10hipError_tPvRmT1_T2_T3_mT4_P12ihipStream_tbEUlT_E1_NS1_11comp_targetILNS1_3genE2ELNS1_11target_archE906ELNS1_3gpuE6ELNS1_3repE0EEENS1_30default_config_static_selectorELNS0_4arch9wavefront6targetE1EEEvS14_.has_indirect_call, 0
	.section	.AMDGPU.csdata,"",@progbits
; Kernel info:
; codeLenInByte = 13144
; TotalNumSgprs: 46
; NumVgprs: 27
; ScratchSize: 0
; MemoryBound: 0
; FloatMode: 240
; IeeeMode: 1
; LDSByteSize: 160 bytes/workgroup (compile time only)
; SGPRBlocks: 5
; VGPRBlocks: 6
; NumSGPRsForWavesPerEU: 46
; NumVGPRsForWavesPerEU: 27
; Occupancy: 9
; WaveLimiterHint : 0
; COMPUTE_PGM_RSRC2:SCRATCH_EN: 0
; COMPUTE_PGM_RSRC2:USER_SGPR: 6
; COMPUTE_PGM_RSRC2:TRAP_HANDLER: 0
; COMPUTE_PGM_RSRC2:TGID_X_EN: 1
; COMPUTE_PGM_RSRC2:TGID_Y_EN: 0
; COMPUTE_PGM_RSRC2:TGID_Z_EN: 0
; COMPUTE_PGM_RSRC2:TIDIG_COMP_CNT: 0
	.section	.text._ZN7rocprim17ROCPRIM_400000_NS6detail17trampoline_kernelINS0_14default_configENS1_22reduce_config_selectorIN6thrust23THRUST_200600_302600_NS5tupleIblNS6_9null_typeES8_S8_S8_S8_S8_S8_S8_EEEEZNS1_11reduce_implILb1ES3_NS6_12zip_iteratorINS7_INS6_11hip_rocprim26transform_input_iterator_tIbNSD_35transform_pair_of_input_iterators_tIbNS6_6detail15normal_iteratorINS6_10device_ptrIKsEEEESL_NS6_8equal_toIsEEEENSG_9not_fun_tINSD_8identityEEEEENSD_19counting_iterator_tIlEES8_S8_S8_S8_S8_S8_S8_S8_EEEEPS9_S9_NSD_9__find_if7functorIS9_EEEE10hipError_tPvRmT1_T2_T3_mT4_P12ihipStream_tbEUlT_E1_NS1_11comp_targetILNS1_3genE10ELNS1_11target_archE1201ELNS1_3gpuE5ELNS1_3repE0EEENS1_30default_config_static_selectorELNS0_4arch9wavefront6targetE1EEEvS14_,"axG",@progbits,_ZN7rocprim17ROCPRIM_400000_NS6detail17trampoline_kernelINS0_14default_configENS1_22reduce_config_selectorIN6thrust23THRUST_200600_302600_NS5tupleIblNS6_9null_typeES8_S8_S8_S8_S8_S8_S8_EEEEZNS1_11reduce_implILb1ES3_NS6_12zip_iteratorINS7_INS6_11hip_rocprim26transform_input_iterator_tIbNSD_35transform_pair_of_input_iterators_tIbNS6_6detail15normal_iteratorINS6_10device_ptrIKsEEEESL_NS6_8equal_toIsEEEENSG_9not_fun_tINSD_8identityEEEEENSD_19counting_iterator_tIlEES8_S8_S8_S8_S8_S8_S8_S8_EEEEPS9_S9_NSD_9__find_if7functorIS9_EEEE10hipError_tPvRmT1_T2_T3_mT4_P12ihipStream_tbEUlT_E1_NS1_11comp_targetILNS1_3genE10ELNS1_11target_archE1201ELNS1_3gpuE5ELNS1_3repE0EEENS1_30default_config_static_selectorELNS0_4arch9wavefront6targetE1EEEvS14_,comdat
	.protected	_ZN7rocprim17ROCPRIM_400000_NS6detail17trampoline_kernelINS0_14default_configENS1_22reduce_config_selectorIN6thrust23THRUST_200600_302600_NS5tupleIblNS6_9null_typeES8_S8_S8_S8_S8_S8_S8_EEEEZNS1_11reduce_implILb1ES3_NS6_12zip_iteratorINS7_INS6_11hip_rocprim26transform_input_iterator_tIbNSD_35transform_pair_of_input_iterators_tIbNS6_6detail15normal_iteratorINS6_10device_ptrIKsEEEESL_NS6_8equal_toIsEEEENSG_9not_fun_tINSD_8identityEEEEENSD_19counting_iterator_tIlEES8_S8_S8_S8_S8_S8_S8_S8_EEEEPS9_S9_NSD_9__find_if7functorIS9_EEEE10hipError_tPvRmT1_T2_T3_mT4_P12ihipStream_tbEUlT_E1_NS1_11comp_targetILNS1_3genE10ELNS1_11target_archE1201ELNS1_3gpuE5ELNS1_3repE0EEENS1_30default_config_static_selectorELNS0_4arch9wavefront6targetE1EEEvS14_ ; -- Begin function _ZN7rocprim17ROCPRIM_400000_NS6detail17trampoline_kernelINS0_14default_configENS1_22reduce_config_selectorIN6thrust23THRUST_200600_302600_NS5tupleIblNS6_9null_typeES8_S8_S8_S8_S8_S8_S8_EEEEZNS1_11reduce_implILb1ES3_NS6_12zip_iteratorINS7_INS6_11hip_rocprim26transform_input_iterator_tIbNSD_35transform_pair_of_input_iterators_tIbNS6_6detail15normal_iteratorINS6_10device_ptrIKsEEEESL_NS6_8equal_toIsEEEENSG_9not_fun_tINSD_8identityEEEEENSD_19counting_iterator_tIlEES8_S8_S8_S8_S8_S8_S8_S8_EEEEPS9_S9_NSD_9__find_if7functorIS9_EEEE10hipError_tPvRmT1_T2_T3_mT4_P12ihipStream_tbEUlT_E1_NS1_11comp_targetILNS1_3genE10ELNS1_11target_archE1201ELNS1_3gpuE5ELNS1_3repE0EEENS1_30default_config_static_selectorELNS0_4arch9wavefront6targetE1EEEvS14_
	.globl	_ZN7rocprim17ROCPRIM_400000_NS6detail17trampoline_kernelINS0_14default_configENS1_22reduce_config_selectorIN6thrust23THRUST_200600_302600_NS5tupleIblNS6_9null_typeES8_S8_S8_S8_S8_S8_S8_EEEEZNS1_11reduce_implILb1ES3_NS6_12zip_iteratorINS7_INS6_11hip_rocprim26transform_input_iterator_tIbNSD_35transform_pair_of_input_iterators_tIbNS6_6detail15normal_iteratorINS6_10device_ptrIKsEEEESL_NS6_8equal_toIsEEEENSG_9not_fun_tINSD_8identityEEEEENSD_19counting_iterator_tIlEES8_S8_S8_S8_S8_S8_S8_S8_EEEEPS9_S9_NSD_9__find_if7functorIS9_EEEE10hipError_tPvRmT1_T2_T3_mT4_P12ihipStream_tbEUlT_E1_NS1_11comp_targetILNS1_3genE10ELNS1_11target_archE1201ELNS1_3gpuE5ELNS1_3repE0EEENS1_30default_config_static_selectorELNS0_4arch9wavefront6targetE1EEEvS14_
	.p2align	8
	.type	_ZN7rocprim17ROCPRIM_400000_NS6detail17trampoline_kernelINS0_14default_configENS1_22reduce_config_selectorIN6thrust23THRUST_200600_302600_NS5tupleIblNS6_9null_typeES8_S8_S8_S8_S8_S8_S8_EEEEZNS1_11reduce_implILb1ES3_NS6_12zip_iteratorINS7_INS6_11hip_rocprim26transform_input_iterator_tIbNSD_35transform_pair_of_input_iterators_tIbNS6_6detail15normal_iteratorINS6_10device_ptrIKsEEEESL_NS6_8equal_toIsEEEENSG_9not_fun_tINSD_8identityEEEEENSD_19counting_iterator_tIlEES8_S8_S8_S8_S8_S8_S8_S8_EEEEPS9_S9_NSD_9__find_if7functorIS9_EEEE10hipError_tPvRmT1_T2_T3_mT4_P12ihipStream_tbEUlT_E1_NS1_11comp_targetILNS1_3genE10ELNS1_11target_archE1201ELNS1_3gpuE5ELNS1_3repE0EEENS1_30default_config_static_selectorELNS0_4arch9wavefront6targetE1EEEvS14_,@function
_ZN7rocprim17ROCPRIM_400000_NS6detail17trampoline_kernelINS0_14default_configENS1_22reduce_config_selectorIN6thrust23THRUST_200600_302600_NS5tupleIblNS6_9null_typeES8_S8_S8_S8_S8_S8_S8_EEEEZNS1_11reduce_implILb1ES3_NS6_12zip_iteratorINS7_INS6_11hip_rocprim26transform_input_iterator_tIbNSD_35transform_pair_of_input_iterators_tIbNS6_6detail15normal_iteratorINS6_10device_ptrIKsEEEESL_NS6_8equal_toIsEEEENSG_9not_fun_tINSD_8identityEEEEENSD_19counting_iterator_tIlEES8_S8_S8_S8_S8_S8_S8_S8_EEEEPS9_S9_NSD_9__find_if7functorIS9_EEEE10hipError_tPvRmT1_T2_T3_mT4_P12ihipStream_tbEUlT_E1_NS1_11comp_targetILNS1_3genE10ELNS1_11target_archE1201ELNS1_3gpuE5ELNS1_3repE0EEENS1_30default_config_static_selectorELNS0_4arch9wavefront6targetE1EEEvS14_: ; @_ZN7rocprim17ROCPRIM_400000_NS6detail17trampoline_kernelINS0_14default_configENS1_22reduce_config_selectorIN6thrust23THRUST_200600_302600_NS5tupleIblNS6_9null_typeES8_S8_S8_S8_S8_S8_S8_EEEEZNS1_11reduce_implILb1ES3_NS6_12zip_iteratorINS7_INS6_11hip_rocprim26transform_input_iterator_tIbNSD_35transform_pair_of_input_iterators_tIbNS6_6detail15normal_iteratorINS6_10device_ptrIKsEEEESL_NS6_8equal_toIsEEEENSG_9not_fun_tINSD_8identityEEEEENSD_19counting_iterator_tIlEES8_S8_S8_S8_S8_S8_S8_S8_EEEEPS9_S9_NSD_9__find_if7functorIS9_EEEE10hipError_tPvRmT1_T2_T3_mT4_P12ihipStream_tbEUlT_E1_NS1_11comp_targetILNS1_3genE10ELNS1_11target_archE1201ELNS1_3gpuE5ELNS1_3repE0EEENS1_30default_config_static_selectorELNS0_4arch9wavefront6targetE1EEEvS14_
; %bb.0:
	.section	.rodata,"a",@progbits
	.p2align	6, 0x0
	.amdhsa_kernel _ZN7rocprim17ROCPRIM_400000_NS6detail17trampoline_kernelINS0_14default_configENS1_22reduce_config_selectorIN6thrust23THRUST_200600_302600_NS5tupleIblNS6_9null_typeES8_S8_S8_S8_S8_S8_S8_EEEEZNS1_11reduce_implILb1ES3_NS6_12zip_iteratorINS7_INS6_11hip_rocprim26transform_input_iterator_tIbNSD_35transform_pair_of_input_iterators_tIbNS6_6detail15normal_iteratorINS6_10device_ptrIKsEEEESL_NS6_8equal_toIsEEEENSG_9not_fun_tINSD_8identityEEEEENSD_19counting_iterator_tIlEES8_S8_S8_S8_S8_S8_S8_S8_EEEEPS9_S9_NSD_9__find_if7functorIS9_EEEE10hipError_tPvRmT1_T2_T3_mT4_P12ihipStream_tbEUlT_E1_NS1_11comp_targetILNS1_3genE10ELNS1_11target_archE1201ELNS1_3gpuE5ELNS1_3repE0EEENS1_30default_config_static_selectorELNS0_4arch9wavefront6targetE1EEEvS14_
		.amdhsa_group_segment_fixed_size 0
		.amdhsa_private_segment_fixed_size 0
		.amdhsa_kernarg_size 88
		.amdhsa_user_sgpr_count 6
		.amdhsa_user_sgpr_private_segment_buffer 1
		.amdhsa_user_sgpr_dispatch_ptr 0
		.amdhsa_user_sgpr_queue_ptr 0
		.amdhsa_user_sgpr_kernarg_segment_ptr 1
		.amdhsa_user_sgpr_dispatch_id 0
		.amdhsa_user_sgpr_flat_scratch_init 0
		.amdhsa_user_sgpr_private_segment_size 0
		.amdhsa_uses_dynamic_stack 0
		.amdhsa_system_sgpr_private_segment_wavefront_offset 0
		.amdhsa_system_sgpr_workgroup_id_x 1
		.amdhsa_system_sgpr_workgroup_id_y 0
		.amdhsa_system_sgpr_workgroup_id_z 0
		.amdhsa_system_sgpr_workgroup_info 0
		.amdhsa_system_vgpr_workitem_id 0
		.amdhsa_next_free_vgpr 1
		.amdhsa_next_free_sgpr 0
		.amdhsa_reserve_vcc 0
		.amdhsa_reserve_flat_scratch 0
		.amdhsa_float_round_mode_32 0
		.amdhsa_float_round_mode_16_64 0
		.amdhsa_float_denorm_mode_32 3
		.amdhsa_float_denorm_mode_16_64 3
		.amdhsa_dx10_clamp 1
		.amdhsa_ieee_mode 1
		.amdhsa_fp16_overflow 0
		.amdhsa_exception_fp_ieee_invalid_op 0
		.amdhsa_exception_fp_denorm_src 0
		.amdhsa_exception_fp_ieee_div_zero 0
		.amdhsa_exception_fp_ieee_overflow 0
		.amdhsa_exception_fp_ieee_underflow 0
		.amdhsa_exception_fp_ieee_inexact 0
		.amdhsa_exception_int_div_zero 0
	.end_amdhsa_kernel
	.section	.text._ZN7rocprim17ROCPRIM_400000_NS6detail17trampoline_kernelINS0_14default_configENS1_22reduce_config_selectorIN6thrust23THRUST_200600_302600_NS5tupleIblNS6_9null_typeES8_S8_S8_S8_S8_S8_S8_EEEEZNS1_11reduce_implILb1ES3_NS6_12zip_iteratorINS7_INS6_11hip_rocprim26transform_input_iterator_tIbNSD_35transform_pair_of_input_iterators_tIbNS6_6detail15normal_iteratorINS6_10device_ptrIKsEEEESL_NS6_8equal_toIsEEEENSG_9not_fun_tINSD_8identityEEEEENSD_19counting_iterator_tIlEES8_S8_S8_S8_S8_S8_S8_S8_EEEEPS9_S9_NSD_9__find_if7functorIS9_EEEE10hipError_tPvRmT1_T2_T3_mT4_P12ihipStream_tbEUlT_E1_NS1_11comp_targetILNS1_3genE10ELNS1_11target_archE1201ELNS1_3gpuE5ELNS1_3repE0EEENS1_30default_config_static_selectorELNS0_4arch9wavefront6targetE1EEEvS14_,"axG",@progbits,_ZN7rocprim17ROCPRIM_400000_NS6detail17trampoline_kernelINS0_14default_configENS1_22reduce_config_selectorIN6thrust23THRUST_200600_302600_NS5tupleIblNS6_9null_typeES8_S8_S8_S8_S8_S8_S8_EEEEZNS1_11reduce_implILb1ES3_NS6_12zip_iteratorINS7_INS6_11hip_rocprim26transform_input_iterator_tIbNSD_35transform_pair_of_input_iterators_tIbNS6_6detail15normal_iteratorINS6_10device_ptrIKsEEEESL_NS6_8equal_toIsEEEENSG_9not_fun_tINSD_8identityEEEEENSD_19counting_iterator_tIlEES8_S8_S8_S8_S8_S8_S8_S8_EEEEPS9_S9_NSD_9__find_if7functorIS9_EEEE10hipError_tPvRmT1_T2_T3_mT4_P12ihipStream_tbEUlT_E1_NS1_11comp_targetILNS1_3genE10ELNS1_11target_archE1201ELNS1_3gpuE5ELNS1_3repE0EEENS1_30default_config_static_selectorELNS0_4arch9wavefront6targetE1EEEvS14_,comdat
.Lfunc_end569:
	.size	_ZN7rocprim17ROCPRIM_400000_NS6detail17trampoline_kernelINS0_14default_configENS1_22reduce_config_selectorIN6thrust23THRUST_200600_302600_NS5tupleIblNS6_9null_typeES8_S8_S8_S8_S8_S8_S8_EEEEZNS1_11reduce_implILb1ES3_NS6_12zip_iteratorINS7_INS6_11hip_rocprim26transform_input_iterator_tIbNSD_35transform_pair_of_input_iterators_tIbNS6_6detail15normal_iteratorINS6_10device_ptrIKsEEEESL_NS6_8equal_toIsEEEENSG_9not_fun_tINSD_8identityEEEEENSD_19counting_iterator_tIlEES8_S8_S8_S8_S8_S8_S8_S8_EEEEPS9_S9_NSD_9__find_if7functorIS9_EEEE10hipError_tPvRmT1_T2_T3_mT4_P12ihipStream_tbEUlT_E1_NS1_11comp_targetILNS1_3genE10ELNS1_11target_archE1201ELNS1_3gpuE5ELNS1_3repE0EEENS1_30default_config_static_selectorELNS0_4arch9wavefront6targetE1EEEvS14_, .Lfunc_end569-_ZN7rocprim17ROCPRIM_400000_NS6detail17trampoline_kernelINS0_14default_configENS1_22reduce_config_selectorIN6thrust23THRUST_200600_302600_NS5tupleIblNS6_9null_typeES8_S8_S8_S8_S8_S8_S8_EEEEZNS1_11reduce_implILb1ES3_NS6_12zip_iteratorINS7_INS6_11hip_rocprim26transform_input_iterator_tIbNSD_35transform_pair_of_input_iterators_tIbNS6_6detail15normal_iteratorINS6_10device_ptrIKsEEEESL_NS6_8equal_toIsEEEENSG_9not_fun_tINSD_8identityEEEEENSD_19counting_iterator_tIlEES8_S8_S8_S8_S8_S8_S8_S8_EEEEPS9_S9_NSD_9__find_if7functorIS9_EEEE10hipError_tPvRmT1_T2_T3_mT4_P12ihipStream_tbEUlT_E1_NS1_11comp_targetILNS1_3genE10ELNS1_11target_archE1201ELNS1_3gpuE5ELNS1_3repE0EEENS1_30default_config_static_selectorELNS0_4arch9wavefront6targetE1EEEvS14_
                                        ; -- End function
	.set _ZN7rocprim17ROCPRIM_400000_NS6detail17trampoline_kernelINS0_14default_configENS1_22reduce_config_selectorIN6thrust23THRUST_200600_302600_NS5tupleIblNS6_9null_typeES8_S8_S8_S8_S8_S8_S8_EEEEZNS1_11reduce_implILb1ES3_NS6_12zip_iteratorINS7_INS6_11hip_rocprim26transform_input_iterator_tIbNSD_35transform_pair_of_input_iterators_tIbNS6_6detail15normal_iteratorINS6_10device_ptrIKsEEEESL_NS6_8equal_toIsEEEENSG_9not_fun_tINSD_8identityEEEEENSD_19counting_iterator_tIlEES8_S8_S8_S8_S8_S8_S8_S8_EEEEPS9_S9_NSD_9__find_if7functorIS9_EEEE10hipError_tPvRmT1_T2_T3_mT4_P12ihipStream_tbEUlT_E1_NS1_11comp_targetILNS1_3genE10ELNS1_11target_archE1201ELNS1_3gpuE5ELNS1_3repE0EEENS1_30default_config_static_selectorELNS0_4arch9wavefront6targetE1EEEvS14_.num_vgpr, 0
	.set _ZN7rocprim17ROCPRIM_400000_NS6detail17trampoline_kernelINS0_14default_configENS1_22reduce_config_selectorIN6thrust23THRUST_200600_302600_NS5tupleIblNS6_9null_typeES8_S8_S8_S8_S8_S8_S8_EEEEZNS1_11reduce_implILb1ES3_NS6_12zip_iteratorINS7_INS6_11hip_rocprim26transform_input_iterator_tIbNSD_35transform_pair_of_input_iterators_tIbNS6_6detail15normal_iteratorINS6_10device_ptrIKsEEEESL_NS6_8equal_toIsEEEENSG_9not_fun_tINSD_8identityEEEEENSD_19counting_iterator_tIlEES8_S8_S8_S8_S8_S8_S8_S8_EEEEPS9_S9_NSD_9__find_if7functorIS9_EEEE10hipError_tPvRmT1_T2_T3_mT4_P12ihipStream_tbEUlT_E1_NS1_11comp_targetILNS1_3genE10ELNS1_11target_archE1201ELNS1_3gpuE5ELNS1_3repE0EEENS1_30default_config_static_selectorELNS0_4arch9wavefront6targetE1EEEvS14_.num_agpr, 0
	.set _ZN7rocprim17ROCPRIM_400000_NS6detail17trampoline_kernelINS0_14default_configENS1_22reduce_config_selectorIN6thrust23THRUST_200600_302600_NS5tupleIblNS6_9null_typeES8_S8_S8_S8_S8_S8_S8_EEEEZNS1_11reduce_implILb1ES3_NS6_12zip_iteratorINS7_INS6_11hip_rocprim26transform_input_iterator_tIbNSD_35transform_pair_of_input_iterators_tIbNS6_6detail15normal_iteratorINS6_10device_ptrIKsEEEESL_NS6_8equal_toIsEEEENSG_9not_fun_tINSD_8identityEEEEENSD_19counting_iterator_tIlEES8_S8_S8_S8_S8_S8_S8_S8_EEEEPS9_S9_NSD_9__find_if7functorIS9_EEEE10hipError_tPvRmT1_T2_T3_mT4_P12ihipStream_tbEUlT_E1_NS1_11comp_targetILNS1_3genE10ELNS1_11target_archE1201ELNS1_3gpuE5ELNS1_3repE0EEENS1_30default_config_static_selectorELNS0_4arch9wavefront6targetE1EEEvS14_.numbered_sgpr, 0
	.set _ZN7rocprim17ROCPRIM_400000_NS6detail17trampoline_kernelINS0_14default_configENS1_22reduce_config_selectorIN6thrust23THRUST_200600_302600_NS5tupleIblNS6_9null_typeES8_S8_S8_S8_S8_S8_S8_EEEEZNS1_11reduce_implILb1ES3_NS6_12zip_iteratorINS7_INS6_11hip_rocprim26transform_input_iterator_tIbNSD_35transform_pair_of_input_iterators_tIbNS6_6detail15normal_iteratorINS6_10device_ptrIKsEEEESL_NS6_8equal_toIsEEEENSG_9not_fun_tINSD_8identityEEEEENSD_19counting_iterator_tIlEES8_S8_S8_S8_S8_S8_S8_S8_EEEEPS9_S9_NSD_9__find_if7functorIS9_EEEE10hipError_tPvRmT1_T2_T3_mT4_P12ihipStream_tbEUlT_E1_NS1_11comp_targetILNS1_3genE10ELNS1_11target_archE1201ELNS1_3gpuE5ELNS1_3repE0EEENS1_30default_config_static_selectorELNS0_4arch9wavefront6targetE1EEEvS14_.num_named_barrier, 0
	.set _ZN7rocprim17ROCPRIM_400000_NS6detail17trampoline_kernelINS0_14default_configENS1_22reduce_config_selectorIN6thrust23THRUST_200600_302600_NS5tupleIblNS6_9null_typeES8_S8_S8_S8_S8_S8_S8_EEEEZNS1_11reduce_implILb1ES3_NS6_12zip_iteratorINS7_INS6_11hip_rocprim26transform_input_iterator_tIbNSD_35transform_pair_of_input_iterators_tIbNS6_6detail15normal_iteratorINS6_10device_ptrIKsEEEESL_NS6_8equal_toIsEEEENSG_9not_fun_tINSD_8identityEEEEENSD_19counting_iterator_tIlEES8_S8_S8_S8_S8_S8_S8_S8_EEEEPS9_S9_NSD_9__find_if7functorIS9_EEEE10hipError_tPvRmT1_T2_T3_mT4_P12ihipStream_tbEUlT_E1_NS1_11comp_targetILNS1_3genE10ELNS1_11target_archE1201ELNS1_3gpuE5ELNS1_3repE0EEENS1_30default_config_static_selectorELNS0_4arch9wavefront6targetE1EEEvS14_.private_seg_size, 0
	.set _ZN7rocprim17ROCPRIM_400000_NS6detail17trampoline_kernelINS0_14default_configENS1_22reduce_config_selectorIN6thrust23THRUST_200600_302600_NS5tupleIblNS6_9null_typeES8_S8_S8_S8_S8_S8_S8_EEEEZNS1_11reduce_implILb1ES3_NS6_12zip_iteratorINS7_INS6_11hip_rocprim26transform_input_iterator_tIbNSD_35transform_pair_of_input_iterators_tIbNS6_6detail15normal_iteratorINS6_10device_ptrIKsEEEESL_NS6_8equal_toIsEEEENSG_9not_fun_tINSD_8identityEEEEENSD_19counting_iterator_tIlEES8_S8_S8_S8_S8_S8_S8_S8_EEEEPS9_S9_NSD_9__find_if7functorIS9_EEEE10hipError_tPvRmT1_T2_T3_mT4_P12ihipStream_tbEUlT_E1_NS1_11comp_targetILNS1_3genE10ELNS1_11target_archE1201ELNS1_3gpuE5ELNS1_3repE0EEENS1_30default_config_static_selectorELNS0_4arch9wavefront6targetE1EEEvS14_.uses_vcc, 0
	.set _ZN7rocprim17ROCPRIM_400000_NS6detail17trampoline_kernelINS0_14default_configENS1_22reduce_config_selectorIN6thrust23THRUST_200600_302600_NS5tupleIblNS6_9null_typeES8_S8_S8_S8_S8_S8_S8_EEEEZNS1_11reduce_implILb1ES3_NS6_12zip_iteratorINS7_INS6_11hip_rocprim26transform_input_iterator_tIbNSD_35transform_pair_of_input_iterators_tIbNS6_6detail15normal_iteratorINS6_10device_ptrIKsEEEESL_NS6_8equal_toIsEEEENSG_9not_fun_tINSD_8identityEEEEENSD_19counting_iterator_tIlEES8_S8_S8_S8_S8_S8_S8_S8_EEEEPS9_S9_NSD_9__find_if7functorIS9_EEEE10hipError_tPvRmT1_T2_T3_mT4_P12ihipStream_tbEUlT_E1_NS1_11comp_targetILNS1_3genE10ELNS1_11target_archE1201ELNS1_3gpuE5ELNS1_3repE0EEENS1_30default_config_static_selectorELNS0_4arch9wavefront6targetE1EEEvS14_.uses_flat_scratch, 0
	.set _ZN7rocprim17ROCPRIM_400000_NS6detail17trampoline_kernelINS0_14default_configENS1_22reduce_config_selectorIN6thrust23THRUST_200600_302600_NS5tupleIblNS6_9null_typeES8_S8_S8_S8_S8_S8_S8_EEEEZNS1_11reduce_implILb1ES3_NS6_12zip_iteratorINS7_INS6_11hip_rocprim26transform_input_iterator_tIbNSD_35transform_pair_of_input_iterators_tIbNS6_6detail15normal_iteratorINS6_10device_ptrIKsEEEESL_NS6_8equal_toIsEEEENSG_9not_fun_tINSD_8identityEEEEENSD_19counting_iterator_tIlEES8_S8_S8_S8_S8_S8_S8_S8_EEEEPS9_S9_NSD_9__find_if7functorIS9_EEEE10hipError_tPvRmT1_T2_T3_mT4_P12ihipStream_tbEUlT_E1_NS1_11comp_targetILNS1_3genE10ELNS1_11target_archE1201ELNS1_3gpuE5ELNS1_3repE0EEENS1_30default_config_static_selectorELNS0_4arch9wavefront6targetE1EEEvS14_.has_dyn_sized_stack, 0
	.set _ZN7rocprim17ROCPRIM_400000_NS6detail17trampoline_kernelINS0_14default_configENS1_22reduce_config_selectorIN6thrust23THRUST_200600_302600_NS5tupleIblNS6_9null_typeES8_S8_S8_S8_S8_S8_S8_EEEEZNS1_11reduce_implILb1ES3_NS6_12zip_iteratorINS7_INS6_11hip_rocprim26transform_input_iterator_tIbNSD_35transform_pair_of_input_iterators_tIbNS6_6detail15normal_iteratorINS6_10device_ptrIKsEEEESL_NS6_8equal_toIsEEEENSG_9not_fun_tINSD_8identityEEEEENSD_19counting_iterator_tIlEES8_S8_S8_S8_S8_S8_S8_S8_EEEEPS9_S9_NSD_9__find_if7functorIS9_EEEE10hipError_tPvRmT1_T2_T3_mT4_P12ihipStream_tbEUlT_E1_NS1_11comp_targetILNS1_3genE10ELNS1_11target_archE1201ELNS1_3gpuE5ELNS1_3repE0EEENS1_30default_config_static_selectorELNS0_4arch9wavefront6targetE1EEEvS14_.has_recursion, 0
	.set _ZN7rocprim17ROCPRIM_400000_NS6detail17trampoline_kernelINS0_14default_configENS1_22reduce_config_selectorIN6thrust23THRUST_200600_302600_NS5tupleIblNS6_9null_typeES8_S8_S8_S8_S8_S8_S8_EEEEZNS1_11reduce_implILb1ES3_NS6_12zip_iteratorINS7_INS6_11hip_rocprim26transform_input_iterator_tIbNSD_35transform_pair_of_input_iterators_tIbNS6_6detail15normal_iteratorINS6_10device_ptrIKsEEEESL_NS6_8equal_toIsEEEENSG_9not_fun_tINSD_8identityEEEEENSD_19counting_iterator_tIlEES8_S8_S8_S8_S8_S8_S8_S8_EEEEPS9_S9_NSD_9__find_if7functorIS9_EEEE10hipError_tPvRmT1_T2_T3_mT4_P12ihipStream_tbEUlT_E1_NS1_11comp_targetILNS1_3genE10ELNS1_11target_archE1201ELNS1_3gpuE5ELNS1_3repE0EEENS1_30default_config_static_selectorELNS0_4arch9wavefront6targetE1EEEvS14_.has_indirect_call, 0
	.section	.AMDGPU.csdata,"",@progbits
; Kernel info:
; codeLenInByte = 0
; TotalNumSgprs: 4
; NumVgprs: 0
; ScratchSize: 0
; MemoryBound: 0
; FloatMode: 240
; IeeeMode: 1
; LDSByteSize: 0 bytes/workgroup (compile time only)
; SGPRBlocks: 0
; VGPRBlocks: 0
; NumSGPRsForWavesPerEU: 4
; NumVGPRsForWavesPerEU: 1
; Occupancy: 10
; WaveLimiterHint : 0
; COMPUTE_PGM_RSRC2:SCRATCH_EN: 0
; COMPUTE_PGM_RSRC2:USER_SGPR: 6
; COMPUTE_PGM_RSRC2:TRAP_HANDLER: 0
; COMPUTE_PGM_RSRC2:TGID_X_EN: 1
; COMPUTE_PGM_RSRC2:TGID_Y_EN: 0
; COMPUTE_PGM_RSRC2:TGID_Z_EN: 0
; COMPUTE_PGM_RSRC2:TIDIG_COMP_CNT: 0
	.section	.text._ZN7rocprim17ROCPRIM_400000_NS6detail17trampoline_kernelINS0_14default_configENS1_22reduce_config_selectorIN6thrust23THRUST_200600_302600_NS5tupleIblNS6_9null_typeES8_S8_S8_S8_S8_S8_S8_EEEEZNS1_11reduce_implILb1ES3_NS6_12zip_iteratorINS7_INS6_11hip_rocprim26transform_input_iterator_tIbNSD_35transform_pair_of_input_iterators_tIbNS6_6detail15normal_iteratorINS6_10device_ptrIKsEEEESL_NS6_8equal_toIsEEEENSG_9not_fun_tINSD_8identityEEEEENSD_19counting_iterator_tIlEES8_S8_S8_S8_S8_S8_S8_S8_EEEEPS9_S9_NSD_9__find_if7functorIS9_EEEE10hipError_tPvRmT1_T2_T3_mT4_P12ihipStream_tbEUlT_E1_NS1_11comp_targetILNS1_3genE10ELNS1_11target_archE1200ELNS1_3gpuE4ELNS1_3repE0EEENS1_30default_config_static_selectorELNS0_4arch9wavefront6targetE1EEEvS14_,"axG",@progbits,_ZN7rocprim17ROCPRIM_400000_NS6detail17trampoline_kernelINS0_14default_configENS1_22reduce_config_selectorIN6thrust23THRUST_200600_302600_NS5tupleIblNS6_9null_typeES8_S8_S8_S8_S8_S8_S8_EEEEZNS1_11reduce_implILb1ES3_NS6_12zip_iteratorINS7_INS6_11hip_rocprim26transform_input_iterator_tIbNSD_35transform_pair_of_input_iterators_tIbNS6_6detail15normal_iteratorINS6_10device_ptrIKsEEEESL_NS6_8equal_toIsEEEENSG_9not_fun_tINSD_8identityEEEEENSD_19counting_iterator_tIlEES8_S8_S8_S8_S8_S8_S8_S8_EEEEPS9_S9_NSD_9__find_if7functorIS9_EEEE10hipError_tPvRmT1_T2_T3_mT4_P12ihipStream_tbEUlT_E1_NS1_11comp_targetILNS1_3genE10ELNS1_11target_archE1200ELNS1_3gpuE4ELNS1_3repE0EEENS1_30default_config_static_selectorELNS0_4arch9wavefront6targetE1EEEvS14_,comdat
	.protected	_ZN7rocprim17ROCPRIM_400000_NS6detail17trampoline_kernelINS0_14default_configENS1_22reduce_config_selectorIN6thrust23THRUST_200600_302600_NS5tupleIblNS6_9null_typeES8_S8_S8_S8_S8_S8_S8_EEEEZNS1_11reduce_implILb1ES3_NS6_12zip_iteratorINS7_INS6_11hip_rocprim26transform_input_iterator_tIbNSD_35transform_pair_of_input_iterators_tIbNS6_6detail15normal_iteratorINS6_10device_ptrIKsEEEESL_NS6_8equal_toIsEEEENSG_9not_fun_tINSD_8identityEEEEENSD_19counting_iterator_tIlEES8_S8_S8_S8_S8_S8_S8_S8_EEEEPS9_S9_NSD_9__find_if7functorIS9_EEEE10hipError_tPvRmT1_T2_T3_mT4_P12ihipStream_tbEUlT_E1_NS1_11comp_targetILNS1_3genE10ELNS1_11target_archE1200ELNS1_3gpuE4ELNS1_3repE0EEENS1_30default_config_static_selectorELNS0_4arch9wavefront6targetE1EEEvS14_ ; -- Begin function _ZN7rocprim17ROCPRIM_400000_NS6detail17trampoline_kernelINS0_14default_configENS1_22reduce_config_selectorIN6thrust23THRUST_200600_302600_NS5tupleIblNS6_9null_typeES8_S8_S8_S8_S8_S8_S8_EEEEZNS1_11reduce_implILb1ES3_NS6_12zip_iteratorINS7_INS6_11hip_rocprim26transform_input_iterator_tIbNSD_35transform_pair_of_input_iterators_tIbNS6_6detail15normal_iteratorINS6_10device_ptrIKsEEEESL_NS6_8equal_toIsEEEENSG_9not_fun_tINSD_8identityEEEEENSD_19counting_iterator_tIlEES8_S8_S8_S8_S8_S8_S8_S8_EEEEPS9_S9_NSD_9__find_if7functorIS9_EEEE10hipError_tPvRmT1_T2_T3_mT4_P12ihipStream_tbEUlT_E1_NS1_11comp_targetILNS1_3genE10ELNS1_11target_archE1200ELNS1_3gpuE4ELNS1_3repE0EEENS1_30default_config_static_selectorELNS0_4arch9wavefront6targetE1EEEvS14_
	.globl	_ZN7rocprim17ROCPRIM_400000_NS6detail17trampoline_kernelINS0_14default_configENS1_22reduce_config_selectorIN6thrust23THRUST_200600_302600_NS5tupleIblNS6_9null_typeES8_S8_S8_S8_S8_S8_S8_EEEEZNS1_11reduce_implILb1ES3_NS6_12zip_iteratorINS7_INS6_11hip_rocprim26transform_input_iterator_tIbNSD_35transform_pair_of_input_iterators_tIbNS6_6detail15normal_iteratorINS6_10device_ptrIKsEEEESL_NS6_8equal_toIsEEEENSG_9not_fun_tINSD_8identityEEEEENSD_19counting_iterator_tIlEES8_S8_S8_S8_S8_S8_S8_S8_EEEEPS9_S9_NSD_9__find_if7functorIS9_EEEE10hipError_tPvRmT1_T2_T3_mT4_P12ihipStream_tbEUlT_E1_NS1_11comp_targetILNS1_3genE10ELNS1_11target_archE1200ELNS1_3gpuE4ELNS1_3repE0EEENS1_30default_config_static_selectorELNS0_4arch9wavefront6targetE1EEEvS14_
	.p2align	8
	.type	_ZN7rocprim17ROCPRIM_400000_NS6detail17trampoline_kernelINS0_14default_configENS1_22reduce_config_selectorIN6thrust23THRUST_200600_302600_NS5tupleIblNS6_9null_typeES8_S8_S8_S8_S8_S8_S8_EEEEZNS1_11reduce_implILb1ES3_NS6_12zip_iteratorINS7_INS6_11hip_rocprim26transform_input_iterator_tIbNSD_35transform_pair_of_input_iterators_tIbNS6_6detail15normal_iteratorINS6_10device_ptrIKsEEEESL_NS6_8equal_toIsEEEENSG_9not_fun_tINSD_8identityEEEEENSD_19counting_iterator_tIlEES8_S8_S8_S8_S8_S8_S8_S8_EEEEPS9_S9_NSD_9__find_if7functorIS9_EEEE10hipError_tPvRmT1_T2_T3_mT4_P12ihipStream_tbEUlT_E1_NS1_11comp_targetILNS1_3genE10ELNS1_11target_archE1200ELNS1_3gpuE4ELNS1_3repE0EEENS1_30default_config_static_selectorELNS0_4arch9wavefront6targetE1EEEvS14_,@function
_ZN7rocprim17ROCPRIM_400000_NS6detail17trampoline_kernelINS0_14default_configENS1_22reduce_config_selectorIN6thrust23THRUST_200600_302600_NS5tupleIblNS6_9null_typeES8_S8_S8_S8_S8_S8_S8_EEEEZNS1_11reduce_implILb1ES3_NS6_12zip_iteratorINS7_INS6_11hip_rocprim26transform_input_iterator_tIbNSD_35transform_pair_of_input_iterators_tIbNS6_6detail15normal_iteratorINS6_10device_ptrIKsEEEESL_NS6_8equal_toIsEEEENSG_9not_fun_tINSD_8identityEEEEENSD_19counting_iterator_tIlEES8_S8_S8_S8_S8_S8_S8_S8_EEEEPS9_S9_NSD_9__find_if7functorIS9_EEEE10hipError_tPvRmT1_T2_T3_mT4_P12ihipStream_tbEUlT_E1_NS1_11comp_targetILNS1_3genE10ELNS1_11target_archE1200ELNS1_3gpuE4ELNS1_3repE0EEENS1_30default_config_static_selectorELNS0_4arch9wavefront6targetE1EEEvS14_: ; @_ZN7rocprim17ROCPRIM_400000_NS6detail17trampoline_kernelINS0_14default_configENS1_22reduce_config_selectorIN6thrust23THRUST_200600_302600_NS5tupleIblNS6_9null_typeES8_S8_S8_S8_S8_S8_S8_EEEEZNS1_11reduce_implILb1ES3_NS6_12zip_iteratorINS7_INS6_11hip_rocprim26transform_input_iterator_tIbNSD_35transform_pair_of_input_iterators_tIbNS6_6detail15normal_iteratorINS6_10device_ptrIKsEEEESL_NS6_8equal_toIsEEEENSG_9not_fun_tINSD_8identityEEEEENSD_19counting_iterator_tIlEES8_S8_S8_S8_S8_S8_S8_S8_EEEEPS9_S9_NSD_9__find_if7functorIS9_EEEE10hipError_tPvRmT1_T2_T3_mT4_P12ihipStream_tbEUlT_E1_NS1_11comp_targetILNS1_3genE10ELNS1_11target_archE1200ELNS1_3gpuE4ELNS1_3repE0EEENS1_30default_config_static_selectorELNS0_4arch9wavefront6targetE1EEEvS14_
; %bb.0:
	.section	.rodata,"a",@progbits
	.p2align	6, 0x0
	.amdhsa_kernel _ZN7rocprim17ROCPRIM_400000_NS6detail17trampoline_kernelINS0_14default_configENS1_22reduce_config_selectorIN6thrust23THRUST_200600_302600_NS5tupleIblNS6_9null_typeES8_S8_S8_S8_S8_S8_S8_EEEEZNS1_11reduce_implILb1ES3_NS6_12zip_iteratorINS7_INS6_11hip_rocprim26transform_input_iterator_tIbNSD_35transform_pair_of_input_iterators_tIbNS6_6detail15normal_iteratorINS6_10device_ptrIKsEEEESL_NS6_8equal_toIsEEEENSG_9not_fun_tINSD_8identityEEEEENSD_19counting_iterator_tIlEES8_S8_S8_S8_S8_S8_S8_S8_EEEEPS9_S9_NSD_9__find_if7functorIS9_EEEE10hipError_tPvRmT1_T2_T3_mT4_P12ihipStream_tbEUlT_E1_NS1_11comp_targetILNS1_3genE10ELNS1_11target_archE1200ELNS1_3gpuE4ELNS1_3repE0EEENS1_30default_config_static_selectorELNS0_4arch9wavefront6targetE1EEEvS14_
		.amdhsa_group_segment_fixed_size 0
		.amdhsa_private_segment_fixed_size 0
		.amdhsa_kernarg_size 88
		.amdhsa_user_sgpr_count 6
		.amdhsa_user_sgpr_private_segment_buffer 1
		.amdhsa_user_sgpr_dispatch_ptr 0
		.amdhsa_user_sgpr_queue_ptr 0
		.amdhsa_user_sgpr_kernarg_segment_ptr 1
		.amdhsa_user_sgpr_dispatch_id 0
		.amdhsa_user_sgpr_flat_scratch_init 0
		.amdhsa_user_sgpr_private_segment_size 0
		.amdhsa_uses_dynamic_stack 0
		.amdhsa_system_sgpr_private_segment_wavefront_offset 0
		.amdhsa_system_sgpr_workgroup_id_x 1
		.amdhsa_system_sgpr_workgroup_id_y 0
		.amdhsa_system_sgpr_workgroup_id_z 0
		.amdhsa_system_sgpr_workgroup_info 0
		.amdhsa_system_vgpr_workitem_id 0
		.amdhsa_next_free_vgpr 1
		.amdhsa_next_free_sgpr 0
		.amdhsa_reserve_vcc 0
		.amdhsa_reserve_flat_scratch 0
		.amdhsa_float_round_mode_32 0
		.amdhsa_float_round_mode_16_64 0
		.amdhsa_float_denorm_mode_32 3
		.amdhsa_float_denorm_mode_16_64 3
		.amdhsa_dx10_clamp 1
		.amdhsa_ieee_mode 1
		.amdhsa_fp16_overflow 0
		.amdhsa_exception_fp_ieee_invalid_op 0
		.amdhsa_exception_fp_denorm_src 0
		.amdhsa_exception_fp_ieee_div_zero 0
		.amdhsa_exception_fp_ieee_overflow 0
		.amdhsa_exception_fp_ieee_underflow 0
		.amdhsa_exception_fp_ieee_inexact 0
		.amdhsa_exception_int_div_zero 0
	.end_amdhsa_kernel
	.section	.text._ZN7rocprim17ROCPRIM_400000_NS6detail17trampoline_kernelINS0_14default_configENS1_22reduce_config_selectorIN6thrust23THRUST_200600_302600_NS5tupleIblNS6_9null_typeES8_S8_S8_S8_S8_S8_S8_EEEEZNS1_11reduce_implILb1ES3_NS6_12zip_iteratorINS7_INS6_11hip_rocprim26transform_input_iterator_tIbNSD_35transform_pair_of_input_iterators_tIbNS6_6detail15normal_iteratorINS6_10device_ptrIKsEEEESL_NS6_8equal_toIsEEEENSG_9not_fun_tINSD_8identityEEEEENSD_19counting_iterator_tIlEES8_S8_S8_S8_S8_S8_S8_S8_EEEEPS9_S9_NSD_9__find_if7functorIS9_EEEE10hipError_tPvRmT1_T2_T3_mT4_P12ihipStream_tbEUlT_E1_NS1_11comp_targetILNS1_3genE10ELNS1_11target_archE1200ELNS1_3gpuE4ELNS1_3repE0EEENS1_30default_config_static_selectorELNS0_4arch9wavefront6targetE1EEEvS14_,"axG",@progbits,_ZN7rocprim17ROCPRIM_400000_NS6detail17trampoline_kernelINS0_14default_configENS1_22reduce_config_selectorIN6thrust23THRUST_200600_302600_NS5tupleIblNS6_9null_typeES8_S8_S8_S8_S8_S8_S8_EEEEZNS1_11reduce_implILb1ES3_NS6_12zip_iteratorINS7_INS6_11hip_rocprim26transform_input_iterator_tIbNSD_35transform_pair_of_input_iterators_tIbNS6_6detail15normal_iteratorINS6_10device_ptrIKsEEEESL_NS6_8equal_toIsEEEENSG_9not_fun_tINSD_8identityEEEEENSD_19counting_iterator_tIlEES8_S8_S8_S8_S8_S8_S8_S8_EEEEPS9_S9_NSD_9__find_if7functorIS9_EEEE10hipError_tPvRmT1_T2_T3_mT4_P12ihipStream_tbEUlT_E1_NS1_11comp_targetILNS1_3genE10ELNS1_11target_archE1200ELNS1_3gpuE4ELNS1_3repE0EEENS1_30default_config_static_selectorELNS0_4arch9wavefront6targetE1EEEvS14_,comdat
.Lfunc_end570:
	.size	_ZN7rocprim17ROCPRIM_400000_NS6detail17trampoline_kernelINS0_14default_configENS1_22reduce_config_selectorIN6thrust23THRUST_200600_302600_NS5tupleIblNS6_9null_typeES8_S8_S8_S8_S8_S8_S8_EEEEZNS1_11reduce_implILb1ES3_NS6_12zip_iteratorINS7_INS6_11hip_rocprim26transform_input_iterator_tIbNSD_35transform_pair_of_input_iterators_tIbNS6_6detail15normal_iteratorINS6_10device_ptrIKsEEEESL_NS6_8equal_toIsEEEENSG_9not_fun_tINSD_8identityEEEEENSD_19counting_iterator_tIlEES8_S8_S8_S8_S8_S8_S8_S8_EEEEPS9_S9_NSD_9__find_if7functorIS9_EEEE10hipError_tPvRmT1_T2_T3_mT4_P12ihipStream_tbEUlT_E1_NS1_11comp_targetILNS1_3genE10ELNS1_11target_archE1200ELNS1_3gpuE4ELNS1_3repE0EEENS1_30default_config_static_selectorELNS0_4arch9wavefront6targetE1EEEvS14_, .Lfunc_end570-_ZN7rocprim17ROCPRIM_400000_NS6detail17trampoline_kernelINS0_14default_configENS1_22reduce_config_selectorIN6thrust23THRUST_200600_302600_NS5tupleIblNS6_9null_typeES8_S8_S8_S8_S8_S8_S8_EEEEZNS1_11reduce_implILb1ES3_NS6_12zip_iteratorINS7_INS6_11hip_rocprim26transform_input_iterator_tIbNSD_35transform_pair_of_input_iterators_tIbNS6_6detail15normal_iteratorINS6_10device_ptrIKsEEEESL_NS6_8equal_toIsEEEENSG_9not_fun_tINSD_8identityEEEEENSD_19counting_iterator_tIlEES8_S8_S8_S8_S8_S8_S8_S8_EEEEPS9_S9_NSD_9__find_if7functorIS9_EEEE10hipError_tPvRmT1_T2_T3_mT4_P12ihipStream_tbEUlT_E1_NS1_11comp_targetILNS1_3genE10ELNS1_11target_archE1200ELNS1_3gpuE4ELNS1_3repE0EEENS1_30default_config_static_selectorELNS0_4arch9wavefront6targetE1EEEvS14_
                                        ; -- End function
	.set _ZN7rocprim17ROCPRIM_400000_NS6detail17trampoline_kernelINS0_14default_configENS1_22reduce_config_selectorIN6thrust23THRUST_200600_302600_NS5tupleIblNS6_9null_typeES8_S8_S8_S8_S8_S8_S8_EEEEZNS1_11reduce_implILb1ES3_NS6_12zip_iteratorINS7_INS6_11hip_rocprim26transform_input_iterator_tIbNSD_35transform_pair_of_input_iterators_tIbNS6_6detail15normal_iteratorINS6_10device_ptrIKsEEEESL_NS6_8equal_toIsEEEENSG_9not_fun_tINSD_8identityEEEEENSD_19counting_iterator_tIlEES8_S8_S8_S8_S8_S8_S8_S8_EEEEPS9_S9_NSD_9__find_if7functorIS9_EEEE10hipError_tPvRmT1_T2_T3_mT4_P12ihipStream_tbEUlT_E1_NS1_11comp_targetILNS1_3genE10ELNS1_11target_archE1200ELNS1_3gpuE4ELNS1_3repE0EEENS1_30default_config_static_selectorELNS0_4arch9wavefront6targetE1EEEvS14_.num_vgpr, 0
	.set _ZN7rocprim17ROCPRIM_400000_NS6detail17trampoline_kernelINS0_14default_configENS1_22reduce_config_selectorIN6thrust23THRUST_200600_302600_NS5tupleIblNS6_9null_typeES8_S8_S8_S8_S8_S8_S8_EEEEZNS1_11reduce_implILb1ES3_NS6_12zip_iteratorINS7_INS6_11hip_rocprim26transform_input_iterator_tIbNSD_35transform_pair_of_input_iterators_tIbNS6_6detail15normal_iteratorINS6_10device_ptrIKsEEEESL_NS6_8equal_toIsEEEENSG_9not_fun_tINSD_8identityEEEEENSD_19counting_iterator_tIlEES8_S8_S8_S8_S8_S8_S8_S8_EEEEPS9_S9_NSD_9__find_if7functorIS9_EEEE10hipError_tPvRmT1_T2_T3_mT4_P12ihipStream_tbEUlT_E1_NS1_11comp_targetILNS1_3genE10ELNS1_11target_archE1200ELNS1_3gpuE4ELNS1_3repE0EEENS1_30default_config_static_selectorELNS0_4arch9wavefront6targetE1EEEvS14_.num_agpr, 0
	.set _ZN7rocprim17ROCPRIM_400000_NS6detail17trampoline_kernelINS0_14default_configENS1_22reduce_config_selectorIN6thrust23THRUST_200600_302600_NS5tupleIblNS6_9null_typeES8_S8_S8_S8_S8_S8_S8_EEEEZNS1_11reduce_implILb1ES3_NS6_12zip_iteratorINS7_INS6_11hip_rocprim26transform_input_iterator_tIbNSD_35transform_pair_of_input_iterators_tIbNS6_6detail15normal_iteratorINS6_10device_ptrIKsEEEESL_NS6_8equal_toIsEEEENSG_9not_fun_tINSD_8identityEEEEENSD_19counting_iterator_tIlEES8_S8_S8_S8_S8_S8_S8_S8_EEEEPS9_S9_NSD_9__find_if7functorIS9_EEEE10hipError_tPvRmT1_T2_T3_mT4_P12ihipStream_tbEUlT_E1_NS1_11comp_targetILNS1_3genE10ELNS1_11target_archE1200ELNS1_3gpuE4ELNS1_3repE0EEENS1_30default_config_static_selectorELNS0_4arch9wavefront6targetE1EEEvS14_.numbered_sgpr, 0
	.set _ZN7rocprim17ROCPRIM_400000_NS6detail17trampoline_kernelINS0_14default_configENS1_22reduce_config_selectorIN6thrust23THRUST_200600_302600_NS5tupleIblNS6_9null_typeES8_S8_S8_S8_S8_S8_S8_EEEEZNS1_11reduce_implILb1ES3_NS6_12zip_iteratorINS7_INS6_11hip_rocprim26transform_input_iterator_tIbNSD_35transform_pair_of_input_iterators_tIbNS6_6detail15normal_iteratorINS6_10device_ptrIKsEEEESL_NS6_8equal_toIsEEEENSG_9not_fun_tINSD_8identityEEEEENSD_19counting_iterator_tIlEES8_S8_S8_S8_S8_S8_S8_S8_EEEEPS9_S9_NSD_9__find_if7functorIS9_EEEE10hipError_tPvRmT1_T2_T3_mT4_P12ihipStream_tbEUlT_E1_NS1_11comp_targetILNS1_3genE10ELNS1_11target_archE1200ELNS1_3gpuE4ELNS1_3repE0EEENS1_30default_config_static_selectorELNS0_4arch9wavefront6targetE1EEEvS14_.num_named_barrier, 0
	.set _ZN7rocprim17ROCPRIM_400000_NS6detail17trampoline_kernelINS0_14default_configENS1_22reduce_config_selectorIN6thrust23THRUST_200600_302600_NS5tupleIblNS6_9null_typeES8_S8_S8_S8_S8_S8_S8_EEEEZNS1_11reduce_implILb1ES3_NS6_12zip_iteratorINS7_INS6_11hip_rocprim26transform_input_iterator_tIbNSD_35transform_pair_of_input_iterators_tIbNS6_6detail15normal_iteratorINS6_10device_ptrIKsEEEESL_NS6_8equal_toIsEEEENSG_9not_fun_tINSD_8identityEEEEENSD_19counting_iterator_tIlEES8_S8_S8_S8_S8_S8_S8_S8_EEEEPS9_S9_NSD_9__find_if7functorIS9_EEEE10hipError_tPvRmT1_T2_T3_mT4_P12ihipStream_tbEUlT_E1_NS1_11comp_targetILNS1_3genE10ELNS1_11target_archE1200ELNS1_3gpuE4ELNS1_3repE0EEENS1_30default_config_static_selectorELNS0_4arch9wavefront6targetE1EEEvS14_.private_seg_size, 0
	.set _ZN7rocprim17ROCPRIM_400000_NS6detail17trampoline_kernelINS0_14default_configENS1_22reduce_config_selectorIN6thrust23THRUST_200600_302600_NS5tupleIblNS6_9null_typeES8_S8_S8_S8_S8_S8_S8_EEEEZNS1_11reduce_implILb1ES3_NS6_12zip_iteratorINS7_INS6_11hip_rocprim26transform_input_iterator_tIbNSD_35transform_pair_of_input_iterators_tIbNS6_6detail15normal_iteratorINS6_10device_ptrIKsEEEESL_NS6_8equal_toIsEEEENSG_9not_fun_tINSD_8identityEEEEENSD_19counting_iterator_tIlEES8_S8_S8_S8_S8_S8_S8_S8_EEEEPS9_S9_NSD_9__find_if7functorIS9_EEEE10hipError_tPvRmT1_T2_T3_mT4_P12ihipStream_tbEUlT_E1_NS1_11comp_targetILNS1_3genE10ELNS1_11target_archE1200ELNS1_3gpuE4ELNS1_3repE0EEENS1_30default_config_static_selectorELNS0_4arch9wavefront6targetE1EEEvS14_.uses_vcc, 0
	.set _ZN7rocprim17ROCPRIM_400000_NS6detail17trampoline_kernelINS0_14default_configENS1_22reduce_config_selectorIN6thrust23THRUST_200600_302600_NS5tupleIblNS6_9null_typeES8_S8_S8_S8_S8_S8_S8_EEEEZNS1_11reduce_implILb1ES3_NS6_12zip_iteratorINS7_INS6_11hip_rocprim26transform_input_iterator_tIbNSD_35transform_pair_of_input_iterators_tIbNS6_6detail15normal_iteratorINS6_10device_ptrIKsEEEESL_NS6_8equal_toIsEEEENSG_9not_fun_tINSD_8identityEEEEENSD_19counting_iterator_tIlEES8_S8_S8_S8_S8_S8_S8_S8_EEEEPS9_S9_NSD_9__find_if7functorIS9_EEEE10hipError_tPvRmT1_T2_T3_mT4_P12ihipStream_tbEUlT_E1_NS1_11comp_targetILNS1_3genE10ELNS1_11target_archE1200ELNS1_3gpuE4ELNS1_3repE0EEENS1_30default_config_static_selectorELNS0_4arch9wavefront6targetE1EEEvS14_.uses_flat_scratch, 0
	.set _ZN7rocprim17ROCPRIM_400000_NS6detail17trampoline_kernelINS0_14default_configENS1_22reduce_config_selectorIN6thrust23THRUST_200600_302600_NS5tupleIblNS6_9null_typeES8_S8_S8_S8_S8_S8_S8_EEEEZNS1_11reduce_implILb1ES3_NS6_12zip_iteratorINS7_INS6_11hip_rocprim26transform_input_iterator_tIbNSD_35transform_pair_of_input_iterators_tIbNS6_6detail15normal_iteratorINS6_10device_ptrIKsEEEESL_NS6_8equal_toIsEEEENSG_9not_fun_tINSD_8identityEEEEENSD_19counting_iterator_tIlEES8_S8_S8_S8_S8_S8_S8_S8_EEEEPS9_S9_NSD_9__find_if7functorIS9_EEEE10hipError_tPvRmT1_T2_T3_mT4_P12ihipStream_tbEUlT_E1_NS1_11comp_targetILNS1_3genE10ELNS1_11target_archE1200ELNS1_3gpuE4ELNS1_3repE0EEENS1_30default_config_static_selectorELNS0_4arch9wavefront6targetE1EEEvS14_.has_dyn_sized_stack, 0
	.set _ZN7rocprim17ROCPRIM_400000_NS6detail17trampoline_kernelINS0_14default_configENS1_22reduce_config_selectorIN6thrust23THRUST_200600_302600_NS5tupleIblNS6_9null_typeES8_S8_S8_S8_S8_S8_S8_EEEEZNS1_11reduce_implILb1ES3_NS6_12zip_iteratorINS7_INS6_11hip_rocprim26transform_input_iterator_tIbNSD_35transform_pair_of_input_iterators_tIbNS6_6detail15normal_iteratorINS6_10device_ptrIKsEEEESL_NS6_8equal_toIsEEEENSG_9not_fun_tINSD_8identityEEEEENSD_19counting_iterator_tIlEES8_S8_S8_S8_S8_S8_S8_S8_EEEEPS9_S9_NSD_9__find_if7functorIS9_EEEE10hipError_tPvRmT1_T2_T3_mT4_P12ihipStream_tbEUlT_E1_NS1_11comp_targetILNS1_3genE10ELNS1_11target_archE1200ELNS1_3gpuE4ELNS1_3repE0EEENS1_30default_config_static_selectorELNS0_4arch9wavefront6targetE1EEEvS14_.has_recursion, 0
	.set _ZN7rocprim17ROCPRIM_400000_NS6detail17trampoline_kernelINS0_14default_configENS1_22reduce_config_selectorIN6thrust23THRUST_200600_302600_NS5tupleIblNS6_9null_typeES8_S8_S8_S8_S8_S8_S8_EEEEZNS1_11reduce_implILb1ES3_NS6_12zip_iteratorINS7_INS6_11hip_rocprim26transform_input_iterator_tIbNSD_35transform_pair_of_input_iterators_tIbNS6_6detail15normal_iteratorINS6_10device_ptrIKsEEEESL_NS6_8equal_toIsEEEENSG_9not_fun_tINSD_8identityEEEEENSD_19counting_iterator_tIlEES8_S8_S8_S8_S8_S8_S8_S8_EEEEPS9_S9_NSD_9__find_if7functorIS9_EEEE10hipError_tPvRmT1_T2_T3_mT4_P12ihipStream_tbEUlT_E1_NS1_11comp_targetILNS1_3genE10ELNS1_11target_archE1200ELNS1_3gpuE4ELNS1_3repE0EEENS1_30default_config_static_selectorELNS0_4arch9wavefront6targetE1EEEvS14_.has_indirect_call, 0
	.section	.AMDGPU.csdata,"",@progbits
; Kernel info:
; codeLenInByte = 0
; TotalNumSgprs: 4
; NumVgprs: 0
; ScratchSize: 0
; MemoryBound: 0
; FloatMode: 240
; IeeeMode: 1
; LDSByteSize: 0 bytes/workgroup (compile time only)
; SGPRBlocks: 0
; VGPRBlocks: 0
; NumSGPRsForWavesPerEU: 4
; NumVGPRsForWavesPerEU: 1
; Occupancy: 10
; WaveLimiterHint : 0
; COMPUTE_PGM_RSRC2:SCRATCH_EN: 0
; COMPUTE_PGM_RSRC2:USER_SGPR: 6
; COMPUTE_PGM_RSRC2:TRAP_HANDLER: 0
; COMPUTE_PGM_RSRC2:TGID_X_EN: 1
; COMPUTE_PGM_RSRC2:TGID_Y_EN: 0
; COMPUTE_PGM_RSRC2:TGID_Z_EN: 0
; COMPUTE_PGM_RSRC2:TIDIG_COMP_CNT: 0
	.section	.text._ZN7rocprim17ROCPRIM_400000_NS6detail17trampoline_kernelINS0_14default_configENS1_22reduce_config_selectorIN6thrust23THRUST_200600_302600_NS5tupleIblNS6_9null_typeES8_S8_S8_S8_S8_S8_S8_EEEEZNS1_11reduce_implILb1ES3_NS6_12zip_iteratorINS7_INS6_11hip_rocprim26transform_input_iterator_tIbNSD_35transform_pair_of_input_iterators_tIbNS6_6detail15normal_iteratorINS6_10device_ptrIKsEEEESL_NS6_8equal_toIsEEEENSG_9not_fun_tINSD_8identityEEEEENSD_19counting_iterator_tIlEES8_S8_S8_S8_S8_S8_S8_S8_EEEEPS9_S9_NSD_9__find_if7functorIS9_EEEE10hipError_tPvRmT1_T2_T3_mT4_P12ihipStream_tbEUlT_E1_NS1_11comp_targetILNS1_3genE9ELNS1_11target_archE1100ELNS1_3gpuE3ELNS1_3repE0EEENS1_30default_config_static_selectorELNS0_4arch9wavefront6targetE1EEEvS14_,"axG",@progbits,_ZN7rocprim17ROCPRIM_400000_NS6detail17trampoline_kernelINS0_14default_configENS1_22reduce_config_selectorIN6thrust23THRUST_200600_302600_NS5tupleIblNS6_9null_typeES8_S8_S8_S8_S8_S8_S8_EEEEZNS1_11reduce_implILb1ES3_NS6_12zip_iteratorINS7_INS6_11hip_rocprim26transform_input_iterator_tIbNSD_35transform_pair_of_input_iterators_tIbNS6_6detail15normal_iteratorINS6_10device_ptrIKsEEEESL_NS6_8equal_toIsEEEENSG_9not_fun_tINSD_8identityEEEEENSD_19counting_iterator_tIlEES8_S8_S8_S8_S8_S8_S8_S8_EEEEPS9_S9_NSD_9__find_if7functorIS9_EEEE10hipError_tPvRmT1_T2_T3_mT4_P12ihipStream_tbEUlT_E1_NS1_11comp_targetILNS1_3genE9ELNS1_11target_archE1100ELNS1_3gpuE3ELNS1_3repE0EEENS1_30default_config_static_selectorELNS0_4arch9wavefront6targetE1EEEvS14_,comdat
	.protected	_ZN7rocprim17ROCPRIM_400000_NS6detail17trampoline_kernelINS0_14default_configENS1_22reduce_config_selectorIN6thrust23THRUST_200600_302600_NS5tupleIblNS6_9null_typeES8_S8_S8_S8_S8_S8_S8_EEEEZNS1_11reduce_implILb1ES3_NS6_12zip_iteratorINS7_INS6_11hip_rocprim26transform_input_iterator_tIbNSD_35transform_pair_of_input_iterators_tIbNS6_6detail15normal_iteratorINS6_10device_ptrIKsEEEESL_NS6_8equal_toIsEEEENSG_9not_fun_tINSD_8identityEEEEENSD_19counting_iterator_tIlEES8_S8_S8_S8_S8_S8_S8_S8_EEEEPS9_S9_NSD_9__find_if7functorIS9_EEEE10hipError_tPvRmT1_T2_T3_mT4_P12ihipStream_tbEUlT_E1_NS1_11comp_targetILNS1_3genE9ELNS1_11target_archE1100ELNS1_3gpuE3ELNS1_3repE0EEENS1_30default_config_static_selectorELNS0_4arch9wavefront6targetE1EEEvS14_ ; -- Begin function _ZN7rocprim17ROCPRIM_400000_NS6detail17trampoline_kernelINS0_14default_configENS1_22reduce_config_selectorIN6thrust23THRUST_200600_302600_NS5tupleIblNS6_9null_typeES8_S8_S8_S8_S8_S8_S8_EEEEZNS1_11reduce_implILb1ES3_NS6_12zip_iteratorINS7_INS6_11hip_rocprim26transform_input_iterator_tIbNSD_35transform_pair_of_input_iterators_tIbNS6_6detail15normal_iteratorINS6_10device_ptrIKsEEEESL_NS6_8equal_toIsEEEENSG_9not_fun_tINSD_8identityEEEEENSD_19counting_iterator_tIlEES8_S8_S8_S8_S8_S8_S8_S8_EEEEPS9_S9_NSD_9__find_if7functorIS9_EEEE10hipError_tPvRmT1_T2_T3_mT4_P12ihipStream_tbEUlT_E1_NS1_11comp_targetILNS1_3genE9ELNS1_11target_archE1100ELNS1_3gpuE3ELNS1_3repE0EEENS1_30default_config_static_selectorELNS0_4arch9wavefront6targetE1EEEvS14_
	.globl	_ZN7rocprim17ROCPRIM_400000_NS6detail17trampoline_kernelINS0_14default_configENS1_22reduce_config_selectorIN6thrust23THRUST_200600_302600_NS5tupleIblNS6_9null_typeES8_S8_S8_S8_S8_S8_S8_EEEEZNS1_11reduce_implILb1ES3_NS6_12zip_iteratorINS7_INS6_11hip_rocprim26transform_input_iterator_tIbNSD_35transform_pair_of_input_iterators_tIbNS6_6detail15normal_iteratorINS6_10device_ptrIKsEEEESL_NS6_8equal_toIsEEEENSG_9not_fun_tINSD_8identityEEEEENSD_19counting_iterator_tIlEES8_S8_S8_S8_S8_S8_S8_S8_EEEEPS9_S9_NSD_9__find_if7functorIS9_EEEE10hipError_tPvRmT1_T2_T3_mT4_P12ihipStream_tbEUlT_E1_NS1_11comp_targetILNS1_3genE9ELNS1_11target_archE1100ELNS1_3gpuE3ELNS1_3repE0EEENS1_30default_config_static_selectorELNS0_4arch9wavefront6targetE1EEEvS14_
	.p2align	8
	.type	_ZN7rocprim17ROCPRIM_400000_NS6detail17trampoline_kernelINS0_14default_configENS1_22reduce_config_selectorIN6thrust23THRUST_200600_302600_NS5tupleIblNS6_9null_typeES8_S8_S8_S8_S8_S8_S8_EEEEZNS1_11reduce_implILb1ES3_NS6_12zip_iteratorINS7_INS6_11hip_rocprim26transform_input_iterator_tIbNSD_35transform_pair_of_input_iterators_tIbNS6_6detail15normal_iteratorINS6_10device_ptrIKsEEEESL_NS6_8equal_toIsEEEENSG_9not_fun_tINSD_8identityEEEEENSD_19counting_iterator_tIlEES8_S8_S8_S8_S8_S8_S8_S8_EEEEPS9_S9_NSD_9__find_if7functorIS9_EEEE10hipError_tPvRmT1_T2_T3_mT4_P12ihipStream_tbEUlT_E1_NS1_11comp_targetILNS1_3genE9ELNS1_11target_archE1100ELNS1_3gpuE3ELNS1_3repE0EEENS1_30default_config_static_selectorELNS0_4arch9wavefront6targetE1EEEvS14_,@function
_ZN7rocprim17ROCPRIM_400000_NS6detail17trampoline_kernelINS0_14default_configENS1_22reduce_config_selectorIN6thrust23THRUST_200600_302600_NS5tupleIblNS6_9null_typeES8_S8_S8_S8_S8_S8_S8_EEEEZNS1_11reduce_implILb1ES3_NS6_12zip_iteratorINS7_INS6_11hip_rocprim26transform_input_iterator_tIbNSD_35transform_pair_of_input_iterators_tIbNS6_6detail15normal_iteratorINS6_10device_ptrIKsEEEESL_NS6_8equal_toIsEEEENSG_9not_fun_tINSD_8identityEEEEENSD_19counting_iterator_tIlEES8_S8_S8_S8_S8_S8_S8_S8_EEEEPS9_S9_NSD_9__find_if7functorIS9_EEEE10hipError_tPvRmT1_T2_T3_mT4_P12ihipStream_tbEUlT_E1_NS1_11comp_targetILNS1_3genE9ELNS1_11target_archE1100ELNS1_3gpuE3ELNS1_3repE0EEENS1_30default_config_static_selectorELNS0_4arch9wavefront6targetE1EEEvS14_: ; @_ZN7rocprim17ROCPRIM_400000_NS6detail17trampoline_kernelINS0_14default_configENS1_22reduce_config_selectorIN6thrust23THRUST_200600_302600_NS5tupleIblNS6_9null_typeES8_S8_S8_S8_S8_S8_S8_EEEEZNS1_11reduce_implILb1ES3_NS6_12zip_iteratorINS7_INS6_11hip_rocprim26transform_input_iterator_tIbNSD_35transform_pair_of_input_iterators_tIbNS6_6detail15normal_iteratorINS6_10device_ptrIKsEEEESL_NS6_8equal_toIsEEEENSG_9not_fun_tINSD_8identityEEEEENSD_19counting_iterator_tIlEES8_S8_S8_S8_S8_S8_S8_S8_EEEEPS9_S9_NSD_9__find_if7functorIS9_EEEE10hipError_tPvRmT1_T2_T3_mT4_P12ihipStream_tbEUlT_E1_NS1_11comp_targetILNS1_3genE9ELNS1_11target_archE1100ELNS1_3gpuE3ELNS1_3repE0EEENS1_30default_config_static_selectorELNS0_4arch9wavefront6targetE1EEEvS14_
; %bb.0:
	.section	.rodata,"a",@progbits
	.p2align	6, 0x0
	.amdhsa_kernel _ZN7rocprim17ROCPRIM_400000_NS6detail17trampoline_kernelINS0_14default_configENS1_22reduce_config_selectorIN6thrust23THRUST_200600_302600_NS5tupleIblNS6_9null_typeES8_S8_S8_S8_S8_S8_S8_EEEEZNS1_11reduce_implILb1ES3_NS6_12zip_iteratorINS7_INS6_11hip_rocprim26transform_input_iterator_tIbNSD_35transform_pair_of_input_iterators_tIbNS6_6detail15normal_iteratorINS6_10device_ptrIKsEEEESL_NS6_8equal_toIsEEEENSG_9not_fun_tINSD_8identityEEEEENSD_19counting_iterator_tIlEES8_S8_S8_S8_S8_S8_S8_S8_EEEEPS9_S9_NSD_9__find_if7functorIS9_EEEE10hipError_tPvRmT1_T2_T3_mT4_P12ihipStream_tbEUlT_E1_NS1_11comp_targetILNS1_3genE9ELNS1_11target_archE1100ELNS1_3gpuE3ELNS1_3repE0EEENS1_30default_config_static_selectorELNS0_4arch9wavefront6targetE1EEEvS14_
		.amdhsa_group_segment_fixed_size 0
		.amdhsa_private_segment_fixed_size 0
		.amdhsa_kernarg_size 88
		.amdhsa_user_sgpr_count 6
		.amdhsa_user_sgpr_private_segment_buffer 1
		.amdhsa_user_sgpr_dispatch_ptr 0
		.amdhsa_user_sgpr_queue_ptr 0
		.amdhsa_user_sgpr_kernarg_segment_ptr 1
		.amdhsa_user_sgpr_dispatch_id 0
		.amdhsa_user_sgpr_flat_scratch_init 0
		.amdhsa_user_sgpr_private_segment_size 0
		.amdhsa_uses_dynamic_stack 0
		.amdhsa_system_sgpr_private_segment_wavefront_offset 0
		.amdhsa_system_sgpr_workgroup_id_x 1
		.amdhsa_system_sgpr_workgroup_id_y 0
		.amdhsa_system_sgpr_workgroup_id_z 0
		.amdhsa_system_sgpr_workgroup_info 0
		.amdhsa_system_vgpr_workitem_id 0
		.amdhsa_next_free_vgpr 1
		.amdhsa_next_free_sgpr 0
		.amdhsa_reserve_vcc 0
		.amdhsa_reserve_flat_scratch 0
		.amdhsa_float_round_mode_32 0
		.amdhsa_float_round_mode_16_64 0
		.amdhsa_float_denorm_mode_32 3
		.amdhsa_float_denorm_mode_16_64 3
		.amdhsa_dx10_clamp 1
		.amdhsa_ieee_mode 1
		.amdhsa_fp16_overflow 0
		.amdhsa_exception_fp_ieee_invalid_op 0
		.amdhsa_exception_fp_denorm_src 0
		.amdhsa_exception_fp_ieee_div_zero 0
		.amdhsa_exception_fp_ieee_overflow 0
		.amdhsa_exception_fp_ieee_underflow 0
		.amdhsa_exception_fp_ieee_inexact 0
		.amdhsa_exception_int_div_zero 0
	.end_amdhsa_kernel
	.section	.text._ZN7rocprim17ROCPRIM_400000_NS6detail17trampoline_kernelINS0_14default_configENS1_22reduce_config_selectorIN6thrust23THRUST_200600_302600_NS5tupleIblNS6_9null_typeES8_S8_S8_S8_S8_S8_S8_EEEEZNS1_11reduce_implILb1ES3_NS6_12zip_iteratorINS7_INS6_11hip_rocprim26transform_input_iterator_tIbNSD_35transform_pair_of_input_iterators_tIbNS6_6detail15normal_iteratorINS6_10device_ptrIKsEEEESL_NS6_8equal_toIsEEEENSG_9not_fun_tINSD_8identityEEEEENSD_19counting_iterator_tIlEES8_S8_S8_S8_S8_S8_S8_S8_EEEEPS9_S9_NSD_9__find_if7functorIS9_EEEE10hipError_tPvRmT1_T2_T3_mT4_P12ihipStream_tbEUlT_E1_NS1_11comp_targetILNS1_3genE9ELNS1_11target_archE1100ELNS1_3gpuE3ELNS1_3repE0EEENS1_30default_config_static_selectorELNS0_4arch9wavefront6targetE1EEEvS14_,"axG",@progbits,_ZN7rocprim17ROCPRIM_400000_NS6detail17trampoline_kernelINS0_14default_configENS1_22reduce_config_selectorIN6thrust23THRUST_200600_302600_NS5tupleIblNS6_9null_typeES8_S8_S8_S8_S8_S8_S8_EEEEZNS1_11reduce_implILb1ES3_NS6_12zip_iteratorINS7_INS6_11hip_rocprim26transform_input_iterator_tIbNSD_35transform_pair_of_input_iterators_tIbNS6_6detail15normal_iteratorINS6_10device_ptrIKsEEEESL_NS6_8equal_toIsEEEENSG_9not_fun_tINSD_8identityEEEEENSD_19counting_iterator_tIlEES8_S8_S8_S8_S8_S8_S8_S8_EEEEPS9_S9_NSD_9__find_if7functorIS9_EEEE10hipError_tPvRmT1_T2_T3_mT4_P12ihipStream_tbEUlT_E1_NS1_11comp_targetILNS1_3genE9ELNS1_11target_archE1100ELNS1_3gpuE3ELNS1_3repE0EEENS1_30default_config_static_selectorELNS0_4arch9wavefront6targetE1EEEvS14_,comdat
.Lfunc_end571:
	.size	_ZN7rocprim17ROCPRIM_400000_NS6detail17trampoline_kernelINS0_14default_configENS1_22reduce_config_selectorIN6thrust23THRUST_200600_302600_NS5tupleIblNS6_9null_typeES8_S8_S8_S8_S8_S8_S8_EEEEZNS1_11reduce_implILb1ES3_NS6_12zip_iteratorINS7_INS6_11hip_rocprim26transform_input_iterator_tIbNSD_35transform_pair_of_input_iterators_tIbNS6_6detail15normal_iteratorINS6_10device_ptrIKsEEEESL_NS6_8equal_toIsEEEENSG_9not_fun_tINSD_8identityEEEEENSD_19counting_iterator_tIlEES8_S8_S8_S8_S8_S8_S8_S8_EEEEPS9_S9_NSD_9__find_if7functorIS9_EEEE10hipError_tPvRmT1_T2_T3_mT4_P12ihipStream_tbEUlT_E1_NS1_11comp_targetILNS1_3genE9ELNS1_11target_archE1100ELNS1_3gpuE3ELNS1_3repE0EEENS1_30default_config_static_selectorELNS0_4arch9wavefront6targetE1EEEvS14_, .Lfunc_end571-_ZN7rocprim17ROCPRIM_400000_NS6detail17trampoline_kernelINS0_14default_configENS1_22reduce_config_selectorIN6thrust23THRUST_200600_302600_NS5tupleIblNS6_9null_typeES8_S8_S8_S8_S8_S8_S8_EEEEZNS1_11reduce_implILb1ES3_NS6_12zip_iteratorINS7_INS6_11hip_rocprim26transform_input_iterator_tIbNSD_35transform_pair_of_input_iterators_tIbNS6_6detail15normal_iteratorINS6_10device_ptrIKsEEEESL_NS6_8equal_toIsEEEENSG_9not_fun_tINSD_8identityEEEEENSD_19counting_iterator_tIlEES8_S8_S8_S8_S8_S8_S8_S8_EEEEPS9_S9_NSD_9__find_if7functorIS9_EEEE10hipError_tPvRmT1_T2_T3_mT4_P12ihipStream_tbEUlT_E1_NS1_11comp_targetILNS1_3genE9ELNS1_11target_archE1100ELNS1_3gpuE3ELNS1_3repE0EEENS1_30default_config_static_selectorELNS0_4arch9wavefront6targetE1EEEvS14_
                                        ; -- End function
	.set _ZN7rocprim17ROCPRIM_400000_NS6detail17trampoline_kernelINS0_14default_configENS1_22reduce_config_selectorIN6thrust23THRUST_200600_302600_NS5tupleIblNS6_9null_typeES8_S8_S8_S8_S8_S8_S8_EEEEZNS1_11reduce_implILb1ES3_NS6_12zip_iteratorINS7_INS6_11hip_rocprim26transform_input_iterator_tIbNSD_35transform_pair_of_input_iterators_tIbNS6_6detail15normal_iteratorINS6_10device_ptrIKsEEEESL_NS6_8equal_toIsEEEENSG_9not_fun_tINSD_8identityEEEEENSD_19counting_iterator_tIlEES8_S8_S8_S8_S8_S8_S8_S8_EEEEPS9_S9_NSD_9__find_if7functorIS9_EEEE10hipError_tPvRmT1_T2_T3_mT4_P12ihipStream_tbEUlT_E1_NS1_11comp_targetILNS1_3genE9ELNS1_11target_archE1100ELNS1_3gpuE3ELNS1_3repE0EEENS1_30default_config_static_selectorELNS0_4arch9wavefront6targetE1EEEvS14_.num_vgpr, 0
	.set _ZN7rocprim17ROCPRIM_400000_NS6detail17trampoline_kernelINS0_14default_configENS1_22reduce_config_selectorIN6thrust23THRUST_200600_302600_NS5tupleIblNS6_9null_typeES8_S8_S8_S8_S8_S8_S8_EEEEZNS1_11reduce_implILb1ES3_NS6_12zip_iteratorINS7_INS6_11hip_rocprim26transform_input_iterator_tIbNSD_35transform_pair_of_input_iterators_tIbNS6_6detail15normal_iteratorINS6_10device_ptrIKsEEEESL_NS6_8equal_toIsEEEENSG_9not_fun_tINSD_8identityEEEEENSD_19counting_iterator_tIlEES8_S8_S8_S8_S8_S8_S8_S8_EEEEPS9_S9_NSD_9__find_if7functorIS9_EEEE10hipError_tPvRmT1_T2_T3_mT4_P12ihipStream_tbEUlT_E1_NS1_11comp_targetILNS1_3genE9ELNS1_11target_archE1100ELNS1_3gpuE3ELNS1_3repE0EEENS1_30default_config_static_selectorELNS0_4arch9wavefront6targetE1EEEvS14_.num_agpr, 0
	.set _ZN7rocprim17ROCPRIM_400000_NS6detail17trampoline_kernelINS0_14default_configENS1_22reduce_config_selectorIN6thrust23THRUST_200600_302600_NS5tupleIblNS6_9null_typeES8_S8_S8_S8_S8_S8_S8_EEEEZNS1_11reduce_implILb1ES3_NS6_12zip_iteratorINS7_INS6_11hip_rocprim26transform_input_iterator_tIbNSD_35transform_pair_of_input_iterators_tIbNS6_6detail15normal_iteratorINS6_10device_ptrIKsEEEESL_NS6_8equal_toIsEEEENSG_9not_fun_tINSD_8identityEEEEENSD_19counting_iterator_tIlEES8_S8_S8_S8_S8_S8_S8_S8_EEEEPS9_S9_NSD_9__find_if7functorIS9_EEEE10hipError_tPvRmT1_T2_T3_mT4_P12ihipStream_tbEUlT_E1_NS1_11comp_targetILNS1_3genE9ELNS1_11target_archE1100ELNS1_3gpuE3ELNS1_3repE0EEENS1_30default_config_static_selectorELNS0_4arch9wavefront6targetE1EEEvS14_.numbered_sgpr, 0
	.set _ZN7rocprim17ROCPRIM_400000_NS6detail17trampoline_kernelINS0_14default_configENS1_22reduce_config_selectorIN6thrust23THRUST_200600_302600_NS5tupleIblNS6_9null_typeES8_S8_S8_S8_S8_S8_S8_EEEEZNS1_11reduce_implILb1ES3_NS6_12zip_iteratorINS7_INS6_11hip_rocprim26transform_input_iterator_tIbNSD_35transform_pair_of_input_iterators_tIbNS6_6detail15normal_iteratorINS6_10device_ptrIKsEEEESL_NS6_8equal_toIsEEEENSG_9not_fun_tINSD_8identityEEEEENSD_19counting_iterator_tIlEES8_S8_S8_S8_S8_S8_S8_S8_EEEEPS9_S9_NSD_9__find_if7functorIS9_EEEE10hipError_tPvRmT1_T2_T3_mT4_P12ihipStream_tbEUlT_E1_NS1_11comp_targetILNS1_3genE9ELNS1_11target_archE1100ELNS1_3gpuE3ELNS1_3repE0EEENS1_30default_config_static_selectorELNS0_4arch9wavefront6targetE1EEEvS14_.num_named_barrier, 0
	.set _ZN7rocprim17ROCPRIM_400000_NS6detail17trampoline_kernelINS0_14default_configENS1_22reduce_config_selectorIN6thrust23THRUST_200600_302600_NS5tupleIblNS6_9null_typeES8_S8_S8_S8_S8_S8_S8_EEEEZNS1_11reduce_implILb1ES3_NS6_12zip_iteratorINS7_INS6_11hip_rocprim26transform_input_iterator_tIbNSD_35transform_pair_of_input_iterators_tIbNS6_6detail15normal_iteratorINS6_10device_ptrIKsEEEESL_NS6_8equal_toIsEEEENSG_9not_fun_tINSD_8identityEEEEENSD_19counting_iterator_tIlEES8_S8_S8_S8_S8_S8_S8_S8_EEEEPS9_S9_NSD_9__find_if7functorIS9_EEEE10hipError_tPvRmT1_T2_T3_mT4_P12ihipStream_tbEUlT_E1_NS1_11comp_targetILNS1_3genE9ELNS1_11target_archE1100ELNS1_3gpuE3ELNS1_3repE0EEENS1_30default_config_static_selectorELNS0_4arch9wavefront6targetE1EEEvS14_.private_seg_size, 0
	.set _ZN7rocprim17ROCPRIM_400000_NS6detail17trampoline_kernelINS0_14default_configENS1_22reduce_config_selectorIN6thrust23THRUST_200600_302600_NS5tupleIblNS6_9null_typeES8_S8_S8_S8_S8_S8_S8_EEEEZNS1_11reduce_implILb1ES3_NS6_12zip_iteratorINS7_INS6_11hip_rocprim26transform_input_iterator_tIbNSD_35transform_pair_of_input_iterators_tIbNS6_6detail15normal_iteratorINS6_10device_ptrIKsEEEESL_NS6_8equal_toIsEEEENSG_9not_fun_tINSD_8identityEEEEENSD_19counting_iterator_tIlEES8_S8_S8_S8_S8_S8_S8_S8_EEEEPS9_S9_NSD_9__find_if7functorIS9_EEEE10hipError_tPvRmT1_T2_T3_mT4_P12ihipStream_tbEUlT_E1_NS1_11comp_targetILNS1_3genE9ELNS1_11target_archE1100ELNS1_3gpuE3ELNS1_3repE0EEENS1_30default_config_static_selectorELNS0_4arch9wavefront6targetE1EEEvS14_.uses_vcc, 0
	.set _ZN7rocprim17ROCPRIM_400000_NS6detail17trampoline_kernelINS0_14default_configENS1_22reduce_config_selectorIN6thrust23THRUST_200600_302600_NS5tupleIblNS6_9null_typeES8_S8_S8_S8_S8_S8_S8_EEEEZNS1_11reduce_implILb1ES3_NS6_12zip_iteratorINS7_INS6_11hip_rocprim26transform_input_iterator_tIbNSD_35transform_pair_of_input_iterators_tIbNS6_6detail15normal_iteratorINS6_10device_ptrIKsEEEESL_NS6_8equal_toIsEEEENSG_9not_fun_tINSD_8identityEEEEENSD_19counting_iterator_tIlEES8_S8_S8_S8_S8_S8_S8_S8_EEEEPS9_S9_NSD_9__find_if7functorIS9_EEEE10hipError_tPvRmT1_T2_T3_mT4_P12ihipStream_tbEUlT_E1_NS1_11comp_targetILNS1_3genE9ELNS1_11target_archE1100ELNS1_3gpuE3ELNS1_3repE0EEENS1_30default_config_static_selectorELNS0_4arch9wavefront6targetE1EEEvS14_.uses_flat_scratch, 0
	.set _ZN7rocprim17ROCPRIM_400000_NS6detail17trampoline_kernelINS0_14default_configENS1_22reduce_config_selectorIN6thrust23THRUST_200600_302600_NS5tupleIblNS6_9null_typeES8_S8_S8_S8_S8_S8_S8_EEEEZNS1_11reduce_implILb1ES3_NS6_12zip_iteratorINS7_INS6_11hip_rocprim26transform_input_iterator_tIbNSD_35transform_pair_of_input_iterators_tIbNS6_6detail15normal_iteratorINS6_10device_ptrIKsEEEESL_NS6_8equal_toIsEEEENSG_9not_fun_tINSD_8identityEEEEENSD_19counting_iterator_tIlEES8_S8_S8_S8_S8_S8_S8_S8_EEEEPS9_S9_NSD_9__find_if7functorIS9_EEEE10hipError_tPvRmT1_T2_T3_mT4_P12ihipStream_tbEUlT_E1_NS1_11comp_targetILNS1_3genE9ELNS1_11target_archE1100ELNS1_3gpuE3ELNS1_3repE0EEENS1_30default_config_static_selectorELNS0_4arch9wavefront6targetE1EEEvS14_.has_dyn_sized_stack, 0
	.set _ZN7rocprim17ROCPRIM_400000_NS6detail17trampoline_kernelINS0_14default_configENS1_22reduce_config_selectorIN6thrust23THRUST_200600_302600_NS5tupleIblNS6_9null_typeES8_S8_S8_S8_S8_S8_S8_EEEEZNS1_11reduce_implILb1ES3_NS6_12zip_iteratorINS7_INS6_11hip_rocprim26transform_input_iterator_tIbNSD_35transform_pair_of_input_iterators_tIbNS6_6detail15normal_iteratorINS6_10device_ptrIKsEEEESL_NS6_8equal_toIsEEEENSG_9not_fun_tINSD_8identityEEEEENSD_19counting_iterator_tIlEES8_S8_S8_S8_S8_S8_S8_S8_EEEEPS9_S9_NSD_9__find_if7functorIS9_EEEE10hipError_tPvRmT1_T2_T3_mT4_P12ihipStream_tbEUlT_E1_NS1_11comp_targetILNS1_3genE9ELNS1_11target_archE1100ELNS1_3gpuE3ELNS1_3repE0EEENS1_30default_config_static_selectorELNS0_4arch9wavefront6targetE1EEEvS14_.has_recursion, 0
	.set _ZN7rocprim17ROCPRIM_400000_NS6detail17trampoline_kernelINS0_14default_configENS1_22reduce_config_selectorIN6thrust23THRUST_200600_302600_NS5tupleIblNS6_9null_typeES8_S8_S8_S8_S8_S8_S8_EEEEZNS1_11reduce_implILb1ES3_NS6_12zip_iteratorINS7_INS6_11hip_rocprim26transform_input_iterator_tIbNSD_35transform_pair_of_input_iterators_tIbNS6_6detail15normal_iteratorINS6_10device_ptrIKsEEEESL_NS6_8equal_toIsEEEENSG_9not_fun_tINSD_8identityEEEEENSD_19counting_iterator_tIlEES8_S8_S8_S8_S8_S8_S8_S8_EEEEPS9_S9_NSD_9__find_if7functorIS9_EEEE10hipError_tPvRmT1_T2_T3_mT4_P12ihipStream_tbEUlT_E1_NS1_11comp_targetILNS1_3genE9ELNS1_11target_archE1100ELNS1_3gpuE3ELNS1_3repE0EEENS1_30default_config_static_selectorELNS0_4arch9wavefront6targetE1EEEvS14_.has_indirect_call, 0
	.section	.AMDGPU.csdata,"",@progbits
; Kernel info:
; codeLenInByte = 0
; TotalNumSgprs: 4
; NumVgprs: 0
; ScratchSize: 0
; MemoryBound: 0
; FloatMode: 240
; IeeeMode: 1
; LDSByteSize: 0 bytes/workgroup (compile time only)
; SGPRBlocks: 0
; VGPRBlocks: 0
; NumSGPRsForWavesPerEU: 4
; NumVGPRsForWavesPerEU: 1
; Occupancy: 10
; WaveLimiterHint : 0
; COMPUTE_PGM_RSRC2:SCRATCH_EN: 0
; COMPUTE_PGM_RSRC2:USER_SGPR: 6
; COMPUTE_PGM_RSRC2:TRAP_HANDLER: 0
; COMPUTE_PGM_RSRC2:TGID_X_EN: 1
; COMPUTE_PGM_RSRC2:TGID_Y_EN: 0
; COMPUTE_PGM_RSRC2:TGID_Z_EN: 0
; COMPUTE_PGM_RSRC2:TIDIG_COMP_CNT: 0
	.section	.text._ZN7rocprim17ROCPRIM_400000_NS6detail17trampoline_kernelINS0_14default_configENS1_22reduce_config_selectorIN6thrust23THRUST_200600_302600_NS5tupleIblNS6_9null_typeES8_S8_S8_S8_S8_S8_S8_EEEEZNS1_11reduce_implILb1ES3_NS6_12zip_iteratorINS7_INS6_11hip_rocprim26transform_input_iterator_tIbNSD_35transform_pair_of_input_iterators_tIbNS6_6detail15normal_iteratorINS6_10device_ptrIKsEEEESL_NS6_8equal_toIsEEEENSG_9not_fun_tINSD_8identityEEEEENSD_19counting_iterator_tIlEES8_S8_S8_S8_S8_S8_S8_S8_EEEEPS9_S9_NSD_9__find_if7functorIS9_EEEE10hipError_tPvRmT1_T2_T3_mT4_P12ihipStream_tbEUlT_E1_NS1_11comp_targetILNS1_3genE8ELNS1_11target_archE1030ELNS1_3gpuE2ELNS1_3repE0EEENS1_30default_config_static_selectorELNS0_4arch9wavefront6targetE1EEEvS14_,"axG",@progbits,_ZN7rocprim17ROCPRIM_400000_NS6detail17trampoline_kernelINS0_14default_configENS1_22reduce_config_selectorIN6thrust23THRUST_200600_302600_NS5tupleIblNS6_9null_typeES8_S8_S8_S8_S8_S8_S8_EEEEZNS1_11reduce_implILb1ES3_NS6_12zip_iteratorINS7_INS6_11hip_rocprim26transform_input_iterator_tIbNSD_35transform_pair_of_input_iterators_tIbNS6_6detail15normal_iteratorINS6_10device_ptrIKsEEEESL_NS6_8equal_toIsEEEENSG_9not_fun_tINSD_8identityEEEEENSD_19counting_iterator_tIlEES8_S8_S8_S8_S8_S8_S8_S8_EEEEPS9_S9_NSD_9__find_if7functorIS9_EEEE10hipError_tPvRmT1_T2_T3_mT4_P12ihipStream_tbEUlT_E1_NS1_11comp_targetILNS1_3genE8ELNS1_11target_archE1030ELNS1_3gpuE2ELNS1_3repE0EEENS1_30default_config_static_selectorELNS0_4arch9wavefront6targetE1EEEvS14_,comdat
	.protected	_ZN7rocprim17ROCPRIM_400000_NS6detail17trampoline_kernelINS0_14default_configENS1_22reduce_config_selectorIN6thrust23THRUST_200600_302600_NS5tupleIblNS6_9null_typeES8_S8_S8_S8_S8_S8_S8_EEEEZNS1_11reduce_implILb1ES3_NS6_12zip_iteratorINS7_INS6_11hip_rocprim26transform_input_iterator_tIbNSD_35transform_pair_of_input_iterators_tIbNS6_6detail15normal_iteratorINS6_10device_ptrIKsEEEESL_NS6_8equal_toIsEEEENSG_9not_fun_tINSD_8identityEEEEENSD_19counting_iterator_tIlEES8_S8_S8_S8_S8_S8_S8_S8_EEEEPS9_S9_NSD_9__find_if7functorIS9_EEEE10hipError_tPvRmT1_T2_T3_mT4_P12ihipStream_tbEUlT_E1_NS1_11comp_targetILNS1_3genE8ELNS1_11target_archE1030ELNS1_3gpuE2ELNS1_3repE0EEENS1_30default_config_static_selectorELNS0_4arch9wavefront6targetE1EEEvS14_ ; -- Begin function _ZN7rocprim17ROCPRIM_400000_NS6detail17trampoline_kernelINS0_14default_configENS1_22reduce_config_selectorIN6thrust23THRUST_200600_302600_NS5tupleIblNS6_9null_typeES8_S8_S8_S8_S8_S8_S8_EEEEZNS1_11reduce_implILb1ES3_NS6_12zip_iteratorINS7_INS6_11hip_rocprim26transform_input_iterator_tIbNSD_35transform_pair_of_input_iterators_tIbNS6_6detail15normal_iteratorINS6_10device_ptrIKsEEEESL_NS6_8equal_toIsEEEENSG_9not_fun_tINSD_8identityEEEEENSD_19counting_iterator_tIlEES8_S8_S8_S8_S8_S8_S8_S8_EEEEPS9_S9_NSD_9__find_if7functorIS9_EEEE10hipError_tPvRmT1_T2_T3_mT4_P12ihipStream_tbEUlT_E1_NS1_11comp_targetILNS1_3genE8ELNS1_11target_archE1030ELNS1_3gpuE2ELNS1_3repE0EEENS1_30default_config_static_selectorELNS0_4arch9wavefront6targetE1EEEvS14_
	.globl	_ZN7rocprim17ROCPRIM_400000_NS6detail17trampoline_kernelINS0_14default_configENS1_22reduce_config_selectorIN6thrust23THRUST_200600_302600_NS5tupleIblNS6_9null_typeES8_S8_S8_S8_S8_S8_S8_EEEEZNS1_11reduce_implILb1ES3_NS6_12zip_iteratorINS7_INS6_11hip_rocprim26transform_input_iterator_tIbNSD_35transform_pair_of_input_iterators_tIbNS6_6detail15normal_iteratorINS6_10device_ptrIKsEEEESL_NS6_8equal_toIsEEEENSG_9not_fun_tINSD_8identityEEEEENSD_19counting_iterator_tIlEES8_S8_S8_S8_S8_S8_S8_S8_EEEEPS9_S9_NSD_9__find_if7functorIS9_EEEE10hipError_tPvRmT1_T2_T3_mT4_P12ihipStream_tbEUlT_E1_NS1_11comp_targetILNS1_3genE8ELNS1_11target_archE1030ELNS1_3gpuE2ELNS1_3repE0EEENS1_30default_config_static_selectorELNS0_4arch9wavefront6targetE1EEEvS14_
	.p2align	8
	.type	_ZN7rocprim17ROCPRIM_400000_NS6detail17trampoline_kernelINS0_14default_configENS1_22reduce_config_selectorIN6thrust23THRUST_200600_302600_NS5tupleIblNS6_9null_typeES8_S8_S8_S8_S8_S8_S8_EEEEZNS1_11reduce_implILb1ES3_NS6_12zip_iteratorINS7_INS6_11hip_rocprim26transform_input_iterator_tIbNSD_35transform_pair_of_input_iterators_tIbNS6_6detail15normal_iteratorINS6_10device_ptrIKsEEEESL_NS6_8equal_toIsEEEENSG_9not_fun_tINSD_8identityEEEEENSD_19counting_iterator_tIlEES8_S8_S8_S8_S8_S8_S8_S8_EEEEPS9_S9_NSD_9__find_if7functorIS9_EEEE10hipError_tPvRmT1_T2_T3_mT4_P12ihipStream_tbEUlT_E1_NS1_11comp_targetILNS1_3genE8ELNS1_11target_archE1030ELNS1_3gpuE2ELNS1_3repE0EEENS1_30default_config_static_selectorELNS0_4arch9wavefront6targetE1EEEvS14_,@function
_ZN7rocprim17ROCPRIM_400000_NS6detail17trampoline_kernelINS0_14default_configENS1_22reduce_config_selectorIN6thrust23THRUST_200600_302600_NS5tupleIblNS6_9null_typeES8_S8_S8_S8_S8_S8_S8_EEEEZNS1_11reduce_implILb1ES3_NS6_12zip_iteratorINS7_INS6_11hip_rocprim26transform_input_iterator_tIbNSD_35transform_pair_of_input_iterators_tIbNS6_6detail15normal_iteratorINS6_10device_ptrIKsEEEESL_NS6_8equal_toIsEEEENSG_9not_fun_tINSD_8identityEEEEENSD_19counting_iterator_tIlEES8_S8_S8_S8_S8_S8_S8_S8_EEEEPS9_S9_NSD_9__find_if7functorIS9_EEEE10hipError_tPvRmT1_T2_T3_mT4_P12ihipStream_tbEUlT_E1_NS1_11comp_targetILNS1_3genE8ELNS1_11target_archE1030ELNS1_3gpuE2ELNS1_3repE0EEENS1_30default_config_static_selectorELNS0_4arch9wavefront6targetE1EEEvS14_: ; @_ZN7rocprim17ROCPRIM_400000_NS6detail17trampoline_kernelINS0_14default_configENS1_22reduce_config_selectorIN6thrust23THRUST_200600_302600_NS5tupleIblNS6_9null_typeES8_S8_S8_S8_S8_S8_S8_EEEEZNS1_11reduce_implILb1ES3_NS6_12zip_iteratorINS7_INS6_11hip_rocprim26transform_input_iterator_tIbNSD_35transform_pair_of_input_iterators_tIbNS6_6detail15normal_iteratorINS6_10device_ptrIKsEEEESL_NS6_8equal_toIsEEEENSG_9not_fun_tINSD_8identityEEEEENSD_19counting_iterator_tIlEES8_S8_S8_S8_S8_S8_S8_S8_EEEEPS9_S9_NSD_9__find_if7functorIS9_EEEE10hipError_tPvRmT1_T2_T3_mT4_P12ihipStream_tbEUlT_E1_NS1_11comp_targetILNS1_3genE8ELNS1_11target_archE1030ELNS1_3gpuE2ELNS1_3repE0EEENS1_30default_config_static_selectorELNS0_4arch9wavefront6targetE1EEEvS14_
; %bb.0:
	.section	.rodata,"a",@progbits
	.p2align	6, 0x0
	.amdhsa_kernel _ZN7rocprim17ROCPRIM_400000_NS6detail17trampoline_kernelINS0_14default_configENS1_22reduce_config_selectorIN6thrust23THRUST_200600_302600_NS5tupleIblNS6_9null_typeES8_S8_S8_S8_S8_S8_S8_EEEEZNS1_11reduce_implILb1ES3_NS6_12zip_iteratorINS7_INS6_11hip_rocprim26transform_input_iterator_tIbNSD_35transform_pair_of_input_iterators_tIbNS6_6detail15normal_iteratorINS6_10device_ptrIKsEEEESL_NS6_8equal_toIsEEEENSG_9not_fun_tINSD_8identityEEEEENSD_19counting_iterator_tIlEES8_S8_S8_S8_S8_S8_S8_S8_EEEEPS9_S9_NSD_9__find_if7functorIS9_EEEE10hipError_tPvRmT1_T2_T3_mT4_P12ihipStream_tbEUlT_E1_NS1_11comp_targetILNS1_3genE8ELNS1_11target_archE1030ELNS1_3gpuE2ELNS1_3repE0EEENS1_30default_config_static_selectorELNS0_4arch9wavefront6targetE1EEEvS14_
		.amdhsa_group_segment_fixed_size 0
		.amdhsa_private_segment_fixed_size 0
		.amdhsa_kernarg_size 88
		.amdhsa_user_sgpr_count 6
		.amdhsa_user_sgpr_private_segment_buffer 1
		.amdhsa_user_sgpr_dispatch_ptr 0
		.amdhsa_user_sgpr_queue_ptr 0
		.amdhsa_user_sgpr_kernarg_segment_ptr 1
		.amdhsa_user_sgpr_dispatch_id 0
		.amdhsa_user_sgpr_flat_scratch_init 0
		.amdhsa_user_sgpr_private_segment_size 0
		.amdhsa_uses_dynamic_stack 0
		.amdhsa_system_sgpr_private_segment_wavefront_offset 0
		.amdhsa_system_sgpr_workgroup_id_x 1
		.amdhsa_system_sgpr_workgroup_id_y 0
		.amdhsa_system_sgpr_workgroup_id_z 0
		.amdhsa_system_sgpr_workgroup_info 0
		.amdhsa_system_vgpr_workitem_id 0
		.amdhsa_next_free_vgpr 1
		.amdhsa_next_free_sgpr 0
		.amdhsa_reserve_vcc 0
		.amdhsa_reserve_flat_scratch 0
		.amdhsa_float_round_mode_32 0
		.amdhsa_float_round_mode_16_64 0
		.amdhsa_float_denorm_mode_32 3
		.amdhsa_float_denorm_mode_16_64 3
		.amdhsa_dx10_clamp 1
		.amdhsa_ieee_mode 1
		.amdhsa_fp16_overflow 0
		.amdhsa_exception_fp_ieee_invalid_op 0
		.amdhsa_exception_fp_denorm_src 0
		.amdhsa_exception_fp_ieee_div_zero 0
		.amdhsa_exception_fp_ieee_overflow 0
		.amdhsa_exception_fp_ieee_underflow 0
		.amdhsa_exception_fp_ieee_inexact 0
		.amdhsa_exception_int_div_zero 0
	.end_amdhsa_kernel
	.section	.text._ZN7rocprim17ROCPRIM_400000_NS6detail17trampoline_kernelINS0_14default_configENS1_22reduce_config_selectorIN6thrust23THRUST_200600_302600_NS5tupleIblNS6_9null_typeES8_S8_S8_S8_S8_S8_S8_EEEEZNS1_11reduce_implILb1ES3_NS6_12zip_iteratorINS7_INS6_11hip_rocprim26transform_input_iterator_tIbNSD_35transform_pair_of_input_iterators_tIbNS6_6detail15normal_iteratorINS6_10device_ptrIKsEEEESL_NS6_8equal_toIsEEEENSG_9not_fun_tINSD_8identityEEEEENSD_19counting_iterator_tIlEES8_S8_S8_S8_S8_S8_S8_S8_EEEEPS9_S9_NSD_9__find_if7functorIS9_EEEE10hipError_tPvRmT1_T2_T3_mT4_P12ihipStream_tbEUlT_E1_NS1_11comp_targetILNS1_3genE8ELNS1_11target_archE1030ELNS1_3gpuE2ELNS1_3repE0EEENS1_30default_config_static_selectorELNS0_4arch9wavefront6targetE1EEEvS14_,"axG",@progbits,_ZN7rocprim17ROCPRIM_400000_NS6detail17trampoline_kernelINS0_14default_configENS1_22reduce_config_selectorIN6thrust23THRUST_200600_302600_NS5tupleIblNS6_9null_typeES8_S8_S8_S8_S8_S8_S8_EEEEZNS1_11reduce_implILb1ES3_NS6_12zip_iteratorINS7_INS6_11hip_rocprim26transform_input_iterator_tIbNSD_35transform_pair_of_input_iterators_tIbNS6_6detail15normal_iteratorINS6_10device_ptrIKsEEEESL_NS6_8equal_toIsEEEENSG_9not_fun_tINSD_8identityEEEEENSD_19counting_iterator_tIlEES8_S8_S8_S8_S8_S8_S8_S8_EEEEPS9_S9_NSD_9__find_if7functorIS9_EEEE10hipError_tPvRmT1_T2_T3_mT4_P12ihipStream_tbEUlT_E1_NS1_11comp_targetILNS1_3genE8ELNS1_11target_archE1030ELNS1_3gpuE2ELNS1_3repE0EEENS1_30default_config_static_selectorELNS0_4arch9wavefront6targetE1EEEvS14_,comdat
.Lfunc_end572:
	.size	_ZN7rocprim17ROCPRIM_400000_NS6detail17trampoline_kernelINS0_14default_configENS1_22reduce_config_selectorIN6thrust23THRUST_200600_302600_NS5tupleIblNS6_9null_typeES8_S8_S8_S8_S8_S8_S8_EEEEZNS1_11reduce_implILb1ES3_NS6_12zip_iteratorINS7_INS6_11hip_rocprim26transform_input_iterator_tIbNSD_35transform_pair_of_input_iterators_tIbNS6_6detail15normal_iteratorINS6_10device_ptrIKsEEEESL_NS6_8equal_toIsEEEENSG_9not_fun_tINSD_8identityEEEEENSD_19counting_iterator_tIlEES8_S8_S8_S8_S8_S8_S8_S8_EEEEPS9_S9_NSD_9__find_if7functorIS9_EEEE10hipError_tPvRmT1_T2_T3_mT4_P12ihipStream_tbEUlT_E1_NS1_11comp_targetILNS1_3genE8ELNS1_11target_archE1030ELNS1_3gpuE2ELNS1_3repE0EEENS1_30default_config_static_selectorELNS0_4arch9wavefront6targetE1EEEvS14_, .Lfunc_end572-_ZN7rocprim17ROCPRIM_400000_NS6detail17trampoline_kernelINS0_14default_configENS1_22reduce_config_selectorIN6thrust23THRUST_200600_302600_NS5tupleIblNS6_9null_typeES8_S8_S8_S8_S8_S8_S8_EEEEZNS1_11reduce_implILb1ES3_NS6_12zip_iteratorINS7_INS6_11hip_rocprim26transform_input_iterator_tIbNSD_35transform_pair_of_input_iterators_tIbNS6_6detail15normal_iteratorINS6_10device_ptrIKsEEEESL_NS6_8equal_toIsEEEENSG_9not_fun_tINSD_8identityEEEEENSD_19counting_iterator_tIlEES8_S8_S8_S8_S8_S8_S8_S8_EEEEPS9_S9_NSD_9__find_if7functorIS9_EEEE10hipError_tPvRmT1_T2_T3_mT4_P12ihipStream_tbEUlT_E1_NS1_11comp_targetILNS1_3genE8ELNS1_11target_archE1030ELNS1_3gpuE2ELNS1_3repE0EEENS1_30default_config_static_selectorELNS0_4arch9wavefront6targetE1EEEvS14_
                                        ; -- End function
	.set _ZN7rocprim17ROCPRIM_400000_NS6detail17trampoline_kernelINS0_14default_configENS1_22reduce_config_selectorIN6thrust23THRUST_200600_302600_NS5tupleIblNS6_9null_typeES8_S8_S8_S8_S8_S8_S8_EEEEZNS1_11reduce_implILb1ES3_NS6_12zip_iteratorINS7_INS6_11hip_rocprim26transform_input_iterator_tIbNSD_35transform_pair_of_input_iterators_tIbNS6_6detail15normal_iteratorINS6_10device_ptrIKsEEEESL_NS6_8equal_toIsEEEENSG_9not_fun_tINSD_8identityEEEEENSD_19counting_iterator_tIlEES8_S8_S8_S8_S8_S8_S8_S8_EEEEPS9_S9_NSD_9__find_if7functorIS9_EEEE10hipError_tPvRmT1_T2_T3_mT4_P12ihipStream_tbEUlT_E1_NS1_11comp_targetILNS1_3genE8ELNS1_11target_archE1030ELNS1_3gpuE2ELNS1_3repE0EEENS1_30default_config_static_selectorELNS0_4arch9wavefront6targetE1EEEvS14_.num_vgpr, 0
	.set _ZN7rocprim17ROCPRIM_400000_NS6detail17trampoline_kernelINS0_14default_configENS1_22reduce_config_selectorIN6thrust23THRUST_200600_302600_NS5tupleIblNS6_9null_typeES8_S8_S8_S8_S8_S8_S8_EEEEZNS1_11reduce_implILb1ES3_NS6_12zip_iteratorINS7_INS6_11hip_rocprim26transform_input_iterator_tIbNSD_35transform_pair_of_input_iterators_tIbNS6_6detail15normal_iteratorINS6_10device_ptrIKsEEEESL_NS6_8equal_toIsEEEENSG_9not_fun_tINSD_8identityEEEEENSD_19counting_iterator_tIlEES8_S8_S8_S8_S8_S8_S8_S8_EEEEPS9_S9_NSD_9__find_if7functorIS9_EEEE10hipError_tPvRmT1_T2_T3_mT4_P12ihipStream_tbEUlT_E1_NS1_11comp_targetILNS1_3genE8ELNS1_11target_archE1030ELNS1_3gpuE2ELNS1_3repE0EEENS1_30default_config_static_selectorELNS0_4arch9wavefront6targetE1EEEvS14_.num_agpr, 0
	.set _ZN7rocprim17ROCPRIM_400000_NS6detail17trampoline_kernelINS0_14default_configENS1_22reduce_config_selectorIN6thrust23THRUST_200600_302600_NS5tupleIblNS6_9null_typeES8_S8_S8_S8_S8_S8_S8_EEEEZNS1_11reduce_implILb1ES3_NS6_12zip_iteratorINS7_INS6_11hip_rocprim26transform_input_iterator_tIbNSD_35transform_pair_of_input_iterators_tIbNS6_6detail15normal_iteratorINS6_10device_ptrIKsEEEESL_NS6_8equal_toIsEEEENSG_9not_fun_tINSD_8identityEEEEENSD_19counting_iterator_tIlEES8_S8_S8_S8_S8_S8_S8_S8_EEEEPS9_S9_NSD_9__find_if7functorIS9_EEEE10hipError_tPvRmT1_T2_T3_mT4_P12ihipStream_tbEUlT_E1_NS1_11comp_targetILNS1_3genE8ELNS1_11target_archE1030ELNS1_3gpuE2ELNS1_3repE0EEENS1_30default_config_static_selectorELNS0_4arch9wavefront6targetE1EEEvS14_.numbered_sgpr, 0
	.set _ZN7rocprim17ROCPRIM_400000_NS6detail17trampoline_kernelINS0_14default_configENS1_22reduce_config_selectorIN6thrust23THRUST_200600_302600_NS5tupleIblNS6_9null_typeES8_S8_S8_S8_S8_S8_S8_EEEEZNS1_11reduce_implILb1ES3_NS6_12zip_iteratorINS7_INS6_11hip_rocprim26transform_input_iterator_tIbNSD_35transform_pair_of_input_iterators_tIbNS6_6detail15normal_iteratorINS6_10device_ptrIKsEEEESL_NS6_8equal_toIsEEEENSG_9not_fun_tINSD_8identityEEEEENSD_19counting_iterator_tIlEES8_S8_S8_S8_S8_S8_S8_S8_EEEEPS9_S9_NSD_9__find_if7functorIS9_EEEE10hipError_tPvRmT1_T2_T3_mT4_P12ihipStream_tbEUlT_E1_NS1_11comp_targetILNS1_3genE8ELNS1_11target_archE1030ELNS1_3gpuE2ELNS1_3repE0EEENS1_30default_config_static_selectorELNS0_4arch9wavefront6targetE1EEEvS14_.num_named_barrier, 0
	.set _ZN7rocprim17ROCPRIM_400000_NS6detail17trampoline_kernelINS0_14default_configENS1_22reduce_config_selectorIN6thrust23THRUST_200600_302600_NS5tupleIblNS6_9null_typeES8_S8_S8_S8_S8_S8_S8_EEEEZNS1_11reduce_implILb1ES3_NS6_12zip_iteratorINS7_INS6_11hip_rocprim26transform_input_iterator_tIbNSD_35transform_pair_of_input_iterators_tIbNS6_6detail15normal_iteratorINS6_10device_ptrIKsEEEESL_NS6_8equal_toIsEEEENSG_9not_fun_tINSD_8identityEEEEENSD_19counting_iterator_tIlEES8_S8_S8_S8_S8_S8_S8_S8_EEEEPS9_S9_NSD_9__find_if7functorIS9_EEEE10hipError_tPvRmT1_T2_T3_mT4_P12ihipStream_tbEUlT_E1_NS1_11comp_targetILNS1_3genE8ELNS1_11target_archE1030ELNS1_3gpuE2ELNS1_3repE0EEENS1_30default_config_static_selectorELNS0_4arch9wavefront6targetE1EEEvS14_.private_seg_size, 0
	.set _ZN7rocprim17ROCPRIM_400000_NS6detail17trampoline_kernelINS0_14default_configENS1_22reduce_config_selectorIN6thrust23THRUST_200600_302600_NS5tupleIblNS6_9null_typeES8_S8_S8_S8_S8_S8_S8_EEEEZNS1_11reduce_implILb1ES3_NS6_12zip_iteratorINS7_INS6_11hip_rocprim26transform_input_iterator_tIbNSD_35transform_pair_of_input_iterators_tIbNS6_6detail15normal_iteratorINS6_10device_ptrIKsEEEESL_NS6_8equal_toIsEEEENSG_9not_fun_tINSD_8identityEEEEENSD_19counting_iterator_tIlEES8_S8_S8_S8_S8_S8_S8_S8_EEEEPS9_S9_NSD_9__find_if7functorIS9_EEEE10hipError_tPvRmT1_T2_T3_mT4_P12ihipStream_tbEUlT_E1_NS1_11comp_targetILNS1_3genE8ELNS1_11target_archE1030ELNS1_3gpuE2ELNS1_3repE0EEENS1_30default_config_static_selectorELNS0_4arch9wavefront6targetE1EEEvS14_.uses_vcc, 0
	.set _ZN7rocprim17ROCPRIM_400000_NS6detail17trampoline_kernelINS0_14default_configENS1_22reduce_config_selectorIN6thrust23THRUST_200600_302600_NS5tupleIblNS6_9null_typeES8_S8_S8_S8_S8_S8_S8_EEEEZNS1_11reduce_implILb1ES3_NS6_12zip_iteratorINS7_INS6_11hip_rocprim26transform_input_iterator_tIbNSD_35transform_pair_of_input_iterators_tIbNS6_6detail15normal_iteratorINS6_10device_ptrIKsEEEESL_NS6_8equal_toIsEEEENSG_9not_fun_tINSD_8identityEEEEENSD_19counting_iterator_tIlEES8_S8_S8_S8_S8_S8_S8_S8_EEEEPS9_S9_NSD_9__find_if7functorIS9_EEEE10hipError_tPvRmT1_T2_T3_mT4_P12ihipStream_tbEUlT_E1_NS1_11comp_targetILNS1_3genE8ELNS1_11target_archE1030ELNS1_3gpuE2ELNS1_3repE0EEENS1_30default_config_static_selectorELNS0_4arch9wavefront6targetE1EEEvS14_.uses_flat_scratch, 0
	.set _ZN7rocprim17ROCPRIM_400000_NS6detail17trampoline_kernelINS0_14default_configENS1_22reduce_config_selectorIN6thrust23THRUST_200600_302600_NS5tupleIblNS6_9null_typeES8_S8_S8_S8_S8_S8_S8_EEEEZNS1_11reduce_implILb1ES3_NS6_12zip_iteratorINS7_INS6_11hip_rocprim26transform_input_iterator_tIbNSD_35transform_pair_of_input_iterators_tIbNS6_6detail15normal_iteratorINS6_10device_ptrIKsEEEESL_NS6_8equal_toIsEEEENSG_9not_fun_tINSD_8identityEEEEENSD_19counting_iterator_tIlEES8_S8_S8_S8_S8_S8_S8_S8_EEEEPS9_S9_NSD_9__find_if7functorIS9_EEEE10hipError_tPvRmT1_T2_T3_mT4_P12ihipStream_tbEUlT_E1_NS1_11comp_targetILNS1_3genE8ELNS1_11target_archE1030ELNS1_3gpuE2ELNS1_3repE0EEENS1_30default_config_static_selectorELNS0_4arch9wavefront6targetE1EEEvS14_.has_dyn_sized_stack, 0
	.set _ZN7rocprim17ROCPRIM_400000_NS6detail17trampoline_kernelINS0_14default_configENS1_22reduce_config_selectorIN6thrust23THRUST_200600_302600_NS5tupleIblNS6_9null_typeES8_S8_S8_S8_S8_S8_S8_EEEEZNS1_11reduce_implILb1ES3_NS6_12zip_iteratorINS7_INS6_11hip_rocprim26transform_input_iterator_tIbNSD_35transform_pair_of_input_iterators_tIbNS6_6detail15normal_iteratorINS6_10device_ptrIKsEEEESL_NS6_8equal_toIsEEEENSG_9not_fun_tINSD_8identityEEEEENSD_19counting_iterator_tIlEES8_S8_S8_S8_S8_S8_S8_S8_EEEEPS9_S9_NSD_9__find_if7functorIS9_EEEE10hipError_tPvRmT1_T2_T3_mT4_P12ihipStream_tbEUlT_E1_NS1_11comp_targetILNS1_3genE8ELNS1_11target_archE1030ELNS1_3gpuE2ELNS1_3repE0EEENS1_30default_config_static_selectorELNS0_4arch9wavefront6targetE1EEEvS14_.has_recursion, 0
	.set _ZN7rocprim17ROCPRIM_400000_NS6detail17trampoline_kernelINS0_14default_configENS1_22reduce_config_selectorIN6thrust23THRUST_200600_302600_NS5tupleIblNS6_9null_typeES8_S8_S8_S8_S8_S8_S8_EEEEZNS1_11reduce_implILb1ES3_NS6_12zip_iteratorINS7_INS6_11hip_rocprim26transform_input_iterator_tIbNSD_35transform_pair_of_input_iterators_tIbNS6_6detail15normal_iteratorINS6_10device_ptrIKsEEEESL_NS6_8equal_toIsEEEENSG_9not_fun_tINSD_8identityEEEEENSD_19counting_iterator_tIlEES8_S8_S8_S8_S8_S8_S8_S8_EEEEPS9_S9_NSD_9__find_if7functorIS9_EEEE10hipError_tPvRmT1_T2_T3_mT4_P12ihipStream_tbEUlT_E1_NS1_11comp_targetILNS1_3genE8ELNS1_11target_archE1030ELNS1_3gpuE2ELNS1_3repE0EEENS1_30default_config_static_selectorELNS0_4arch9wavefront6targetE1EEEvS14_.has_indirect_call, 0
	.section	.AMDGPU.csdata,"",@progbits
; Kernel info:
; codeLenInByte = 0
; TotalNumSgprs: 4
; NumVgprs: 0
; ScratchSize: 0
; MemoryBound: 0
; FloatMode: 240
; IeeeMode: 1
; LDSByteSize: 0 bytes/workgroup (compile time only)
; SGPRBlocks: 0
; VGPRBlocks: 0
; NumSGPRsForWavesPerEU: 4
; NumVGPRsForWavesPerEU: 1
; Occupancy: 10
; WaveLimiterHint : 0
; COMPUTE_PGM_RSRC2:SCRATCH_EN: 0
; COMPUTE_PGM_RSRC2:USER_SGPR: 6
; COMPUTE_PGM_RSRC2:TRAP_HANDLER: 0
; COMPUTE_PGM_RSRC2:TGID_X_EN: 1
; COMPUTE_PGM_RSRC2:TGID_Y_EN: 0
; COMPUTE_PGM_RSRC2:TGID_Z_EN: 0
; COMPUTE_PGM_RSRC2:TIDIG_COMP_CNT: 0
	.section	.text._ZN7rocprim17ROCPRIM_400000_NS6detail17trampoline_kernelINS0_14default_configENS1_35adjacent_difference_config_selectorILb0EdEEZNS1_24adjacent_difference_implIS3_Lb0ELb0EPKdPdN6thrust23THRUST_200600_302600_NS4plusIdEEEE10hipError_tPvRmT2_T3_mT4_P12ihipStream_tbEUlT_E_NS1_11comp_targetILNS1_3genE0ELNS1_11target_archE4294967295ELNS1_3gpuE0ELNS1_3repE0EEENS1_30default_config_static_selectorELNS0_4arch9wavefront6targetE1EEEvT1_,"axG",@progbits,_ZN7rocprim17ROCPRIM_400000_NS6detail17trampoline_kernelINS0_14default_configENS1_35adjacent_difference_config_selectorILb0EdEEZNS1_24adjacent_difference_implIS3_Lb0ELb0EPKdPdN6thrust23THRUST_200600_302600_NS4plusIdEEEE10hipError_tPvRmT2_T3_mT4_P12ihipStream_tbEUlT_E_NS1_11comp_targetILNS1_3genE0ELNS1_11target_archE4294967295ELNS1_3gpuE0ELNS1_3repE0EEENS1_30default_config_static_selectorELNS0_4arch9wavefront6targetE1EEEvT1_,comdat
	.protected	_ZN7rocprim17ROCPRIM_400000_NS6detail17trampoline_kernelINS0_14default_configENS1_35adjacent_difference_config_selectorILb0EdEEZNS1_24adjacent_difference_implIS3_Lb0ELb0EPKdPdN6thrust23THRUST_200600_302600_NS4plusIdEEEE10hipError_tPvRmT2_T3_mT4_P12ihipStream_tbEUlT_E_NS1_11comp_targetILNS1_3genE0ELNS1_11target_archE4294967295ELNS1_3gpuE0ELNS1_3repE0EEENS1_30default_config_static_selectorELNS0_4arch9wavefront6targetE1EEEvT1_ ; -- Begin function _ZN7rocprim17ROCPRIM_400000_NS6detail17trampoline_kernelINS0_14default_configENS1_35adjacent_difference_config_selectorILb0EdEEZNS1_24adjacent_difference_implIS3_Lb0ELb0EPKdPdN6thrust23THRUST_200600_302600_NS4plusIdEEEE10hipError_tPvRmT2_T3_mT4_P12ihipStream_tbEUlT_E_NS1_11comp_targetILNS1_3genE0ELNS1_11target_archE4294967295ELNS1_3gpuE0ELNS1_3repE0EEENS1_30default_config_static_selectorELNS0_4arch9wavefront6targetE1EEEvT1_
	.globl	_ZN7rocprim17ROCPRIM_400000_NS6detail17trampoline_kernelINS0_14default_configENS1_35adjacent_difference_config_selectorILb0EdEEZNS1_24adjacent_difference_implIS3_Lb0ELb0EPKdPdN6thrust23THRUST_200600_302600_NS4plusIdEEEE10hipError_tPvRmT2_T3_mT4_P12ihipStream_tbEUlT_E_NS1_11comp_targetILNS1_3genE0ELNS1_11target_archE4294967295ELNS1_3gpuE0ELNS1_3repE0EEENS1_30default_config_static_selectorELNS0_4arch9wavefront6targetE1EEEvT1_
	.p2align	8
	.type	_ZN7rocprim17ROCPRIM_400000_NS6detail17trampoline_kernelINS0_14default_configENS1_35adjacent_difference_config_selectorILb0EdEEZNS1_24adjacent_difference_implIS3_Lb0ELb0EPKdPdN6thrust23THRUST_200600_302600_NS4plusIdEEEE10hipError_tPvRmT2_T3_mT4_P12ihipStream_tbEUlT_E_NS1_11comp_targetILNS1_3genE0ELNS1_11target_archE4294967295ELNS1_3gpuE0ELNS1_3repE0EEENS1_30default_config_static_selectorELNS0_4arch9wavefront6targetE1EEEvT1_,@function
_ZN7rocprim17ROCPRIM_400000_NS6detail17trampoline_kernelINS0_14default_configENS1_35adjacent_difference_config_selectorILb0EdEEZNS1_24adjacent_difference_implIS3_Lb0ELb0EPKdPdN6thrust23THRUST_200600_302600_NS4plusIdEEEE10hipError_tPvRmT2_T3_mT4_P12ihipStream_tbEUlT_E_NS1_11comp_targetILNS1_3genE0ELNS1_11target_archE4294967295ELNS1_3gpuE0ELNS1_3repE0EEENS1_30default_config_static_selectorELNS0_4arch9wavefront6targetE1EEEvT1_: ; @_ZN7rocprim17ROCPRIM_400000_NS6detail17trampoline_kernelINS0_14default_configENS1_35adjacent_difference_config_selectorILb0EdEEZNS1_24adjacent_difference_implIS3_Lb0ELb0EPKdPdN6thrust23THRUST_200600_302600_NS4plusIdEEEE10hipError_tPvRmT2_T3_mT4_P12ihipStream_tbEUlT_E_NS1_11comp_targetILNS1_3genE0ELNS1_11target_archE4294967295ELNS1_3gpuE0ELNS1_3repE0EEENS1_30default_config_static_selectorELNS0_4arch9wavefront6targetE1EEEvT1_
; %bb.0:
	.section	.rodata,"a",@progbits
	.p2align	6, 0x0
	.amdhsa_kernel _ZN7rocprim17ROCPRIM_400000_NS6detail17trampoline_kernelINS0_14default_configENS1_35adjacent_difference_config_selectorILb0EdEEZNS1_24adjacent_difference_implIS3_Lb0ELb0EPKdPdN6thrust23THRUST_200600_302600_NS4plusIdEEEE10hipError_tPvRmT2_T3_mT4_P12ihipStream_tbEUlT_E_NS1_11comp_targetILNS1_3genE0ELNS1_11target_archE4294967295ELNS1_3gpuE0ELNS1_3repE0EEENS1_30default_config_static_selectorELNS0_4arch9wavefront6targetE1EEEvT1_
		.amdhsa_group_segment_fixed_size 0
		.amdhsa_private_segment_fixed_size 0
		.amdhsa_kernarg_size 56
		.amdhsa_user_sgpr_count 6
		.amdhsa_user_sgpr_private_segment_buffer 1
		.amdhsa_user_sgpr_dispatch_ptr 0
		.amdhsa_user_sgpr_queue_ptr 0
		.amdhsa_user_sgpr_kernarg_segment_ptr 1
		.amdhsa_user_sgpr_dispatch_id 0
		.amdhsa_user_sgpr_flat_scratch_init 0
		.amdhsa_user_sgpr_private_segment_size 0
		.amdhsa_uses_dynamic_stack 0
		.amdhsa_system_sgpr_private_segment_wavefront_offset 0
		.amdhsa_system_sgpr_workgroup_id_x 1
		.amdhsa_system_sgpr_workgroup_id_y 0
		.amdhsa_system_sgpr_workgroup_id_z 0
		.amdhsa_system_sgpr_workgroup_info 0
		.amdhsa_system_vgpr_workitem_id 0
		.amdhsa_next_free_vgpr 1
		.amdhsa_next_free_sgpr 0
		.amdhsa_reserve_vcc 0
		.amdhsa_reserve_flat_scratch 0
		.amdhsa_float_round_mode_32 0
		.amdhsa_float_round_mode_16_64 0
		.amdhsa_float_denorm_mode_32 3
		.amdhsa_float_denorm_mode_16_64 3
		.amdhsa_dx10_clamp 1
		.amdhsa_ieee_mode 1
		.amdhsa_fp16_overflow 0
		.amdhsa_exception_fp_ieee_invalid_op 0
		.amdhsa_exception_fp_denorm_src 0
		.amdhsa_exception_fp_ieee_div_zero 0
		.amdhsa_exception_fp_ieee_overflow 0
		.amdhsa_exception_fp_ieee_underflow 0
		.amdhsa_exception_fp_ieee_inexact 0
		.amdhsa_exception_int_div_zero 0
	.end_amdhsa_kernel
	.section	.text._ZN7rocprim17ROCPRIM_400000_NS6detail17trampoline_kernelINS0_14default_configENS1_35adjacent_difference_config_selectorILb0EdEEZNS1_24adjacent_difference_implIS3_Lb0ELb0EPKdPdN6thrust23THRUST_200600_302600_NS4plusIdEEEE10hipError_tPvRmT2_T3_mT4_P12ihipStream_tbEUlT_E_NS1_11comp_targetILNS1_3genE0ELNS1_11target_archE4294967295ELNS1_3gpuE0ELNS1_3repE0EEENS1_30default_config_static_selectorELNS0_4arch9wavefront6targetE1EEEvT1_,"axG",@progbits,_ZN7rocprim17ROCPRIM_400000_NS6detail17trampoline_kernelINS0_14default_configENS1_35adjacent_difference_config_selectorILb0EdEEZNS1_24adjacent_difference_implIS3_Lb0ELb0EPKdPdN6thrust23THRUST_200600_302600_NS4plusIdEEEE10hipError_tPvRmT2_T3_mT4_P12ihipStream_tbEUlT_E_NS1_11comp_targetILNS1_3genE0ELNS1_11target_archE4294967295ELNS1_3gpuE0ELNS1_3repE0EEENS1_30default_config_static_selectorELNS0_4arch9wavefront6targetE1EEEvT1_,comdat
.Lfunc_end573:
	.size	_ZN7rocprim17ROCPRIM_400000_NS6detail17trampoline_kernelINS0_14default_configENS1_35adjacent_difference_config_selectorILb0EdEEZNS1_24adjacent_difference_implIS3_Lb0ELb0EPKdPdN6thrust23THRUST_200600_302600_NS4plusIdEEEE10hipError_tPvRmT2_T3_mT4_P12ihipStream_tbEUlT_E_NS1_11comp_targetILNS1_3genE0ELNS1_11target_archE4294967295ELNS1_3gpuE0ELNS1_3repE0EEENS1_30default_config_static_selectorELNS0_4arch9wavefront6targetE1EEEvT1_, .Lfunc_end573-_ZN7rocprim17ROCPRIM_400000_NS6detail17trampoline_kernelINS0_14default_configENS1_35adjacent_difference_config_selectorILb0EdEEZNS1_24adjacent_difference_implIS3_Lb0ELb0EPKdPdN6thrust23THRUST_200600_302600_NS4plusIdEEEE10hipError_tPvRmT2_T3_mT4_P12ihipStream_tbEUlT_E_NS1_11comp_targetILNS1_3genE0ELNS1_11target_archE4294967295ELNS1_3gpuE0ELNS1_3repE0EEENS1_30default_config_static_selectorELNS0_4arch9wavefront6targetE1EEEvT1_
                                        ; -- End function
	.set _ZN7rocprim17ROCPRIM_400000_NS6detail17trampoline_kernelINS0_14default_configENS1_35adjacent_difference_config_selectorILb0EdEEZNS1_24adjacent_difference_implIS3_Lb0ELb0EPKdPdN6thrust23THRUST_200600_302600_NS4plusIdEEEE10hipError_tPvRmT2_T3_mT4_P12ihipStream_tbEUlT_E_NS1_11comp_targetILNS1_3genE0ELNS1_11target_archE4294967295ELNS1_3gpuE0ELNS1_3repE0EEENS1_30default_config_static_selectorELNS0_4arch9wavefront6targetE1EEEvT1_.num_vgpr, 0
	.set _ZN7rocprim17ROCPRIM_400000_NS6detail17trampoline_kernelINS0_14default_configENS1_35adjacent_difference_config_selectorILb0EdEEZNS1_24adjacent_difference_implIS3_Lb0ELb0EPKdPdN6thrust23THRUST_200600_302600_NS4plusIdEEEE10hipError_tPvRmT2_T3_mT4_P12ihipStream_tbEUlT_E_NS1_11comp_targetILNS1_3genE0ELNS1_11target_archE4294967295ELNS1_3gpuE0ELNS1_3repE0EEENS1_30default_config_static_selectorELNS0_4arch9wavefront6targetE1EEEvT1_.num_agpr, 0
	.set _ZN7rocprim17ROCPRIM_400000_NS6detail17trampoline_kernelINS0_14default_configENS1_35adjacent_difference_config_selectorILb0EdEEZNS1_24adjacent_difference_implIS3_Lb0ELb0EPKdPdN6thrust23THRUST_200600_302600_NS4plusIdEEEE10hipError_tPvRmT2_T3_mT4_P12ihipStream_tbEUlT_E_NS1_11comp_targetILNS1_3genE0ELNS1_11target_archE4294967295ELNS1_3gpuE0ELNS1_3repE0EEENS1_30default_config_static_selectorELNS0_4arch9wavefront6targetE1EEEvT1_.numbered_sgpr, 0
	.set _ZN7rocprim17ROCPRIM_400000_NS6detail17trampoline_kernelINS0_14default_configENS1_35adjacent_difference_config_selectorILb0EdEEZNS1_24adjacent_difference_implIS3_Lb0ELb0EPKdPdN6thrust23THRUST_200600_302600_NS4plusIdEEEE10hipError_tPvRmT2_T3_mT4_P12ihipStream_tbEUlT_E_NS1_11comp_targetILNS1_3genE0ELNS1_11target_archE4294967295ELNS1_3gpuE0ELNS1_3repE0EEENS1_30default_config_static_selectorELNS0_4arch9wavefront6targetE1EEEvT1_.num_named_barrier, 0
	.set _ZN7rocprim17ROCPRIM_400000_NS6detail17trampoline_kernelINS0_14default_configENS1_35adjacent_difference_config_selectorILb0EdEEZNS1_24adjacent_difference_implIS3_Lb0ELb0EPKdPdN6thrust23THRUST_200600_302600_NS4plusIdEEEE10hipError_tPvRmT2_T3_mT4_P12ihipStream_tbEUlT_E_NS1_11comp_targetILNS1_3genE0ELNS1_11target_archE4294967295ELNS1_3gpuE0ELNS1_3repE0EEENS1_30default_config_static_selectorELNS0_4arch9wavefront6targetE1EEEvT1_.private_seg_size, 0
	.set _ZN7rocprim17ROCPRIM_400000_NS6detail17trampoline_kernelINS0_14default_configENS1_35adjacent_difference_config_selectorILb0EdEEZNS1_24adjacent_difference_implIS3_Lb0ELb0EPKdPdN6thrust23THRUST_200600_302600_NS4plusIdEEEE10hipError_tPvRmT2_T3_mT4_P12ihipStream_tbEUlT_E_NS1_11comp_targetILNS1_3genE0ELNS1_11target_archE4294967295ELNS1_3gpuE0ELNS1_3repE0EEENS1_30default_config_static_selectorELNS0_4arch9wavefront6targetE1EEEvT1_.uses_vcc, 0
	.set _ZN7rocprim17ROCPRIM_400000_NS6detail17trampoline_kernelINS0_14default_configENS1_35adjacent_difference_config_selectorILb0EdEEZNS1_24adjacent_difference_implIS3_Lb0ELb0EPKdPdN6thrust23THRUST_200600_302600_NS4plusIdEEEE10hipError_tPvRmT2_T3_mT4_P12ihipStream_tbEUlT_E_NS1_11comp_targetILNS1_3genE0ELNS1_11target_archE4294967295ELNS1_3gpuE0ELNS1_3repE0EEENS1_30default_config_static_selectorELNS0_4arch9wavefront6targetE1EEEvT1_.uses_flat_scratch, 0
	.set _ZN7rocprim17ROCPRIM_400000_NS6detail17trampoline_kernelINS0_14default_configENS1_35adjacent_difference_config_selectorILb0EdEEZNS1_24adjacent_difference_implIS3_Lb0ELb0EPKdPdN6thrust23THRUST_200600_302600_NS4plusIdEEEE10hipError_tPvRmT2_T3_mT4_P12ihipStream_tbEUlT_E_NS1_11comp_targetILNS1_3genE0ELNS1_11target_archE4294967295ELNS1_3gpuE0ELNS1_3repE0EEENS1_30default_config_static_selectorELNS0_4arch9wavefront6targetE1EEEvT1_.has_dyn_sized_stack, 0
	.set _ZN7rocprim17ROCPRIM_400000_NS6detail17trampoline_kernelINS0_14default_configENS1_35adjacent_difference_config_selectorILb0EdEEZNS1_24adjacent_difference_implIS3_Lb0ELb0EPKdPdN6thrust23THRUST_200600_302600_NS4plusIdEEEE10hipError_tPvRmT2_T3_mT4_P12ihipStream_tbEUlT_E_NS1_11comp_targetILNS1_3genE0ELNS1_11target_archE4294967295ELNS1_3gpuE0ELNS1_3repE0EEENS1_30default_config_static_selectorELNS0_4arch9wavefront6targetE1EEEvT1_.has_recursion, 0
	.set _ZN7rocprim17ROCPRIM_400000_NS6detail17trampoline_kernelINS0_14default_configENS1_35adjacent_difference_config_selectorILb0EdEEZNS1_24adjacent_difference_implIS3_Lb0ELb0EPKdPdN6thrust23THRUST_200600_302600_NS4plusIdEEEE10hipError_tPvRmT2_T3_mT4_P12ihipStream_tbEUlT_E_NS1_11comp_targetILNS1_3genE0ELNS1_11target_archE4294967295ELNS1_3gpuE0ELNS1_3repE0EEENS1_30default_config_static_selectorELNS0_4arch9wavefront6targetE1EEEvT1_.has_indirect_call, 0
	.section	.AMDGPU.csdata,"",@progbits
; Kernel info:
; codeLenInByte = 0
; TotalNumSgprs: 4
; NumVgprs: 0
; ScratchSize: 0
; MemoryBound: 0
; FloatMode: 240
; IeeeMode: 1
; LDSByteSize: 0 bytes/workgroup (compile time only)
; SGPRBlocks: 0
; VGPRBlocks: 0
; NumSGPRsForWavesPerEU: 4
; NumVGPRsForWavesPerEU: 1
; Occupancy: 10
; WaveLimiterHint : 0
; COMPUTE_PGM_RSRC2:SCRATCH_EN: 0
; COMPUTE_PGM_RSRC2:USER_SGPR: 6
; COMPUTE_PGM_RSRC2:TRAP_HANDLER: 0
; COMPUTE_PGM_RSRC2:TGID_X_EN: 1
; COMPUTE_PGM_RSRC2:TGID_Y_EN: 0
; COMPUTE_PGM_RSRC2:TGID_Z_EN: 0
; COMPUTE_PGM_RSRC2:TIDIG_COMP_CNT: 0
	.section	.text._ZN7rocprim17ROCPRIM_400000_NS6detail17trampoline_kernelINS0_14default_configENS1_35adjacent_difference_config_selectorILb0EdEEZNS1_24adjacent_difference_implIS3_Lb0ELb0EPKdPdN6thrust23THRUST_200600_302600_NS4plusIdEEEE10hipError_tPvRmT2_T3_mT4_P12ihipStream_tbEUlT_E_NS1_11comp_targetILNS1_3genE10ELNS1_11target_archE1201ELNS1_3gpuE5ELNS1_3repE0EEENS1_30default_config_static_selectorELNS0_4arch9wavefront6targetE1EEEvT1_,"axG",@progbits,_ZN7rocprim17ROCPRIM_400000_NS6detail17trampoline_kernelINS0_14default_configENS1_35adjacent_difference_config_selectorILb0EdEEZNS1_24adjacent_difference_implIS3_Lb0ELb0EPKdPdN6thrust23THRUST_200600_302600_NS4plusIdEEEE10hipError_tPvRmT2_T3_mT4_P12ihipStream_tbEUlT_E_NS1_11comp_targetILNS1_3genE10ELNS1_11target_archE1201ELNS1_3gpuE5ELNS1_3repE0EEENS1_30default_config_static_selectorELNS0_4arch9wavefront6targetE1EEEvT1_,comdat
	.protected	_ZN7rocprim17ROCPRIM_400000_NS6detail17trampoline_kernelINS0_14default_configENS1_35adjacent_difference_config_selectorILb0EdEEZNS1_24adjacent_difference_implIS3_Lb0ELb0EPKdPdN6thrust23THRUST_200600_302600_NS4plusIdEEEE10hipError_tPvRmT2_T3_mT4_P12ihipStream_tbEUlT_E_NS1_11comp_targetILNS1_3genE10ELNS1_11target_archE1201ELNS1_3gpuE5ELNS1_3repE0EEENS1_30default_config_static_selectorELNS0_4arch9wavefront6targetE1EEEvT1_ ; -- Begin function _ZN7rocprim17ROCPRIM_400000_NS6detail17trampoline_kernelINS0_14default_configENS1_35adjacent_difference_config_selectorILb0EdEEZNS1_24adjacent_difference_implIS3_Lb0ELb0EPKdPdN6thrust23THRUST_200600_302600_NS4plusIdEEEE10hipError_tPvRmT2_T3_mT4_P12ihipStream_tbEUlT_E_NS1_11comp_targetILNS1_3genE10ELNS1_11target_archE1201ELNS1_3gpuE5ELNS1_3repE0EEENS1_30default_config_static_selectorELNS0_4arch9wavefront6targetE1EEEvT1_
	.globl	_ZN7rocprim17ROCPRIM_400000_NS6detail17trampoline_kernelINS0_14default_configENS1_35adjacent_difference_config_selectorILb0EdEEZNS1_24adjacent_difference_implIS3_Lb0ELb0EPKdPdN6thrust23THRUST_200600_302600_NS4plusIdEEEE10hipError_tPvRmT2_T3_mT4_P12ihipStream_tbEUlT_E_NS1_11comp_targetILNS1_3genE10ELNS1_11target_archE1201ELNS1_3gpuE5ELNS1_3repE0EEENS1_30default_config_static_selectorELNS0_4arch9wavefront6targetE1EEEvT1_
	.p2align	8
	.type	_ZN7rocprim17ROCPRIM_400000_NS6detail17trampoline_kernelINS0_14default_configENS1_35adjacent_difference_config_selectorILb0EdEEZNS1_24adjacent_difference_implIS3_Lb0ELb0EPKdPdN6thrust23THRUST_200600_302600_NS4plusIdEEEE10hipError_tPvRmT2_T3_mT4_P12ihipStream_tbEUlT_E_NS1_11comp_targetILNS1_3genE10ELNS1_11target_archE1201ELNS1_3gpuE5ELNS1_3repE0EEENS1_30default_config_static_selectorELNS0_4arch9wavefront6targetE1EEEvT1_,@function
_ZN7rocprim17ROCPRIM_400000_NS6detail17trampoline_kernelINS0_14default_configENS1_35adjacent_difference_config_selectorILb0EdEEZNS1_24adjacent_difference_implIS3_Lb0ELb0EPKdPdN6thrust23THRUST_200600_302600_NS4plusIdEEEE10hipError_tPvRmT2_T3_mT4_P12ihipStream_tbEUlT_E_NS1_11comp_targetILNS1_3genE10ELNS1_11target_archE1201ELNS1_3gpuE5ELNS1_3repE0EEENS1_30default_config_static_selectorELNS0_4arch9wavefront6targetE1EEEvT1_: ; @_ZN7rocprim17ROCPRIM_400000_NS6detail17trampoline_kernelINS0_14default_configENS1_35adjacent_difference_config_selectorILb0EdEEZNS1_24adjacent_difference_implIS3_Lb0ELb0EPKdPdN6thrust23THRUST_200600_302600_NS4plusIdEEEE10hipError_tPvRmT2_T3_mT4_P12ihipStream_tbEUlT_E_NS1_11comp_targetILNS1_3genE10ELNS1_11target_archE1201ELNS1_3gpuE5ELNS1_3repE0EEENS1_30default_config_static_selectorELNS0_4arch9wavefront6targetE1EEEvT1_
; %bb.0:
	.section	.rodata,"a",@progbits
	.p2align	6, 0x0
	.amdhsa_kernel _ZN7rocprim17ROCPRIM_400000_NS6detail17trampoline_kernelINS0_14default_configENS1_35adjacent_difference_config_selectorILb0EdEEZNS1_24adjacent_difference_implIS3_Lb0ELb0EPKdPdN6thrust23THRUST_200600_302600_NS4plusIdEEEE10hipError_tPvRmT2_T3_mT4_P12ihipStream_tbEUlT_E_NS1_11comp_targetILNS1_3genE10ELNS1_11target_archE1201ELNS1_3gpuE5ELNS1_3repE0EEENS1_30default_config_static_selectorELNS0_4arch9wavefront6targetE1EEEvT1_
		.amdhsa_group_segment_fixed_size 0
		.amdhsa_private_segment_fixed_size 0
		.amdhsa_kernarg_size 56
		.amdhsa_user_sgpr_count 6
		.amdhsa_user_sgpr_private_segment_buffer 1
		.amdhsa_user_sgpr_dispatch_ptr 0
		.amdhsa_user_sgpr_queue_ptr 0
		.amdhsa_user_sgpr_kernarg_segment_ptr 1
		.amdhsa_user_sgpr_dispatch_id 0
		.amdhsa_user_sgpr_flat_scratch_init 0
		.amdhsa_user_sgpr_private_segment_size 0
		.amdhsa_uses_dynamic_stack 0
		.amdhsa_system_sgpr_private_segment_wavefront_offset 0
		.amdhsa_system_sgpr_workgroup_id_x 1
		.amdhsa_system_sgpr_workgroup_id_y 0
		.amdhsa_system_sgpr_workgroup_id_z 0
		.amdhsa_system_sgpr_workgroup_info 0
		.amdhsa_system_vgpr_workitem_id 0
		.amdhsa_next_free_vgpr 1
		.amdhsa_next_free_sgpr 0
		.amdhsa_reserve_vcc 0
		.amdhsa_reserve_flat_scratch 0
		.amdhsa_float_round_mode_32 0
		.amdhsa_float_round_mode_16_64 0
		.amdhsa_float_denorm_mode_32 3
		.amdhsa_float_denorm_mode_16_64 3
		.amdhsa_dx10_clamp 1
		.amdhsa_ieee_mode 1
		.amdhsa_fp16_overflow 0
		.amdhsa_exception_fp_ieee_invalid_op 0
		.amdhsa_exception_fp_denorm_src 0
		.amdhsa_exception_fp_ieee_div_zero 0
		.amdhsa_exception_fp_ieee_overflow 0
		.amdhsa_exception_fp_ieee_underflow 0
		.amdhsa_exception_fp_ieee_inexact 0
		.amdhsa_exception_int_div_zero 0
	.end_amdhsa_kernel
	.section	.text._ZN7rocprim17ROCPRIM_400000_NS6detail17trampoline_kernelINS0_14default_configENS1_35adjacent_difference_config_selectorILb0EdEEZNS1_24adjacent_difference_implIS3_Lb0ELb0EPKdPdN6thrust23THRUST_200600_302600_NS4plusIdEEEE10hipError_tPvRmT2_T3_mT4_P12ihipStream_tbEUlT_E_NS1_11comp_targetILNS1_3genE10ELNS1_11target_archE1201ELNS1_3gpuE5ELNS1_3repE0EEENS1_30default_config_static_selectorELNS0_4arch9wavefront6targetE1EEEvT1_,"axG",@progbits,_ZN7rocprim17ROCPRIM_400000_NS6detail17trampoline_kernelINS0_14default_configENS1_35adjacent_difference_config_selectorILb0EdEEZNS1_24adjacent_difference_implIS3_Lb0ELb0EPKdPdN6thrust23THRUST_200600_302600_NS4plusIdEEEE10hipError_tPvRmT2_T3_mT4_P12ihipStream_tbEUlT_E_NS1_11comp_targetILNS1_3genE10ELNS1_11target_archE1201ELNS1_3gpuE5ELNS1_3repE0EEENS1_30default_config_static_selectorELNS0_4arch9wavefront6targetE1EEEvT1_,comdat
.Lfunc_end574:
	.size	_ZN7rocprim17ROCPRIM_400000_NS6detail17trampoline_kernelINS0_14default_configENS1_35adjacent_difference_config_selectorILb0EdEEZNS1_24adjacent_difference_implIS3_Lb0ELb0EPKdPdN6thrust23THRUST_200600_302600_NS4plusIdEEEE10hipError_tPvRmT2_T3_mT4_P12ihipStream_tbEUlT_E_NS1_11comp_targetILNS1_3genE10ELNS1_11target_archE1201ELNS1_3gpuE5ELNS1_3repE0EEENS1_30default_config_static_selectorELNS0_4arch9wavefront6targetE1EEEvT1_, .Lfunc_end574-_ZN7rocprim17ROCPRIM_400000_NS6detail17trampoline_kernelINS0_14default_configENS1_35adjacent_difference_config_selectorILb0EdEEZNS1_24adjacent_difference_implIS3_Lb0ELb0EPKdPdN6thrust23THRUST_200600_302600_NS4plusIdEEEE10hipError_tPvRmT2_T3_mT4_P12ihipStream_tbEUlT_E_NS1_11comp_targetILNS1_3genE10ELNS1_11target_archE1201ELNS1_3gpuE5ELNS1_3repE0EEENS1_30default_config_static_selectorELNS0_4arch9wavefront6targetE1EEEvT1_
                                        ; -- End function
	.set _ZN7rocprim17ROCPRIM_400000_NS6detail17trampoline_kernelINS0_14default_configENS1_35adjacent_difference_config_selectorILb0EdEEZNS1_24adjacent_difference_implIS3_Lb0ELb0EPKdPdN6thrust23THRUST_200600_302600_NS4plusIdEEEE10hipError_tPvRmT2_T3_mT4_P12ihipStream_tbEUlT_E_NS1_11comp_targetILNS1_3genE10ELNS1_11target_archE1201ELNS1_3gpuE5ELNS1_3repE0EEENS1_30default_config_static_selectorELNS0_4arch9wavefront6targetE1EEEvT1_.num_vgpr, 0
	.set _ZN7rocprim17ROCPRIM_400000_NS6detail17trampoline_kernelINS0_14default_configENS1_35adjacent_difference_config_selectorILb0EdEEZNS1_24adjacent_difference_implIS3_Lb0ELb0EPKdPdN6thrust23THRUST_200600_302600_NS4plusIdEEEE10hipError_tPvRmT2_T3_mT4_P12ihipStream_tbEUlT_E_NS1_11comp_targetILNS1_3genE10ELNS1_11target_archE1201ELNS1_3gpuE5ELNS1_3repE0EEENS1_30default_config_static_selectorELNS0_4arch9wavefront6targetE1EEEvT1_.num_agpr, 0
	.set _ZN7rocprim17ROCPRIM_400000_NS6detail17trampoline_kernelINS0_14default_configENS1_35adjacent_difference_config_selectorILb0EdEEZNS1_24adjacent_difference_implIS3_Lb0ELb0EPKdPdN6thrust23THRUST_200600_302600_NS4plusIdEEEE10hipError_tPvRmT2_T3_mT4_P12ihipStream_tbEUlT_E_NS1_11comp_targetILNS1_3genE10ELNS1_11target_archE1201ELNS1_3gpuE5ELNS1_3repE0EEENS1_30default_config_static_selectorELNS0_4arch9wavefront6targetE1EEEvT1_.numbered_sgpr, 0
	.set _ZN7rocprim17ROCPRIM_400000_NS6detail17trampoline_kernelINS0_14default_configENS1_35adjacent_difference_config_selectorILb0EdEEZNS1_24adjacent_difference_implIS3_Lb0ELb0EPKdPdN6thrust23THRUST_200600_302600_NS4plusIdEEEE10hipError_tPvRmT2_T3_mT4_P12ihipStream_tbEUlT_E_NS1_11comp_targetILNS1_3genE10ELNS1_11target_archE1201ELNS1_3gpuE5ELNS1_3repE0EEENS1_30default_config_static_selectorELNS0_4arch9wavefront6targetE1EEEvT1_.num_named_barrier, 0
	.set _ZN7rocprim17ROCPRIM_400000_NS6detail17trampoline_kernelINS0_14default_configENS1_35adjacent_difference_config_selectorILb0EdEEZNS1_24adjacent_difference_implIS3_Lb0ELb0EPKdPdN6thrust23THRUST_200600_302600_NS4plusIdEEEE10hipError_tPvRmT2_T3_mT4_P12ihipStream_tbEUlT_E_NS1_11comp_targetILNS1_3genE10ELNS1_11target_archE1201ELNS1_3gpuE5ELNS1_3repE0EEENS1_30default_config_static_selectorELNS0_4arch9wavefront6targetE1EEEvT1_.private_seg_size, 0
	.set _ZN7rocprim17ROCPRIM_400000_NS6detail17trampoline_kernelINS0_14default_configENS1_35adjacent_difference_config_selectorILb0EdEEZNS1_24adjacent_difference_implIS3_Lb0ELb0EPKdPdN6thrust23THRUST_200600_302600_NS4plusIdEEEE10hipError_tPvRmT2_T3_mT4_P12ihipStream_tbEUlT_E_NS1_11comp_targetILNS1_3genE10ELNS1_11target_archE1201ELNS1_3gpuE5ELNS1_3repE0EEENS1_30default_config_static_selectorELNS0_4arch9wavefront6targetE1EEEvT1_.uses_vcc, 0
	.set _ZN7rocprim17ROCPRIM_400000_NS6detail17trampoline_kernelINS0_14default_configENS1_35adjacent_difference_config_selectorILb0EdEEZNS1_24adjacent_difference_implIS3_Lb0ELb0EPKdPdN6thrust23THRUST_200600_302600_NS4plusIdEEEE10hipError_tPvRmT2_T3_mT4_P12ihipStream_tbEUlT_E_NS1_11comp_targetILNS1_3genE10ELNS1_11target_archE1201ELNS1_3gpuE5ELNS1_3repE0EEENS1_30default_config_static_selectorELNS0_4arch9wavefront6targetE1EEEvT1_.uses_flat_scratch, 0
	.set _ZN7rocprim17ROCPRIM_400000_NS6detail17trampoline_kernelINS0_14default_configENS1_35adjacent_difference_config_selectorILb0EdEEZNS1_24adjacent_difference_implIS3_Lb0ELb0EPKdPdN6thrust23THRUST_200600_302600_NS4plusIdEEEE10hipError_tPvRmT2_T3_mT4_P12ihipStream_tbEUlT_E_NS1_11comp_targetILNS1_3genE10ELNS1_11target_archE1201ELNS1_3gpuE5ELNS1_3repE0EEENS1_30default_config_static_selectorELNS0_4arch9wavefront6targetE1EEEvT1_.has_dyn_sized_stack, 0
	.set _ZN7rocprim17ROCPRIM_400000_NS6detail17trampoline_kernelINS0_14default_configENS1_35adjacent_difference_config_selectorILb0EdEEZNS1_24adjacent_difference_implIS3_Lb0ELb0EPKdPdN6thrust23THRUST_200600_302600_NS4plusIdEEEE10hipError_tPvRmT2_T3_mT4_P12ihipStream_tbEUlT_E_NS1_11comp_targetILNS1_3genE10ELNS1_11target_archE1201ELNS1_3gpuE5ELNS1_3repE0EEENS1_30default_config_static_selectorELNS0_4arch9wavefront6targetE1EEEvT1_.has_recursion, 0
	.set _ZN7rocprim17ROCPRIM_400000_NS6detail17trampoline_kernelINS0_14default_configENS1_35adjacent_difference_config_selectorILb0EdEEZNS1_24adjacent_difference_implIS3_Lb0ELb0EPKdPdN6thrust23THRUST_200600_302600_NS4plusIdEEEE10hipError_tPvRmT2_T3_mT4_P12ihipStream_tbEUlT_E_NS1_11comp_targetILNS1_3genE10ELNS1_11target_archE1201ELNS1_3gpuE5ELNS1_3repE0EEENS1_30default_config_static_selectorELNS0_4arch9wavefront6targetE1EEEvT1_.has_indirect_call, 0
	.section	.AMDGPU.csdata,"",@progbits
; Kernel info:
; codeLenInByte = 0
; TotalNumSgprs: 4
; NumVgprs: 0
; ScratchSize: 0
; MemoryBound: 0
; FloatMode: 240
; IeeeMode: 1
; LDSByteSize: 0 bytes/workgroup (compile time only)
; SGPRBlocks: 0
; VGPRBlocks: 0
; NumSGPRsForWavesPerEU: 4
; NumVGPRsForWavesPerEU: 1
; Occupancy: 10
; WaveLimiterHint : 0
; COMPUTE_PGM_RSRC2:SCRATCH_EN: 0
; COMPUTE_PGM_RSRC2:USER_SGPR: 6
; COMPUTE_PGM_RSRC2:TRAP_HANDLER: 0
; COMPUTE_PGM_RSRC2:TGID_X_EN: 1
; COMPUTE_PGM_RSRC2:TGID_Y_EN: 0
; COMPUTE_PGM_RSRC2:TGID_Z_EN: 0
; COMPUTE_PGM_RSRC2:TIDIG_COMP_CNT: 0
	.section	.text._ZN7rocprim17ROCPRIM_400000_NS6detail17trampoline_kernelINS0_14default_configENS1_35adjacent_difference_config_selectorILb0EdEEZNS1_24adjacent_difference_implIS3_Lb0ELb0EPKdPdN6thrust23THRUST_200600_302600_NS4plusIdEEEE10hipError_tPvRmT2_T3_mT4_P12ihipStream_tbEUlT_E_NS1_11comp_targetILNS1_3genE5ELNS1_11target_archE942ELNS1_3gpuE9ELNS1_3repE0EEENS1_30default_config_static_selectorELNS0_4arch9wavefront6targetE1EEEvT1_,"axG",@progbits,_ZN7rocprim17ROCPRIM_400000_NS6detail17trampoline_kernelINS0_14default_configENS1_35adjacent_difference_config_selectorILb0EdEEZNS1_24adjacent_difference_implIS3_Lb0ELb0EPKdPdN6thrust23THRUST_200600_302600_NS4plusIdEEEE10hipError_tPvRmT2_T3_mT4_P12ihipStream_tbEUlT_E_NS1_11comp_targetILNS1_3genE5ELNS1_11target_archE942ELNS1_3gpuE9ELNS1_3repE0EEENS1_30default_config_static_selectorELNS0_4arch9wavefront6targetE1EEEvT1_,comdat
	.protected	_ZN7rocprim17ROCPRIM_400000_NS6detail17trampoline_kernelINS0_14default_configENS1_35adjacent_difference_config_selectorILb0EdEEZNS1_24adjacent_difference_implIS3_Lb0ELb0EPKdPdN6thrust23THRUST_200600_302600_NS4plusIdEEEE10hipError_tPvRmT2_T3_mT4_P12ihipStream_tbEUlT_E_NS1_11comp_targetILNS1_3genE5ELNS1_11target_archE942ELNS1_3gpuE9ELNS1_3repE0EEENS1_30default_config_static_selectorELNS0_4arch9wavefront6targetE1EEEvT1_ ; -- Begin function _ZN7rocprim17ROCPRIM_400000_NS6detail17trampoline_kernelINS0_14default_configENS1_35adjacent_difference_config_selectorILb0EdEEZNS1_24adjacent_difference_implIS3_Lb0ELb0EPKdPdN6thrust23THRUST_200600_302600_NS4plusIdEEEE10hipError_tPvRmT2_T3_mT4_P12ihipStream_tbEUlT_E_NS1_11comp_targetILNS1_3genE5ELNS1_11target_archE942ELNS1_3gpuE9ELNS1_3repE0EEENS1_30default_config_static_selectorELNS0_4arch9wavefront6targetE1EEEvT1_
	.globl	_ZN7rocprim17ROCPRIM_400000_NS6detail17trampoline_kernelINS0_14default_configENS1_35adjacent_difference_config_selectorILb0EdEEZNS1_24adjacent_difference_implIS3_Lb0ELb0EPKdPdN6thrust23THRUST_200600_302600_NS4plusIdEEEE10hipError_tPvRmT2_T3_mT4_P12ihipStream_tbEUlT_E_NS1_11comp_targetILNS1_3genE5ELNS1_11target_archE942ELNS1_3gpuE9ELNS1_3repE0EEENS1_30default_config_static_selectorELNS0_4arch9wavefront6targetE1EEEvT1_
	.p2align	8
	.type	_ZN7rocprim17ROCPRIM_400000_NS6detail17trampoline_kernelINS0_14default_configENS1_35adjacent_difference_config_selectorILb0EdEEZNS1_24adjacent_difference_implIS3_Lb0ELb0EPKdPdN6thrust23THRUST_200600_302600_NS4plusIdEEEE10hipError_tPvRmT2_T3_mT4_P12ihipStream_tbEUlT_E_NS1_11comp_targetILNS1_3genE5ELNS1_11target_archE942ELNS1_3gpuE9ELNS1_3repE0EEENS1_30default_config_static_selectorELNS0_4arch9wavefront6targetE1EEEvT1_,@function
_ZN7rocprim17ROCPRIM_400000_NS6detail17trampoline_kernelINS0_14default_configENS1_35adjacent_difference_config_selectorILb0EdEEZNS1_24adjacent_difference_implIS3_Lb0ELb0EPKdPdN6thrust23THRUST_200600_302600_NS4plusIdEEEE10hipError_tPvRmT2_T3_mT4_P12ihipStream_tbEUlT_E_NS1_11comp_targetILNS1_3genE5ELNS1_11target_archE942ELNS1_3gpuE9ELNS1_3repE0EEENS1_30default_config_static_selectorELNS0_4arch9wavefront6targetE1EEEvT1_: ; @_ZN7rocprim17ROCPRIM_400000_NS6detail17trampoline_kernelINS0_14default_configENS1_35adjacent_difference_config_selectorILb0EdEEZNS1_24adjacent_difference_implIS3_Lb0ELb0EPKdPdN6thrust23THRUST_200600_302600_NS4plusIdEEEE10hipError_tPvRmT2_T3_mT4_P12ihipStream_tbEUlT_E_NS1_11comp_targetILNS1_3genE5ELNS1_11target_archE942ELNS1_3gpuE9ELNS1_3repE0EEENS1_30default_config_static_selectorELNS0_4arch9wavefront6targetE1EEEvT1_
; %bb.0:
	.section	.rodata,"a",@progbits
	.p2align	6, 0x0
	.amdhsa_kernel _ZN7rocprim17ROCPRIM_400000_NS6detail17trampoline_kernelINS0_14default_configENS1_35adjacent_difference_config_selectorILb0EdEEZNS1_24adjacent_difference_implIS3_Lb0ELb0EPKdPdN6thrust23THRUST_200600_302600_NS4plusIdEEEE10hipError_tPvRmT2_T3_mT4_P12ihipStream_tbEUlT_E_NS1_11comp_targetILNS1_3genE5ELNS1_11target_archE942ELNS1_3gpuE9ELNS1_3repE0EEENS1_30default_config_static_selectorELNS0_4arch9wavefront6targetE1EEEvT1_
		.amdhsa_group_segment_fixed_size 0
		.amdhsa_private_segment_fixed_size 0
		.amdhsa_kernarg_size 56
		.amdhsa_user_sgpr_count 6
		.amdhsa_user_sgpr_private_segment_buffer 1
		.amdhsa_user_sgpr_dispatch_ptr 0
		.amdhsa_user_sgpr_queue_ptr 0
		.amdhsa_user_sgpr_kernarg_segment_ptr 1
		.amdhsa_user_sgpr_dispatch_id 0
		.amdhsa_user_sgpr_flat_scratch_init 0
		.amdhsa_user_sgpr_private_segment_size 0
		.amdhsa_uses_dynamic_stack 0
		.amdhsa_system_sgpr_private_segment_wavefront_offset 0
		.amdhsa_system_sgpr_workgroup_id_x 1
		.amdhsa_system_sgpr_workgroup_id_y 0
		.amdhsa_system_sgpr_workgroup_id_z 0
		.amdhsa_system_sgpr_workgroup_info 0
		.amdhsa_system_vgpr_workitem_id 0
		.amdhsa_next_free_vgpr 1
		.amdhsa_next_free_sgpr 0
		.amdhsa_reserve_vcc 0
		.amdhsa_reserve_flat_scratch 0
		.amdhsa_float_round_mode_32 0
		.amdhsa_float_round_mode_16_64 0
		.amdhsa_float_denorm_mode_32 3
		.amdhsa_float_denorm_mode_16_64 3
		.amdhsa_dx10_clamp 1
		.amdhsa_ieee_mode 1
		.amdhsa_fp16_overflow 0
		.amdhsa_exception_fp_ieee_invalid_op 0
		.amdhsa_exception_fp_denorm_src 0
		.amdhsa_exception_fp_ieee_div_zero 0
		.amdhsa_exception_fp_ieee_overflow 0
		.amdhsa_exception_fp_ieee_underflow 0
		.amdhsa_exception_fp_ieee_inexact 0
		.amdhsa_exception_int_div_zero 0
	.end_amdhsa_kernel
	.section	.text._ZN7rocprim17ROCPRIM_400000_NS6detail17trampoline_kernelINS0_14default_configENS1_35adjacent_difference_config_selectorILb0EdEEZNS1_24adjacent_difference_implIS3_Lb0ELb0EPKdPdN6thrust23THRUST_200600_302600_NS4plusIdEEEE10hipError_tPvRmT2_T3_mT4_P12ihipStream_tbEUlT_E_NS1_11comp_targetILNS1_3genE5ELNS1_11target_archE942ELNS1_3gpuE9ELNS1_3repE0EEENS1_30default_config_static_selectorELNS0_4arch9wavefront6targetE1EEEvT1_,"axG",@progbits,_ZN7rocprim17ROCPRIM_400000_NS6detail17trampoline_kernelINS0_14default_configENS1_35adjacent_difference_config_selectorILb0EdEEZNS1_24adjacent_difference_implIS3_Lb0ELb0EPKdPdN6thrust23THRUST_200600_302600_NS4plusIdEEEE10hipError_tPvRmT2_T3_mT4_P12ihipStream_tbEUlT_E_NS1_11comp_targetILNS1_3genE5ELNS1_11target_archE942ELNS1_3gpuE9ELNS1_3repE0EEENS1_30default_config_static_selectorELNS0_4arch9wavefront6targetE1EEEvT1_,comdat
.Lfunc_end575:
	.size	_ZN7rocprim17ROCPRIM_400000_NS6detail17trampoline_kernelINS0_14default_configENS1_35adjacent_difference_config_selectorILb0EdEEZNS1_24adjacent_difference_implIS3_Lb0ELb0EPKdPdN6thrust23THRUST_200600_302600_NS4plusIdEEEE10hipError_tPvRmT2_T3_mT4_P12ihipStream_tbEUlT_E_NS1_11comp_targetILNS1_3genE5ELNS1_11target_archE942ELNS1_3gpuE9ELNS1_3repE0EEENS1_30default_config_static_selectorELNS0_4arch9wavefront6targetE1EEEvT1_, .Lfunc_end575-_ZN7rocprim17ROCPRIM_400000_NS6detail17trampoline_kernelINS0_14default_configENS1_35adjacent_difference_config_selectorILb0EdEEZNS1_24adjacent_difference_implIS3_Lb0ELb0EPKdPdN6thrust23THRUST_200600_302600_NS4plusIdEEEE10hipError_tPvRmT2_T3_mT4_P12ihipStream_tbEUlT_E_NS1_11comp_targetILNS1_3genE5ELNS1_11target_archE942ELNS1_3gpuE9ELNS1_3repE0EEENS1_30default_config_static_selectorELNS0_4arch9wavefront6targetE1EEEvT1_
                                        ; -- End function
	.set _ZN7rocprim17ROCPRIM_400000_NS6detail17trampoline_kernelINS0_14default_configENS1_35adjacent_difference_config_selectorILb0EdEEZNS1_24adjacent_difference_implIS3_Lb0ELb0EPKdPdN6thrust23THRUST_200600_302600_NS4plusIdEEEE10hipError_tPvRmT2_T3_mT4_P12ihipStream_tbEUlT_E_NS1_11comp_targetILNS1_3genE5ELNS1_11target_archE942ELNS1_3gpuE9ELNS1_3repE0EEENS1_30default_config_static_selectorELNS0_4arch9wavefront6targetE1EEEvT1_.num_vgpr, 0
	.set _ZN7rocprim17ROCPRIM_400000_NS6detail17trampoline_kernelINS0_14default_configENS1_35adjacent_difference_config_selectorILb0EdEEZNS1_24adjacent_difference_implIS3_Lb0ELb0EPKdPdN6thrust23THRUST_200600_302600_NS4plusIdEEEE10hipError_tPvRmT2_T3_mT4_P12ihipStream_tbEUlT_E_NS1_11comp_targetILNS1_3genE5ELNS1_11target_archE942ELNS1_3gpuE9ELNS1_3repE0EEENS1_30default_config_static_selectorELNS0_4arch9wavefront6targetE1EEEvT1_.num_agpr, 0
	.set _ZN7rocprim17ROCPRIM_400000_NS6detail17trampoline_kernelINS0_14default_configENS1_35adjacent_difference_config_selectorILb0EdEEZNS1_24adjacent_difference_implIS3_Lb0ELb0EPKdPdN6thrust23THRUST_200600_302600_NS4plusIdEEEE10hipError_tPvRmT2_T3_mT4_P12ihipStream_tbEUlT_E_NS1_11comp_targetILNS1_3genE5ELNS1_11target_archE942ELNS1_3gpuE9ELNS1_3repE0EEENS1_30default_config_static_selectorELNS0_4arch9wavefront6targetE1EEEvT1_.numbered_sgpr, 0
	.set _ZN7rocprim17ROCPRIM_400000_NS6detail17trampoline_kernelINS0_14default_configENS1_35adjacent_difference_config_selectorILb0EdEEZNS1_24adjacent_difference_implIS3_Lb0ELb0EPKdPdN6thrust23THRUST_200600_302600_NS4plusIdEEEE10hipError_tPvRmT2_T3_mT4_P12ihipStream_tbEUlT_E_NS1_11comp_targetILNS1_3genE5ELNS1_11target_archE942ELNS1_3gpuE9ELNS1_3repE0EEENS1_30default_config_static_selectorELNS0_4arch9wavefront6targetE1EEEvT1_.num_named_barrier, 0
	.set _ZN7rocprim17ROCPRIM_400000_NS6detail17trampoline_kernelINS0_14default_configENS1_35adjacent_difference_config_selectorILb0EdEEZNS1_24adjacent_difference_implIS3_Lb0ELb0EPKdPdN6thrust23THRUST_200600_302600_NS4plusIdEEEE10hipError_tPvRmT2_T3_mT4_P12ihipStream_tbEUlT_E_NS1_11comp_targetILNS1_3genE5ELNS1_11target_archE942ELNS1_3gpuE9ELNS1_3repE0EEENS1_30default_config_static_selectorELNS0_4arch9wavefront6targetE1EEEvT1_.private_seg_size, 0
	.set _ZN7rocprim17ROCPRIM_400000_NS6detail17trampoline_kernelINS0_14default_configENS1_35adjacent_difference_config_selectorILb0EdEEZNS1_24adjacent_difference_implIS3_Lb0ELb0EPKdPdN6thrust23THRUST_200600_302600_NS4plusIdEEEE10hipError_tPvRmT2_T3_mT4_P12ihipStream_tbEUlT_E_NS1_11comp_targetILNS1_3genE5ELNS1_11target_archE942ELNS1_3gpuE9ELNS1_3repE0EEENS1_30default_config_static_selectorELNS0_4arch9wavefront6targetE1EEEvT1_.uses_vcc, 0
	.set _ZN7rocprim17ROCPRIM_400000_NS6detail17trampoline_kernelINS0_14default_configENS1_35adjacent_difference_config_selectorILb0EdEEZNS1_24adjacent_difference_implIS3_Lb0ELb0EPKdPdN6thrust23THRUST_200600_302600_NS4plusIdEEEE10hipError_tPvRmT2_T3_mT4_P12ihipStream_tbEUlT_E_NS1_11comp_targetILNS1_3genE5ELNS1_11target_archE942ELNS1_3gpuE9ELNS1_3repE0EEENS1_30default_config_static_selectorELNS0_4arch9wavefront6targetE1EEEvT1_.uses_flat_scratch, 0
	.set _ZN7rocprim17ROCPRIM_400000_NS6detail17trampoline_kernelINS0_14default_configENS1_35adjacent_difference_config_selectorILb0EdEEZNS1_24adjacent_difference_implIS3_Lb0ELb0EPKdPdN6thrust23THRUST_200600_302600_NS4plusIdEEEE10hipError_tPvRmT2_T3_mT4_P12ihipStream_tbEUlT_E_NS1_11comp_targetILNS1_3genE5ELNS1_11target_archE942ELNS1_3gpuE9ELNS1_3repE0EEENS1_30default_config_static_selectorELNS0_4arch9wavefront6targetE1EEEvT1_.has_dyn_sized_stack, 0
	.set _ZN7rocprim17ROCPRIM_400000_NS6detail17trampoline_kernelINS0_14default_configENS1_35adjacent_difference_config_selectorILb0EdEEZNS1_24adjacent_difference_implIS3_Lb0ELb0EPKdPdN6thrust23THRUST_200600_302600_NS4plusIdEEEE10hipError_tPvRmT2_T3_mT4_P12ihipStream_tbEUlT_E_NS1_11comp_targetILNS1_3genE5ELNS1_11target_archE942ELNS1_3gpuE9ELNS1_3repE0EEENS1_30default_config_static_selectorELNS0_4arch9wavefront6targetE1EEEvT1_.has_recursion, 0
	.set _ZN7rocprim17ROCPRIM_400000_NS6detail17trampoline_kernelINS0_14default_configENS1_35adjacent_difference_config_selectorILb0EdEEZNS1_24adjacent_difference_implIS3_Lb0ELb0EPKdPdN6thrust23THRUST_200600_302600_NS4plusIdEEEE10hipError_tPvRmT2_T3_mT4_P12ihipStream_tbEUlT_E_NS1_11comp_targetILNS1_3genE5ELNS1_11target_archE942ELNS1_3gpuE9ELNS1_3repE0EEENS1_30default_config_static_selectorELNS0_4arch9wavefront6targetE1EEEvT1_.has_indirect_call, 0
	.section	.AMDGPU.csdata,"",@progbits
; Kernel info:
; codeLenInByte = 0
; TotalNumSgprs: 4
; NumVgprs: 0
; ScratchSize: 0
; MemoryBound: 0
; FloatMode: 240
; IeeeMode: 1
; LDSByteSize: 0 bytes/workgroup (compile time only)
; SGPRBlocks: 0
; VGPRBlocks: 0
; NumSGPRsForWavesPerEU: 4
; NumVGPRsForWavesPerEU: 1
; Occupancy: 10
; WaveLimiterHint : 0
; COMPUTE_PGM_RSRC2:SCRATCH_EN: 0
; COMPUTE_PGM_RSRC2:USER_SGPR: 6
; COMPUTE_PGM_RSRC2:TRAP_HANDLER: 0
; COMPUTE_PGM_RSRC2:TGID_X_EN: 1
; COMPUTE_PGM_RSRC2:TGID_Y_EN: 0
; COMPUTE_PGM_RSRC2:TGID_Z_EN: 0
; COMPUTE_PGM_RSRC2:TIDIG_COMP_CNT: 0
	.section	.text._ZN7rocprim17ROCPRIM_400000_NS6detail17trampoline_kernelINS0_14default_configENS1_35adjacent_difference_config_selectorILb0EdEEZNS1_24adjacent_difference_implIS3_Lb0ELb0EPKdPdN6thrust23THRUST_200600_302600_NS4plusIdEEEE10hipError_tPvRmT2_T3_mT4_P12ihipStream_tbEUlT_E_NS1_11comp_targetILNS1_3genE4ELNS1_11target_archE910ELNS1_3gpuE8ELNS1_3repE0EEENS1_30default_config_static_selectorELNS0_4arch9wavefront6targetE1EEEvT1_,"axG",@progbits,_ZN7rocprim17ROCPRIM_400000_NS6detail17trampoline_kernelINS0_14default_configENS1_35adjacent_difference_config_selectorILb0EdEEZNS1_24adjacent_difference_implIS3_Lb0ELb0EPKdPdN6thrust23THRUST_200600_302600_NS4plusIdEEEE10hipError_tPvRmT2_T3_mT4_P12ihipStream_tbEUlT_E_NS1_11comp_targetILNS1_3genE4ELNS1_11target_archE910ELNS1_3gpuE8ELNS1_3repE0EEENS1_30default_config_static_selectorELNS0_4arch9wavefront6targetE1EEEvT1_,comdat
	.protected	_ZN7rocprim17ROCPRIM_400000_NS6detail17trampoline_kernelINS0_14default_configENS1_35adjacent_difference_config_selectorILb0EdEEZNS1_24adjacent_difference_implIS3_Lb0ELb0EPKdPdN6thrust23THRUST_200600_302600_NS4plusIdEEEE10hipError_tPvRmT2_T3_mT4_P12ihipStream_tbEUlT_E_NS1_11comp_targetILNS1_3genE4ELNS1_11target_archE910ELNS1_3gpuE8ELNS1_3repE0EEENS1_30default_config_static_selectorELNS0_4arch9wavefront6targetE1EEEvT1_ ; -- Begin function _ZN7rocprim17ROCPRIM_400000_NS6detail17trampoline_kernelINS0_14default_configENS1_35adjacent_difference_config_selectorILb0EdEEZNS1_24adjacent_difference_implIS3_Lb0ELb0EPKdPdN6thrust23THRUST_200600_302600_NS4plusIdEEEE10hipError_tPvRmT2_T3_mT4_P12ihipStream_tbEUlT_E_NS1_11comp_targetILNS1_3genE4ELNS1_11target_archE910ELNS1_3gpuE8ELNS1_3repE0EEENS1_30default_config_static_selectorELNS0_4arch9wavefront6targetE1EEEvT1_
	.globl	_ZN7rocprim17ROCPRIM_400000_NS6detail17trampoline_kernelINS0_14default_configENS1_35adjacent_difference_config_selectorILb0EdEEZNS1_24adjacent_difference_implIS3_Lb0ELb0EPKdPdN6thrust23THRUST_200600_302600_NS4plusIdEEEE10hipError_tPvRmT2_T3_mT4_P12ihipStream_tbEUlT_E_NS1_11comp_targetILNS1_3genE4ELNS1_11target_archE910ELNS1_3gpuE8ELNS1_3repE0EEENS1_30default_config_static_selectorELNS0_4arch9wavefront6targetE1EEEvT1_
	.p2align	8
	.type	_ZN7rocprim17ROCPRIM_400000_NS6detail17trampoline_kernelINS0_14default_configENS1_35adjacent_difference_config_selectorILb0EdEEZNS1_24adjacent_difference_implIS3_Lb0ELb0EPKdPdN6thrust23THRUST_200600_302600_NS4plusIdEEEE10hipError_tPvRmT2_T3_mT4_P12ihipStream_tbEUlT_E_NS1_11comp_targetILNS1_3genE4ELNS1_11target_archE910ELNS1_3gpuE8ELNS1_3repE0EEENS1_30default_config_static_selectorELNS0_4arch9wavefront6targetE1EEEvT1_,@function
_ZN7rocprim17ROCPRIM_400000_NS6detail17trampoline_kernelINS0_14default_configENS1_35adjacent_difference_config_selectorILb0EdEEZNS1_24adjacent_difference_implIS3_Lb0ELb0EPKdPdN6thrust23THRUST_200600_302600_NS4plusIdEEEE10hipError_tPvRmT2_T3_mT4_P12ihipStream_tbEUlT_E_NS1_11comp_targetILNS1_3genE4ELNS1_11target_archE910ELNS1_3gpuE8ELNS1_3repE0EEENS1_30default_config_static_selectorELNS0_4arch9wavefront6targetE1EEEvT1_: ; @_ZN7rocprim17ROCPRIM_400000_NS6detail17trampoline_kernelINS0_14default_configENS1_35adjacent_difference_config_selectorILb0EdEEZNS1_24adjacent_difference_implIS3_Lb0ELb0EPKdPdN6thrust23THRUST_200600_302600_NS4plusIdEEEE10hipError_tPvRmT2_T3_mT4_P12ihipStream_tbEUlT_E_NS1_11comp_targetILNS1_3genE4ELNS1_11target_archE910ELNS1_3gpuE8ELNS1_3repE0EEENS1_30default_config_static_selectorELNS0_4arch9wavefront6targetE1EEEvT1_
; %bb.0:
	.section	.rodata,"a",@progbits
	.p2align	6, 0x0
	.amdhsa_kernel _ZN7rocprim17ROCPRIM_400000_NS6detail17trampoline_kernelINS0_14default_configENS1_35adjacent_difference_config_selectorILb0EdEEZNS1_24adjacent_difference_implIS3_Lb0ELb0EPKdPdN6thrust23THRUST_200600_302600_NS4plusIdEEEE10hipError_tPvRmT2_T3_mT4_P12ihipStream_tbEUlT_E_NS1_11comp_targetILNS1_3genE4ELNS1_11target_archE910ELNS1_3gpuE8ELNS1_3repE0EEENS1_30default_config_static_selectorELNS0_4arch9wavefront6targetE1EEEvT1_
		.amdhsa_group_segment_fixed_size 0
		.amdhsa_private_segment_fixed_size 0
		.amdhsa_kernarg_size 56
		.amdhsa_user_sgpr_count 6
		.amdhsa_user_sgpr_private_segment_buffer 1
		.amdhsa_user_sgpr_dispatch_ptr 0
		.amdhsa_user_sgpr_queue_ptr 0
		.amdhsa_user_sgpr_kernarg_segment_ptr 1
		.amdhsa_user_sgpr_dispatch_id 0
		.amdhsa_user_sgpr_flat_scratch_init 0
		.amdhsa_user_sgpr_private_segment_size 0
		.amdhsa_uses_dynamic_stack 0
		.amdhsa_system_sgpr_private_segment_wavefront_offset 0
		.amdhsa_system_sgpr_workgroup_id_x 1
		.amdhsa_system_sgpr_workgroup_id_y 0
		.amdhsa_system_sgpr_workgroup_id_z 0
		.amdhsa_system_sgpr_workgroup_info 0
		.amdhsa_system_vgpr_workitem_id 0
		.amdhsa_next_free_vgpr 1
		.amdhsa_next_free_sgpr 0
		.amdhsa_reserve_vcc 0
		.amdhsa_reserve_flat_scratch 0
		.amdhsa_float_round_mode_32 0
		.amdhsa_float_round_mode_16_64 0
		.amdhsa_float_denorm_mode_32 3
		.amdhsa_float_denorm_mode_16_64 3
		.amdhsa_dx10_clamp 1
		.amdhsa_ieee_mode 1
		.amdhsa_fp16_overflow 0
		.amdhsa_exception_fp_ieee_invalid_op 0
		.amdhsa_exception_fp_denorm_src 0
		.amdhsa_exception_fp_ieee_div_zero 0
		.amdhsa_exception_fp_ieee_overflow 0
		.amdhsa_exception_fp_ieee_underflow 0
		.amdhsa_exception_fp_ieee_inexact 0
		.amdhsa_exception_int_div_zero 0
	.end_amdhsa_kernel
	.section	.text._ZN7rocprim17ROCPRIM_400000_NS6detail17trampoline_kernelINS0_14default_configENS1_35adjacent_difference_config_selectorILb0EdEEZNS1_24adjacent_difference_implIS3_Lb0ELb0EPKdPdN6thrust23THRUST_200600_302600_NS4plusIdEEEE10hipError_tPvRmT2_T3_mT4_P12ihipStream_tbEUlT_E_NS1_11comp_targetILNS1_3genE4ELNS1_11target_archE910ELNS1_3gpuE8ELNS1_3repE0EEENS1_30default_config_static_selectorELNS0_4arch9wavefront6targetE1EEEvT1_,"axG",@progbits,_ZN7rocprim17ROCPRIM_400000_NS6detail17trampoline_kernelINS0_14default_configENS1_35adjacent_difference_config_selectorILb0EdEEZNS1_24adjacent_difference_implIS3_Lb0ELb0EPKdPdN6thrust23THRUST_200600_302600_NS4plusIdEEEE10hipError_tPvRmT2_T3_mT4_P12ihipStream_tbEUlT_E_NS1_11comp_targetILNS1_3genE4ELNS1_11target_archE910ELNS1_3gpuE8ELNS1_3repE0EEENS1_30default_config_static_selectorELNS0_4arch9wavefront6targetE1EEEvT1_,comdat
.Lfunc_end576:
	.size	_ZN7rocprim17ROCPRIM_400000_NS6detail17trampoline_kernelINS0_14default_configENS1_35adjacent_difference_config_selectorILb0EdEEZNS1_24adjacent_difference_implIS3_Lb0ELb0EPKdPdN6thrust23THRUST_200600_302600_NS4plusIdEEEE10hipError_tPvRmT2_T3_mT4_P12ihipStream_tbEUlT_E_NS1_11comp_targetILNS1_3genE4ELNS1_11target_archE910ELNS1_3gpuE8ELNS1_3repE0EEENS1_30default_config_static_selectorELNS0_4arch9wavefront6targetE1EEEvT1_, .Lfunc_end576-_ZN7rocprim17ROCPRIM_400000_NS6detail17trampoline_kernelINS0_14default_configENS1_35adjacent_difference_config_selectorILb0EdEEZNS1_24adjacent_difference_implIS3_Lb0ELb0EPKdPdN6thrust23THRUST_200600_302600_NS4plusIdEEEE10hipError_tPvRmT2_T3_mT4_P12ihipStream_tbEUlT_E_NS1_11comp_targetILNS1_3genE4ELNS1_11target_archE910ELNS1_3gpuE8ELNS1_3repE0EEENS1_30default_config_static_selectorELNS0_4arch9wavefront6targetE1EEEvT1_
                                        ; -- End function
	.set _ZN7rocprim17ROCPRIM_400000_NS6detail17trampoline_kernelINS0_14default_configENS1_35adjacent_difference_config_selectorILb0EdEEZNS1_24adjacent_difference_implIS3_Lb0ELb0EPKdPdN6thrust23THRUST_200600_302600_NS4plusIdEEEE10hipError_tPvRmT2_T3_mT4_P12ihipStream_tbEUlT_E_NS1_11comp_targetILNS1_3genE4ELNS1_11target_archE910ELNS1_3gpuE8ELNS1_3repE0EEENS1_30default_config_static_selectorELNS0_4arch9wavefront6targetE1EEEvT1_.num_vgpr, 0
	.set _ZN7rocprim17ROCPRIM_400000_NS6detail17trampoline_kernelINS0_14default_configENS1_35adjacent_difference_config_selectorILb0EdEEZNS1_24adjacent_difference_implIS3_Lb0ELb0EPKdPdN6thrust23THRUST_200600_302600_NS4plusIdEEEE10hipError_tPvRmT2_T3_mT4_P12ihipStream_tbEUlT_E_NS1_11comp_targetILNS1_3genE4ELNS1_11target_archE910ELNS1_3gpuE8ELNS1_3repE0EEENS1_30default_config_static_selectorELNS0_4arch9wavefront6targetE1EEEvT1_.num_agpr, 0
	.set _ZN7rocprim17ROCPRIM_400000_NS6detail17trampoline_kernelINS0_14default_configENS1_35adjacent_difference_config_selectorILb0EdEEZNS1_24adjacent_difference_implIS3_Lb0ELb0EPKdPdN6thrust23THRUST_200600_302600_NS4plusIdEEEE10hipError_tPvRmT2_T3_mT4_P12ihipStream_tbEUlT_E_NS1_11comp_targetILNS1_3genE4ELNS1_11target_archE910ELNS1_3gpuE8ELNS1_3repE0EEENS1_30default_config_static_selectorELNS0_4arch9wavefront6targetE1EEEvT1_.numbered_sgpr, 0
	.set _ZN7rocprim17ROCPRIM_400000_NS6detail17trampoline_kernelINS0_14default_configENS1_35adjacent_difference_config_selectorILb0EdEEZNS1_24adjacent_difference_implIS3_Lb0ELb0EPKdPdN6thrust23THRUST_200600_302600_NS4plusIdEEEE10hipError_tPvRmT2_T3_mT4_P12ihipStream_tbEUlT_E_NS1_11comp_targetILNS1_3genE4ELNS1_11target_archE910ELNS1_3gpuE8ELNS1_3repE0EEENS1_30default_config_static_selectorELNS0_4arch9wavefront6targetE1EEEvT1_.num_named_barrier, 0
	.set _ZN7rocprim17ROCPRIM_400000_NS6detail17trampoline_kernelINS0_14default_configENS1_35adjacent_difference_config_selectorILb0EdEEZNS1_24adjacent_difference_implIS3_Lb0ELb0EPKdPdN6thrust23THRUST_200600_302600_NS4plusIdEEEE10hipError_tPvRmT2_T3_mT4_P12ihipStream_tbEUlT_E_NS1_11comp_targetILNS1_3genE4ELNS1_11target_archE910ELNS1_3gpuE8ELNS1_3repE0EEENS1_30default_config_static_selectorELNS0_4arch9wavefront6targetE1EEEvT1_.private_seg_size, 0
	.set _ZN7rocprim17ROCPRIM_400000_NS6detail17trampoline_kernelINS0_14default_configENS1_35adjacent_difference_config_selectorILb0EdEEZNS1_24adjacent_difference_implIS3_Lb0ELb0EPKdPdN6thrust23THRUST_200600_302600_NS4plusIdEEEE10hipError_tPvRmT2_T3_mT4_P12ihipStream_tbEUlT_E_NS1_11comp_targetILNS1_3genE4ELNS1_11target_archE910ELNS1_3gpuE8ELNS1_3repE0EEENS1_30default_config_static_selectorELNS0_4arch9wavefront6targetE1EEEvT1_.uses_vcc, 0
	.set _ZN7rocprim17ROCPRIM_400000_NS6detail17trampoline_kernelINS0_14default_configENS1_35adjacent_difference_config_selectorILb0EdEEZNS1_24adjacent_difference_implIS3_Lb0ELb0EPKdPdN6thrust23THRUST_200600_302600_NS4plusIdEEEE10hipError_tPvRmT2_T3_mT4_P12ihipStream_tbEUlT_E_NS1_11comp_targetILNS1_3genE4ELNS1_11target_archE910ELNS1_3gpuE8ELNS1_3repE0EEENS1_30default_config_static_selectorELNS0_4arch9wavefront6targetE1EEEvT1_.uses_flat_scratch, 0
	.set _ZN7rocprim17ROCPRIM_400000_NS6detail17trampoline_kernelINS0_14default_configENS1_35adjacent_difference_config_selectorILb0EdEEZNS1_24adjacent_difference_implIS3_Lb0ELb0EPKdPdN6thrust23THRUST_200600_302600_NS4plusIdEEEE10hipError_tPvRmT2_T3_mT4_P12ihipStream_tbEUlT_E_NS1_11comp_targetILNS1_3genE4ELNS1_11target_archE910ELNS1_3gpuE8ELNS1_3repE0EEENS1_30default_config_static_selectorELNS0_4arch9wavefront6targetE1EEEvT1_.has_dyn_sized_stack, 0
	.set _ZN7rocprim17ROCPRIM_400000_NS6detail17trampoline_kernelINS0_14default_configENS1_35adjacent_difference_config_selectorILb0EdEEZNS1_24adjacent_difference_implIS3_Lb0ELb0EPKdPdN6thrust23THRUST_200600_302600_NS4plusIdEEEE10hipError_tPvRmT2_T3_mT4_P12ihipStream_tbEUlT_E_NS1_11comp_targetILNS1_3genE4ELNS1_11target_archE910ELNS1_3gpuE8ELNS1_3repE0EEENS1_30default_config_static_selectorELNS0_4arch9wavefront6targetE1EEEvT1_.has_recursion, 0
	.set _ZN7rocprim17ROCPRIM_400000_NS6detail17trampoline_kernelINS0_14default_configENS1_35adjacent_difference_config_selectorILb0EdEEZNS1_24adjacent_difference_implIS3_Lb0ELb0EPKdPdN6thrust23THRUST_200600_302600_NS4plusIdEEEE10hipError_tPvRmT2_T3_mT4_P12ihipStream_tbEUlT_E_NS1_11comp_targetILNS1_3genE4ELNS1_11target_archE910ELNS1_3gpuE8ELNS1_3repE0EEENS1_30default_config_static_selectorELNS0_4arch9wavefront6targetE1EEEvT1_.has_indirect_call, 0
	.section	.AMDGPU.csdata,"",@progbits
; Kernel info:
; codeLenInByte = 0
; TotalNumSgprs: 4
; NumVgprs: 0
; ScratchSize: 0
; MemoryBound: 0
; FloatMode: 240
; IeeeMode: 1
; LDSByteSize: 0 bytes/workgroup (compile time only)
; SGPRBlocks: 0
; VGPRBlocks: 0
; NumSGPRsForWavesPerEU: 4
; NumVGPRsForWavesPerEU: 1
; Occupancy: 10
; WaveLimiterHint : 0
; COMPUTE_PGM_RSRC2:SCRATCH_EN: 0
; COMPUTE_PGM_RSRC2:USER_SGPR: 6
; COMPUTE_PGM_RSRC2:TRAP_HANDLER: 0
; COMPUTE_PGM_RSRC2:TGID_X_EN: 1
; COMPUTE_PGM_RSRC2:TGID_Y_EN: 0
; COMPUTE_PGM_RSRC2:TGID_Z_EN: 0
; COMPUTE_PGM_RSRC2:TIDIG_COMP_CNT: 0
	.section	.text._ZN7rocprim17ROCPRIM_400000_NS6detail17trampoline_kernelINS0_14default_configENS1_35adjacent_difference_config_selectorILb0EdEEZNS1_24adjacent_difference_implIS3_Lb0ELb0EPKdPdN6thrust23THRUST_200600_302600_NS4plusIdEEEE10hipError_tPvRmT2_T3_mT4_P12ihipStream_tbEUlT_E_NS1_11comp_targetILNS1_3genE3ELNS1_11target_archE908ELNS1_3gpuE7ELNS1_3repE0EEENS1_30default_config_static_selectorELNS0_4arch9wavefront6targetE1EEEvT1_,"axG",@progbits,_ZN7rocprim17ROCPRIM_400000_NS6detail17trampoline_kernelINS0_14default_configENS1_35adjacent_difference_config_selectorILb0EdEEZNS1_24adjacent_difference_implIS3_Lb0ELb0EPKdPdN6thrust23THRUST_200600_302600_NS4plusIdEEEE10hipError_tPvRmT2_T3_mT4_P12ihipStream_tbEUlT_E_NS1_11comp_targetILNS1_3genE3ELNS1_11target_archE908ELNS1_3gpuE7ELNS1_3repE0EEENS1_30default_config_static_selectorELNS0_4arch9wavefront6targetE1EEEvT1_,comdat
	.protected	_ZN7rocprim17ROCPRIM_400000_NS6detail17trampoline_kernelINS0_14default_configENS1_35adjacent_difference_config_selectorILb0EdEEZNS1_24adjacent_difference_implIS3_Lb0ELb0EPKdPdN6thrust23THRUST_200600_302600_NS4plusIdEEEE10hipError_tPvRmT2_T3_mT4_P12ihipStream_tbEUlT_E_NS1_11comp_targetILNS1_3genE3ELNS1_11target_archE908ELNS1_3gpuE7ELNS1_3repE0EEENS1_30default_config_static_selectorELNS0_4arch9wavefront6targetE1EEEvT1_ ; -- Begin function _ZN7rocprim17ROCPRIM_400000_NS6detail17trampoline_kernelINS0_14default_configENS1_35adjacent_difference_config_selectorILb0EdEEZNS1_24adjacent_difference_implIS3_Lb0ELb0EPKdPdN6thrust23THRUST_200600_302600_NS4plusIdEEEE10hipError_tPvRmT2_T3_mT4_P12ihipStream_tbEUlT_E_NS1_11comp_targetILNS1_3genE3ELNS1_11target_archE908ELNS1_3gpuE7ELNS1_3repE0EEENS1_30default_config_static_selectorELNS0_4arch9wavefront6targetE1EEEvT1_
	.globl	_ZN7rocprim17ROCPRIM_400000_NS6detail17trampoline_kernelINS0_14default_configENS1_35adjacent_difference_config_selectorILb0EdEEZNS1_24adjacent_difference_implIS3_Lb0ELb0EPKdPdN6thrust23THRUST_200600_302600_NS4plusIdEEEE10hipError_tPvRmT2_T3_mT4_P12ihipStream_tbEUlT_E_NS1_11comp_targetILNS1_3genE3ELNS1_11target_archE908ELNS1_3gpuE7ELNS1_3repE0EEENS1_30default_config_static_selectorELNS0_4arch9wavefront6targetE1EEEvT1_
	.p2align	8
	.type	_ZN7rocprim17ROCPRIM_400000_NS6detail17trampoline_kernelINS0_14default_configENS1_35adjacent_difference_config_selectorILb0EdEEZNS1_24adjacent_difference_implIS3_Lb0ELb0EPKdPdN6thrust23THRUST_200600_302600_NS4plusIdEEEE10hipError_tPvRmT2_T3_mT4_P12ihipStream_tbEUlT_E_NS1_11comp_targetILNS1_3genE3ELNS1_11target_archE908ELNS1_3gpuE7ELNS1_3repE0EEENS1_30default_config_static_selectorELNS0_4arch9wavefront6targetE1EEEvT1_,@function
_ZN7rocprim17ROCPRIM_400000_NS6detail17trampoline_kernelINS0_14default_configENS1_35adjacent_difference_config_selectorILb0EdEEZNS1_24adjacent_difference_implIS3_Lb0ELb0EPKdPdN6thrust23THRUST_200600_302600_NS4plusIdEEEE10hipError_tPvRmT2_T3_mT4_P12ihipStream_tbEUlT_E_NS1_11comp_targetILNS1_3genE3ELNS1_11target_archE908ELNS1_3gpuE7ELNS1_3repE0EEENS1_30default_config_static_selectorELNS0_4arch9wavefront6targetE1EEEvT1_: ; @_ZN7rocprim17ROCPRIM_400000_NS6detail17trampoline_kernelINS0_14default_configENS1_35adjacent_difference_config_selectorILb0EdEEZNS1_24adjacent_difference_implIS3_Lb0ELb0EPKdPdN6thrust23THRUST_200600_302600_NS4plusIdEEEE10hipError_tPvRmT2_T3_mT4_P12ihipStream_tbEUlT_E_NS1_11comp_targetILNS1_3genE3ELNS1_11target_archE908ELNS1_3gpuE7ELNS1_3repE0EEENS1_30default_config_static_selectorELNS0_4arch9wavefront6targetE1EEEvT1_
; %bb.0:
	.section	.rodata,"a",@progbits
	.p2align	6, 0x0
	.amdhsa_kernel _ZN7rocprim17ROCPRIM_400000_NS6detail17trampoline_kernelINS0_14default_configENS1_35adjacent_difference_config_selectorILb0EdEEZNS1_24adjacent_difference_implIS3_Lb0ELb0EPKdPdN6thrust23THRUST_200600_302600_NS4plusIdEEEE10hipError_tPvRmT2_T3_mT4_P12ihipStream_tbEUlT_E_NS1_11comp_targetILNS1_3genE3ELNS1_11target_archE908ELNS1_3gpuE7ELNS1_3repE0EEENS1_30default_config_static_selectorELNS0_4arch9wavefront6targetE1EEEvT1_
		.amdhsa_group_segment_fixed_size 0
		.amdhsa_private_segment_fixed_size 0
		.amdhsa_kernarg_size 56
		.amdhsa_user_sgpr_count 6
		.amdhsa_user_sgpr_private_segment_buffer 1
		.amdhsa_user_sgpr_dispatch_ptr 0
		.amdhsa_user_sgpr_queue_ptr 0
		.amdhsa_user_sgpr_kernarg_segment_ptr 1
		.amdhsa_user_sgpr_dispatch_id 0
		.amdhsa_user_sgpr_flat_scratch_init 0
		.amdhsa_user_sgpr_private_segment_size 0
		.amdhsa_uses_dynamic_stack 0
		.amdhsa_system_sgpr_private_segment_wavefront_offset 0
		.amdhsa_system_sgpr_workgroup_id_x 1
		.amdhsa_system_sgpr_workgroup_id_y 0
		.amdhsa_system_sgpr_workgroup_id_z 0
		.amdhsa_system_sgpr_workgroup_info 0
		.amdhsa_system_vgpr_workitem_id 0
		.amdhsa_next_free_vgpr 1
		.amdhsa_next_free_sgpr 0
		.amdhsa_reserve_vcc 0
		.amdhsa_reserve_flat_scratch 0
		.amdhsa_float_round_mode_32 0
		.amdhsa_float_round_mode_16_64 0
		.amdhsa_float_denorm_mode_32 3
		.amdhsa_float_denorm_mode_16_64 3
		.amdhsa_dx10_clamp 1
		.amdhsa_ieee_mode 1
		.amdhsa_fp16_overflow 0
		.amdhsa_exception_fp_ieee_invalid_op 0
		.amdhsa_exception_fp_denorm_src 0
		.amdhsa_exception_fp_ieee_div_zero 0
		.amdhsa_exception_fp_ieee_overflow 0
		.amdhsa_exception_fp_ieee_underflow 0
		.amdhsa_exception_fp_ieee_inexact 0
		.amdhsa_exception_int_div_zero 0
	.end_amdhsa_kernel
	.section	.text._ZN7rocprim17ROCPRIM_400000_NS6detail17trampoline_kernelINS0_14default_configENS1_35adjacent_difference_config_selectorILb0EdEEZNS1_24adjacent_difference_implIS3_Lb0ELb0EPKdPdN6thrust23THRUST_200600_302600_NS4plusIdEEEE10hipError_tPvRmT2_T3_mT4_P12ihipStream_tbEUlT_E_NS1_11comp_targetILNS1_3genE3ELNS1_11target_archE908ELNS1_3gpuE7ELNS1_3repE0EEENS1_30default_config_static_selectorELNS0_4arch9wavefront6targetE1EEEvT1_,"axG",@progbits,_ZN7rocprim17ROCPRIM_400000_NS6detail17trampoline_kernelINS0_14default_configENS1_35adjacent_difference_config_selectorILb0EdEEZNS1_24adjacent_difference_implIS3_Lb0ELb0EPKdPdN6thrust23THRUST_200600_302600_NS4plusIdEEEE10hipError_tPvRmT2_T3_mT4_P12ihipStream_tbEUlT_E_NS1_11comp_targetILNS1_3genE3ELNS1_11target_archE908ELNS1_3gpuE7ELNS1_3repE0EEENS1_30default_config_static_selectorELNS0_4arch9wavefront6targetE1EEEvT1_,comdat
.Lfunc_end577:
	.size	_ZN7rocprim17ROCPRIM_400000_NS6detail17trampoline_kernelINS0_14default_configENS1_35adjacent_difference_config_selectorILb0EdEEZNS1_24adjacent_difference_implIS3_Lb0ELb0EPKdPdN6thrust23THRUST_200600_302600_NS4plusIdEEEE10hipError_tPvRmT2_T3_mT4_P12ihipStream_tbEUlT_E_NS1_11comp_targetILNS1_3genE3ELNS1_11target_archE908ELNS1_3gpuE7ELNS1_3repE0EEENS1_30default_config_static_selectorELNS0_4arch9wavefront6targetE1EEEvT1_, .Lfunc_end577-_ZN7rocprim17ROCPRIM_400000_NS6detail17trampoline_kernelINS0_14default_configENS1_35adjacent_difference_config_selectorILb0EdEEZNS1_24adjacent_difference_implIS3_Lb0ELb0EPKdPdN6thrust23THRUST_200600_302600_NS4plusIdEEEE10hipError_tPvRmT2_T3_mT4_P12ihipStream_tbEUlT_E_NS1_11comp_targetILNS1_3genE3ELNS1_11target_archE908ELNS1_3gpuE7ELNS1_3repE0EEENS1_30default_config_static_selectorELNS0_4arch9wavefront6targetE1EEEvT1_
                                        ; -- End function
	.set _ZN7rocprim17ROCPRIM_400000_NS6detail17trampoline_kernelINS0_14default_configENS1_35adjacent_difference_config_selectorILb0EdEEZNS1_24adjacent_difference_implIS3_Lb0ELb0EPKdPdN6thrust23THRUST_200600_302600_NS4plusIdEEEE10hipError_tPvRmT2_T3_mT4_P12ihipStream_tbEUlT_E_NS1_11comp_targetILNS1_3genE3ELNS1_11target_archE908ELNS1_3gpuE7ELNS1_3repE0EEENS1_30default_config_static_selectorELNS0_4arch9wavefront6targetE1EEEvT1_.num_vgpr, 0
	.set _ZN7rocprim17ROCPRIM_400000_NS6detail17trampoline_kernelINS0_14default_configENS1_35adjacent_difference_config_selectorILb0EdEEZNS1_24adjacent_difference_implIS3_Lb0ELb0EPKdPdN6thrust23THRUST_200600_302600_NS4plusIdEEEE10hipError_tPvRmT2_T3_mT4_P12ihipStream_tbEUlT_E_NS1_11comp_targetILNS1_3genE3ELNS1_11target_archE908ELNS1_3gpuE7ELNS1_3repE0EEENS1_30default_config_static_selectorELNS0_4arch9wavefront6targetE1EEEvT1_.num_agpr, 0
	.set _ZN7rocprim17ROCPRIM_400000_NS6detail17trampoline_kernelINS0_14default_configENS1_35adjacent_difference_config_selectorILb0EdEEZNS1_24adjacent_difference_implIS3_Lb0ELb0EPKdPdN6thrust23THRUST_200600_302600_NS4plusIdEEEE10hipError_tPvRmT2_T3_mT4_P12ihipStream_tbEUlT_E_NS1_11comp_targetILNS1_3genE3ELNS1_11target_archE908ELNS1_3gpuE7ELNS1_3repE0EEENS1_30default_config_static_selectorELNS0_4arch9wavefront6targetE1EEEvT1_.numbered_sgpr, 0
	.set _ZN7rocprim17ROCPRIM_400000_NS6detail17trampoline_kernelINS0_14default_configENS1_35adjacent_difference_config_selectorILb0EdEEZNS1_24adjacent_difference_implIS3_Lb0ELb0EPKdPdN6thrust23THRUST_200600_302600_NS4plusIdEEEE10hipError_tPvRmT2_T3_mT4_P12ihipStream_tbEUlT_E_NS1_11comp_targetILNS1_3genE3ELNS1_11target_archE908ELNS1_3gpuE7ELNS1_3repE0EEENS1_30default_config_static_selectorELNS0_4arch9wavefront6targetE1EEEvT1_.num_named_barrier, 0
	.set _ZN7rocprim17ROCPRIM_400000_NS6detail17trampoline_kernelINS0_14default_configENS1_35adjacent_difference_config_selectorILb0EdEEZNS1_24adjacent_difference_implIS3_Lb0ELb0EPKdPdN6thrust23THRUST_200600_302600_NS4plusIdEEEE10hipError_tPvRmT2_T3_mT4_P12ihipStream_tbEUlT_E_NS1_11comp_targetILNS1_3genE3ELNS1_11target_archE908ELNS1_3gpuE7ELNS1_3repE0EEENS1_30default_config_static_selectorELNS0_4arch9wavefront6targetE1EEEvT1_.private_seg_size, 0
	.set _ZN7rocprim17ROCPRIM_400000_NS6detail17trampoline_kernelINS0_14default_configENS1_35adjacent_difference_config_selectorILb0EdEEZNS1_24adjacent_difference_implIS3_Lb0ELb0EPKdPdN6thrust23THRUST_200600_302600_NS4plusIdEEEE10hipError_tPvRmT2_T3_mT4_P12ihipStream_tbEUlT_E_NS1_11comp_targetILNS1_3genE3ELNS1_11target_archE908ELNS1_3gpuE7ELNS1_3repE0EEENS1_30default_config_static_selectorELNS0_4arch9wavefront6targetE1EEEvT1_.uses_vcc, 0
	.set _ZN7rocprim17ROCPRIM_400000_NS6detail17trampoline_kernelINS0_14default_configENS1_35adjacent_difference_config_selectorILb0EdEEZNS1_24adjacent_difference_implIS3_Lb0ELb0EPKdPdN6thrust23THRUST_200600_302600_NS4plusIdEEEE10hipError_tPvRmT2_T3_mT4_P12ihipStream_tbEUlT_E_NS1_11comp_targetILNS1_3genE3ELNS1_11target_archE908ELNS1_3gpuE7ELNS1_3repE0EEENS1_30default_config_static_selectorELNS0_4arch9wavefront6targetE1EEEvT1_.uses_flat_scratch, 0
	.set _ZN7rocprim17ROCPRIM_400000_NS6detail17trampoline_kernelINS0_14default_configENS1_35adjacent_difference_config_selectorILb0EdEEZNS1_24adjacent_difference_implIS3_Lb0ELb0EPKdPdN6thrust23THRUST_200600_302600_NS4plusIdEEEE10hipError_tPvRmT2_T3_mT4_P12ihipStream_tbEUlT_E_NS1_11comp_targetILNS1_3genE3ELNS1_11target_archE908ELNS1_3gpuE7ELNS1_3repE0EEENS1_30default_config_static_selectorELNS0_4arch9wavefront6targetE1EEEvT1_.has_dyn_sized_stack, 0
	.set _ZN7rocprim17ROCPRIM_400000_NS6detail17trampoline_kernelINS0_14default_configENS1_35adjacent_difference_config_selectorILb0EdEEZNS1_24adjacent_difference_implIS3_Lb0ELb0EPKdPdN6thrust23THRUST_200600_302600_NS4plusIdEEEE10hipError_tPvRmT2_T3_mT4_P12ihipStream_tbEUlT_E_NS1_11comp_targetILNS1_3genE3ELNS1_11target_archE908ELNS1_3gpuE7ELNS1_3repE0EEENS1_30default_config_static_selectorELNS0_4arch9wavefront6targetE1EEEvT1_.has_recursion, 0
	.set _ZN7rocprim17ROCPRIM_400000_NS6detail17trampoline_kernelINS0_14default_configENS1_35adjacent_difference_config_selectorILb0EdEEZNS1_24adjacent_difference_implIS3_Lb0ELb0EPKdPdN6thrust23THRUST_200600_302600_NS4plusIdEEEE10hipError_tPvRmT2_T3_mT4_P12ihipStream_tbEUlT_E_NS1_11comp_targetILNS1_3genE3ELNS1_11target_archE908ELNS1_3gpuE7ELNS1_3repE0EEENS1_30default_config_static_selectorELNS0_4arch9wavefront6targetE1EEEvT1_.has_indirect_call, 0
	.section	.AMDGPU.csdata,"",@progbits
; Kernel info:
; codeLenInByte = 0
; TotalNumSgprs: 4
; NumVgprs: 0
; ScratchSize: 0
; MemoryBound: 0
; FloatMode: 240
; IeeeMode: 1
; LDSByteSize: 0 bytes/workgroup (compile time only)
; SGPRBlocks: 0
; VGPRBlocks: 0
; NumSGPRsForWavesPerEU: 4
; NumVGPRsForWavesPerEU: 1
; Occupancy: 10
; WaveLimiterHint : 0
; COMPUTE_PGM_RSRC2:SCRATCH_EN: 0
; COMPUTE_PGM_RSRC2:USER_SGPR: 6
; COMPUTE_PGM_RSRC2:TRAP_HANDLER: 0
; COMPUTE_PGM_RSRC2:TGID_X_EN: 1
; COMPUTE_PGM_RSRC2:TGID_Y_EN: 0
; COMPUTE_PGM_RSRC2:TGID_Z_EN: 0
; COMPUTE_PGM_RSRC2:TIDIG_COMP_CNT: 0
	.section	.text._ZN7rocprim17ROCPRIM_400000_NS6detail17trampoline_kernelINS0_14default_configENS1_35adjacent_difference_config_selectorILb0EdEEZNS1_24adjacent_difference_implIS3_Lb0ELb0EPKdPdN6thrust23THRUST_200600_302600_NS4plusIdEEEE10hipError_tPvRmT2_T3_mT4_P12ihipStream_tbEUlT_E_NS1_11comp_targetILNS1_3genE2ELNS1_11target_archE906ELNS1_3gpuE6ELNS1_3repE0EEENS1_30default_config_static_selectorELNS0_4arch9wavefront6targetE1EEEvT1_,"axG",@progbits,_ZN7rocprim17ROCPRIM_400000_NS6detail17trampoline_kernelINS0_14default_configENS1_35adjacent_difference_config_selectorILb0EdEEZNS1_24adjacent_difference_implIS3_Lb0ELb0EPKdPdN6thrust23THRUST_200600_302600_NS4plusIdEEEE10hipError_tPvRmT2_T3_mT4_P12ihipStream_tbEUlT_E_NS1_11comp_targetILNS1_3genE2ELNS1_11target_archE906ELNS1_3gpuE6ELNS1_3repE0EEENS1_30default_config_static_selectorELNS0_4arch9wavefront6targetE1EEEvT1_,comdat
	.protected	_ZN7rocprim17ROCPRIM_400000_NS6detail17trampoline_kernelINS0_14default_configENS1_35adjacent_difference_config_selectorILb0EdEEZNS1_24adjacent_difference_implIS3_Lb0ELb0EPKdPdN6thrust23THRUST_200600_302600_NS4plusIdEEEE10hipError_tPvRmT2_T3_mT4_P12ihipStream_tbEUlT_E_NS1_11comp_targetILNS1_3genE2ELNS1_11target_archE906ELNS1_3gpuE6ELNS1_3repE0EEENS1_30default_config_static_selectorELNS0_4arch9wavefront6targetE1EEEvT1_ ; -- Begin function _ZN7rocprim17ROCPRIM_400000_NS6detail17trampoline_kernelINS0_14default_configENS1_35adjacent_difference_config_selectorILb0EdEEZNS1_24adjacent_difference_implIS3_Lb0ELb0EPKdPdN6thrust23THRUST_200600_302600_NS4plusIdEEEE10hipError_tPvRmT2_T3_mT4_P12ihipStream_tbEUlT_E_NS1_11comp_targetILNS1_3genE2ELNS1_11target_archE906ELNS1_3gpuE6ELNS1_3repE0EEENS1_30default_config_static_selectorELNS0_4arch9wavefront6targetE1EEEvT1_
	.globl	_ZN7rocprim17ROCPRIM_400000_NS6detail17trampoline_kernelINS0_14default_configENS1_35adjacent_difference_config_selectorILb0EdEEZNS1_24adjacent_difference_implIS3_Lb0ELb0EPKdPdN6thrust23THRUST_200600_302600_NS4plusIdEEEE10hipError_tPvRmT2_T3_mT4_P12ihipStream_tbEUlT_E_NS1_11comp_targetILNS1_3genE2ELNS1_11target_archE906ELNS1_3gpuE6ELNS1_3repE0EEENS1_30default_config_static_selectorELNS0_4arch9wavefront6targetE1EEEvT1_
	.p2align	8
	.type	_ZN7rocprim17ROCPRIM_400000_NS6detail17trampoline_kernelINS0_14default_configENS1_35adjacent_difference_config_selectorILb0EdEEZNS1_24adjacent_difference_implIS3_Lb0ELb0EPKdPdN6thrust23THRUST_200600_302600_NS4plusIdEEEE10hipError_tPvRmT2_T3_mT4_P12ihipStream_tbEUlT_E_NS1_11comp_targetILNS1_3genE2ELNS1_11target_archE906ELNS1_3gpuE6ELNS1_3repE0EEENS1_30default_config_static_selectorELNS0_4arch9wavefront6targetE1EEEvT1_,@function
_ZN7rocprim17ROCPRIM_400000_NS6detail17trampoline_kernelINS0_14default_configENS1_35adjacent_difference_config_selectorILb0EdEEZNS1_24adjacent_difference_implIS3_Lb0ELb0EPKdPdN6thrust23THRUST_200600_302600_NS4plusIdEEEE10hipError_tPvRmT2_T3_mT4_P12ihipStream_tbEUlT_E_NS1_11comp_targetILNS1_3genE2ELNS1_11target_archE906ELNS1_3gpuE6ELNS1_3repE0EEENS1_30default_config_static_selectorELNS0_4arch9wavefront6targetE1EEEvT1_: ; @_ZN7rocprim17ROCPRIM_400000_NS6detail17trampoline_kernelINS0_14default_configENS1_35adjacent_difference_config_selectorILb0EdEEZNS1_24adjacent_difference_implIS3_Lb0ELb0EPKdPdN6thrust23THRUST_200600_302600_NS4plusIdEEEE10hipError_tPvRmT2_T3_mT4_P12ihipStream_tbEUlT_E_NS1_11comp_targetILNS1_3genE2ELNS1_11target_archE906ELNS1_3gpuE6ELNS1_3repE0EEENS1_30default_config_static_selectorELNS0_4arch9wavefront6targetE1EEEvT1_
; %bb.0:
	s_load_dwordx8 s[8:15], s[4:5], 0x0
	s_load_dwordx2 s[0:1], s[4:5], 0x30
	s_mov_b32 s5, 0
	s_mov_b64 s[16:17], -1
	s_waitcnt lgkmcnt(0)
	s_lshl_b64 s[10:11], s[10:11], 3
	s_add_u32 s20, s8, s10
	s_addc_u32 s21, s9, s11
	s_lshl_b32 s4, s6, 11
	s_lshr_b64 s[2:3], s[14:15], 11
	s_and_b32 s8, s14, 0x7ff
	s_mov_b32 s9, s5
	s_cmp_lg_u64 s[8:9], 0
	s_cselect_b64 s[8:9], -1, 0
	v_cndmask_b32_e64 v1, 0, 1, s[8:9]
	v_readfirstlane_b32 s7, v1
	s_add_u32 s2, s2, s7
	s_addc_u32 s3, s3, 0
	s_add_u32 s8, s0, s6
	s_addc_u32 s9, s1, 0
	s_add_u32 s6, s2, -1
	s_addc_u32 s7, s3, -1
	v_mov_b32_e32 v1, s6
	v_mov_b32_e32 v2, s7
	v_cmp_ge_u64_e64 s[0:1], s[8:9], v[1:2]
	s_and_b64 vcc, exec, s[0:1]
	s_cbranch_vccz .LBB578_6
; %bb.1:
	s_lshl_b32 s15, s6, 11
	s_sub_i32 s15, s14, s15
	s_lshl_b64 s[16:17], s[4:5], 3
	s_add_u32 s16, s20, s16
	v_mov_b32_e32 v1, 0
	s_addc_u32 s17, s21, s17
	v_cmp_gt_u32_e32 vcc, s15, v0
	v_mov_b32_e32 v2, v1
	v_mov_b32_e32 v3, v1
	;; [unrolled: 1-line block ×3, first 2 shown]
	s_and_saveexec_b64 s[18:19], vcc
	s_cbranch_execz .LBB578_3
; %bb.2:
	v_lshlrev_b32_e32 v2, 3, v0
	global_load_dwordx2 v[2:3], v2, s[16:17]
	v_mov_b32_e32 v4, v1
	v_mov_b32_e32 v5, v1
	s_waitcnt vmcnt(0)
	v_mov_b32_e32 v1, v2
	v_mov_b32_e32 v2, v3
	;; [unrolled: 1-line block ×4, first 2 shown]
.LBB578_3:
	s_or_b64 exec, exec, s[18:19]
	v_or_b32_e32 v5, 0x400, v0
	v_cmp_gt_u32_e32 vcc, s15, v5
	s_and_saveexec_b64 s[18:19], vcc
	s_cbranch_execz .LBB578_5
; %bb.4:
	v_lshlrev_b32_e32 v3, 3, v5
	global_load_dwordx2 v[3:4], v3, s[16:17]
.LBB578_5:
	s_or_b64 exec, exec, s[18:19]
	v_lshrrev_b32_e32 v6, 2, v0
	v_and_b32_e32 v6, 0xf8, v6
	v_lshlrev_b32_e32 v7, 3, v0
	v_add_u32_e32 v6, v6, v7
	ds_write_b64 v6, v[1:2]
	v_lshrrev_b32_e32 v1, 2, v5
	v_and_b32_e32 v1, 0x1f8, v1
	v_add_u32_e32 v1, v1, v7
	s_mov_b64 s[16:17], 0
	s_waitcnt vmcnt(0)
	ds_write_b64 v1, v[3:4] offset:8192
	s_waitcnt lgkmcnt(0)
	s_barrier
.LBB578_6:
	s_and_b64 vcc, exec, s[16:17]
	v_lshlrev_b32_e32 v9, 3, v0
	v_lshrrev_b32_e32 v10, 2, v0
	s_cbranch_vccz .LBB578_8
; %bb.7:
	s_lshl_b64 s[16:17], s[4:5], 3
	s_add_u32 s16, s20, s16
	s_addc_u32 s17, s21, s17
	v_mov_b32_e32 v1, s17
	v_add_co_u32_e32 v2, vcc, s16, v9
	v_addc_co_u32_e32 v3, vcc, 0, v1, vcc
	v_add_co_u32_e32 v1, vcc, 0x2000, v2
	v_addc_co_u32_e32 v2, vcc, 0, v3, vcc
	global_load_dwordx2 v[3:4], v9, s[16:17]
	global_load_dwordx2 v[5:6], v[1:2], off
	v_or_b32_e32 v2, 0x400, v0
	v_and_b32_e32 v1, 0xf8, v10
	v_lshrrev_b32_e32 v2, 2, v2
	v_add_u32_e32 v1, v1, v9
	v_and_b32_e32 v2, 0x1f8, v2
	v_add_u32_e32 v2, v2, v9
	s_waitcnt vmcnt(1)
	ds_write_b64 v1, v[3:4]
	s_waitcnt vmcnt(0)
	ds_write_b64 v2, v[5:6] offset:8192
	s_waitcnt lgkmcnt(0)
	s_barrier
.LBB578_8:
	v_lshrrev_b32_e32 v11, 1, v0
	v_and_b32_e32 v1, 0x1f8, v11
	v_lshl_add_u32 v1, v0, 4, v1
	ds_read2_b64 v[1:4], v1 offset1:1
	s_cmp_eq_u64 s[8:9], 0
	s_waitcnt lgkmcnt(0)
	s_barrier
	s_cbranch_scc1 .LBB578_13
; %bb.9:
	s_lshl_b64 s[16:17], s[4:5], 3
	s_add_u32 s5, s20, s16
	s_addc_u32 s15, s21, s17
	s_add_u32 s16, s5, -8
	s_addc_u32 s17, s15, -1
	s_load_dwordx2 s[16:17], s[16:17], 0x0
	s_cmp_eq_u64 s[8:9], s[6:7]
	s_cbranch_scc1 .LBB578_14
; %bb.10:
	s_waitcnt lgkmcnt(0)
	v_mov_b32_e32 v7, s16
	v_cmp_ne_u32_e32 vcc, 0, v0
	v_mov_b32_e32 v8, s17
	ds_write_b64 v9, v[3:4]
	s_waitcnt lgkmcnt(0)
	s_barrier
	s_and_saveexec_b64 s[18:19], vcc
; %bb.11:
	v_add_u32_e32 v5, -8, v9
	ds_read_b64 v[7:8], v5
; %bb.12:
	s_or_b64 exec, exec, s[18:19]
	v_add_f64 v[5:6], v[1:2], v[3:4]
	s_waitcnt lgkmcnt(0)
	v_add_f64 v[7:8], v[1:2], v[7:8]
	s_branch .LBB578_18
.LBB578_13:
                                        ; implicit-def: $vgpr5_vgpr6
                                        ; implicit-def: $vgpr7_vgpr8
	s_branch .LBB578_19
.LBB578_14:
                                        ; implicit-def: $vgpr5_vgpr6
                                        ; implicit-def: $vgpr7_vgpr8
	s_cbranch_execz .LBB578_18
; %bb.15:
	v_add_f64 v[5:6], v[1:2], v[3:4]
	s_lshl_b32 s5, s8, 11
	v_lshlrev_b32_e32 v12, 1, v0
	s_sub_i32 s5, s14, s5
	v_or_b32_e32 v7, 1, v12
	v_cmp_gt_u32_e32 vcc, s5, v7
	s_waitcnt lgkmcnt(0)
	v_mov_b32_e32 v7, s16
	v_mov_b32_e32 v8, s17
	v_cndmask_b32_e32 v6, v4, v6, vcc
	v_cndmask_b32_e32 v5, v3, v5, vcc
	v_cmp_ne_u32_e32 vcc, 0, v0
	ds_write_b64 v9, v[3:4]
	s_waitcnt lgkmcnt(0)
	s_barrier
	s_and_saveexec_b64 s[8:9], vcc
; %bb.16:
	v_add_u32_e32 v7, -8, v9
	ds_read_b64 v[7:8], v7
; %bb.17:
	s_or_b64 exec, exec, s[8:9]
	s_waitcnt lgkmcnt(0)
	v_add_f64 v[7:8], v[1:2], v[7:8]
	v_cmp_gt_u32_e32 vcc, s5, v12
	v_cndmask_b32_e32 v8, v2, v8, vcc
	v_cndmask_b32_e32 v7, v1, v7, vcc
.LBB578_18:
	s_cbranch_execnz .LBB578_27
.LBB578_19:
	v_add_f64 v[5:6], v[1:2], v[3:4]
	s_cmp_eq_u64 s[2:3], 1
	v_cmp_ne_u32_e32 vcc, 0, v0
	s_cbranch_scc1 .LBB578_23
; %bb.20:
	v_mov_b32_e32 v8, v2
	v_mov_b32_e32 v7, v1
	ds_write_b64 v9, v[3:4]
	s_waitcnt lgkmcnt(0)
	s_barrier
	s_and_saveexec_b64 s[2:3], vcc
	s_cbranch_execz .LBB578_22
; %bb.21:
	v_add_u32_e32 v7, -8, v9
	ds_read_b64 v[7:8], v7
	s_waitcnt lgkmcnt(0)
	v_add_f64 v[7:8], v[1:2], v[7:8]
.LBB578_22:
	s_or_b64 exec, exec, s[2:3]
	s_cbranch_execz .LBB578_24
	s_branch .LBB578_27
.LBB578_23:
                                        ; implicit-def: $vgpr7_vgpr8
.LBB578_24:
	v_lshlrev_b32_e32 v7, 1, v0
	v_or_b32_e32 v8, 1, v7
	v_cmp_gt_u32_e32 vcc, s14, v8
	v_cndmask_b32_e32 v6, v4, v6, vcc
	v_cndmask_b32_e32 v5, v3, v5, vcc
	v_cmp_ne_u32_e32 vcc, 0, v0
	v_cmp_gt_u32_e64 s[2:3], s14, v7
	s_and_b64 s[8:9], vcc, s[2:3]
	ds_write_b64 v9, v[3:4]
	s_waitcnt lgkmcnt(0)
	s_barrier
	s_and_saveexec_b64 s[2:3], s[8:9]
	s_cbranch_execz .LBB578_26
; %bb.25:
	v_add_u32_e32 v3, -8, v9
	ds_read_b64 v[3:4], v3
	s_waitcnt lgkmcnt(0)
	v_add_f64 v[1:2], v[1:2], v[3:4]
.LBB578_26:
	s_or_b64 exec, exec, s[2:3]
	v_mov_b32_e32 v8, v2
	v_mov_b32_e32 v7, v1
.LBB578_27:
	s_add_u32 s7, s12, s10
	s_addc_u32 s8, s13, s11
	s_and_b64 vcc, exec, s[0:1]
	s_waitcnt lgkmcnt(0)
	s_barrier
	s_cbranch_vccz .LBB578_31
; %bb.28:
	v_and_b32_e32 v1, 0x1f8, v11
	v_lshl_add_u32 v1, v0, 4, v1
	v_or_b32_e32 v12, 0x400, v0
	ds_write2_b64 v1, v[7:8], v[5:6] offset1:1
	v_lshrrev_b32_e32 v1, 2, v12
	s_lshl_b32 s0, s6, 11
	s_mov_b32 s5, 0
	v_and_b32_e32 v1, 0x1f8, v1
	s_sub_i32 s2, s14, s0
	s_lshl_b64 s[0:1], s[4:5], 3
	v_add_u32_e32 v1, v1, v9
	s_add_u32 s0, s7, s0
	s_waitcnt lgkmcnt(0)
	s_barrier
	ds_read_b64 v[1:2], v1 offset:8192
	s_addc_u32 s1, s8, s1
	v_mov_b32_e32 v4, s1
	v_add_co_u32_e32 v3, vcc, s0, v9
	v_addc_co_u32_e32 v4, vcc, 0, v4, vcc
	v_cmp_gt_u32_e32 vcc, s2, v0
	s_and_saveexec_b64 s[0:1], vcc
	s_cbranch_execz .LBB578_30
; %bb.29:
	v_and_b32_e32 v13, 0xf8, v10
	v_lshl_add_u32 v13, v0, 3, v13
	ds_read_b64 v[13:14], v13
	s_waitcnt lgkmcnt(0)
	global_store_dwordx2 v[3:4], v[13:14], off
.LBB578_30:
	s_or_b64 exec, exec, s[0:1]
	v_cmp_gt_u32_e64 s[0:1], s2, v12
	s_branch .LBB578_33
.LBB578_31:
	s_mov_b64 s[0:1], 0
                                        ; implicit-def: $vgpr1_vgpr2
                                        ; implicit-def: $vgpr3_vgpr4
	s_cbranch_execz .LBB578_33
; %bb.32:
	s_waitcnt lgkmcnt(0)
	v_and_b32_e32 v1, 0x1f8, v11
	v_lshl_add_u32 v1, v0, 4, v1
	v_or_b32_e32 v0, 0x400, v0
	s_mov_b32 s5, 0
	ds_write2_b64 v1, v[7:8], v[5:6] offset1:1
	v_and_b32_e32 v1, 0xf8, v10
	v_lshrrev_b32_e32 v0, 2, v0
	s_lshl_b64 s[2:3], s[4:5], 3
	v_add_u32_e32 v1, v1, v9
	v_and_b32_e32 v0, 0x1f8, v0
	s_add_u32 s2, s7, s2
	s_waitcnt vmcnt(0) lgkmcnt(0)
	s_barrier
	v_add_u32_e32 v0, v0, v9
	ds_read_b64 v[5:6], v1
	ds_read_b64 v[1:2], v0 offset:8192
	s_addc_u32 s3, s8, s3
	v_mov_b32_e32 v0, s3
	v_add_co_u32_e32 v3, vcc, s2, v9
	v_addc_co_u32_e32 v4, vcc, 0, v0, vcc
	s_or_b64 s[0:1], s[0:1], exec
	s_waitcnt lgkmcnt(1)
	global_store_dwordx2 v9, v[5:6], s[2:3]
.LBB578_33:
	s_and_saveexec_b64 s[2:3], s[0:1]
	s_cbranch_execnz .LBB578_35
; %bb.34:
	s_endpgm
.LBB578_35:
	v_add_co_u32_e32 v3, vcc, 0x2000, v3
	v_addc_co_u32_e32 v4, vcc, 0, v4, vcc
	s_waitcnt lgkmcnt(0)
	global_store_dwordx2 v[3:4], v[1:2], off
	s_endpgm
	.section	.rodata,"a",@progbits
	.p2align	6, 0x0
	.amdhsa_kernel _ZN7rocprim17ROCPRIM_400000_NS6detail17trampoline_kernelINS0_14default_configENS1_35adjacent_difference_config_selectorILb0EdEEZNS1_24adjacent_difference_implIS3_Lb0ELb0EPKdPdN6thrust23THRUST_200600_302600_NS4plusIdEEEE10hipError_tPvRmT2_T3_mT4_P12ihipStream_tbEUlT_E_NS1_11comp_targetILNS1_3genE2ELNS1_11target_archE906ELNS1_3gpuE6ELNS1_3repE0EEENS1_30default_config_static_selectorELNS0_4arch9wavefront6targetE1EEEvT1_
		.amdhsa_group_segment_fixed_size 16896
		.amdhsa_private_segment_fixed_size 0
		.amdhsa_kernarg_size 56
		.amdhsa_user_sgpr_count 6
		.amdhsa_user_sgpr_private_segment_buffer 1
		.amdhsa_user_sgpr_dispatch_ptr 0
		.amdhsa_user_sgpr_queue_ptr 0
		.amdhsa_user_sgpr_kernarg_segment_ptr 1
		.amdhsa_user_sgpr_dispatch_id 0
		.amdhsa_user_sgpr_flat_scratch_init 0
		.amdhsa_user_sgpr_private_segment_size 0
		.amdhsa_uses_dynamic_stack 0
		.amdhsa_system_sgpr_private_segment_wavefront_offset 0
		.amdhsa_system_sgpr_workgroup_id_x 1
		.amdhsa_system_sgpr_workgroup_id_y 0
		.amdhsa_system_sgpr_workgroup_id_z 0
		.amdhsa_system_sgpr_workgroup_info 0
		.amdhsa_system_vgpr_workitem_id 0
		.amdhsa_next_free_vgpr 29
		.amdhsa_next_free_sgpr 61
		.amdhsa_reserve_vcc 1
		.amdhsa_reserve_flat_scratch 0
		.amdhsa_float_round_mode_32 0
		.amdhsa_float_round_mode_16_64 0
		.amdhsa_float_denorm_mode_32 3
		.amdhsa_float_denorm_mode_16_64 3
		.amdhsa_dx10_clamp 1
		.amdhsa_ieee_mode 1
		.amdhsa_fp16_overflow 0
		.amdhsa_exception_fp_ieee_invalid_op 0
		.amdhsa_exception_fp_denorm_src 0
		.amdhsa_exception_fp_ieee_div_zero 0
		.amdhsa_exception_fp_ieee_overflow 0
		.amdhsa_exception_fp_ieee_underflow 0
		.amdhsa_exception_fp_ieee_inexact 0
		.amdhsa_exception_int_div_zero 0
	.end_amdhsa_kernel
	.section	.text._ZN7rocprim17ROCPRIM_400000_NS6detail17trampoline_kernelINS0_14default_configENS1_35adjacent_difference_config_selectorILb0EdEEZNS1_24adjacent_difference_implIS3_Lb0ELb0EPKdPdN6thrust23THRUST_200600_302600_NS4plusIdEEEE10hipError_tPvRmT2_T3_mT4_P12ihipStream_tbEUlT_E_NS1_11comp_targetILNS1_3genE2ELNS1_11target_archE906ELNS1_3gpuE6ELNS1_3repE0EEENS1_30default_config_static_selectorELNS0_4arch9wavefront6targetE1EEEvT1_,"axG",@progbits,_ZN7rocprim17ROCPRIM_400000_NS6detail17trampoline_kernelINS0_14default_configENS1_35adjacent_difference_config_selectorILb0EdEEZNS1_24adjacent_difference_implIS3_Lb0ELb0EPKdPdN6thrust23THRUST_200600_302600_NS4plusIdEEEE10hipError_tPvRmT2_T3_mT4_P12ihipStream_tbEUlT_E_NS1_11comp_targetILNS1_3genE2ELNS1_11target_archE906ELNS1_3gpuE6ELNS1_3repE0EEENS1_30default_config_static_selectorELNS0_4arch9wavefront6targetE1EEEvT1_,comdat
.Lfunc_end578:
	.size	_ZN7rocprim17ROCPRIM_400000_NS6detail17trampoline_kernelINS0_14default_configENS1_35adjacent_difference_config_selectorILb0EdEEZNS1_24adjacent_difference_implIS3_Lb0ELb0EPKdPdN6thrust23THRUST_200600_302600_NS4plusIdEEEE10hipError_tPvRmT2_T3_mT4_P12ihipStream_tbEUlT_E_NS1_11comp_targetILNS1_3genE2ELNS1_11target_archE906ELNS1_3gpuE6ELNS1_3repE0EEENS1_30default_config_static_selectorELNS0_4arch9wavefront6targetE1EEEvT1_, .Lfunc_end578-_ZN7rocprim17ROCPRIM_400000_NS6detail17trampoline_kernelINS0_14default_configENS1_35adjacent_difference_config_selectorILb0EdEEZNS1_24adjacent_difference_implIS3_Lb0ELb0EPKdPdN6thrust23THRUST_200600_302600_NS4plusIdEEEE10hipError_tPvRmT2_T3_mT4_P12ihipStream_tbEUlT_E_NS1_11comp_targetILNS1_3genE2ELNS1_11target_archE906ELNS1_3gpuE6ELNS1_3repE0EEENS1_30default_config_static_selectorELNS0_4arch9wavefront6targetE1EEEvT1_
                                        ; -- End function
	.set _ZN7rocprim17ROCPRIM_400000_NS6detail17trampoline_kernelINS0_14default_configENS1_35adjacent_difference_config_selectorILb0EdEEZNS1_24adjacent_difference_implIS3_Lb0ELb0EPKdPdN6thrust23THRUST_200600_302600_NS4plusIdEEEE10hipError_tPvRmT2_T3_mT4_P12ihipStream_tbEUlT_E_NS1_11comp_targetILNS1_3genE2ELNS1_11target_archE906ELNS1_3gpuE6ELNS1_3repE0EEENS1_30default_config_static_selectorELNS0_4arch9wavefront6targetE1EEEvT1_.num_vgpr, 15
	.set _ZN7rocprim17ROCPRIM_400000_NS6detail17trampoline_kernelINS0_14default_configENS1_35adjacent_difference_config_selectorILb0EdEEZNS1_24adjacent_difference_implIS3_Lb0ELb0EPKdPdN6thrust23THRUST_200600_302600_NS4plusIdEEEE10hipError_tPvRmT2_T3_mT4_P12ihipStream_tbEUlT_E_NS1_11comp_targetILNS1_3genE2ELNS1_11target_archE906ELNS1_3gpuE6ELNS1_3repE0EEENS1_30default_config_static_selectorELNS0_4arch9wavefront6targetE1EEEvT1_.num_agpr, 0
	.set _ZN7rocprim17ROCPRIM_400000_NS6detail17trampoline_kernelINS0_14default_configENS1_35adjacent_difference_config_selectorILb0EdEEZNS1_24adjacent_difference_implIS3_Lb0ELb0EPKdPdN6thrust23THRUST_200600_302600_NS4plusIdEEEE10hipError_tPvRmT2_T3_mT4_P12ihipStream_tbEUlT_E_NS1_11comp_targetILNS1_3genE2ELNS1_11target_archE906ELNS1_3gpuE6ELNS1_3repE0EEENS1_30default_config_static_selectorELNS0_4arch9wavefront6targetE1EEEvT1_.numbered_sgpr, 22
	.set _ZN7rocprim17ROCPRIM_400000_NS6detail17trampoline_kernelINS0_14default_configENS1_35adjacent_difference_config_selectorILb0EdEEZNS1_24adjacent_difference_implIS3_Lb0ELb0EPKdPdN6thrust23THRUST_200600_302600_NS4plusIdEEEE10hipError_tPvRmT2_T3_mT4_P12ihipStream_tbEUlT_E_NS1_11comp_targetILNS1_3genE2ELNS1_11target_archE906ELNS1_3gpuE6ELNS1_3repE0EEENS1_30default_config_static_selectorELNS0_4arch9wavefront6targetE1EEEvT1_.num_named_barrier, 0
	.set _ZN7rocprim17ROCPRIM_400000_NS6detail17trampoline_kernelINS0_14default_configENS1_35adjacent_difference_config_selectorILb0EdEEZNS1_24adjacent_difference_implIS3_Lb0ELb0EPKdPdN6thrust23THRUST_200600_302600_NS4plusIdEEEE10hipError_tPvRmT2_T3_mT4_P12ihipStream_tbEUlT_E_NS1_11comp_targetILNS1_3genE2ELNS1_11target_archE906ELNS1_3gpuE6ELNS1_3repE0EEENS1_30default_config_static_selectorELNS0_4arch9wavefront6targetE1EEEvT1_.private_seg_size, 0
	.set _ZN7rocprim17ROCPRIM_400000_NS6detail17trampoline_kernelINS0_14default_configENS1_35adjacent_difference_config_selectorILb0EdEEZNS1_24adjacent_difference_implIS3_Lb0ELb0EPKdPdN6thrust23THRUST_200600_302600_NS4plusIdEEEE10hipError_tPvRmT2_T3_mT4_P12ihipStream_tbEUlT_E_NS1_11comp_targetILNS1_3genE2ELNS1_11target_archE906ELNS1_3gpuE6ELNS1_3repE0EEENS1_30default_config_static_selectorELNS0_4arch9wavefront6targetE1EEEvT1_.uses_vcc, 1
	.set _ZN7rocprim17ROCPRIM_400000_NS6detail17trampoline_kernelINS0_14default_configENS1_35adjacent_difference_config_selectorILb0EdEEZNS1_24adjacent_difference_implIS3_Lb0ELb0EPKdPdN6thrust23THRUST_200600_302600_NS4plusIdEEEE10hipError_tPvRmT2_T3_mT4_P12ihipStream_tbEUlT_E_NS1_11comp_targetILNS1_3genE2ELNS1_11target_archE906ELNS1_3gpuE6ELNS1_3repE0EEENS1_30default_config_static_selectorELNS0_4arch9wavefront6targetE1EEEvT1_.uses_flat_scratch, 0
	.set _ZN7rocprim17ROCPRIM_400000_NS6detail17trampoline_kernelINS0_14default_configENS1_35adjacent_difference_config_selectorILb0EdEEZNS1_24adjacent_difference_implIS3_Lb0ELb0EPKdPdN6thrust23THRUST_200600_302600_NS4plusIdEEEE10hipError_tPvRmT2_T3_mT4_P12ihipStream_tbEUlT_E_NS1_11comp_targetILNS1_3genE2ELNS1_11target_archE906ELNS1_3gpuE6ELNS1_3repE0EEENS1_30default_config_static_selectorELNS0_4arch9wavefront6targetE1EEEvT1_.has_dyn_sized_stack, 0
	.set _ZN7rocprim17ROCPRIM_400000_NS6detail17trampoline_kernelINS0_14default_configENS1_35adjacent_difference_config_selectorILb0EdEEZNS1_24adjacent_difference_implIS3_Lb0ELb0EPKdPdN6thrust23THRUST_200600_302600_NS4plusIdEEEE10hipError_tPvRmT2_T3_mT4_P12ihipStream_tbEUlT_E_NS1_11comp_targetILNS1_3genE2ELNS1_11target_archE906ELNS1_3gpuE6ELNS1_3repE0EEENS1_30default_config_static_selectorELNS0_4arch9wavefront6targetE1EEEvT1_.has_recursion, 0
	.set _ZN7rocprim17ROCPRIM_400000_NS6detail17trampoline_kernelINS0_14default_configENS1_35adjacent_difference_config_selectorILb0EdEEZNS1_24adjacent_difference_implIS3_Lb0ELb0EPKdPdN6thrust23THRUST_200600_302600_NS4plusIdEEEE10hipError_tPvRmT2_T3_mT4_P12ihipStream_tbEUlT_E_NS1_11comp_targetILNS1_3genE2ELNS1_11target_archE906ELNS1_3gpuE6ELNS1_3repE0EEENS1_30default_config_static_selectorELNS0_4arch9wavefront6targetE1EEEvT1_.has_indirect_call, 0
	.section	.AMDGPU.csdata,"",@progbits
; Kernel info:
; codeLenInByte = 1292
; TotalNumSgprs: 26
; NumVgprs: 15
; ScratchSize: 0
; MemoryBound: 0
; FloatMode: 240
; IeeeMode: 1
; LDSByteSize: 16896 bytes/workgroup (compile time only)
; SGPRBlocks: 8
; VGPRBlocks: 7
; NumSGPRsForWavesPerEU: 65
; NumVGPRsForWavesPerEU: 29
; Occupancy: 8
; WaveLimiterHint : 1
; COMPUTE_PGM_RSRC2:SCRATCH_EN: 0
; COMPUTE_PGM_RSRC2:USER_SGPR: 6
; COMPUTE_PGM_RSRC2:TRAP_HANDLER: 0
; COMPUTE_PGM_RSRC2:TGID_X_EN: 1
; COMPUTE_PGM_RSRC2:TGID_Y_EN: 0
; COMPUTE_PGM_RSRC2:TGID_Z_EN: 0
; COMPUTE_PGM_RSRC2:TIDIG_COMP_CNT: 0
	.section	.text._ZN7rocprim17ROCPRIM_400000_NS6detail17trampoline_kernelINS0_14default_configENS1_35adjacent_difference_config_selectorILb0EdEEZNS1_24adjacent_difference_implIS3_Lb0ELb0EPKdPdN6thrust23THRUST_200600_302600_NS4plusIdEEEE10hipError_tPvRmT2_T3_mT4_P12ihipStream_tbEUlT_E_NS1_11comp_targetILNS1_3genE9ELNS1_11target_archE1100ELNS1_3gpuE3ELNS1_3repE0EEENS1_30default_config_static_selectorELNS0_4arch9wavefront6targetE1EEEvT1_,"axG",@progbits,_ZN7rocprim17ROCPRIM_400000_NS6detail17trampoline_kernelINS0_14default_configENS1_35adjacent_difference_config_selectorILb0EdEEZNS1_24adjacent_difference_implIS3_Lb0ELb0EPKdPdN6thrust23THRUST_200600_302600_NS4plusIdEEEE10hipError_tPvRmT2_T3_mT4_P12ihipStream_tbEUlT_E_NS1_11comp_targetILNS1_3genE9ELNS1_11target_archE1100ELNS1_3gpuE3ELNS1_3repE0EEENS1_30default_config_static_selectorELNS0_4arch9wavefront6targetE1EEEvT1_,comdat
	.protected	_ZN7rocprim17ROCPRIM_400000_NS6detail17trampoline_kernelINS0_14default_configENS1_35adjacent_difference_config_selectorILb0EdEEZNS1_24adjacent_difference_implIS3_Lb0ELb0EPKdPdN6thrust23THRUST_200600_302600_NS4plusIdEEEE10hipError_tPvRmT2_T3_mT4_P12ihipStream_tbEUlT_E_NS1_11comp_targetILNS1_3genE9ELNS1_11target_archE1100ELNS1_3gpuE3ELNS1_3repE0EEENS1_30default_config_static_selectorELNS0_4arch9wavefront6targetE1EEEvT1_ ; -- Begin function _ZN7rocprim17ROCPRIM_400000_NS6detail17trampoline_kernelINS0_14default_configENS1_35adjacent_difference_config_selectorILb0EdEEZNS1_24adjacent_difference_implIS3_Lb0ELb0EPKdPdN6thrust23THRUST_200600_302600_NS4plusIdEEEE10hipError_tPvRmT2_T3_mT4_P12ihipStream_tbEUlT_E_NS1_11comp_targetILNS1_3genE9ELNS1_11target_archE1100ELNS1_3gpuE3ELNS1_3repE0EEENS1_30default_config_static_selectorELNS0_4arch9wavefront6targetE1EEEvT1_
	.globl	_ZN7rocprim17ROCPRIM_400000_NS6detail17trampoline_kernelINS0_14default_configENS1_35adjacent_difference_config_selectorILb0EdEEZNS1_24adjacent_difference_implIS3_Lb0ELb0EPKdPdN6thrust23THRUST_200600_302600_NS4plusIdEEEE10hipError_tPvRmT2_T3_mT4_P12ihipStream_tbEUlT_E_NS1_11comp_targetILNS1_3genE9ELNS1_11target_archE1100ELNS1_3gpuE3ELNS1_3repE0EEENS1_30default_config_static_selectorELNS0_4arch9wavefront6targetE1EEEvT1_
	.p2align	8
	.type	_ZN7rocprim17ROCPRIM_400000_NS6detail17trampoline_kernelINS0_14default_configENS1_35adjacent_difference_config_selectorILb0EdEEZNS1_24adjacent_difference_implIS3_Lb0ELb0EPKdPdN6thrust23THRUST_200600_302600_NS4plusIdEEEE10hipError_tPvRmT2_T3_mT4_P12ihipStream_tbEUlT_E_NS1_11comp_targetILNS1_3genE9ELNS1_11target_archE1100ELNS1_3gpuE3ELNS1_3repE0EEENS1_30default_config_static_selectorELNS0_4arch9wavefront6targetE1EEEvT1_,@function
_ZN7rocprim17ROCPRIM_400000_NS6detail17trampoline_kernelINS0_14default_configENS1_35adjacent_difference_config_selectorILb0EdEEZNS1_24adjacent_difference_implIS3_Lb0ELb0EPKdPdN6thrust23THRUST_200600_302600_NS4plusIdEEEE10hipError_tPvRmT2_T3_mT4_P12ihipStream_tbEUlT_E_NS1_11comp_targetILNS1_3genE9ELNS1_11target_archE1100ELNS1_3gpuE3ELNS1_3repE0EEENS1_30default_config_static_selectorELNS0_4arch9wavefront6targetE1EEEvT1_: ; @_ZN7rocprim17ROCPRIM_400000_NS6detail17trampoline_kernelINS0_14default_configENS1_35adjacent_difference_config_selectorILb0EdEEZNS1_24adjacent_difference_implIS3_Lb0ELb0EPKdPdN6thrust23THRUST_200600_302600_NS4plusIdEEEE10hipError_tPvRmT2_T3_mT4_P12ihipStream_tbEUlT_E_NS1_11comp_targetILNS1_3genE9ELNS1_11target_archE1100ELNS1_3gpuE3ELNS1_3repE0EEENS1_30default_config_static_selectorELNS0_4arch9wavefront6targetE1EEEvT1_
; %bb.0:
	.section	.rodata,"a",@progbits
	.p2align	6, 0x0
	.amdhsa_kernel _ZN7rocprim17ROCPRIM_400000_NS6detail17trampoline_kernelINS0_14default_configENS1_35adjacent_difference_config_selectorILb0EdEEZNS1_24adjacent_difference_implIS3_Lb0ELb0EPKdPdN6thrust23THRUST_200600_302600_NS4plusIdEEEE10hipError_tPvRmT2_T3_mT4_P12ihipStream_tbEUlT_E_NS1_11comp_targetILNS1_3genE9ELNS1_11target_archE1100ELNS1_3gpuE3ELNS1_3repE0EEENS1_30default_config_static_selectorELNS0_4arch9wavefront6targetE1EEEvT1_
		.amdhsa_group_segment_fixed_size 0
		.amdhsa_private_segment_fixed_size 0
		.amdhsa_kernarg_size 56
		.amdhsa_user_sgpr_count 6
		.amdhsa_user_sgpr_private_segment_buffer 1
		.amdhsa_user_sgpr_dispatch_ptr 0
		.amdhsa_user_sgpr_queue_ptr 0
		.amdhsa_user_sgpr_kernarg_segment_ptr 1
		.amdhsa_user_sgpr_dispatch_id 0
		.amdhsa_user_sgpr_flat_scratch_init 0
		.amdhsa_user_sgpr_private_segment_size 0
		.amdhsa_uses_dynamic_stack 0
		.amdhsa_system_sgpr_private_segment_wavefront_offset 0
		.amdhsa_system_sgpr_workgroup_id_x 1
		.amdhsa_system_sgpr_workgroup_id_y 0
		.amdhsa_system_sgpr_workgroup_id_z 0
		.amdhsa_system_sgpr_workgroup_info 0
		.amdhsa_system_vgpr_workitem_id 0
		.amdhsa_next_free_vgpr 1
		.amdhsa_next_free_sgpr 0
		.amdhsa_reserve_vcc 0
		.amdhsa_reserve_flat_scratch 0
		.amdhsa_float_round_mode_32 0
		.amdhsa_float_round_mode_16_64 0
		.amdhsa_float_denorm_mode_32 3
		.amdhsa_float_denorm_mode_16_64 3
		.amdhsa_dx10_clamp 1
		.amdhsa_ieee_mode 1
		.amdhsa_fp16_overflow 0
		.amdhsa_exception_fp_ieee_invalid_op 0
		.amdhsa_exception_fp_denorm_src 0
		.amdhsa_exception_fp_ieee_div_zero 0
		.amdhsa_exception_fp_ieee_overflow 0
		.amdhsa_exception_fp_ieee_underflow 0
		.amdhsa_exception_fp_ieee_inexact 0
		.amdhsa_exception_int_div_zero 0
	.end_amdhsa_kernel
	.section	.text._ZN7rocprim17ROCPRIM_400000_NS6detail17trampoline_kernelINS0_14default_configENS1_35adjacent_difference_config_selectorILb0EdEEZNS1_24adjacent_difference_implIS3_Lb0ELb0EPKdPdN6thrust23THRUST_200600_302600_NS4plusIdEEEE10hipError_tPvRmT2_T3_mT4_P12ihipStream_tbEUlT_E_NS1_11comp_targetILNS1_3genE9ELNS1_11target_archE1100ELNS1_3gpuE3ELNS1_3repE0EEENS1_30default_config_static_selectorELNS0_4arch9wavefront6targetE1EEEvT1_,"axG",@progbits,_ZN7rocprim17ROCPRIM_400000_NS6detail17trampoline_kernelINS0_14default_configENS1_35adjacent_difference_config_selectorILb0EdEEZNS1_24adjacent_difference_implIS3_Lb0ELb0EPKdPdN6thrust23THRUST_200600_302600_NS4plusIdEEEE10hipError_tPvRmT2_T3_mT4_P12ihipStream_tbEUlT_E_NS1_11comp_targetILNS1_3genE9ELNS1_11target_archE1100ELNS1_3gpuE3ELNS1_3repE0EEENS1_30default_config_static_selectorELNS0_4arch9wavefront6targetE1EEEvT1_,comdat
.Lfunc_end579:
	.size	_ZN7rocprim17ROCPRIM_400000_NS6detail17trampoline_kernelINS0_14default_configENS1_35adjacent_difference_config_selectorILb0EdEEZNS1_24adjacent_difference_implIS3_Lb0ELb0EPKdPdN6thrust23THRUST_200600_302600_NS4plusIdEEEE10hipError_tPvRmT2_T3_mT4_P12ihipStream_tbEUlT_E_NS1_11comp_targetILNS1_3genE9ELNS1_11target_archE1100ELNS1_3gpuE3ELNS1_3repE0EEENS1_30default_config_static_selectorELNS0_4arch9wavefront6targetE1EEEvT1_, .Lfunc_end579-_ZN7rocprim17ROCPRIM_400000_NS6detail17trampoline_kernelINS0_14default_configENS1_35adjacent_difference_config_selectorILb0EdEEZNS1_24adjacent_difference_implIS3_Lb0ELb0EPKdPdN6thrust23THRUST_200600_302600_NS4plusIdEEEE10hipError_tPvRmT2_T3_mT4_P12ihipStream_tbEUlT_E_NS1_11comp_targetILNS1_3genE9ELNS1_11target_archE1100ELNS1_3gpuE3ELNS1_3repE0EEENS1_30default_config_static_selectorELNS0_4arch9wavefront6targetE1EEEvT1_
                                        ; -- End function
	.set _ZN7rocprim17ROCPRIM_400000_NS6detail17trampoline_kernelINS0_14default_configENS1_35adjacent_difference_config_selectorILb0EdEEZNS1_24adjacent_difference_implIS3_Lb0ELb0EPKdPdN6thrust23THRUST_200600_302600_NS4plusIdEEEE10hipError_tPvRmT2_T3_mT4_P12ihipStream_tbEUlT_E_NS1_11comp_targetILNS1_3genE9ELNS1_11target_archE1100ELNS1_3gpuE3ELNS1_3repE0EEENS1_30default_config_static_selectorELNS0_4arch9wavefront6targetE1EEEvT1_.num_vgpr, 0
	.set _ZN7rocprim17ROCPRIM_400000_NS6detail17trampoline_kernelINS0_14default_configENS1_35adjacent_difference_config_selectorILb0EdEEZNS1_24adjacent_difference_implIS3_Lb0ELb0EPKdPdN6thrust23THRUST_200600_302600_NS4plusIdEEEE10hipError_tPvRmT2_T3_mT4_P12ihipStream_tbEUlT_E_NS1_11comp_targetILNS1_3genE9ELNS1_11target_archE1100ELNS1_3gpuE3ELNS1_3repE0EEENS1_30default_config_static_selectorELNS0_4arch9wavefront6targetE1EEEvT1_.num_agpr, 0
	.set _ZN7rocprim17ROCPRIM_400000_NS6detail17trampoline_kernelINS0_14default_configENS1_35adjacent_difference_config_selectorILb0EdEEZNS1_24adjacent_difference_implIS3_Lb0ELb0EPKdPdN6thrust23THRUST_200600_302600_NS4plusIdEEEE10hipError_tPvRmT2_T3_mT4_P12ihipStream_tbEUlT_E_NS1_11comp_targetILNS1_3genE9ELNS1_11target_archE1100ELNS1_3gpuE3ELNS1_3repE0EEENS1_30default_config_static_selectorELNS0_4arch9wavefront6targetE1EEEvT1_.numbered_sgpr, 0
	.set _ZN7rocprim17ROCPRIM_400000_NS6detail17trampoline_kernelINS0_14default_configENS1_35adjacent_difference_config_selectorILb0EdEEZNS1_24adjacent_difference_implIS3_Lb0ELb0EPKdPdN6thrust23THRUST_200600_302600_NS4plusIdEEEE10hipError_tPvRmT2_T3_mT4_P12ihipStream_tbEUlT_E_NS1_11comp_targetILNS1_3genE9ELNS1_11target_archE1100ELNS1_3gpuE3ELNS1_3repE0EEENS1_30default_config_static_selectorELNS0_4arch9wavefront6targetE1EEEvT1_.num_named_barrier, 0
	.set _ZN7rocprim17ROCPRIM_400000_NS6detail17trampoline_kernelINS0_14default_configENS1_35adjacent_difference_config_selectorILb0EdEEZNS1_24adjacent_difference_implIS3_Lb0ELb0EPKdPdN6thrust23THRUST_200600_302600_NS4plusIdEEEE10hipError_tPvRmT2_T3_mT4_P12ihipStream_tbEUlT_E_NS1_11comp_targetILNS1_3genE9ELNS1_11target_archE1100ELNS1_3gpuE3ELNS1_3repE0EEENS1_30default_config_static_selectorELNS0_4arch9wavefront6targetE1EEEvT1_.private_seg_size, 0
	.set _ZN7rocprim17ROCPRIM_400000_NS6detail17trampoline_kernelINS0_14default_configENS1_35adjacent_difference_config_selectorILb0EdEEZNS1_24adjacent_difference_implIS3_Lb0ELb0EPKdPdN6thrust23THRUST_200600_302600_NS4plusIdEEEE10hipError_tPvRmT2_T3_mT4_P12ihipStream_tbEUlT_E_NS1_11comp_targetILNS1_3genE9ELNS1_11target_archE1100ELNS1_3gpuE3ELNS1_3repE0EEENS1_30default_config_static_selectorELNS0_4arch9wavefront6targetE1EEEvT1_.uses_vcc, 0
	.set _ZN7rocprim17ROCPRIM_400000_NS6detail17trampoline_kernelINS0_14default_configENS1_35adjacent_difference_config_selectorILb0EdEEZNS1_24adjacent_difference_implIS3_Lb0ELb0EPKdPdN6thrust23THRUST_200600_302600_NS4plusIdEEEE10hipError_tPvRmT2_T3_mT4_P12ihipStream_tbEUlT_E_NS1_11comp_targetILNS1_3genE9ELNS1_11target_archE1100ELNS1_3gpuE3ELNS1_3repE0EEENS1_30default_config_static_selectorELNS0_4arch9wavefront6targetE1EEEvT1_.uses_flat_scratch, 0
	.set _ZN7rocprim17ROCPRIM_400000_NS6detail17trampoline_kernelINS0_14default_configENS1_35adjacent_difference_config_selectorILb0EdEEZNS1_24adjacent_difference_implIS3_Lb0ELb0EPKdPdN6thrust23THRUST_200600_302600_NS4plusIdEEEE10hipError_tPvRmT2_T3_mT4_P12ihipStream_tbEUlT_E_NS1_11comp_targetILNS1_3genE9ELNS1_11target_archE1100ELNS1_3gpuE3ELNS1_3repE0EEENS1_30default_config_static_selectorELNS0_4arch9wavefront6targetE1EEEvT1_.has_dyn_sized_stack, 0
	.set _ZN7rocprim17ROCPRIM_400000_NS6detail17trampoline_kernelINS0_14default_configENS1_35adjacent_difference_config_selectorILb0EdEEZNS1_24adjacent_difference_implIS3_Lb0ELb0EPKdPdN6thrust23THRUST_200600_302600_NS4plusIdEEEE10hipError_tPvRmT2_T3_mT4_P12ihipStream_tbEUlT_E_NS1_11comp_targetILNS1_3genE9ELNS1_11target_archE1100ELNS1_3gpuE3ELNS1_3repE0EEENS1_30default_config_static_selectorELNS0_4arch9wavefront6targetE1EEEvT1_.has_recursion, 0
	.set _ZN7rocprim17ROCPRIM_400000_NS6detail17trampoline_kernelINS0_14default_configENS1_35adjacent_difference_config_selectorILb0EdEEZNS1_24adjacent_difference_implIS3_Lb0ELb0EPKdPdN6thrust23THRUST_200600_302600_NS4plusIdEEEE10hipError_tPvRmT2_T3_mT4_P12ihipStream_tbEUlT_E_NS1_11comp_targetILNS1_3genE9ELNS1_11target_archE1100ELNS1_3gpuE3ELNS1_3repE0EEENS1_30default_config_static_selectorELNS0_4arch9wavefront6targetE1EEEvT1_.has_indirect_call, 0
	.section	.AMDGPU.csdata,"",@progbits
; Kernel info:
; codeLenInByte = 0
; TotalNumSgprs: 4
; NumVgprs: 0
; ScratchSize: 0
; MemoryBound: 0
; FloatMode: 240
; IeeeMode: 1
; LDSByteSize: 0 bytes/workgroup (compile time only)
; SGPRBlocks: 0
; VGPRBlocks: 0
; NumSGPRsForWavesPerEU: 4
; NumVGPRsForWavesPerEU: 1
; Occupancy: 10
; WaveLimiterHint : 0
; COMPUTE_PGM_RSRC2:SCRATCH_EN: 0
; COMPUTE_PGM_RSRC2:USER_SGPR: 6
; COMPUTE_PGM_RSRC2:TRAP_HANDLER: 0
; COMPUTE_PGM_RSRC2:TGID_X_EN: 1
; COMPUTE_PGM_RSRC2:TGID_Y_EN: 0
; COMPUTE_PGM_RSRC2:TGID_Z_EN: 0
; COMPUTE_PGM_RSRC2:TIDIG_COMP_CNT: 0
	.section	.text._ZN7rocprim17ROCPRIM_400000_NS6detail17trampoline_kernelINS0_14default_configENS1_35adjacent_difference_config_selectorILb0EdEEZNS1_24adjacent_difference_implIS3_Lb0ELb0EPKdPdN6thrust23THRUST_200600_302600_NS4plusIdEEEE10hipError_tPvRmT2_T3_mT4_P12ihipStream_tbEUlT_E_NS1_11comp_targetILNS1_3genE8ELNS1_11target_archE1030ELNS1_3gpuE2ELNS1_3repE0EEENS1_30default_config_static_selectorELNS0_4arch9wavefront6targetE1EEEvT1_,"axG",@progbits,_ZN7rocprim17ROCPRIM_400000_NS6detail17trampoline_kernelINS0_14default_configENS1_35adjacent_difference_config_selectorILb0EdEEZNS1_24adjacent_difference_implIS3_Lb0ELb0EPKdPdN6thrust23THRUST_200600_302600_NS4plusIdEEEE10hipError_tPvRmT2_T3_mT4_P12ihipStream_tbEUlT_E_NS1_11comp_targetILNS1_3genE8ELNS1_11target_archE1030ELNS1_3gpuE2ELNS1_3repE0EEENS1_30default_config_static_selectorELNS0_4arch9wavefront6targetE1EEEvT1_,comdat
	.protected	_ZN7rocprim17ROCPRIM_400000_NS6detail17trampoline_kernelINS0_14default_configENS1_35adjacent_difference_config_selectorILb0EdEEZNS1_24adjacent_difference_implIS3_Lb0ELb0EPKdPdN6thrust23THRUST_200600_302600_NS4plusIdEEEE10hipError_tPvRmT2_T3_mT4_P12ihipStream_tbEUlT_E_NS1_11comp_targetILNS1_3genE8ELNS1_11target_archE1030ELNS1_3gpuE2ELNS1_3repE0EEENS1_30default_config_static_selectorELNS0_4arch9wavefront6targetE1EEEvT1_ ; -- Begin function _ZN7rocprim17ROCPRIM_400000_NS6detail17trampoline_kernelINS0_14default_configENS1_35adjacent_difference_config_selectorILb0EdEEZNS1_24adjacent_difference_implIS3_Lb0ELb0EPKdPdN6thrust23THRUST_200600_302600_NS4plusIdEEEE10hipError_tPvRmT2_T3_mT4_P12ihipStream_tbEUlT_E_NS1_11comp_targetILNS1_3genE8ELNS1_11target_archE1030ELNS1_3gpuE2ELNS1_3repE0EEENS1_30default_config_static_selectorELNS0_4arch9wavefront6targetE1EEEvT1_
	.globl	_ZN7rocprim17ROCPRIM_400000_NS6detail17trampoline_kernelINS0_14default_configENS1_35adjacent_difference_config_selectorILb0EdEEZNS1_24adjacent_difference_implIS3_Lb0ELb0EPKdPdN6thrust23THRUST_200600_302600_NS4plusIdEEEE10hipError_tPvRmT2_T3_mT4_P12ihipStream_tbEUlT_E_NS1_11comp_targetILNS1_3genE8ELNS1_11target_archE1030ELNS1_3gpuE2ELNS1_3repE0EEENS1_30default_config_static_selectorELNS0_4arch9wavefront6targetE1EEEvT1_
	.p2align	8
	.type	_ZN7rocprim17ROCPRIM_400000_NS6detail17trampoline_kernelINS0_14default_configENS1_35adjacent_difference_config_selectorILb0EdEEZNS1_24adjacent_difference_implIS3_Lb0ELb0EPKdPdN6thrust23THRUST_200600_302600_NS4plusIdEEEE10hipError_tPvRmT2_T3_mT4_P12ihipStream_tbEUlT_E_NS1_11comp_targetILNS1_3genE8ELNS1_11target_archE1030ELNS1_3gpuE2ELNS1_3repE0EEENS1_30default_config_static_selectorELNS0_4arch9wavefront6targetE1EEEvT1_,@function
_ZN7rocprim17ROCPRIM_400000_NS6detail17trampoline_kernelINS0_14default_configENS1_35adjacent_difference_config_selectorILb0EdEEZNS1_24adjacent_difference_implIS3_Lb0ELb0EPKdPdN6thrust23THRUST_200600_302600_NS4plusIdEEEE10hipError_tPvRmT2_T3_mT4_P12ihipStream_tbEUlT_E_NS1_11comp_targetILNS1_3genE8ELNS1_11target_archE1030ELNS1_3gpuE2ELNS1_3repE0EEENS1_30default_config_static_selectorELNS0_4arch9wavefront6targetE1EEEvT1_: ; @_ZN7rocprim17ROCPRIM_400000_NS6detail17trampoline_kernelINS0_14default_configENS1_35adjacent_difference_config_selectorILb0EdEEZNS1_24adjacent_difference_implIS3_Lb0ELb0EPKdPdN6thrust23THRUST_200600_302600_NS4plusIdEEEE10hipError_tPvRmT2_T3_mT4_P12ihipStream_tbEUlT_E_NS1_11comp_targetILNS1_3genE8ELNS1_11target_archE1030ELNS1_3gpuE2ELNS1_3repE0EEENS1_30default_config_static_selectorELNS0_4arch9wavefront6targetE1EEEvT1_
; %bb.0:
	.section	.rodata,"a",@progbits
	.p2align	6, 0x0
	.amdhsa_kernel _ZN7rocprim17ROCPRIM_400000_NS6detail17trampoline_kernelINS0_14default_configENS1_35adjacent_difference_config_selectorILb0EdEEZNS1_24adjacent_difference_implIS3_Lb0ELb0EPKdPdN6thrust23THRUST_200600_302600_NS4plusIdEEEE10hipError_tPvRmT2_T3_mT4_P12ihipStream_tbEUlT_E_NS1_11comp_targetILNS1_3genE8ELNS1_11target_archE1030ELNS1_3gpuE2ELNS1_3repE0EEENS1_30default_config_static_selectorELNS0_4arch9wavefront6targetE1EEEvT1_
		.amdhsa_group_segment_fixed_size 0
		.amdhsa_private_segment_fixed_size 0
		.amdhsa_kernarg_size 56
		.amdhsa_user_sgpr_count 6
		.amdhsa_user_sgpr_private_segment_buffer 1
		.amdhsa_user_sgpr_dispatch_ptr 0
		.amdhsa_user_sgpr_queue_ptr 0
		.amdhsa_user_sgpr_kernarg_segment_ptr 1
		.amdhsa_user_sgpr_dispatch_id 0
		.amdhsa_user_sgpr_flat_scratch_init 0
		.amdhsa_user_sgpr_private_segment_size 0
		.amdhsa_uses_dynamic_stack 0
		.amdhsa_system_sgpr_private_segment_wavefront_offset 0
		.amdhsa_system_sgpr_workgroup_id_x 1
		.amdhsa_system_sgpr_workgroup_id_y 0
		.amdhsa_system_sgpr_workgroup_id_z 0
		.amdhsa_system_sgpr_workgroup_info 0
		.amdhsa_system_vgpr_workitem_id 0
		.amdhsa_next_free_vgpr 1
		.amdhsa_next_free_sgpr 0
		.amdhsa_reserve_vcc 0
		.amdhsa_reserve_flat_scratch 0
		.amdhsa_float_round_mode_32 0
		.amdhsa_float_round_mode_16_64 0
		.amdhsa_float_denorm_mode_32 3
		.amdhsa_float_denorm_mode_16_64 3
		.amdhsa_dx10_clamp 1
		.amdhsa_ieee_mode 1
		.amdhsa_fp16_overflow 0
		.amdhsa_exception_fp_ieee_invalid_op 0
		.amdhsa_exception_fp_denorm_src 0
		.amdhsa_exception_fp_ieee_div_zero 0
		.amdhsa_exception_fp_ieee_overflow 0
		.amdhsa_exception_fp_ieee_underflow 0
		.amdhsa_exception_fp_ieee_inexact 0
		.amdhsa_exception_int_div_zero 0
	.end_amdhsa_kernel
	.section	.text._ZN7rocprim17ROCPRIM_400000_NS6detail17trampoline_kernelINS0_14default_configENS1_35adjacent_difference_config_selectorILb0EdEEZNS1_24adjacent_difference_implIS3_Lb0ELb0EPKdPdN6thrust23THRUST_200600_302600_NS4plusIdEEEE10hipError_tPvRmT2_T3_mT4_P12ihipStream_tbEUlT_E_NS1_11comp_targetILNS1_3genE8ELNS1_11target_archE1030ELNS1_3gpuE2ELNS1_3repE0EEENS1_30default_config_static_selectorELNS0_4arch9wavefront6targetE1EEEvT1_,"axG",@progbits,_ZN7rocprim17ROCPRIM_400000_NS6detail17trampoline_kernelINS0_14default_configENS1_35adjacent_difference_config_selectorILb0EdEEZNS1_24adjacent_difference_implIS3_Lb0ELb0EPKdPdN6thrust23THRUST_200600_302600_NS4plusIdEEEE10hipError_tPvRmT2_T3_mT4_P12ihipStream_tbEUlT_E_NS1_11comp_targetILNS1_3genE8ELNS1_11target_archE1030ELNS1_3gpuE2ELNS1_3repE0EEENS1_30default_config_static_selectorELNS0_4arch9wavefront6targetE1EEEvT1_,comdat
.Lfunc_end580:
	.size	_ZN7rocprim17ROCPRIM_400000_NS6detail17trampoline_kernelINS0_14default_configENS1_35adjacent_difference_config_selectorILb0EdEEZNS1_24adjacent_difference_implIS3_Lb0ELb0EPKdPdN6thrust23THRUST_200600_302600_NS4plusIdEEEE10hipError_tPvRmT2_T3_mT4_P12ihipStream_tbEUlT_E_NS1_11comp_targetILNS1_3genE8ELNS1_11target_archE1030ELNS1_3gpuE2ELNS1_3repE0EEENS1_30default_config_static_selectorELNS0_4arch9wavefront6targetE1EEEvT1_, .Lfunc_end580-_ZN7rocprim17ROCPRIM_400000_NS6detail17trampoline_kernelINS0_14default_configENS1_35adjacent_difference_config_selectorILb0EdEEZNS1_24adjacent_difference_implIS3_Lb0ELb0EPKdPdN6thrust23THRUST_200600_302600_NS4plusIdEEEE10hipError_tPvRmT2_T3_mT4_P12ihipStream_tbEUlT_E_NS1_11comp_targetILNS1_3genE8ELNS1_11target_archE1030ELNS1_3gpuE2ELNS1_3repE0EEENS1_30default_config_static_selectorELNS0_4arch9wavefront6targetE1EEEvT1_
                                        ; -- End function
	.set _ZN7rocprim17ROCPRIM_400000_NS6detail17trampoline_kernelINS0_14default_configENS1_35adjacent_difference_config_selectorILb0EdEEZNS1_24adjacent_difference_implIS3_Lb0ELb0EPKdPdN6thrust23THRUST_200600_302600_NS4plusIdEEEE10hipError_tPvRmT2_T3_mT4_P12ihipStream_tbEUlT_E_NS1_11comp_targetILNS1_3genE8ELNS1_11target_archE1030ELNS1_3gpuE2ELNS1_3repE0EEENS1_30default_config_static_selectorELNS0_4arch9wavefront6targetE1EEEvT1_.num_vgpr, 0
	.set _ZN7rocprim17ROCPRIM_400000_NS6detail17trampoline_kernelINS0_14default_configENS1_35adjacent_difference_config_selectorILb0EdEEZNS1_24adjacent_difference_implIS3_Lb0ELb0EPKdPdN6thrust23THRUST_200600_302600_NS4plusIdEEEE10hipError_tPvRmT2_T3_mT4_P12ihipStream_tbEUlT_E_NS1_11comp_targetILNS1_3genE8ELNS1_11target_archE1030ELNS1_3gpuE2ELNS1_3repE0EEENS1_30default_config_static_selectorELNS0_4arch9wavefront6targetE1EEEvT1_.num_agpr, 0
	.set _ZN7rocprim17ROCPRIM_400000_NS6detail17trampoline_kernelINS0_14default_configENS1_35adjacent_difference_config_selectorILb0EdEEZNS1_24adjacent_difference_implIS3_Lb0ELb0EPKdPdN6thrust23THRUST_200600_302600_NS4plusIdEEEE10hipError_tPvRmT2_T3_mT4_P12ihipStream_tbEUlT_E_NS1_11comp_targetILNS1_3genE8ELNS1_11target_archE1030ELNS1_3gpuE2ELNS1_3repE0EEENS1_30default_config_static_selectorELNS0_4arch9wavefront6targetE1EEEvT1_.numbered_sgpr, 0
	.set _ZN7rocprim17ROCPRIM_400000_NS6detail17trampoline_kernelINS0_14default_configENS1_35adjacent_difference_config_selectorILb0EdEEZNS1_24adjacent_difference_implIS3_Lb0ELb0EPKdPdN6thrust23THRUST_200600_302600_NS4plusIdEEEE10hipError_tPvRmT2_T3_mT4_P12ihipStream_tbEUlT_E_NS1_11comp_targetILNS1_3genE8ELNS1_11target_archE1030ELNS1_3gpuE2ELNS1_3repE0EEENS1_30default_config_static_selectorELNS0_4arch9wavefront6targetE1EEEvT1_.num_named_barrier, 0
	.set _ZN7rocprim17ROCPRIM_400000_NS6detail17trampoline_kernelINS0_14default_configENS1_35adjacent_difference_config_selectorILb0EdEEZNS1_24adjacent_difference_implIS3_Lb0ELb0EPKdPdN6thrust23THRUST_200600_302600_NS4plusIdEEEE10hipError_tPvRmT2_T3_mT4_P12ihipStream_tbEUlT_E_NS1_11comp_targetILNS1_3genE8ELNS1_11target_archE1030ELNS1_3gpuE2ELNS1_3repE0EEENS1_30default_config_static_selectorELNS0_4arch9wavefront6targetE1EEEvT1_.private_seg_size, 0
	.set _ZN7rocprim17ROCPRIM_400000_NS6detail17trampoline_kernelINS0_14default_configENS1_35adjacent_difference_config_selectorILb0EdEEZNS1_24adjacent_difference_implIS3_Lb0ELb0EPKdPdN6thrust23THRUST_200600_302600_NS4plusIdEEEE10hipError_tPvRmT2_T3_mT4_P12ihipStream_tbEUlT_E_NS1_11comp_targetILNS1_3genE8ELNS1_11target_archE1030ELNS1_3gpuE2ELNS1_3repE0EEENS1_30default_config_static_selectorELNS0_4arch9wavefront6targetE1EEEvT1_.uses_vcc, 0
	.set _ZN7rocprim17ROCPRIM_400000_NS6detail17trampoline_kernelINS0_14default_configENS1_35adjacent_difference_config_selectorILb0EdEEZNS1_24adjacent_difference_implIS3_Lb0ELb0EPKdPdN6thrust23THRUST_200600_302600_NS4plusIdEEEE10hipError_tPvRmT2_T3_mT4_P12ihipStream_tbEUlT_E_NS1_11comp_targetILNS1_3genE8ELNS1_11target_archE1030ELNS1_3gpuE2ELNS1_3repE0EEENS1_30default_config_static_selectorELNS0_4arch9wavefront6targetE1EEEvT1_.uses_flat_scratch, 0
	.set _ZN7rocprim17ROCPRIM_400000_NS6detail17trampoline_kernelINS0_14default_configENS1_35adjacent_difference_config_selectorILb0EdEEZNS1_24adjacent_difference_implIS3_Lb0ELb0EPKdPdN6thrust23THRUST_200600_302600_NS4plusIdEEEE10hipError_tPvRmT2_T3_mT4_P12ihipStream_tbEUlT_E_NS1_11comp_targetILNS1_3genE8ELNS1_11target_archE1030ELNS1_3gpuE2ELNS1_3repE0EEENS1_30default_config_static_selectorELNS0_4arch9wavefront6targetE1EEEvT1_.has_dyn_sized_stack, 0
	.set _ZN7rocprim17ROCPRIM_400000_NS6detail17trampoline_kernelINS0_14default_configENS1_35adjacent_difference_config_selectorILb0EdEEZNS1_24adjacent_difference_implIS3_Lb0ELb0EPKdPdN6thrust23THRUST_200600_302600_NS4plusIdEEEE10hipError_tPvRmT2_T3_mT4_P12ihipStream_tbEUlT_E_NS1_11comp_targetILNS1_3genE8ELNS1_11target_archE1030ELNS1_3gpuE2ELNS1_3repE0EEENS1_30default_config_static_selectorELNS0_4arch9wavefront6targetE1EEEvT1_.has_recursion, 0
	.set _ZN7rocprim17ROCPRIM_400000_NS6detail17trampoline_kernelINS0_14default_configENS1_35adjacent_difference_config_selectorILb0EdEEZNS1_24adjacent_difference_implIS3_Lb0ELb0EPKdPdN6thrust23THRUST_200600_302600_NS4plusIdEEEE10hipError_tPvRmT2_T3_mT4_P12ihipStream_tbEUlT_E_NS1_11comp_targetILNS1_3genE8ELNS1_11target_archE1030ELNS1_3gpuE2ELNS1_3repE0EEENS1_30default_config_static_selectorELNS0_4arch9wavefront6targetE1EEEvT1_.has_indirect_call, 0
	.section	.AMDGPU.csdata,"",@progbits
; Kernel info:
; codeLenInByte = 0
; TotalNumSgprs: 4
; NumVgprs: 0
; ScratchSize: 0
; MemoryBound: 0
; FloatMode: 240
; IeeeMode: 1
; LDSByteSize: 0 bytes/workgroup (compile time only)
; SGPRBlocks: 0
; VGPRBlocks: 0
; NumSGPRsForWavesPerEU: 4
; NumVGPRsForWavesPerEU: 1
; Occupancy: 10
; WaveLimiterHint : 0
; COMPUTE_PGM_RSRC2:SCRATCH_EN: 0
; COMPUTE_PGM_RSRC2:USER_SGPR: 6
; COMPUTE_PGM_RSRC2:TRAP_HANDLER: 0
; COMPUTE_PGM_RSRC2:TGID_X_EN: 1
; COMPUTE_PGM_RSRC2:TGID_Y_EN: 0
; COMPUTE_PGM_RSRC2:TGID_Z_EN: 0
; COMPUTE_PGM_RSRC2:TIDIG_COMP_CNT: 0
	.section	.text._ZN7rocprim17ROCPRIM_400000_NS6detail17trampoline_kernelINS0_14default_configENS1_25transform_config_selectorIdLb0EEEZNS1_14transform_implILb0ES3_S5_NS0_18transform_iteratorINS0_17counting_iteratorImlEEZNS1_24adjacent_difference_implIS3_Lb1ELb0EPKdPdN6thrust23THRUST_200600_302600_NS4plusIdEEEE10hipError_tPvRmT2_T3_mT4_P12ihipStream_tbEUlmE_dEESD_NS0_8identityIvEEEESI_SL_SM_mSN_SP_bEUlT_E_NS1_11comp_targetILNS1_3genE0ELNS1_11target_archE4294967295ELNS1_3gpuE0ELNS1_3repE0EEENS1_30default_config_static_selectorELNS0_4arch9wavefront6targetE1EEEvT1_,"axG",@progbits,_ZN7rocprim17ROCPRIM_400000_NS6detail17trampoline_kernelINS0_14default_configENS1_25transform_config_selectorIdLb0EEEZNS1_14transform_implILb0ES3_S5_NS0_18transform_iteratorINS0_17counting_iteratorImlEEZNS1_24adjacent_difference_implIS3_Lb1ELb0EPKdPdN6thrust23THRUST_200600_302600_NS4plusIdEEEE10hipError_tPvRmT2_T3_mT4_P12ihipStream_tbEUlmE_dEESD_NS0_8identityIvEEEESI_SL_SM_mSN_SP_bEUlT_E_NS1_11comp_targetILNS1_3genE0ELNS1_11target_archE4294967295ELNS1_3gpuE0ELNS1_3repE0EEENS1_30default_config_static_selectorELNS0_4arch9wavefront6targetE1EEEvT1_,comdat
	.protected	_ZN7rocprim17ROCPRIM_400000_NS6detail17trampoline_kernelINS0_14default_configENS1_25transform_config_selectorIdLb0EEEZNS1_14transform_implILb0ES3_S5_NS0_18transform_iteratorINS0_17counting_iteratorImlEEZNS1_24adjacent_difference_implIS3_Lb1ELb0EPKdPdN6thrust23THRUST_200600_302600_NS4plusIdEEEE10hipError_tPvRmT2_T3_mT4_P12ihipStream_tbEUlmE_dEESD_NS0_8identityIvEEEESI_SL_SM_mSN_SP_bEUlT_E_NS1_11comp_targetILNS1_3genE0ELNS1_11target_archE4294967295ELNS1_3gpuE0ELNS1_3repE0EEENS1_30default_config_static_selectorELNS0_4arch9wavefront6targetE1EEEvT1_ ; -- Begin function _ZN7rocprim17ROCPRIM_400000_NS6detail17trampoline_kernelINS0_14default_configENS1_25transform_config_selectorIdLb0EEEZNS1_14transform_implILb0ES3_S5_NS0_18transform_iteratorINS0_17counting_iteratorImlEEZNS1_24adjacent_difference_implIS3_Lb1ELb0EPKdPdN6thrust23THRUST_200600_302600_NS4plusIdEEEE10hipError_tPvRmT2_T3_mT4_P12ihipStream_tbEUlmE_dEESD_NS0_8identityIvEEEESI_SL_SM_mSN_SP_bEUlT_E_NS1_11comp_targetILNS1_3genE0ELNS1_11target_archE4294967295ELNS1_3gpuE0ELNS1_3repE0EEENS1_30default_config_static_selectorELNS0_4arch9wavefront6targetE1EEEvT1_
	.globl	_ZN7rocprim17ROCPRIM_400000_NS6detail17trampoline_kernelINS0_14default_configENS1_25transform_config_selectorIdLb0EEEZNS1_14transform_implILb0ES3_S5_NS0_18transform_iteratorINS0_17counting_iteratorImlEEZNS1_24adjacent_difference_implIS3_Lb1ELb0EPKdPdN6thrust23THRUST_200600_302600_NS4plusIdEEEE10hipError_tPvRmT2_T3_mT4_P12ihipStream_tbEUlmE_dEESD_NS0_8identityIvEEEESI_SL_SM_mSN_SP_bEUlT_E_NS1_11comp_targetILNS1_3genE0ELNS1_11target_archE4294967295ELNS1_3gpuE0ELNS1_3repE0EEENS1_30default_config_static_selectorELNS0_4arch9wavefront6targetE1EEEvT1_
	.p2align	8
	.type	_ZN7rocprim17ROCPRIM_400000_NS6detail17trampoline_kernelINS0_14default_configENS1_25transform_config_selectorIdLb0EEEZNS1_14transform_implILb0ES3_S5_NS0_18transform_iteratorINS0_17counting_iteratorImlEEZNS1_24adjacent_difference_implIS3_Lb1ELb0EPKdPdN6thrust23THRUST_200600_302600_NS4plusIdEEEE10hipError_tPvRmT2_T3_mT4_P12ihipStream_tbEUlmE_dEESD_NS0_8identityIvEEEESI_SL_SM_mSN_SP_bEUlT_E_NS1_11comp_targetILNS1_3genE0ELNS1_11target_archE4294967295ELNS1_3gpuE0ELNS1_3repE0EEENS1_30default_config_static_selectorELNS0_4arch9wavefront6targetE1EEEvT1_,@function
_ZN7rocprim17ROCPRIM_400000_NS6detail17trampoline_kernelINS0_14default_configENS1_25transform_config_selectorIdLb0EEEZNS1_14transform_implILb0ES3_S5_NS0_18transform_iteratorINS0_17counting_iteratorImlEEZNS1_24adjacent_difference_implIS3_Lb1ELb0EPKdPdN6thrust23THRUST_200600_302600_NS4plusIdEEEE10hipError_tPvRmT2_T3_mT4_P12ihipStream_tbEUlmE_dEESD_NS0_8identityIvEEEESI_SL_SM_mSN_SP_bEUlT_E_NS1_11comp_targetILNS1_3genE0ELNS1_11target_archE4294967295ELNS1_3gpuE0ELNS1_3repE0EEENS1_30default_config_static_selectorELNS0_4arch9wavefront6targetE1EEEvT1_: ; @_ZN7rocprim17ROCPRIM_400000_NS6detail17trampoline_kernelINS0_14default_configENS1_25transform_config_selectorIdLb0EEEZNS1_14transform_implILb0ES3_S5_NS0_18transform_iteratorINS0_17counting_iteratorImlEEZNS1_24adjacent_difference_implIS3_Lb1ELb0EPKdPdN6thrust23THRUST_200600_302600_NS4plusIdEEEE10hipError_tPvRmT2_T3_mT4_P12ihipStream_tbEUlmE_dEESD_NS0_8identityIvEEEESI_SL_SM_mSN_SP_bEUlT_E_NS1_11comp_targetILNS1_3genE0ELNS1_11target_archE4294967295ELNS1_3gpuE0ELNS1_3repE0EEENS1_30default_config_static_selectorELNS0_4arch9wavefront6targetE1EEEvT1_
; %bb.0:
	.section	.rodata,"a",@progbits
	.p2align	6, 0x0
	.amdhsa_kernel _ZN7rocprim17ROCPRIM_400000_NS6detail17trampoline_kernelINS0_14default_configENS1_25transform_config_selectorIdLb0EEEZNS1_14transform_implILb0ES3_S5_NS0_18transform_iteratorINS0_17counting_iteratorImlEEZNS1_24adjacent_difference_implIS3_Lb1ELb0EPKdPdN6thrust23THRUST_200600_302600_NS4plusIdEEEE10hipError_tPvRmT2_T3_mT4_P12ihipStream_tbEUlmE_dEESD_NS0_8identityIvEEEESI_SL_SM_mSN_SP_bEUlT_E_NS1_11comp_targetILNS1_3genE0ELNS1_11target_archE4294967295ELNS1_3gpuE0ELNS1_3repE0EEENS1_30default_config_static_selectorELNS0_4arch9wavefront6targetE1EEEvT1_
		.amdhsa_group_segment_fixed_size 0
		.amdhsa_private_segment_fixed_size 0
		.amdhsa_kernarg_size 56
		.amdhsa_user_sgpr_count 6
		.amdhsa_user_sgpr_private_segment_buffer 1
		.amdhsa_user_sgpr_dispatch_ptr 0
		.amdhsa_user_sgpr_queue_ptr 0
		.amdhsa_user_sgpr_kernarg_segment_ptr 1
		.amdhsa_user_sgpr_dispatch_id 0
		.amdhsa_user_sgpr_flat_scratch_init 0
		.amdhsa_user_sgpr_private_segment_size 0
		.amdhsa_uses_dynamic_stack 0
		.amdhsa_system_sgpr_private_segment_wavefront_offset 0
		.amdhsa_system_sgpr_workgroup_id_x 1
		.amdhsa_system_sgpr_workgroup_id_y 0
		.amdhsa_system_sgpr_workgroup_id_z 0
		.amdhsa_system_sgpr_workgroup_info 0
		.amdhsa_system_vgpr_workitem_id 0
		.amdhsa_next_free_vgpr 1
		.amdhsa_next_free_sgpr 0
		.amdhsa_reserve_vcc 0
		.amdhsa_reserve_flat_scratch 0
		.amdhsa_float_round_mode_32 0
		.amdhsa_float_round_mode_16_64 0
		.amdhsa_float_denorm_mode_32 3
		.amdhsa_float_denorm_mode_16_64 3
		.amdhsa_dx10_clamp 1
		.amdhsa_ieee_mode 1
		.amdhsa_fp16_overflow 0
		.amdhsa_exception_fp_ieee_invalid_op 0
		.amdhsa_exception_fp_denorm_src 0
		.amdhsa_exception_fp_ieee_div_zero 0
		.amdhsa_exception_fp_ieee_overflow 0
		.amdhsa_exception_fp_ieee_underflow 0
		.amdhsa_exception_fp_ieee_inexact 0
		.amdhsa_exception_int_div_zero 0
	.end_amdhsa_kernel
	.section	.text._ZN7rocprim17ROCPRIM_400000_NS6detail17trampoline_kernelINS0_14default_configENS1_25transform_config_selectorIdLb0EEEZNS1_14transform_implILb0ES3_S5_NS0_18transform_iteratorINS0_17counting_iteratorImlEEZNS1_24adjacent_difference_implIS3_Lb1ELb0EPKdPdN6thrust23THRUST_200600_302600_NS4plusIdEEEE10hipError_tPvRmT2_T3_mT4_P12ihipStream_tbEUlmE_dEESD_NS0_8identityIvEEEESI_SL_SM_mSN_SP_bEUlT_E_NS1_11comp_targetILNS1_3genE0ELNS1_11target_archE4294967295ELNS1_3gpuE0ELNS1_3repE0EEENS1_30default_config_static_selectorELNS0_4arch9wavefront6targetE1EEEvT1_,"axG",@progbits,_ZN7rocprim17ROCPRIM_400000_NS6detail17trampoline_kernelINS0_14default_configENS1_25transform_config_selectorIdLb0EEEZNS1_14transform_implILb0ES3_S5_NS0_18transform_iteratorINS0_17counting_iteratorImlEEZNS1_24adjacent_difference_implIS3_Lb1ELb0EPKdPdN6thrust23THRUST_200600_302600_NS4plusIdEEEE10hipError_tPvRmT2_T3_mT4_P12ihipStream_tbEUlmE_dEESD_NS0_8identityIvEEEESI_SL_SM_mSN_SP_bEUlT_E_NS1_11comp_targetILNS1_3genE0ELNS1_11target_archE4294967295ELNS1_3gpuE0ELNS1_3repE0EEENS1_30default_config_static_selectorELNS0_4arch9wavefront6targetE1EEEvT1_,comdat
.Lfunc_end581:
	.size	_ZN7rocprim17ROCPRIM_400000_NS6detail17trampoline_kernelINS0_14default_configENS1_25transform_config_selectorIdLb0EEEZNS1_14transform_implILb0ES3_S5_NS0_18transform_iteratorINS0_17counting_iteratorImlEEZNS1_24adjacent_difference_implIS3_Lb1ELb0EPKdPdN6thrust23THRUST_200600_302600_NS4plusIdEEEE10hipError_tPvRmT2_T3_mT4_P12ihipStream_tbEUlmE_dEESD_NS0_8identityIvEEEESI_SL_SM_mSN_SP_bEUlT_E_NS1_11comp_targetILNS1_3genE0ELNS1_11target_archE4294967295ELNS1_3gpuE0ELNS1_3repE0EEENS1_30default_config_static_selectorELNS0_4arch9wavefront6targetE1EEEvT1_, .Lfunc_end581-_ZN7rocprim17ROCPRIM_400000_NS6detail17trampoline_kernelINS0_14default_configENS1_25transform_config_selectorIdLb0EEEZNS1_14transform_implILb0ES3_S5_NS0_18transform_iteratorINS0_17counting_iteratorImlEEZNS1_24adjacent_difference_implIS3_Lb1ELb0EPKdPdN6thrust23THRUST_200600_302600_NS4plusIdEEEE10hipError_tPvRmT2_T3_mT4_P12ihipStream_tbEUlmE_dEESD_NS0_8identityIvEEEESI_SL_SM_mSN_SP_bEUlT_E_NS1_11comp_targetILNS1_3genE0ELNS1_11target_archE4294967295ELNS1_3gpuE0ELNS1_3repE0EEENS1_30default_config_static_selectorELNS0_4arch9wavefront6targetE1EEEvT1_
                                        ; -- End function
	.set _ZN7rocprim17ROCPRIM_400000_NS6detail17trampoline_kernelINS0_14default_configENS1_25transform_config_selectorIdLb0EEEZNS1_14transform_implILb0ES3_S5_NS0_18transform_iteratorINS0_17counting_iteratorImlEEZNS1_24adjacent_difference_implIS3_Lb1ELb0EPKdPdN6thrust23THRUST_200600_302600_NS4plusIdEEEE10hipError_tPvRmT2_T3_mT4_P12ihipStream_tbEUlmE_dEESD_NS0_8identityIvEEEESI_SL_SM_mSN_SP_bEUlT_E_NS1_11comp_targetILNS1_3genE0ELNS1_11target_archE4294967295ELNS1_3gpuE0ELNS1_3repE0EEENS1_30default_config_static_selectorELNS0_4arch9wavefront6targetE1EEEvT1_.num_vgpr, 0
	.set _ZN7rocprim17ROCPRIM_400000_NS6detail17trampoline_kernelINS0_14default_configENS1_25transform_config_selectorIdLb0EEEZNS1_14transform_implILb0ES3_S5_NS0_18transform_iteratorINS0_17counting_iteratorImlEEZNS1_24adjacent_difference_implIS3_Lb1ELb0EPKdPdN6thrust23THRUST_200600_302600_NS4plusIdEEEE10hipError_tPvRmT2_T3_mT4_P12ihipStream_tbEUlmE_dEESD_NS0_8identityIvEEEESI_SL_SM_mSN_SP_bEUlT_E_NS1_11comp_targetILNS1_3genE0ELNS1_11target_archE4294967295ELNS1_3gpuE0ELNS1_3repE0EEENS1_30default_config_static_selectorELNS0_4arch9wavefront6targetE1EEEvT1_.num_agpr, 0
	.set _ZN7rocprim17ROCPRIM_400000_NS6detail17trampoline_kernelINS0_14default_configENS1_25transform_config_selectorIdLb0EEEZNS1_14transform_implILb0ES3_S5_NS0_18transform_iteratorINS0_17counting_iteratorImlEEZNS1_24adjacent_difference_implIS3_Lb1ELb0EPKdPdN6thrust23THRUST_200600_302600_NS4plusIdEEEE10hipError_tPvRmT2_T3_mT4_P12ihipStream_tbEUlmE_dEESD_NS0_8identityIvEEEESI_SL_SM_mSN_SP_bEUlT_E_NS1_11comp_targetILNS1_3genE0ELNS1_11target_archE4294967295ELNS1_3gpuE0ELNS1_3repE0EEENS1_30default_config_static_selectorELNS0_4arch9wavefront6targetE1EEEvT1_.numbered_sgpr, 0
	.set _ZN7rocprim17ROCPRIM_400000_NS6detail17trampoline_kernelINS0_14default_configENS1_25transform_config_selectorIdLb0EEEZNS1_14transform_implILb0ES3_S5_NS0_18transform_iteratorINS0_17counting_iteratorImlEEZNS1_24adjacent_difference_implIS3_Lb1ELb0EPKdPdN6thrust23THRUST_200600_302600_NS4plusIdEEEE10hipError_tPvRmT2_T3_mT4_P12ihipStream_tbEUlmE_dEESD_NS0_8identityIvEEEESI_SL_SM_mSN_SP_bEUlT_E_NS1_11comp_targetILNS1_3genE0ELNS1_11target_archE4294967295ELNS1_3gpuE0ELNS1_3repE0EEENS1_30default_config_static_selectorELNS0_4arch9wavefront6targetE1EEEvT1_.num_named_barrier, 0
	.set _ZN7rocprim17ROCPRIM_400000_NS6detail17trampoline_kernelINS0_14default_configENS1_25transform_config_selectorIdLb0EEEZNS1_14transform_implILb0ES3_S5_NS0_18transform_iteratorINS0_17counting_iteratorImlEEZNS1_24adjacent_difference_implIS3_Lb1ELb0EPKdPdN6thrust23THRUST_200600_302600_NS4plusIdEEEE10hipError_tPvRmT2_T3_mT4_P12ihipStream_tbEUlmE_dEESD_NS0_8identityIvEEEESI_SL_SM_mSN_SP_bEUlT_E_NS1_11comp_targetILNS1_3genE0ELNS1_11target_archE4294967295ELNS1_3gpuE0ELNS1_3repE0EEENS1_30default_config_static_selectorELNS0_4arch9wavefront6targetE1EEEvT1_.private_seg_size, 0
	.set _ZN7rocprim17ROCPRIM_400000_NS6detail17trampoline_kernelINS0_14default_configENS1_25transform_config_selectorIdLb0EEEZNS1_14transform_implILb0ES3_S5_NS0_18transform_iteratorINS0_17counting_iteratorImlEEZNS1_24adjacent_difference_implIS3_Lb1ELb0EPKdPdN6thrust23THRUST_200600_302600_NS4plusIdEEEE10hipError_tPvRmT2_T3_mT4_P12ihipStream_tbEUlmE_dEESD_NS0_8identityIvEEEESI_SL_SM_mSN_SP_bEUlT_E_NS1_11comp_targetILNS1_3genE0ELNS1_11target_archE4294967295ELNS1_3gpuE0ELNS1_3repE0EEENS1_30default_config_static_selectorELNS0_4arch9wavefront6targetE1EEEvT1_.uses_vcc, 0
	.set _ZN7rocprim17ROCPRIM_400000_NS6detail17trampoline_kernelINS0_14default_configENS1_25transform_config_selectorIdLb0EEEZNS1_14transform_implILb0ES3_S5_NS0_18transform_iteratorINS0_17counting_iteratorImlEEZNS1_24adjacent_difference_implIS3_Lb1ELb0EPKdPdN6thrust23THRUST_200600_302600_NS4plusIdEEEE10hipError_tPvRmT2_T3_mT4_P12ihipStream_tbEUlmE_dEESD_NS0_8identityIvEEEESI_SL_SM_mSN_SP_bEUlT_E_NS1_11comp_targetILNS1_3genE0ELNS1_11target_archE4294967295ELNS1_3gpuE0ELNS1_3repE0EEENS1_30default_config_static_selectorELNS0_4arch9wavefront6targetE1EEEvT1_.uses_flat_scratch, 0
	.set _ZN7rocprim17ROCPRIM_400000_NS6detail17trampoline_kernelINS0_14default_configENS1_25transform_config_selectorIdLb0EEEZNS1_14transform_implILb0ES3_S5_NS0_18transform_iteratorINS0_17counting_iteratorImlEEZNS1_24adjacent_difference_implIS3_Lb1ELb0EPKdPdN6thrust23THRUST_200600_302600_NS4plusIdEEEE10hipError_tPvRmT2_T3_mT4_P12ihipStream_tbEUlmE_dEESD_NS0_8identityIvEEEESI_SL_SM_mSN_SP_bEUlT_E_NS1_11comp_targetILNS1_3genE0ELNS1_11target_archE4294967295ELNS1_3gpuE0ELNS1_3repE0EEENS1_30default_config_static_selectorELNS0_4arch9wavefront6targetE1EEEvT1_.has_dyn_sized_stack, 0
	.set _ZN7rocprim17ROCPRIM_400000_NS6detail17trampoline_kernelINS0_14default_configENS1_25transform_config_selectorIdLb0EEEZNS1_14transform_implILb0ES3_S5_NS0_18transform_iteratorINS0_17counting_iteratorImlEEZNS1_24adjacent_difference_implIS3_Lb1ELb0EPKdPdN6thrust23THRUST_200600_302600_NS4plusIdEEEE10hipError_tPvRmT2_T3_mT4_P12ihipStream_tbEUlmE_dEESD_NS0_8identityIvEEEESI_SL_SM_mSN_SP_bEUlT_E_NS1_11comp_targetILNS1_3genE0ELNS1_11target_archE4294967295ELNS1_3gpuE0ELNS1_3repE0EEENS1_30default_config_static_selectorELNS0_4arch9wavefront6targetE1EEEvT1_.has_recursion, 0
	.set _ZN7rocprim17ROCPRIM_400000_NS6detail17trampoline_kernelINS0_14default_configENS1_25transform_config_selectorIdLb0EEEZNS1_14transform_implILb0ES3_S5_NS0_18transform_iteratorINS0_17counting_iteratorImlEEZNS1_24adjacent_difference_implIS3_Lb1ELb0EPKdPdN6thrust23THRUST_200600_302600_NS4plusIdEEEE10hipError_tPvRmT2_T3_mT4_P12ihipStream_tbEUlmE_dEESD_NS0_8identityIvEEEESI_SL_SM_mSN_SP_bEUlT_E_NS1_11comp_targetILNS1_3genE0ELNS1_11target_archE4294967295ELNS1_3gpuE0ELNS1_3repE0EEENS1_30default_config_static_selectorELNS0_4arch9wavefront6targetE1EEEvT1_.has_indirect_call, 0
	.section	.AMDGPU.csdata,"",@progbits
; Kernel info:
; codeLenInByte = 0
; TotalNumSgprs: 4
; NumVgprs: 0
; ScratchSize: 0
; MemoryBound: 0
; FloatMode: 240
; IeeeMode: 1
; LDSByteSize: 0 bytes/workgroup (compile time only)
; SGPRBlocks: 0
; VGPRBlocks: 0
; NumSGPRsForWavesPerEU: 4
; NumVGPRsForWavesPerEU: 1
; Occupancy: 10
; WaveLimiterHint : 0
; COMPUTE_PGM_RSRC2:SCRATCH_EN: 0
; COMPUTE_PGM_RSRC2:USER_SGPR: 6
; COMPUTE_PGM_RSRC2:TRAP_HANDLER: 0
; COMPUTE_PGM_RSRC2:TGID_X_EN: 1
; COMPUTE_PGM_RSRC2:TGID_Y_EN: 0
; COMPUTE_PGM_RSRC2:TGID_Z_EN: 0
; COMPUTE_PGM_RSRC2:TIDIG_COMP_CNT: 0
	.section	.text._ZN7rocprim17ROCPRIM_400000_NS6detail17trampoline_kernelINS0_14default_configENS1_25transform_config_selectorIdLb0EEEZNS1_14transform_implILb0ES3_S5_NS0_18transform_iteratorINS0_17counting_iteratorImlEEZNS1_24adjacent_difference_implIS3_Lb1ELb0EPKdPdN6thrust23THRUST_200600_302600_NS4plusIdEEEE10hipError_tPvRmT2_T3_mT4_P12ihipStream_tbEUlmE_dEESD_NS0_8identityIvEEEESI_SL_SM_mSN_SP_bEUlT_E_NS1_11comp_targetILNS1_3genE5ELNS1_11target_archE942ELNS1_3gpuE9ELNS1_3repE0EEENS1_30default_config_static_selectorELNS0_4arch9wavefront6targetE1EEEvT1_,"axG",@progbits,_ZN7rocprim17ROCPRIM_400000_NS6detail17trampoline_kernelINS0_14default_configENS1_25transform_config_selectorIdLb0EEEZNS1_14transform_implILb0ES3_S5_NS0_18transform_iteratorINS0_17counting_iteratorImlEEZNS1_24adjacent_difference_implIS3_Lb1ELb0EPKdPdN6thrust23THRUST_200600_302600_NS4plusIdEEEE10hipError_tPvRmT2_T3_mT4_P12ihipStream_tbEUlmE_dEESD_NS0_8identityIvEEEESI_SL_SM_mSN_SP_bEUlT_E_NS1_11comp_targetILNS1_3genE5ELNS1_11target_archE942ELNS1_3gpuE9ELNS1_3repE0EEENS1_30default_config_static_selectorELNS0_4arch9wavefront6targetE1EEEvT1_,comdat
	.protected	_ZN7rocprim17ROCPRIM_400000_NS6detail17trampoline_kernelINS0_14default_configENS1_25transform_config_selectorIdLb0EEEZNS1_14transform_implILb0ES3_S5_NS0_18transform_iteratorINS0_17counting_iteratorImlEEZNS1_24adjacent_difference_implIS3_Lb1ELb0EPKdPdN6thrust23THRUST_200600_302600_NS4plusIdEEEE10hipError_tPvRmT2_T3_mT4_P12ihipStream_tbEUlmE_dEESD_NS0_8identityIvEEEESI_SL_SM_mSN_SP_bEUlT_E_NS1_11comp_targetILNS1_3genE5ELNS1_11target_archE942ELNS1_3gpuE9ELNS1_3repE0EEENS1_30default_config_static_selectorELNS0_4arch9wavefront6targetE1EEEvT1_ ; -- Begin function _ZN7rocprim17ROCPRIM_400000_NS6detail17trampoline_kernelINS0_14default_configENS1_25transform_config_selectorIdLb0EEEZNS1_14transform_implILb0ES3_S5_NS0_18transform_iteratorINS0_17counting_iteratorImlEEZNS1_24adjacent_difference_implIS3_Lb1ELb0EPKdPdN6thrust23THRUST_200600_302600_NS4plusIdEEEE10hipError_tPvRmT2_T3_mT4_P12ihipStream_tbEUlmE_dEESD_NS0_8identityIvEEEESI_SL_SM_mSN_SP_bEUlT_E_NS1_11comp_targetILNS1_3genE5ELNS1_11target_archE942ELNS1_3gpuE9ELNS1_3repE0EEENS1_30default_config_static_selectorELNS0_4arch9wavefront6targetE1EEEvT1_
	.globl	_ZN7rocprim17ROCPRIM_400000_NS6detail17trampoline_kernelINS0_14default_configENS1_25transform_config_selectorIdLb0EEEZNS1_14transform_implILb0ES3_S5_NS0_18transform_iteratorINS0_17counting_iteratorImlEEZNS1_24adjacent_difference_implIS3_Lb1ELb0EPKdPdN6thrust23THRUST_200600_302600_NS4plusIdEEEE10hipError_tPvRmT2_T3_mT4_P12ihipStream_tbEUlmE_dEESD_NS0_8identityIvEEEESI_SL_SM_mSN_SP_bEUlT_E_NS1_11comp_targetILNS1_3genE5ELNS1_11target_archE942ELNS1_3gpuE9ELNS1_3repE0EEENS1_30default_config_static_selectorELNS0_4arch9wavefront6targetE1EEEvT1_
	.p2align	8
	.type	_ZN7rocprim17ROCPRIM_400000_NS6detail17trampoline_kernelINS0_14default_configENS1_25transform_config_selectorIdLb0EEEZNS1_14transform_implILb0ES3_S5_NS0_18transform_iteratorINS0_17counting_iteratorImlEEZNS1_24adjacent_difference_implIS3_Lb1ELb0EPKdPdN6thrust23THRUST_200600_302600_NS4plusIdEEEE10hipError_tPvRmT2_T3_mT4_P12ihipStream_tbEUlmE_dEESD_NS0_8identityIvEEEESI_SL_SM_mSN_SP_bEUlT_E_NS1_11comp_targetILNS1_3genE5ELNS1_11target_archE942ELNS1_3gpuE9ELNS1_3repE0EEENS1_30default_config_static_selectorELNS0_4arch9wavefront6targetE1EEEvT1_,@function
_ZN7rocprim17ROCPRIM_400000_NS6detail17trampoline_kernelINS0_14default_configENS1_25transform_config_selectorIdLb0EEEZNS1_14transform_implILb0ES3_S5_NS0_18transform_iteratorINS0_17counting_iteratorImlEEZNS1_24adjacent_difference_implIS3_Lb1ELb0EPKdPdN6thrust23THRUST_200600_302600_NS4plusIdEEEE10hipError_tPvRmT2_T3_mT4_P12ihipStream_tbEUlmE_dEESD_NS0_8identityIvEEEESI_SL_SM_mSN_SP_bEUlT_E_NS1_11comp_targetILNS1_3genE5ELNS1_11target_archE942ELNS1_3gpuE9ELNS1_3repE0EEENS1_30default_config_static_selectorELNS0_4arch9wavefront6targetE1EEEvT1_: ; @_ZN7rocprim17ROCPRIM_400000_NS6detail17trampoline_kernelINS0_14default_configENS1_25transform_config_selectorIdLb0EEEZNS1_14transform_implILb0ES3_S5_NS0_18transform_iteratorINS0_17counting_iteratorImlEEZNS1_24adjacent_difference_implIS3_Lb1ELb0EPKdPdN6thrust23THRUST_200600_302600_NS4plusIdEEEE10hipError_tPvRmT2_T3_mT4_P12ihipStream_tbEUlmE_dEESD_NS0_8identityIvEEEESI_SL_SM_mSN_SP_bEUlT_E_NS1_11comp_targetILNS1_3genE5ELNS1_11target_archE942ELNS1_3gpuE9ELNS1_3repE0EEENS1_30default_config_static_selectorELNS0_4arch9wavefront6targetE1EEEvT1_
; %bb.0:
	.section	.rodata,"a",@progbits
	.p2align	6, 0x0
	.amdhsa_kernel _ZN7rocprim17ROCPRIM_400000_NS6detail17trampoline_kernelINS0_14default_configENS1_25transform_config_selectorIdLb0EEEZNS1_14transform_implILb0ES3_S5_NS0_18transform_iteratorINS0_17counting_iteratorImlEEZNS1_24adjacent_difference_implIS3_Lb1ELb0EPKdPdN6thrust23THRUST_200600_302600_NS4plusIdEEEE10hipError_tPvRmT2_T3_mT4_P12ihipStream_tbEUlmE_dEESD_NS0_8identityIvEEEESI_SL_SM_mSN_SP_bEUlT_E_NS1_11comp_targetILNS1_3genE5ELNS1_11target_archE942ELNS1_3gpuE9ELNS1_3repE0EEENS1_30default_config_static_selectorELNS0_4arch9wavefront6targetE1EEEvT1_
		.amdhsa_group_segment_fixed_size 0
		.amdhsa_private_segment_fixed_size 0
		.amdhsa_kernarg_size 56
		.amdhsa_user_sgpr_count 6
		.amdhsa_user_sgpr_private_segment_buffer 1
		.amdhsa_user_sgpr_dispatch_ptr 0
		.amdhsa_user_sgpr_queue_ptr 0
		.amdhsa_user_sgpr_kernarg_segment_ptr 1
		.amdhsa_user_sgpr_dispatch_id 0
		.amdhsa_user_sgpr_flat_scratch_init 0
		.amdhsa_user_sgpr_private_segment_size 0
		.amdhsa_uses_dynamic_stack 0
		.amdhsa_system_sgpr_private_segment_wavefront_offset 0
		.amdhsa_system_sgpr_workgroup_id_x 1
		.amdhsa_system_sgpr_workgroup_id_y 0
		.amdhsa_system_sgpr_workgroup_id_z 0
		.amdhsa_system_sgpr_workgroup_info 0
		.amdhsa_system_vgpr_workitem_id 0
		.amdhsa_next_free_vgpr 1
		.amdhsa_next_free_sgpr 0
		.amdhsa_reserve_vcc 0
		.amdhsa_reserve_flat_scratch 0
		.amdhsa_float_round_mode_32 0
		.amdhsa_float_round_mode_16_64 0
		.amdhsa_float_denorm_mode_32 3
		.amdhsa_float_denorm_mode_16_64 3
		.amdhsa_dx10_clamp 1
		.amdhsa_ieee_mode 1
		.amdhsa_fp16_overflow 0
		.amdhsa_exception_fp_ieee_invalid_op 0
		.amdhsa_exception_fp_denorm_src 0
		.amdhsa_exception_fp_ieee_div_zero 0
		.amdhsa_exception_fp_ieee_overflow 0
		.amdhsa_exception_fp_ieee_underflow 0
		.amdhsa_exception_fp_ieee_inexact 0
		.amdhsa_exception_int_div_zero 0
	.end_amdhsa_kernel
	.section	.text._ZN7rocprim17ROCPRIM_400000_NS6detail17trampoline_kernelINS0_14default_configENS1_25transform_config_selectorIdLb0EEEZNS1_14transform_implILb0ES3_S5_NS0_18transform_iteratorINS0_17counting_iteratorImlEEZNS1_24adjacent_difference_implIS3_Lb1ELb0EPKdPdN6thrust23THRUST_200600_302600_NS4plusIdEEEE10hipError_tPvRmT2_T3_mT4_P12ihipStream_tbEUlmE_dEESD_NS0_8identityIvEEEESI_SL_SM_mSN_SP_bEUlT_E_NS1_11comp_targetILNS1_3genE5ELNS1_11target_archE942ELNS1_3gpuE9ELNS1_3repE0EEENS1_30default_config_static_selectorELNS0_4arch9wavefront6targetE1EEEvT1_,"axG",@progbits,_ZN7rocprim17ROCPRIM_400000_NS6detail17trampoline_kernelINS0_14default_configENS1_25transform_config_selectorIdLb0EEEZNS1_14transform_implILb0ES3_S5_NS0_18transform_iteratorINS0_17counting_iteratorImlEEZNS1_24adjacent_difference_implIS3_Lb1ELb0EPKdPdN6thrust23THRUST_200600_302600_NS4plusIdEEEE10hipError_tPvRmT2_T3_mT4_P12ihipStream_tbEUlmE_dEESD_NS0_8identityIvEEEESI_SL_SM_mSN_SP_bEUlT_E_NS1_11comp_targetILNS1_3genE5ELNS1_11target_archE942ELNS1_3gpuE9ELNS1_3repE0EEENS1_30default_config_static_selectorELNS0_4arch9wavefront6targetE1EEEvT1_,comdat
.Lfunc_end582:
	.size	_ZN7rocprim17ROCPRIM_400000_NS6detail17trampoline_kernelINS0_14default_configENS1_25transform_config_selectorIdLb0EEEZNS1_14transform_implILb0ES3_S5_NS0_18transform_iteratorINS0_17counting_iteratorImlEEZNS1_24adjacent_difference_implIS3_Lb1ELb0EPKdPdN6thrust23THRUST_200600_302600_NS4plusIdEEEE10hipError_tPvRmT2_T3_mT4_P12ihipStream_tbEUlmE_dEESD_NS0_8identityIvEEEESI_SL_SM_mSN_SP_bEUlT_E_NS1_11comp_targetILNS1_3genE5ELNS1_11target_archE942ELNS1_3gpuE9ELNS1_3repE0EEENS1_30default_config_static_selectorELNS0_4arch9wavefront6targetE1EEEvT1_, .Lfunc_end582-_ZN7rocprim17ROCPRIM_400000_NS6detail17trampoline_kernelINS0_14default_configENS1_25transform_config_selectorIdLb0EEEZNS1_14transform_implILb0ES3_S5_NS0_18transform_iteratorINS0_17counting_iteratorImlEEZNS1_24adjacent_difference_implIS3_Lb1ELb0EPKdPdN6thrust23THRUST_200600_302600_NS4plusIdEEEE10hipError_tPvRmT2_T3_mT4_P12ihipStream_tbEUlmE_dEESD_NS0_8identityIvEEEESI_SL_SM_mSN_SP_bEUlT_E_NS1_11comp_targetILNS1_3genE5ELNS1_11target_archE942ELNS1_3gpuE9ELNS1_3repE0EEENS1_30default_config_static_selectorELNS0_4arch9wavefront6targetE1EEEvT1_
                                        ; -- End function
	.set _ZN7rocprim17ROCPRIM_400000_NS6detail17trampoline_kernelINS0_14default_configENS1_25transform_config_selectorIdLb0EEEZNS1_14transform_implILb0ES3_S5_NS0_18transform_iteratorINS0_17counting_iteratorImlEEZNS1_24adjacent_difference_implIS3_Lb1ELb0EPKdPdN6thrust23THRUST_200600_302600_NS4plusIdEEEE10hipError_tPvRmT2_T3_mT4_P12ihipStream_tbEUlmE_dEESD_NS0_8identityIvEEEESI_SL_SM_mSN_SP_bEUlT_E_NS1_11comp_targetILNS1_3genE5ELNS1_11target_archE942ELNS1_3gpuE9ELNS1_3repE0EEENS1_30default_config_static_selectorELNS0_4arch9wavefront6targetE1EEEvT1_.num_vgpr, 0
	.set _ZN7rocprim17ROCPRIM_400000_NS6detail17trampoline_kernelINS0_14default_configENS1_25transform_config_selectorIdLb0EEEZNS1_14transform_implILb0ES3_S5_NS0_18transform_iteratorINS0_17counting_iteratorImlEEZNS1_24adjacent_difference_implIS3_Lb1ELb0EPKdPdN6thrust23THRUST_200600_302600_NS4plusIdEEEE10hipError_tPvRmT2_T3_mT4_P12ihipStream_tbEUlmE_dEESD_NS0_8identityIvEEEESI_SL_SM_mSN_SP_bEUlT_E_NS1_11comp_targetILNS1_3genE5ELNS1_11target_archE942ELNS1_3gpuE9ELNS1_3repE0EEENS1_30default_config_static_selectorELNS0_4arch9wavefront6targetE1EEEvT1_.num_agpr, 0
	.set _ZN7rocprim17ROCPRIM_400000_NS6detail17trampoline_kernelINS0_14default_configENS1_25transform_config_selectorIdLb0EEEZNS1_14transform_implILb0ES3_S5_NS0_18transform_iteratorINS0_17counting_iteratorImlEEZNS1_24adjacent_difference_implIS3_Lb1ELb0EPKdPdN6thrust23THRUST_200600_302600_NS4plusIdEEEE10hipError_tPvRmT2_T3_mT4_P12ihipStream_tbEUlmE_dEESD_NS0_8identityIvEEEESI_SL_SM_mSN_SP_bEUlT_E_NS1_11comp_targetILNS1_3genE5ELNS1_11target_archE942ELNS1_3gpuE9ELNS1_3repE0EEENS1_30default_config_static_selectorELNS0_4arch9wavefront6targetE1EEEvT1_.numbered_sgpr, 0
	.set _ZN7rocprim17ROCPRIM_400000_NS6detail17trampoline_kernelINS0_14default_configENS1_25transform_config_selectorIdLb0EEEZNS1_14transform_implILb0ES3_S5_NS0_18transform_iteratorINS0_17counting_iteratorImlEEZNS1_24adjacent_difference_implIS3_Lb1ELb0EPKdPdN6thrust23THRUST_200600_302600_NS4plusIdEEEE10hipError_tPvRmT2_T3_mT4_P12ihipStream_tbEUlmE_dEESD_NS0_8identityIvEEEESI_SL_SM_mSN_SP_bEUlT_E_NS1_11comp_targetILNS1_3genE5ELNS1_11target_archE942ELNS1_3gpuE9ELNS1_3repE0EEENS1_30default_config_static_selectorELNS0_4arch9wavefront6targetE1EEEvT1_.num_named_barrier, 0
	.set _ZN7rocprim17ROCPRIM_400000_NS6detail17trampoline_kernelINS0_14default_configENS1_25transform_config_selectorIdLb0EEEZNS1_14transform_implILb0ES3_S5_NS0_18transform_iteratorINS0_17counting_iteratorImlEEZNS1_24adjacent_difference_implIS3_Lb1ELb0EPKdPdN6thrust23THRUST_200600_302600_NS4plusIdEEEE10hipError_tPvRmT2_T3_mT4_P12ihipStream_tbEUlmE_dEESD_NS0_8identityIvEEEESI_SL_SM_mSN_SP_bEUlT_E_NS1_11comp_targetILNS1_3genE5ELNS1_11target_archE942ELNS1_3gpuE9ELNS1_3repE0EEENS1_30default_config_static_selectorELNS0_4arch9wavefront6targetE1EEEvT1_.private_seg_size, 0
	.set _ZN7rocprim17ROCPRIM_400000_NS6detail17trampoline_kernelINS0_14default_configENS1_25transform_config_selectorIdLb0EEEZNS1_14transform_implILb0ES3_S5_NS0_18transform_iteratorINS0_17counting_iteratorImlEEZNS1_24adjacent_difference_implIS3_Lb1ELb0EPKdPdN6thrust23THRUST_200600_302600_NS4plusIdEEEE10hipError_tPvRmT2_T3_mT4_P12ihipStream_tbEUlmE_dEESD_NS0_8identityIvEEEESI_SL_SM_mSN_SP_bEUlT_E_NS1_11comp_targetILNS1_3genE5ELNS1_11target_archE942ELNS1_3gpuE9ELNS1_3repE0EEENS1_30default_config_static_selectorELNS0_4arch9wavefront6targetE1EEEvT1_.uses_vcc, 0
	.set _ZN7rocprim17ROCPRIM_400000_NS6detail17trampoline_kernelINS0_14default_configENS1_25transform_config_selectorIdLb0EEEZNS1_14transform_implILb0ES3_S5_NS0_18transform_iteratorINS0_17counting_iteratorImlEEZNS1_24adjacent_difference_implIS3_Lb1ELb0EPKdPdN6thrust23THRUST_200600_302600_NS4plusIdEEEE10hipError_tPvRmT2_T3_mT4_P12ihipStream_tbEUlmE_dEESD_NS0_8identityIvEEEESI_SL_SM_mSN_SP_bEUlT_E_NS1_11comp_targetILNS1_3genE5ELNS1_11target_archE942ELNS1_3gpuE9ELNS1_3repE0EEENS1_30default_config_static_selectorELNS0_4arch9wavefront6targetE1EEEvT1_.uses_flat_scratch, 0
	.set _ZN7rocprim17ROCPRIM_400000_NS6detail17trampoline_kernelINS0_14default_configENS1_25transform_config_selectorIdLb0EEEZNS1_14transform_implILb0ES3_S5_NS0_18transform_iteratorINS0_17counting_iteratorImlEEZNS1_24adjacent_difference_implIS3_Lb1ELb0EPKdPdN6thrust23THRUST_200600_302600_NS4plusIdEEEE10hipError_tPvRmT2_T3_mT4_P12ihipStream_tbEUlmE_dEESD_NS0_8identityIvEEEESI_SL_SM_mSN_SP_bEUlT_E_NS1_11comp_targetILNS1_3genE5ELNS1_11target_archE942ELNS1_3gpuE9ELNS1_3repE0EEENS1_30default_config_static_selectorELNS0_4arch9wavefront6targetE1EEEvT1_.has_dyn_sized_stack, 0
	.set _ZN7rocprim17ROCPRIM_400000_NS6detail17trampoline_kernelINS0_14default_configENS1_25transform_config_selectorIdLb0EEEZNS1_14transform_implILb0ES3_S5_NS0_18transform_iteratorINS0_17counting_iteratorImlEEZNS1_24adjacent_difference_implIS3_Lb1ELb0EPKdPdN6thrust23THRUST_200600_302600_NS4plusIdEEEE10hipError_tPvRmT2_T3_mT4_P12ihipStream_tbEUlmE_dEESD_NS0_8identityIvEEEESI_SL_SM_mSN_SP_bEUlT_E_NS1_11comp_targetILNS1_3genE5ELNS1_11target_archE942ELNS1_3gpuE9ELNS1_3repE0EEENS1_30default_config_static_selectorELNS0_4arch9wavefront6targetE1EEEvT1_.has_recursion, 0
	.set _ZN7rocprim17ROCPRIM_400000_NS6detail17trampoline_kernelINS0_14default_configENS1_25transform_config_selectorIdLb0EEEZNS1_14transform_implILb0ES3_S5_NS0_18transform_iteratorINS0_17counting_iteratorImlEEZNS1_24adjacent_difference_implIS3_Lb1ELb0EPKdPdN6thrust23THRUST_200600_302600_NS4plusIdEEEE10hipError_tPvRmT2_T3_mT4_P12ihipStream_tbEUlmE_dEESD_NS0_8identityIvEEEESI_SL_SM_mSN_SP_bEUlT_E_NS1_11comp_targetILNS1_3genE5ELNS1_11target_archE942ELNS1_3gpuE9ELNS1_3repE0EEENS1_30default_config_static_selectorELNS0_4arch9wavefront6targetE1EEEvT1_.has_indirect_call, 0
	.section	.AMDGPU.csdata,"",@progbits
; Kernel info:
; codeLenInByte = 0
; TotalNumSgprs: 4
; NumVgprs: 0
; ScratchSize: 0
; MemoryBound: 0
; FloatMode: 240
; IeeeMode: 1
; LDSByteSize: 0 bytes/workgroup (compile time only)
; SGPRBlocks: 0
; VGPRBlocks: 0
; NumSGPRsForWavesPerEU: 4
; NumVGPRsForWavesPerEU: 1
; Occupancy: 10
; WaveLimiterHint : 0
; COMPUTE_PGM_RSRC2:SCRATCH_EN: 0
; COMPUTE_PGM_RSRC2:USER_SGPR: 6
; COMPUTE_PGM_RSRC2:TRAP_HANDLER: 0
; COMPUTE_PGM_RSRC2:TGID_X_EN: 1
; COMPUTE_PGM_RSRC2:TGID_Y_EN: 0
; COMPUTE_PGM_RSRC2:TGID_Z_EN: 0
; COMPUTE_PGM_RSRC2:TIDIG_COMP_CNT: 0
	.section	.text._ZN7rocprim17ROCPRIM_400000_NS6detail17trampoline_kernelINS0_14default_configENS1_25transform_config_selectorIdLb0EEEZNS1_14transform_implILb0ES3_S5_NS0_18transform_iteratorINS0_17counting_iteratorImlEEZNS1_24adjacent_difference_implIS3_Lb1ELb0EPKdPdN6thrust23THRUST_200600_302600_NS4plusIdEEEE10hipError_tPvRmT2_T3_mT4_P12ihipStream_tbEUlmE_dEESD_NS0_8identityIvEEEESI_SL_SM_mSN_SP_bEUlT_E_NS1_11comp_targetILNS1_3genE4ELNS1_11target_archE910ELNS1_3gpuE8ELNS1_3repE0EEENS1_30default_config_static_selectorELNS0_4arch9wavefront6targetE1EEEvT1_,"axG",@progbits,_ZN7rocprim17ROCPRIM_400000_NS6detail17trampoline_kernelINS0_14default_configENS1_25transform_config_selectorIdLb0EEEZNS1_14transform_implILb0ES3_S5_NS0_18transform_iteratorINS0_17counting_iteratorImlEEZNS1_24adjacent_difference_implIS3_Lb1ELb0EPKdPdN6thrust23THRUST_200600_302600_NS4plusIdEEEE10hipError_tPvRmT2_T3_mT4_P12ihipStream_tbEUlmE_dEESD_NS0_8identityIvEEEESI_SL_SM_mSN_SP_bEUlT_E_NS1_11comp_targetILNS1_3genE4ELNS1_11target_archE910ELNS1_3gpuE8ELNS1_3repE0EEENS1_30default_config_static_selectorELNS0_4arch9wavefront6targetE1EEEvT1_,comdat
	.protected	_ZN7rocprim17ROCPRIM_400000_NS6detail17trampoline_kernelINS0_14default_configENS1_25transform_config_selectorIdLb0EEEZNS1_14transform_implILb0ES3_S5_NS0_18transform_iteratorINS0_17counting_iteratorImlEEZNS1_24adjacent_difference_implIS3_Lb1ELb0EPKdPdN6thrust23THRUST_200600_302600_NS4plusIdEEEE10hipError_tPvRmT2_T3_mT4_P12ihipStream_tbEUlmE_dEESD_NS0_8identityIvEEEESI_SL_SM_mSN_SP_bEUlT_E_NS1_11comp_targetILNS1_3genE4ELNS1_11target_archE910ELNS1_3gpuE8ELNS1_3repE0EEENS1_30default_config_static_selectorELNS0_4arch9wavefront6targetE1EEEvT1_ ; -- Begin function _ZN7rocprim17ROCPRIM_400000_NS6detail17trampoline_kernelINS0_14default_configENS1_25transform_config_selectorIdLb0EEEZNS1_14transform_implILb0ES3_S5_NS0_18transform_iteratorINS0_17counting_iteratorImlEEZNS1_24adjacent_difference_implIS3_Lb1ELb0EPKdPdN6thrust23THRUST_200600_302600_NS4plusIdEEEE10hipError_tPvRmT2_T3_mT4_P12ihipStream_tbEUlmE_dEESD_NS0_8identityIvEEEESI_SL_SM_mSN_SP_bEUlT_E_NS1_11comp_targetILNS1_3genE4ELNS1_11target_archE910ELNS1_3gpuE8ELNS1_3repE0EEENS1_30default_config_static_selectorELNS0_4arch9wavefront6targetE1EEEvT1_
	.globl	_ZN7rocprim17ROCPRIM_400000_NS6detail17trampoline_kernelINS0_14default_configENS1_25transform_config_selectorIdLb0EEEZNS1_14transform_implILb0ES3_S5_NS0_18transform_iteratorINS0_17counting_iteratorImlEEZNS1_24adjacent_difference_implIS3_Lb1ELb0EPKdPdN6thrust23THRUST_200600_302600_NS4plusIdEEEE10hipError_tPvRmT2_T3_mT4_P12ihipStream_tbEUlmE_dEESD_NS0_8identityIvEEEESI_SL_SM_mSN_SP_bEUlT_E_NS1_11comp_targetILNS1_3genE4ELNS1_11target_archE910ELNS1_3gpuE8ELNS1_3repE0EEENS1_30default_config_static_selectorELNS0_4arch9wavefront6targetE1EEEvT1_
	.p2align	8
	.type	_ZN7rocprim17ROCPRIM_400000_NS6detail17trampoline_kernelINS0_14default_configENS1_25transform_config_selectorIdLb0EEEZNS1_14transform_implILb0ES3_S5_NS0_18transform_iteratorINS0_17counting_iteratorImlEEZNS1_24adjacent_difference_implIS3_Lb1ELb0EPKdPdN6thrust23THRUST_200600_302600_NS4plusIdEEEE10hipError_tPvRmT2_T3_mT4_P12ihipStream_tbEUlmE_dEESD_NS0_8identityIvEEEESI_SL_SM_mSN_SP_bEUlT_E_NS1_11comp_targetILNS1_3genE4ELNS1_11target_archE910ELNS1_3gpuE8ELNS1_3repE0EEENS1_30default_config_static_selectorELNS0_4arch9wavefront6targetE1EEEvT1_,@function
_ZN7rocprim17ROCPRIM_400000_NS6detail17trampoline_kernelINS0_14default_configENS1_25transform_config_selectorIdLb0EEEZNS1_14transform_implILb0ES3_S5_NS0_18transform_iteratorINS0_17counting_iteratorImlEEZNS1_24adjacent_difference_implIS3_Lb1ELb0EPKdPdN6thrust23THRUST_200600_302600_NS4plusIdEEEE10hipError_tPvRmT2_T3_mT4_P12ihipStream_tbEUlmE_dEESD_NS0_8identityIvEEEESI_SL_SM_mSN_SP_bEUlT_E_NS1_11comp_targetILNS1_3genE4ELNS1_11target_archE910ELNS1_3gpuE8ELNS1_3repE0EEENS1_30default_config_static_selectorELNS0_4arch9wavefront6targetE1EEEvT1_: ; @_ZN7rocprim17ROCPRIM_400000_NS6detail17trampoline_kernelINS0_14default_configENS1_25transform_config_selectorIdLb0EEEZNS1_14transform_implILb0ES3_S5_NS0_18transform_iteratorINS0_17counting_iteratorImlEEZNS1_24adjacent_difference_implIS3_Lb1ELb0EPKdPdN6thrust23THRUST_200600_302600_NS4plusIdEEEE10hipError_tPvRmT2_T3_mT4_P12ihipStream_tbEUlmE_dEESD_NS0_8identityIvEEEESI_SL_SM_mSN_SP_bEUlT_E_NS1_11comp_targetILNS1_3genE4ELNS1_11target_archE910ELNS1_3gpuE8ELNS1_3repE0EEENS1_30default_config_static_selectorELNS0_4arch9wavefront6targetE1EEEvT1_
; %bb.0:
	.section	.rodata,"a",@progbits
	.p2align	6, 0x0
	.amdhsa_kernel _ZN7rocprim17ROCPRIM_400000_NS6detail17trampoline_kernelINS0_14default_configENS1_25transform_config_selectorIdLb0EEEZNS1_14transform_implILb0ES3_S5_NS0_18transform_iteratorINS0_17counting_iteratorImlEEZNS1_24adjacent_difference_implIS3_Lb1ELb0EPKdPdN6thrust23THRUST_200600_302600_NS4plusIdEEEE10hipError_tPvRmT2_T3_mT4_P12ihipStream_tbEUlmE_dEESD_NS0_8identityIvEEEESI_SL_SM_mSN_SP_bEUlT_E_NS1_11comp_targetILNS1_3genE4ELNS1_11target_archE910ELNS1_3gpuE8ELNS1_3repE0EEENS1_30default_config_static_selectorELNS0_4arch9wavefront6targetE1EEEvT1_
		.amdhsa_group_segment_fixed_size 0
		.amdhsa_private_segment_fixed_size 0
		.amdhsa_kernarg_size 56
		.amdhsa_user_sgpr_count 6
		.amdhsa_user_sgpr_private_segment_buffer 1
		.amdhsa_user_sgpr_dispatch_ptr 0
		.amdhsa_user_sgpr_queue_ptr 0
		.amdhsa_user_sgpr_kernarg_segment_ptr 1
		.amdhsa_user_sgpr_dispatch_id 0
		.amdhsa_user_sgpr_flat_scratch_init 0
		.amdhsa_user_sgpr_private_segment_size 0
		.amdhsa_uses_dynamic_stack 0
		.amdhsa_system_sgpr_private_segment_wavefront_offset 0
		.amdhsa_system_sgpr_workgroup_id_x 1
		.amdhsa_system_sgpr_workgroup_id_y 0
		.amdhsa_system_sgpr_workgroup_id_z 0
		.amdhsa_system_sgpr_workgroup_info 0
		.amdhsa_system_vgpr_workitem_id 0
		.amdhsa_next_free_vgpr 1
		.amdhsa_next_free_sgpr 0
		.amdhsa_reserve_vcc 0
		.amdhsa_reserve_flat_scratch 0
		.amdhsa_float_round_mode_32 0
		.amdhsa_float_round_mode_16_64 0
		.amdhsa_float_denorm_mode_32 3
		.amdhsa_float_denorm_mode_16_64 3
		.amdhsa_dx10_clamp 1
		.amdhsa_ieee_mode 1
		.amdhsa_fp16_overflow 0
		.amdhsa_exception_fp_ieee_invalid_op 0
		.amdhsa_exception_fp_denorm_src 0
		.amdhsa_exception_fp_ieee_div_zero 0
		.amdhsa_exception_fp_ieee_overflow 0
		.amdhsa_exception_fp_ieee_underflow 0
		.amdhsa_exception_fp_ieee_inexact 0
		.amdhsa_exception_int_div_zero 0
	.end_amdhsa_kernel
	.section	.text._ZN7rocprim17ROCPRIM_400000_NS6detail17trampoline_kernelINS0_14default_configENS1_25transform_config_selectorIdLb0EEEZNS1_14transform_implILb0ES3_S5_NS0_18transform_iteratorINS0_17counting_iteratorImlEEZNS1_24adjacent_difference_implIS3_Lb1ELb0EPKdPdN6thrust23THRUST_200600_302600_NS4plusIdEEEE10hipError_tPvRmT2_T3_mT4_P12ihipStream_tbEUlmE_dEESD_NS0_8identityIvEEEESI_SL_SM_mSN_SP_bEUlT_E_NS1_11comp_targetILNS1_3genE4ELNS1_11target_archE910ELNS1_3gpuE8ELNS1_3repE0EEENS1_30default_config_static_selectorELNS0_4arch9wavefront6targetE1EEEvT1_,"axG",@progbits,_ZN7rocprim17ROCPRIM_400000_NS6detail17trampoline_kernelINS0_14default_configENS1_25transform_config_selectorIdLb0EEEZNS1_14transform_implILb0ES3_S5_NS0_18transform_iteratorINS0_17counting_iteratorImlEEZNS1_24adjacent_difference_implIS3_Lb1ELb0EPKdPdN6thrust23THRUST_200600_302600_NS4plusIdEEEE10hipError_tPvRmT2_T3_mT4_P12ihipStream_tbEUlmE_dEESD_NS0_8identityIvEEEESI_SL_SM_mSN_SP_bEUlT_E_NS1_11comp_targetILNS1_3genE4ELNS1_11target_archE910ELNS1_3gpuE8ELNS1_3repE0EEENS1_30default_config_static_selectorELNS0_4arch9wavefront6targetE1EEEvT1_,comdat
.Lfunc_end583:
	.size	_ZN7rocprim17ROCPRIM_400000_NS6detail17trampoline_kernelINS0_14default_configENS1_25transform_config_selectorIdLb0EEEZNS1_14transform_implILb0ES3_S5_NS0_18transform_iteratorINS0_17counting_iteratorImlEEZNS1_24adjacent_difference_implIS3_Lb1ELb0EPKdPdN6thrust23THRUST_200600_302600_NS4plusIdEEEE10hipError_tPvRmT2_T3_mT4_P12ihipStream_tbEUlmE_dEESD_NS0_8identityIvEEEESI_SL_SM_mSN_SP_bEUlT_E_NS1_11comp_targetILNS1_3genE4ELNS1_11target_archE910ELNS1_3gpuE8ELNS1_3repE0EEENS1_30default_config_static_selectorELNS0_4arch9wavefront6targetE1EEEvT1_, .Lfunc_end583-_ZN7rocprim17ROCPRIM_400000_NS6detail17trampoline_kernelINS0_14default_configENS1_25transform_config_selectorIdLb0EEEZNS1_14transform_implILb0ES3_S5_NS0_18transform_iteratorINS0_17counting_iteratorImlEEZNS1_24adjacent_difference_implIS3_Lb1ELb0EPKdPdN6thrust23THRUST_200600_302600_NS4plusIdEEEE10hipError_tPvRmT2_T3_mT4_P12ihipStream_tbEUlmE_dEESD_NS0_8identityIvEEEESI_SL_SM_mSN_SP_bEUlT_E_NS1_11comp_targetILNS1_3genE4ELNS1_11target_archE910ELNS1_3gpuE8ELNS1_3repE0EEENS1_30default_config_static_selectorELNS0_4arch9wavefront6targetE1EEEvT1_
                                        ; -- End function
	.set _ZN7rocprim17ROCPRIM_400000_NS6detail17trampoline_kernelINS0_14default_configENS1_25transform_config_selectorIdLb0EEEZNS1_14transform_implILb0ES3_S5_NS0_18transform_iteratorINS0_17counting_iteratorImlEEZNS1_24adjacent_difference_implIS3_Lb1ELb0EPKdPdN6thrust23THRUST_200600_302600_NS4plusIdEEEE10hipError_tPvRmT2_T3_mT4_P12ihipStream_tbEUlmE_dEESD_NS0_8identityIvEEEESI_SL_SM_mSN_SP_bEUlT_E_NS1_11comp_targetILNS1_3genE4ELNS1_11target_archE910ELNS1_3gpuE8ELNS1_3repE0EEENS1_30default_config_static_selectorELNS0_4arch9wavefront6targetE1EEEvT1_.num_vgpr, 0
	.set _ZN7rocprim17ROCPRIM_400000_NS6detail17trampoline_kernelINS0_14default_configENS1_25transform_config_selectorIdLb0EEEZNS1_14transform_implILb0ES3_S5_NS0_18transform_iteratorINS0_17counting_iteratorImlEEZNS1_24adjacent_difference_implIS3_Lb1ELb0EPKdPdN6thrust23THRUST_200600_302600_NS4plusIdEEEE10hipError_tPvRmT2_T3_mT4_P12ihipStream_tbEUlmE_dEESD_NS0_8identityIvEEEESI_SL_SM_mSN_SP_bEUlT_E_NS1_11comp_targetILNS1_3genE4ELNS1_11target_archE910ELNS1_3gpuE8ELNS1_3repE0EEENS1_30default_config_static_selectorELNS0_4arch9wavefront6targetE1EEEvT1_.num_agpr, 0
	.set _ZN7rocprim17ROCPRIM_400000_NS6detail17trampoline_kernelINS0_14default_configENS1_25transform_config_selectorIdLb0EEEZNS1_14transform_implILb0ES3_S5_NS0_18transform_iteratorINS0_17counting_iteratorImlEEZNS1_24adjacent_difference_implIS3_Lb1ELb0EPKdPdN6thrust23THRUST_200600_302600_NS4plusIdEEEE10hipError_tPvRmT2_T3_mT4_P12ihipStream_tbEUlmE_dEESD_NS0_8identityIvEEEESI_SL_SM_mSN_SP_bEUlT_E_NS1_11comp_targetILNS1_3genE4ELNS1_11target_archE910ELNS1_3gpuE8ELNS1_3repE0EEENS1_30default_config_static_selectorELNS0_4arch9wavefront6targetE1EEEvT1_.numbered_sgpr, 0
	.set _ZN7rocprim17ROCPRIM_400000_NS6detail17trampoline_kernelINS0_14default_configENS1_25transform_config_selectorIdLb0EEEZNS1_14transform_implILb0ES3_S5_NS0_18transform_iteratorINS0_17counting_iteratorImlEEZNS1_24adjacent_difference_implIS3_Lb1ELb0EPKdPdN6thrust23THRUST_200600_302600_NS4plusIdEEEE10hipError_tPvRmT2_T3_mT4_P12ihipStream_tbEUlmE_dEESD_NS0_8identityIvEEEESI_SL_SM_mSN_SP_bEUlT_E_NS1_11comp_targetILNS1_3genE4ELNS1_11target_archE910ELNS1_3gpuE8ELNS1_3repE0EEENS1_30default_config_static_selectorELNS0_4arch9wavefront6targetE1EEEvT1_.num_named_barrier, 0
	.set _ZN7rocprim17ROCPRIM_400000_NS6detail17trampoline_kernelINS0_14default_configENS1_25transform_config_selectorIdLb0EEEZNS1_14transform_implILb0ES3_S5_NS0_18transform_iteratorINS0_17counting_iteratorImlEEZNS1_24adjacent_difference_implIS3_Lb1ELb0EPKdPdN6thrust23THRUST_200600_302600_NS4plusIdEEEE10hipError_tPvRmT2_T3_mT4_P12ihipStream_tbEUlmE_dEESD_NS0_8identityIvEEEESI_SL_SM_mSN_SP_bEUlT_E_NS1_11comp_targetILNS1_3genE4ELNS1_11target_archE910ELNS1_3gpuE8ELNS1_3repE0EEENS1_30default_config_static_selectorELNS0_4arch9wavefront6targetE1EEEvT1_.private_seg_size, 0
	.set _ZN7rocprim17ROCPRIM_400000_NS6detail17trampoline_kernelINS0_14default_configENS1_25transform_config_selectorIdLb0EEEZNS1_14transform_implILb0ES3_S5_NS0_18transform_iteratorINS0_17counting_iteratorImlEEZNS1_24adjacent_difference_implIS3_Lb1ELb0EPKdPdN6thrust23THRUST_200600_302600_NS4plusIdEEEE10hipError_tPvRmT2_T3_mT4_P12ihipStream_tbEUlmE_dEESD_NS0_8identityIvEEEESI_SL_SM_mSN_SP_bEUlT_E_NS1_11comp_targetILNS1_3genE4ELNS1_11target_archE910ELNS1_3gpuE8ELNS1_3repE0EEENS1_30default_config_static_selectorELNS0_4arch9wavefront6targetE1EEEvT1_.uses_vcc, 0
	.set _ZN7rocprim17ROCPRIM_400000_NS6detail17trampoline_kernelINS0_14default_configENS1_25transform_config_selectorIdLb0EEEZNS1_14transform_implILb0ES3_S5_NS0_18transform_iteratorINS0_17counting_iteratorImlEEZNS1_24adjacent_difference_implIS3_Lb1ELb0EPKdPdN6thrust23THRUST_200600_302600_NS4plusIdEEEE10hipError_tPvRmT2_T3_mT4_P12ihipStream_tbEUlmE_dEESD_NS0_8identityIvEEEESI_SL_SM_mSN_SP_bEUlT_E_NS1_11comp_targetILNS1_3genE4ELNS1_11target_archE910ELNS1_3gpuE8ELNS1_3repE0EEENS1_30default_config_static_selectorELNS0_4arch9wavefront6targetE1EEEvT1_.uses_flat_scratch, 0
	.set _ZN7rocprim17ROCPRIM_400000_NS6detail17trampoline_kernelINS0_14default_configENS1_25transform_config_selectorIdLb0EEEZNS1_14transform_implILb0ES3_S5_NS0_18transform_iteratorINS0_17counting_iteratorImlEEZNS1_24adjacent_difference_implIS3_Lb1ELb0EPKdPdN6thrust23THRUST_200600_302600_NS4plusIdEEEE10hipError_tPvRmT2_T3_mT4_P12ihipStream_tbEUlmE_dEESD_NS0_8identityIvEEEESI_SL_SM_mSN_SP_bEUlT_E_NS1_11comp_targetILNS1_3genE4ELNS1_11target_archE910ELNS1_3gpuE8ELNS1_3repE0EEENS1_30default_config_static_selectorELNS0_4arch9wavefront6targetE1EEEvT1_.has_dyn_sized_stack, 0
	.set _ZN7rocprim17ROCPRIM_400000_NS6detail17trampoline_kernelINS0_14default_configENS1_25transform_config_selectorIdLb0EEEZNS1_14transform_implILb0ES3_S5_NS0_18transform_iteratorINS0_17counting_iteratorImlEEZNS1_24adjacent_difference_implIS3_Lb1ELb0EPKdPdN6thrust23THRUST_200600_302600_NS4plusIdEEEE10hipError_tPvRmT2_T3_mT4_P12ihipStream_tbEUlmE_dEESD_NS0_8identityIvEEEESI_SL_SM_mSN_SP_bEUlT_E_NS1_11comp_targetILNS1_3genE4ELNS1_11target_archE910ELNS1_3gpuE8ELNS1_3repE0EEENS1_30default_config_static_selectorELNS0_4arch9wavefront6targetE1EEEvT1_.has_recursion, 0
	.set _ZN7rocprim17ROCPRIM_400000_NS6detail17trampoline_kernelINS0_14default_configENS1_25transform_config_selectorIdLb0EEEZNS1_14transform_implILb0ES3_S5_NS0_18transform_iteratorINS0_17counting_iteratorImlEEZNS1_24adjacent_difference_implIS3_Lb1ELb0EPKdPdN6thrust23THRUST_200600_302600_NS4plusIdEEEE10hipError_tPvRmT2_T3_mT4_P12ihipStream_tbEUlmE_dEESD_NS0_8identityIvEEEESI_SL_SM_mSN_SP_bEUlT_E_NS1_11comp_targetILNS1_3genE4ELNS1_11target_archE910ELNS1_3gpuE8ELNS1_3repE0EEENS1_30default_config_static_selectorELNS0_4arch9wavefront6targetE1EEEvT1_.has_indirect_call, 0
	.section	.AMDGPU.csdata,"",@progbits
; Kernel info:
; codeLenInByte = 0
; TotalNumSgprs: 4
; NumVgprs: 0
; ScratchSize: 0
; MemoryBound: 0
; FloatMode: 240
; IeeeMode: 1
; LDSByteSize: 0 bytes/workgroup (compile time only)
; SGPRBlocks: 0
; VGPRBlocks: 0
; NumSGPRsForWavesPerEU: 4
; NumVGPRsForWavesPerEU: 1
; Occupancy: 10
; WaveLimiterHint : 0
; COMPUTE_PGM_RSRC2:SCRATCH_EN: 0
; COMPUTE_PGM_RSRC2:USER_SGPR: 6
; COMPUTE_PGM_RSRC2:TRAP_HANDLER: 0
; COMPUTE_PGM_RSRC2:TGID_X_EN: 1
; COMPUTE_PGM_RSRC2:TGID_Y_EN: 0
; COMPUTE_PGM_RSRC2:TGID_Z_EN: 0
; COMPUTE_PGM_RSRC2:TIDIG_COMP_CNT: 0
	.section	.text._ZN7rocprim17ROCPRIM_400000_NS6detail17trampoline_kernelINS0_14default_configENS1_25transform_config_selectorIdLb0EEEZNS1_14transform_implILb0ES3_S5_NS0_18transform_iteratorINS0_17counting_iteratorImlEEZNS1_24adjacent_difference_implIS3_Lb1ELb0EPKdPdN6thrust23THRUST_200600_302600_NS4plusIdEEEE10hipError_tPvRmT2_T3_mT4_P12ihipStream_tbEUlmE_dEESD_NS0_8identityIvEEEESI_SL_SM_mSN_SP_bEUlT_E_NS1_11comp_targetILNS1_3genE3ELNS1_11target_archE908ELNS1_3gpuE7ELNS1_3repE0EEENS1_30default_config_static_selectorELNS0_4arch9wavefront6targetE1EEEvT1_,"axG",@progbits,_ZN7rocprim17ROCPRIM_400000_NS6detail17trampoline_kernelINS0_14default_configENS1_25transform_config_selectorIdLb0EEEZNS1_14transform_implILb0ES3_S5_NS0_18transform_iteratorINS0_17counting_iteratorImlEEZNS1_24adjacent_difference_implIS3_Lb1ELb0EPKdPdN6thrust23THRUST_200600_302600_NS4plusIdEEEE10hipError_tPvRmT2_T3_mT4_P12ihipStream_tbEUlmE_dEESD_NS0_8identityIvEEEESI_SL_SM_mSN_SP_bEUlT_E_NS1_11comp_targetILNS1_3genE3ELNS1_11target_archE908ELNS1_3gpuE7ELNS1_3repE0EEENS1_30default_config_static_selectorELNS0_4arch9wavefront6targetE1EEEvT1_,comdat
	.protected	_ZN7rocprim17ROCPRIM_400000_NS6detail17trampoline_kernelINS0_14default_configENS1_25transform_config_selectorIdLb0EEEZNS1_14transform_implILb0ES3_S5_NS0_18transform_iteratorINS0_17counting_iteratorImlEEZNS1_24adjacent_difference_implIS3_Lb1ELb0EPKdPdN6thrust23THRUST_200600_302600_NS4plusIdEEEE10hipError_tPvRmT2_T3_mT4_P12ihipStream_tbEUlmE_dEESD_NS0_8identityIvEEEESI_SL_SM_mSN_SP_bEUlT_E_NS1_11comp_targetILNS1_3genE3ELNS1_11target_archE908ELNS1_3gpuE7ELNS1_3repE0EEENS1_30default_config_static_selectorELNS0_4arch9wavefront6targetE1EEEvT1_ ; -- Begin function _ZN7rocprim17ROCPRIM_400000_NS6detail17trampoline_kernelINS0_14default_configENS1_25transform_config_selectorIdLb0EEEZNS1_14transform_implILb0ES3_S5_NS0_18transform_iteratorINS0_17counting_iteratorImlEEZNS1_24adjacent_difference_implIS3_Lb1ELb0EPKdPdN6thrust23THRUST_200600_302600_NS4plusIdEEEE10hipError_tPvRmT2_T3_mT4_P12ihipStream_tbEUlmE_dEESD_NS0_8identityIvEEEESI_SL_SM_mSN_SP_bEUlT_E_NS1_11comp_targetILNS1_3genE3ELNS1_11target_archE908ELNS1_3gpuE7ELNS1_3repE0EEENS1_30default_config_static_selectorELNS0_4arch9wavefront6targetE1EEEvT1_
	.globl	_ZN7rocprim17ROCPRIM_400000_NS6detail17trampoline_kernelINS0_14default_configENS1_25transform_config_selectorIdLb0EEEZNS1_14transform_implILb0ES3_S5_NS0_18transform_iteratorINS0_17counting_iteratorImlEEZNS1_24adjacent_difference_implIS3_Lb1ELb0EPKdPdN6thrust23THRUST_200600_302600_NS4plusIdEEEE10hipError_tPvRmT2_T3_mT4_P12ihipStream_tbEUlmE_dEESD_NS0_8identityIvEEEESI_SL_SM_mSN_SP_bEUlT_E_NS1_11comp_targetILNS1_3genE3ELNS1_11target_archE908ELNS1_3gpuE7ELNS1_3repE0EEENS1_30default_config_static_selectorELNS0_4arch9wavefront6targetE1EEEvT1_
	.p2align	8
	.type	_ZN7rocprim17ROCPRIM_400000_NS6detail17trampoline_kernelINS0_14default_configENS1_25transform_config_selectorIdLb0EEEZNS1_14transform_implILb0ES3_S5_NS0_18transform_iteratorINS0_17counting_iteratorImlEEZNS1_24adjacent_difference_implIS3_Lb1ELb0EPKdPdN6thrust23THRUST_200600_302600_NS4plusIdEEEE10hipError_tPvRmT2_T3_mT4_P12ihipStream_tbEUlmE_dEESD_NS0_8identityIvEEEESI_SL_SM_mSN_SP_bEUlT_E_NS1_11comp_targetILNS1_3genE3ELNS1_11target_archE908ELNS1_3gpuE7ELNS1_3repE0EEENS1_30default_config_static_selectorELNS0_4arch9wavefront6targetE1EEEvT1_,@function
_ZN7rocprim17ROCPRIM_400000_NS6detail17trampoline_kernelINS0_14default_configENS1_25transform_config_selectorIdLb0EEEZNS1_14transform_implILb0ES3_S5_NS0_18transform_iteratorINS0_17counting_iteratorImlEEZNS1_24adjacent_difference_implIS3_Lb1ELb0EPKdPdN6thrust23THRUST_200600_302600_NS4plusIdEEEE10hipError_tPvRmT2_T3_mT4_P12ihipStream_tbEUlmE_dEESD_NS0_8identityIvEEEESI_SL_SM_mSN_SP_bEUlT_E_NS1_11comp_targetILNS1_3genE3ELNS1_11target_archE908ELNS1_3gpuE7ELNS1_3repE0EEENS1_30default_config_static_selectorELNS0_4arch9wavefront6targetE1EEEvT1_: ; @_ZN7rocprim17ROCPRIM_400000_NS6detail17trampoline_kernelINS0_14default_configENS1_25transform_config_selectorIdLb0EEEZNS1_14transform_implILb0ES3_S5_NS0_18transform_iteratorINS0_17counting_iteratorImlEEZNS1_24adjacent_difference_implIS3_Lb1ELb0EPKdPdN6thrust23THRUST_200600_302600_NS4plusIdEEEE10hipError_tPvRmT2_T3_mT4_P12ihipStream_tbEUlmE_dEESD_NS0_8identityIvEEEESI_SL_SM_mSN_SP_bEUlT_E_NS1_11comp_targetILNS1_3genE3ELNS1_11target_archE908ELNS1_3gpuE7ELNS1_3repE0EEENS1_30default_config_static_selectorELNS0_4arch9wavefront6targetE1EEEvT1_
; %bb.0:
	.section	.rodata,"a",@progbits
	.p2align	6, 0x0
	.amdhsa_kernel _ZN7rocprim17ROCPRIM_400000_NS6detail17trampoline_kernelINS0_14default_configENS1_25transform_config_selectorIdLb0EEEZNS1_14transform_implILb0ES3_S5_NS0_18transform_iteratorINS0_17counting_iteratorImlEEZNS1_24adjacent_difference_implIS3_Lb1ELb0EPKdPdN6thrust23THRUST_200600_302600_NS4plusIdEEEE10hipError_tPvRmT2_T3_mT4_P12ihipStream_tbEUlmE_dEESD_NS0_8identityIvEEEESI_SL_SM_mSN_SP_bEUlT_E_NS1_11comp_targetILNS1_3genE3ELNS1_11target_archE908ELNS1_3gpuE7ELNS1_3repE0EEENS1_30default_config_static_selectorELNS0_4arch9wavefront6targetE1EEEvT1_
		.amdhsa_group_segment_fixed_size 0
		.amdhsa_private_segment_fixed_size 0
		.amdhsa_kernarg_size 56
		.amdhsa_user_sgpr_count 6
		.amdhsa_user_sgpr_private_segment_buffer 1
		.amdhsa_user_sgpr_dispatch_ptr 0
		.amdhsa_user_sgpr_queue_ptr 0
		.amdhsa_user_sgpr_kernarg_segment_ptr 1
		.amdhsa_user_sgpr_dispatch_id 0
		.amdhsa_user_sgpr_flat_scratch_init 0
		.amdhsa_user_sgpr_private_segment_size 0
		.amdhsa_uses_dynamic_stack 0
		.amdhsa_system_sgpr_private_segment_wavefront_offset 0
		.amdhsa_system_sgpr_workgroup_id_x 1
		.amdhsa_system_sgpr_workgroup_id_y 0
		.amdhsa_system_sgpr_workgroup_id_z 0
		.amdhsa_system_sgpr_workgroup_info 0
		.amdhsa_system_vgpr_workitem_id 0
		.amdhsa_next_free_vgpr 1
		.amdhsa_next_free_sgpr 0
		.amdhsa_reserve_vcc 0
		.amdhsa_reserve_flat_scratch 0
		.amdhsa_float_round_mode_32 0
		.amdhsa_float_round_mode_16_64 0
		.amdhsa_float_denorm_mode_32 3
		.amdhsa_float_denorm_mode_16_64 3
		.amdhsa_dx10_clamp 1
		.amdhsa_ieee_mode 1
		.amdhsa_fp16_overflow 0
		.amdhsa_exception_fp_ieee_invalid_op 0
		.amdhsa_exception_fp_denorm_src 0
		.amdhsa_exception_fp_ieee_div_zero 0
		.amdhsa_exception_fp_ieee_overflow 0
		.amdhsa_exception_fp_ieee_underflow 0
		.amdhsa_exception_fp_ieee_inexact 0
		.amdhsa_exception_int_div_zero 0
	.end_amdhsa_kernel
	.section	.text._ZN7rocprim17ROCPRIM_400000_NS6detail17trampoline_kernelINS0_14default_configENS1_25transform_config_selectorIdLb0EEEZNS1_14transform_implILb0ES3_S5_NS0_18transform_iteratorINS0_17counting_iteratorImlEEZNS1_24adjacent_difference_implIS3_Lb1ELb0EPKdPdN6thrust23THRUST_200600_302600_NS4plusIdEEEE10hipError_tPvRmT2_T3_mT4_P12ihipStream_tbEUlmE_dEESD_NS0_8identityIvEEEESI_SL_SM_mSN_SP_bEUlT_E_NS1_11comp_targetILNS1_3genE3ELNS1_11target_archE908ELNS1_3gpuE7ELNS1_3repE0EEENS1_30default_config_static_selectorELNS0_4arch9wavefront6targetE1EEEvT1_,"axG",@progbits,_ZN7rocprim17ROCPRIM_400000_NS6detail17trampoline_kernelINS0_14default_configENS1_25transform_config_selectorIdLb0EEEZNS1_14transform_implILb0ES3_S5_NS0_18transform_iteratorINS0_17counting_iteratorImlEEZNS1_24adjacent_difference_implIS3_Lb1ELb0EPKdPdN6thrust23THRUST_200600_302600_NS4plusIdEEEE10hipError_tPvRmT2_T3_mT4_P12ihipStream_tbEUlmE_dEESD_NS0_8identityIvEEEESI_SL_SM_mSN_SP_bEUlT_E_NS1_11comp_targetILNS1_3genE3ELNS1_11target_archE908ELNS1_3gpuE7ELNS1_3repE0EEENS1_30default_config_static_selectorELNS0_4arch9wavefront6targetE1EEEvT1_,comdat
.Lfunc_end584:
	.size	_ZN7rocprim17ROCPRIM_400000_NS6detail17trampoline_kernelINS0_14default_configENS1_25transform_config_selectorIdLb0EEEZNS1_14transform_implILb0ES3_S5_NS0_18transform_iteratorINS0_17counting_iteratorImlEEZNS1_24adjacent_difference_implIS3_Lb1ELb0EPKdPdN6thrust23THRUST_200600_302600_NS4plusIdEEEE10hipError_tPvRmT2_T3_mT4_P12ihipStream_tbEUlmE_dEESD_NS0_8identityIvEEEESI_SL_SM_mSN_SP_bEUlT_E_NS1_11comp_targetILNS1_3genE3ELNS1_11target_archE908ELNS1_3gpuE7ELNS1_3repE0EEENS1_30default_config_static_selectorELNS0_4arch9wavefront6targetE1EEEvT1_, .Lfunc_end584-_ZN7rocprim17ROCPRIM_400000_NS6detail17trampoline_kernelINS0_14default_configENS1_25transform_config_selectorIdLb0EEEZNS1_14transform_implILb0ES3_S5_NS0_18transform_iteratorINS0_17counting_iteratorImlEEZNS1_24adjacent_difference_implIS3_Lb1ELb0EPKdPdN6thrust23THRUST_200600_302600_NS4plusIdEEEE10hipError_tPvRmT2_T3_mT4_P12ihipStream_tbEUlmE_dEESD_NS0_8identityIvEEEESI_SL_SM_mSN_SP_bEUlT_E_NS1_11comp_targetILNS1_3genE3ELNS1_11target_archE908ELNS1_3gpuE7ELNS1_3repE0EEENS1_30default_config_static_selectorELNS0_4arch9wavefront6targetE1EEEvT1_
                                        ; -- End function
	.set _ZN7rocprim17ROCPRIM_400000_NS6detail17trampoline_kernelINS0_14default_configENS1_25transform_config_selectorIdLb0EEEZNS1_14transform_implILb0ES3_S5_NS0_18transform_iteratorINS0_17counting_iteratorImlEEZNS1_24adjacent_difference_implIS3_Lb1ELb0EPKdPdN6thrust23THRUST_200600_302600_NS4plusIdEEEE10hipError_tPvRmT2_T3_mT4_P12ihipStream_tbEUlmE_dEESD_NS0_8identityIvEEEESI_SL_SM_mSN_SP_bEUlT_E_NS1_11comp_targetILNS1_3genE3ELNS1_11target_archE908ELNS1_3gpuE7ELNS1_3repE0EEENS1_30default_config_static_selectorELNS0_4arch9wavefront6targetE1EEEvT1_.num_vgpr, 0
	.set _ZN7rocprim17ROCPRIM_400000_NS6detail17trampoline_kernelINS0_14default_configENS1_25transform_config_selectorIdLb0EEEZNS1_14transform_implILb0ES3_S5_NS0_18transform_iteratorINS0_17counting_iteratorImlEEZNS1_24adjacent_difference_implIS3_Lb1ELb0EPKdPdN6thrust23THRUST_200600_302600_NS4plusIdEEEE10hipError_tPvRmT2_T3_mT4_P12ihipStream_tbEUlmE_dEESD_NS0_8identityIvEEEESI_SL_SM_mSN_SP_bEUlT_E_NS1_11comp_targetILNS1_3genE3ELNS1_11target_archE908ELNS1_3gpuE7ELNS1_3repE0EEENS1_30default_config_static_selectorELNS0_4arch9wavefront6targetE1EEEvT1_.num_agpr, 0
	.set _ZN7rocprim17ROCPRIM_400000_NS6detail17trampoline_kernelINS0_14default_configENS1_25transform_config_selectorIdLb0EEEZNS1_14transform_implILb0ES3_S5_NS0_18transform_iteratorINS0_17counting_iteratorImlEEZNS1_24adjacent_difference_implIS3_Lb1ELb0EPKdPdN6thrust23THRUST_200600_302600_NS4plusIdEEEE10hipError_tPvRmT2_T3_mT4_P12ihipStream_tbEUlmE_dEESD_NS0_8identityIvEEEESI_SL_SM_mSN_SP_bEUlT_E_NS1_11comp_targetILNS1_3genE3ELNS1_11target_archE908ELNS1_3gpuE7ELNS1_3repE0EEENS1_30default_config_static_selectorELNS0_4arch9wavefront6targetE1EEEvT1_.numbered_sgpr, 0
	.set _ZN7rocprim17ROCPRIM_400000_NS6detail17trampoline_kernelINS0_14default_configENS1_25transform_config_selectorIdLb0EEEZNS1_14transform_implILb0ES3_S5_NS0_18transform_iteratorINS0_17counting_iteratorImlEEZNS1_24adjacent_difference_implIS3_Lb1ELb0EPKdPdN6thrust23THRUST_200600_302600_NS4plusIdEEEE10hipError_tPvRmT2_T3_mT4_P12ihipStream_tbEUlmE_dEESD_NS0_8identityIvEEEESI_SL_SM_mSN_SP_bEUlT_E_NS1_11comp_targetILNS1_3genE3ELNS1_11target_archE908ELNS1_3gpuE7ELNS1_3repE0EEENS1_30default_config_static_selectorELNS0_4arch9wavefront6targetE1EEEvT1_.num_named_barrier, 0
	.set _ZN7rocprim17ROCPRIM_400000_NS6detail17trampoline_kernelINS0_14default_configENS1_25transform_config_selectorIdLb0EEEZNS1_14transform_implILb0ES3_S5_NS0_18transform_iteratorINS0_17counting_iteratorImlEEZNS1_24adjacent_difference_implIS3_Lb1ELb0EPKdPdN6thrust23THRUST_200600_302600_NS4plusIdEEEE10hipError_tPvRmT2_T3_mT4_P12ihipStream_tbEUlmE_dEESD_NS0_8identityIvEEEESI_SL_SM_mSN_SP_bEUlT_E_NS1_11comp_targetILNS1_3genE3ELNS1_11target_archE908ELNS1_3gpuE7ELNS1_3repE0EEENS1_30default_config_static_selectorELNS0_4arch9wavefront6targetE1EEEvT1_.private_seg_size, 0
	.set _ZN7rocprim17ROCPRIM_400000_NS6detail17trampoline_kernelINS0_14default_configENS1_25transform_config_selectorIdLb0EEEZNS1_14transform_implILb0ES3_S5_NS0_18transform_iteratorINS0_17counting_iteratorImlEEZNS1_24adjacent_difference_implIS3_Lb1ELb0EPKdPdN6thrust23THRUST_200600_302600_NS4plusIdEEEE10hipError_tPvRmT2_T3_mT4_P12ihipStream_tbEUlmE_dEESD_NS0_8identityIvEEEESI_SL_SM_mSN_SP_bEUlT_E_NS1_11comp_targetILNS1_3genE3ELNS1_11target_archE908ELNS1_3gpuE7ELNS1_3repE0EEENS1_30default_config_static_selectorELNS0_4arch9wavefront6targetE1EEEvT1_.uses_vcc, 0
	.set _ZN7rocprim17ROCPRIM_400000_NS6detail17trampoline_kernelINS0_14default_configENS1_25transform_config_selectorIdLb0EEEZNS1_14transform_implILb0ES3_S5_NS0_18transform_iteratorINS0_17counting_iteratorImlEEZNS1_24adjacent_difference_implIS3_Lb1ELb0EPKdPdN6thrust23THRUST_200600_302600_NS4plusIdEEEE10hipError_tPvRmT2_T3_mT4_P12ihipStream_tbEUlmE_dEESD_NS0_8identityIvEEEESI_SL_SM_mSN_SP_bEUlT_E_NS1_11comp_targetILNS1_3genE3ELNS1_11target_archE908ELNS1_3gpuE7ELNS1_3repE0EEENS1_30default_config_static_selectorELNS0_4arch9wavefront6targetE1EEEvT1_.uses_flat_scratch, 0
	.set _ZN7rocprim17ROCPRIM_400000_NS6detail17trampoline_kernelINS0_14default_configENS1_25transform_config_selectorIdLb0EEEZNS1_14transform_implILb0ES3_S5_NS0_18transform_iteratorINS0_17counting_iteratorImlEEZNS1_24adjacent_difference_implIS3_Lb1ELb0EPKdPdN6thrust23THRUST_200600_302600_NS4plusIdEEEE10hipError_tPvRmT2_T3_mT4_P12ihipStream_tbEUlmE_dEESD_NS0_8identityIvEEEESI_SL_SM_mSN_SP_bEUlT_E_NS1_11comp_targetILNS1_3genE3ELNS1_11target_archE908ELNS1_3gpuE7ELNS1_3repE0EEENS1_30default_config_static_selectorELNS0_4arch9wavefront6targetE1EEEvT1_.has_dyn_sized_stack, 0
	.set _ZN7rocprim17ROCPRIM_400000_NS6detail17trampoline_kernelINS0_14default_configENS1_25transform_config_selectorIdLb0EEEZNS1_14transform_implILb0ES3_S5_NS0_18transform_iteratorINS0_17counting_iteratorImlEEZNS1_24adjacent_difference_implIS3_Lb1ELb0EPKdPdN6thrust23THRUST_200600_302600_NS4plusIdEEEE10hipError_tPvRmT2_T3_mT4_P12ihipStream_tbEUlmE_dEESD_NS0_8identityIvEEEESI_SL_SM_mSN_SP_bEUlT_E_NS1_11comp_targetILNS1_3genE3ELNS1_11target_archE908ELNS1_3gpuE7ELNS1_3repE0EEENS1_30default_config_static_selectorELNS0_4arch9wavefront6targetE1EEEvT1_.has_recursion, 0
	.set _ZN7rocprim17ROCPRIM_400000_NS6detail17trampoline_kernelINS0_14default_configENS1_25transform_config_selectorIdLb0EEEZNS1_14transform_implILb0ES3_S5_NS0_18transform_iteratorINS0_17counting_iteratorImlEEZNS1_24adjacent_difference_implIS3_Lb1ELb0EPKdPdN6thrust23THRUST_200600_302600_NS4plusIdEEEE10hipError_tPvRmT2_T3_mT4_P12ihipStream_tbEUlmE_dEESD_NS0_8identityIvEEEESI_SL_SM_mSN_SP_bEUlT_E_NS1_11comp_targetILNS1_3genE3ELNS1_11target_archE908ELNS1_3gpuE7ELNS1_3repE0EEENS1_30default_config_static_selectorELNS0_4arch9wavefront6targetE1EEEvT1_.has_indirect_call, 0
	.section	.AMDGPU.csdata,"",@progbits
; Kernel info:
; codeLenInByte = 0
; TotalNumSgprs: 4
; NumVgprs: 0
; ScratchSize: 0
; MemoryBound: 0
; FloatMode: 240
; IeeeMode: 1
; LDSByteSize: 0 bytes/workgroup (compile time only)
; SGPRBlocks: 0
; VGPRBlocks: 0
; NumSGPRsForWavesPerEU: 4
; NumVGPRsForWavesPerEU: 1
; Occupancy: 10
; WaveLimiterHint : 0
; COMPUTE_PGM_RSRC2:SCRATCH_EN: 0
; COMPUTE_PGM_RSRC2:USER_SGPR: 6
; COMPUTE_PGM_RSRC2:TRAP_HANDLER: 0
; COMPUTE_PGM_RSRC2:TGID_X_EN: 1
; COMPUTE_PGM_RSRC2:TGID_Y_EN: 0
; COMPUTE_PGM_RSRC2:TGID_Z_EN: 0
; COMPUTE_PGM_RSRC2:TIDIG_COMP_CNT: 0
	.section	.text._ZN7rocprim17ROCPRIM_400000_NS6detail17trampoline_kernelINS0_14default_configENS1_25transform_config_selectorIdLb0EEEZNS1_14transform_implILb0ES3_S5_NS0_18transform_iteratorINS0_17counting_iteratorImlEEZNS1_24adjacent_difference_implIS3_Lb1ELb0EPKdPdN6thrust23THRUST_200600_302600_NS4plusIdEEEE10hipError_tPvRmT2_T3_mT4_P12ihipStream_tbEUlmE_dEESD_NS0_8identityIvEEEESI_SL_SM_mSN_SP_bEUlT_E_NS1_11comp_targetILNS1_3genE2ELNS1_11target_archE906ELNS1_3gpuE6ELNS1_3repE0EEENS1_30default_config_static_selectorELNS0_4arch9wavefront6targetE1EEEvT1_,"axG",@progbits,_ZN7rocprim17ROCPRIM_400000_NS6detail17trampoline_kernelINS0_14default_configENS1_25transform_config_selectorIdLb0EEEZNS1_14transform_implILb0ES3_S5_NS0_18transform_iteratorINS0_17counting_iteratorImlEEZNS1_24adjacent_difference_implIS3_Lb1ELb0EPKdPdN6thrust23THRUST_200600_302600_NS4plusIdEEEE10hipError_tPvRmT2_T3_mT4_P12ihipStream_tbEUlmE_dEESD_NS0_8identityIvEEEESI_SL_SM_mSN_SP_bEUlT_E_NS1_11comp_targetILNS1_3genE2ELNS1_11target_archE906ELNS1_3gpuE6ELNS1_3repE0EEENS1_30default_config_static_selectorELNS0_4arch9wavefront6targetE1EEEvT1_,comdat
	.protected	_ZN7rocprim17ROCPRIM_400000_NS6detail17trampoline_kernelINS0_14default_configENS1_25transform_config_selectorIdLb0EEEZNS1_14transform_implILb0ES3_S5_NS0_18transform_iteratorINS0_17counting_iteratorImlEEZNS1_24adjacent_difference_implIS3_Lb1ELb0EPKdPdN6thrust23THRUST_200600_302600_NS4plusIdEEEE10hipError_tPvRmT2_T3_mT4_P12ihipStream_tbEUlmE_dEESD_NS0_8identityIvEEEESI_SL_SM_mSN_SP_bEUlT_E_NS1_11comp_targetILNS1_3genE2ELNS1_11target_archE906ELNS1_3gpuE6ELNS1_3repE0EEENS1_30default_config_static_selectorELNS0_4arch9wavefront6targetE1EEEvT1_ ; -- Begin function _ZN7rocprim17ROCPRIM_400000_NS6detail17trampoline_kernelINS0_14default_configENS1_25transform_config_selectorIdLb0EEEZNS1_14transform_implILb0ES3_S5_NS0_18transform_iteratorINS0_17counting_iteratorImlEEZNS1_24adjacent_difference_implIS3_Lb1ELb0EPKdPdN6thrust23THRUST_200600_302600_NS4plusIdEEEE10hipError_tPvRmT2_T3_mT4_P12ihipStream_tbEUlmE_dEESD_NS0_8identityIvEEEESI_SL_SM_mSN_SP_bEUlT_E_NS1_11comp_targetILNS1_3genE2ELNS1_11target_archE906ELNS1_3gpuE6ELNS1_3repE0EEENS1_30default_config_static_selectorELNS0_4arch9wavefront6targetE1EEEvT1_
	.globl	_ZN7rocprim17ROCPRIM_400000_NS6detail17trampoline_kernelINS0_14default_configENS1_25transform_config_selectorIdLb0EEEZNS1_14transform_implILb0ES3_S5_NS0_18transform_iteratorINS0_17counting_iteratorImlEEZNS1_24adjacent_difference_implIS3_Lb1ELb0EPKdPdN6thrust23THRUST_200600_302600_NS4plusIdEEEE10hipError_tPvRmT2_T3_mT4_P12ihipStream_tbEUlmE_dEESD_NS0_8identityIvEEEESI_SL_SM_mSN_SP_bEUlT_E_NS1_11comp_targetILNS1_3genE2ELNS1_11target_archE906ELNS1_3gpuE6ELNS1_3repE0EEENS1_30default_config_static_selectorELNS0_4arch9wavefront6targetE1EEEvT1_
	.p2align	8
	.type	_ZN7rocprim17ROCPRIM_400000_NS6detail17trampoline_kernelINS0_14default_configENS1_25transform_config_selectorIdLb0EEEZNS1_14transform_implILb0ES3_S5_NS0_18transform_iteratorINS0_17counting_iteratorImlEEZNS1_24adjacent_difference_implIS3_Lb1ELb0EPKdPdN6thrust23THRUST_200600_302600_NS4plusIdEEEE10hipError_tPvRmT2_T3_mT4_P12ihipStream_tbEUlmE_dEESD_NS0_8identityIvEEEESI_SL_SM_mSN_SP_bEUlT_E_NS1_11comp_targetILNS1_3genE2ELNS1_11target_archE906ELNS1_3gpuE6ELNS1_3repE0EEENS1_30default_config_static_selectorELNS0_4arch9wavefront6targetE1EEEvT1_,@function
_ZN7rocprim17ROCPRIM_400000_NS6detail17trampoline_kernelINS0_14default_configENS1_25transform_config_selectorIdLb0EEEZNS1_14transform_implILb0ES3_S5_NS0_18transform_iteratorINS0_17counting_iteratorImlEEZNS1_24adjacent_difference_implIS3_Lb1ELb0EPKdPdN6thrust23THRUST_200600_302600_NS4plusIdEEEE10hipError_tPvRmT2_T3_mT4_P12ihipStream_tbEUlmE_dEESD_NS0_8identityIvEEEESI_SL_SM_mSN_SP_bEUlT_E_NS1_11comp_targetILNS1_3genE2ELNS1_11target_archE906ELNS1_3gpuE6ELNS1_3repE0EEENS1_30default_config_static_selectorELNS0_4arch9wavefront6targetE1EEEvT1_: ; @_ZN7rocprim17ROCPRIM_400000_NS6detail17trampoline_kernelINS0_14default_configENS1_25transform_config_selectorIdLb0EEEZNS1_14transform_implILb0ES3_S5_NS0_18transform_iteratorINS0_17counting_iteratorImlEEZNS1_24adjacent_difference_implIS3_Lb1ELb0EPKdPdN6thrust23THRUST_200600_302600_NS4plusIdEEEE10hipError_tPvRmT2_T3_mT4_P12ihipStream_tbEUlmE_dEESD_NS0_8identityIvEEEESI_SL_SM_mSN_SP_bEUlT_E_NS1_11comp_targetILNS1_3genE2ELNS1_11target_archE906ELNS1_3gpuE6ELNS1_3repE0EEENS1_30default_config_static_selectorELNS0_4arch9wavefront6targetE1EEEvT1_
; %bb.0:
	s_load_dword s1, s[4:5], 0x38
	s_load_dword s7, s[4:5], 0x20
	s_lshl_b32 s0, s6, 10
	s_waitcnt lgkmcnt(0)
	s_add_i32 s1, s1, -1
	s_cmp_lg_u32 s6, s1
	s_cselect_b64 s[2:3], -1, 0
	s_sub_i32 s1, s7, s0
	v_cmp_gt_u32_e32 vcc, s1, v0
	s_or_b64 s[2:3], s[2:3], vcc
	s_and_saveexec_b64 s[6:7], s[2:3]
	s_cbranch_execz .LBB585_2
; %bb.1:
	s_load_dwordx2 s[2:3], s[4:5], 0x18
	s_load_dwordx2 s[6:7], s[4:5], 0x28
	s_load_dwordx4 s[8:11], s[4:5], 0x0
	s_load_dword s1, s[4:5], 0x10
	v_or_b32_e32 v1, s0, v0
	s_waitcnt lgkmcnt(0)
	s_lshl_b64 s[4:5], s[2:3], 3
	s_add_u32 s4, s6, s4
	s_addc_u32 s5, s7, s5
	s_add_u32 s2, s8, s2
	s_addc_u32 s3, s9, s3
	v_mov_b32_e32 v2, s3
	v_add_co_u32_e32 v1, vcc, s2, v1
	v_addc_co_u32_e32 v3, vcc, 0, v2, vcc
	v_mad_u64_u32 v[1:2], s[2:3], v1, s1, 0
	v_mad_u64_u32 v[2:3], s[2:3], v3, s1, v[2:3]
	v_mov_b32_e32 v3, s11
	s_mov_b32 s1, 0
	v_lshlrev_b64 v[1:2], 3, v[1:2]
	s_lshl_b64 s[0:1], s[0:1], 3
	v_add_co_u32_e32 v1, vcc, s10, v1
	v_addc_co_u32_e32 v2, vcc, v3, v2, vcc
	global_load_dwordx2 v[2:3], v[1:2], off
	v_mov_b32_e32 v1, 0
	s_add_u32 s0, s4, s0
	v_lshlrev_b64 v[0:1], 3, v[0:1]
	s_addc_u32 s1, s5, s1
	v_mov_b32_e32 v4, s1
	v_add_co_u32_e32 v0, vcc, s0, v0
	v_addc_co_u32_e32 v1, vcc, v4, v1, vcc
	s_waitcnt vmcnt(0)
	global_store_dwordx2 v[0:1], v[2:3], off
.LBB585_2:
	s_endpgm
	.section	.rodata,"a",@progbits
	.p2align	6, 0x0
	.amdhsa_kernel _ZN7rocprim17ROCPRIM_400000_NS6detail17trampoline_kernelINS0_14default_configENS1_25transform_config_selectorIdLb0EEEZNS1_14transform_implILb0ES3_S5_NS0_18transform_iteratorINS0_17counting_iteratorImlEEZNS1_24adjacent_difference_implIS3_Lb1ELb0EPKdPdN6thrust23THRUST_200600_302600_NS4plusIdEEEE10hipError_tPvRmT2_T3_mT4_P12ihipStream_tbEUlmE_dEESD_NS0_8identityIvEEEESI_SL_SM_mSN_SP_bEUlT_E_NS1_11comp_targetILNS1_3genE2ELNS1_11target_archE906ELNS1_3gpuE6ELNS1_3repE0EEENS1_30default_config_static_selectorELNS0_4arch9wavefront6targetE1EEEvT1_
		.amdhsa_group_segment_fixed_size 0
		.amdhsa_private_segment_fixed_size 0
		.amdhsa_kernarg_size 312
		.amdhsa_user_sgpr_count 6
		.amdhsa_user_sgpr_private_segment_buffer 1
		.amdhsa_user_sgpr_dispatch_ptr 0
		.amdhsa_user_sgpr_queue_ptr 0
		.amdhsa_user_sgpr_kernarg_segment_ptr 1
		.amdhsa_user_sgpr_dispatch_id 0
		.amdhsa_user_sgpr_flat_scratch_init 0
		.amdhsa_user_sgpr_private_segment_size 0
		.amdhsa_uses_dynamic_stack 0
		.amdhsa_system_sgpr_private_segment_wavefront_offset 0
		.amdhsa_system_sgpr_workgroup_id_x 1
		.amdhsa_system_sgpr_workgroup_id_y 0
		.amdhsa_system_sgpr_workgroup_id_z 0
		.amdhsa_system_sgpr_workgroup_info 0
		.amdhsa_system_vgpr_workitem_id 0
		.amdhsa_next_free_vgpr 5
		.amdhsa_next_free_sgpr 12
		.amdhsa_reserve_vcc 1
		.amdhsa_reserve_flat_scratch 0
		.amdhsa_float_round_mode_32 0
		.amdhsa_float_round_mode_16_64 0
		.amdhsa_float_denorm_mode_32 3
		.amdhsa_float_denorm_mode_16_64 3
		.amdhsa_dx10_clamp 1
		.amdhsa_ieee_mode 1
		.amdhsa_fp16_overflow 0
		.amdhsa_exception_fp_ieee_invalid_op 0
		.amdhsa_exception_fp_denorm_src 0
		.amdhsa_exception_fp_ieee_div_zero 0
		.amdhsa_exception_fp_ieee_overflow 0
		.amdhsa_exception_fp_ieee_underflow 0
		.amdhsa_exception_fp_ieee_inexact 0
		.amdhsa_exception_int_div_zero 0
	.end_amdhsa_kernel
	.section	.text._ZN7rocprim17ROCPRIM_400000_NS6detail17trampoline_kernelINS0_14default_configENS1_25transform_config_selectorIdLb0EEEZNS1_14transform_implILb0ES3_S5_NS0_18transform_iteratorINS0_17counting_iteratorImlEEZNS1_24adjacent_difference_implIS3_Lb1ELb0EPKdPdN6thrust23THRUST_200600_302600_NS4plusIdEEEE10hipError_tPvRmT2_T3_mT4_P12ihipStream_tbEUlmE_dEESD_NS0_8identityIvEEEESI_SL_SM_mSN_SP_bEUlT_E_NS1_11comp_targetILNS1_3genE2ELNS1_11target_archE906ELNS1_3gpuE6ELNS1_3repE0EEENS1_30default_config_static_selectorELNS0_4arch9wavefront6targetE1EEEvT1_,"axG",@progbits,_ZN7rocprim17ROCPRIM_400000_NS6detail17trampoline_kernelINS0_14default_configENS1_25transform_config_selectorIdLb0EEEZNS1_14transform_implILb0ES3_S5_NS0_18transform_iteratorINS0_17counting_iteratorImlEEZNS1_24adjacent_difference_implIS3_Lb1ELb0EPKdPdN6thrust23THRUST_200600_302600_NS4plusIdEEEE10hipError_tPvRmT2_T3_mT4_P12ihipStream_tbEUlmE_dEESD_NS0_8identityIvEEEESI_SL_SM_mSN_SP_bEUlT_E_NS1_11comp_targetILNS1_3genE2ELNS1_11target_archE906ELNS1_3gpuE6ELNS1_3repE0EEENS1_30default_config_static_selectorELNS0_4arch9wavefront6targetE1EEEvT1_,comdat
.Lfunc_end585:
	.size	_ZN7rocprim17ROCPRIM_400000_NS6detail17trampoline_kernelINS0_14default_configENS1_25transform_config_selectorIdLb0EEEZNS1_14transform_implILb0ES3_S5_NS0_18transform_iteratorINS0_17counting_iteratorImlEEZNS1_24adjacent_difference_implIS3_Lb1ELb0EPKdPdN6thrust23THRUST_200600_302600_NS4plusIdEEEE10hipError_tPvRmT2_T3_mT4_P12ihipStream_tbEUlmE_dEESD_NS0_8identityIvEEEESI_SL_SM_mSN_SP_bEUlT_E_NS1_11comp_targetILNS1_3genE2ELNS1_11target_archE906ELNS1_3gpuE6ELNS1_3repE0EEENS1_30default_config_static_selectorELNS0_4arch9wavefront6targetE1EEEvT1_, .Lfunc_end585-_ZN7rocprim17ROCPRIM_400000_NS6detail17trampoline_kernelINS0_14default_configENS1_25transform_config_selectorIdLb0EEEZNS1_14transform_implILb0ES3_S5_NS0_18transform_iteratorINS0_17counting_iteratorImlEEZNS1_24adjacent_difference_implIS3_Lb1ELb0EPKdPdN6thrust23THRUST_200600_302600_NS4plusIdEEEE10hipError_tPvRmT2_T3_mT4_P12ihipStream_tbEUlmE_dEESD_NS0_8identityIvEEEESI_SL_SM_mSN_SP_bEUlT_E_NS1_11comp_targetILNS1_3genE2ELNS1_11target_archE906ELNS1_3gpuE6ELNS1_3repE0EEENS1_30default_config_static_selectorELNS0_4arch9wavefront6targetE1EEEvT1_
                                        ; -- End function
	.set _ZN7rocprim17ROCPRIM_400000_NS6detail17trampoline_kernelINS0_14default_configENS1_25transform_config_selectorIdLb0EEEZNS1_14transform_implILb0ES3_S5_NS0_18transform_iteratorINS0_17counting_iteratorImlEEZNS1_24adjacent_difference_implIS3_Lb1ELb0EPKdPdN6thrust23THRUST_200600_302600_NS4plusIdEEEE10hipError_tPvRmT2_T3_mT4_P12ihipStream_tbEUlmE_dEESD_NS0_8identityIvEEEESI_SL_SM_mSN_SP_bEUlT_E_NS1_11comp_targetILNS1_3genE2ELNS1_11target_archE906ELNS1_3gpuE6ELNS1_3repE0EEENS1_30default_config_static_selectorELNS0_4arch9wavefront6targetE1EEEvT1_.num_vgpr, 5
	.set _ZN7rocprim17ROCPRIM_400000_NS6detail17trampoline_kernelINS0_14default_configENS1_25transform_config_selectorIdLb0EEEZNS1_14transform_implILb0ES3_S5_NS0_18transform_iteratorINS0_17counting_iteratorImlEEZNS1_24adjacent_difference_implIS3_Lb1ELb0EPKdPdN6thrust23THRUST_200600_302600_NS4plusIdEEEE10hipError_tPvRmT2_T3_mT4_P12ihipStream_tbEUlmE_dEESD_NS0_8identityIvEEEESI_SL_SM_mSN_SP_bEUlT_E_NS1_11comp_targetILNS1_3genE2ELNS1_11target_archE906ELNS1_3gpuE6ELNS1_3repE0EEENS1_30default_config_static_selectorELNS0_4arch9wavefront6targetE1EEEvT1_.num_agpr, 0
	.set _ZN7rocprim17ROCPRIM_400000_NS6detail17trampoline_kernelINS0_14default_configENS1_25transform_config_selectorIdLb0EEEZNS1_14transform_implILb0ES3_S5_NS0_18transform_iteratorINS0_17counting_iteratorImlEEZNS1_24adjacent_difference_implIS3_Lb1ELb0EPKdPdN6thrust23THRUST_200600_302600_NS4plusIdEEEE10hipError_tPvRmT2_T3_mT4_P12ihipStream_tbEUlmE_dEESD_NS0_8identityIvEEEESI_SL_SM_mSN_SP_bEUlT_E_NS1_11comp_targetILNS1_3genE2ELNS1_11target_archE906ELNS1_3gpuE6ELNS1_3repE0EEENS1_30default_config_static_selectorELNS0_4arch9wavefront6targetE1EEEvT1_.numbered_sgpr, 12
	.set _ZN7rocprim17ROCPRIM_400000_NS6detail17trampoline_kernelINS0_14default_configENS1_25transform_config_selectorIdLb0EEEZNS1_14transform_implILb0ES3_S5_NS0_18transform_iteratorINS0_17counting_iteratorImlEEZNS1_24adjacent_difference_implIS3_Lb1ELb0EPKdPdN6thrust23THRUST_200600_302600_NS4plusIdEEEE10hipError_tPvRmT2_T3_mT4_P12ihipStream_tbEUlmE_dEESD_NS0_8identityIvEEEESI_SL_SM_mSN_SP_bEUlT_E_NS1_11comp_targetILNS1_3genE2ELNS1_11target_archE906ELNS1_3gpuE6ELNS1_3repE0EEENS1_30default_config_static_selectorELNS0_4arch9wavefront6targetE1EEEvT1_.num_named_barrier, 0
	.set _ZN7rocprim17ROCPRIM_400000_NS6detail17trampoline_kernelINS0_14default_configENS1_25transform_config_selectorIdLb0EEEZNS1_14transform_implILb0ES3_S5_NS0_18transform_iteratorINS0_17counting_iteratorImlEEZNS1_24adjacent_difference_implIS3_Lb1ELb0EPKdPdN6thrust23THRUST_200600_302600_NS4plusIdEEEE10hipError_tPvRmT2_T3_mT4_P12ihipStream_tbEUlmE_dEESD_NS0_8identityIvEEEESI_SL_SM_mSN_SP_bEUlT_E_NS1_11comp_targetILNS1_3genE2ELNS1_11target_archE906ELNS1_3gpuE6ELNS1_3repE0EEENS1_30default_config_static_selectorELNS0_4arch9wavefront6targetE1EEEvT1_.private_seg_size, 0
	.set _ZN7rocprim17ROCPRIM_400000_NS6detail17trampoline_kernelINS0_14default_configENS1_25transform_config_selectorIdLb0EEEZNS1_14transform_implILb0ES3_S5_NS0_18transform_iteratorINS0_17counting_iteratorImlEEZNS1_24adjacent_difference_implIS3_Lb1ELb0EPKdPdN6thrust23THRUST_200600_302600_NS4plusIdEEEE10hipError_tPvRmT2_T3_mT4_P12ihipStream_tbEUlmE_dEESD_NS0_8identityIvEEEESI_SL_SM_mSN_SP_bEUlT_E_NS1_11comp_targetILNS1_3genE2ELNS1_11target_archE906ELNS1_3gpuE6ELNS1_3repE0EEENS1_30default_config_static_selectorELNS0_4arch9wavefront6targetE1EEEvT1_.uses_vcc, 1
	.set _ZN7rocprim17ROCPRIM_400000_NS6detail17trampoline_kernelINS0_14default_configENS1_25transform_config_selectorIdLb0EEEZNS1_14transform_implILb0ES3_S5_NS0_18transform_iteratorINS0_17counting_iteratorImlEEZNS1_24adjacent_difference_implIS3_Lb1ELb0EPKdPdN6thrust23THRUST_200600_302600_NS4plusIdEEEE10hipError_tPvRmT2_T3_mT4_P12ihipStream_tbEUlmE_dEESD_NS0_8identityIvEEEESI_SL_SM_mSN_SP_bEUlT_E_NS1_11comp_targetILNS1_3genE2ELNS1_11target_archE906ELNS1_3gpuE6ELNS1_3repE0EEENS1_30default_config_static_selectorELNS0_4arch9wavefront6targetE1EEEvT1_.uses_flat_scratch, 0
	.set _ZN7rocprim17ROCPRIM_400000_NS6detail17trampoline_kernelINS0_14default_configENS1_25transform_config_selectorIdLb0EEEZNS1_14transform_implILb0ES3_S5_NS0_18transform_iteratorINS0_17counting_iteratorImlEEZNS1_24adjacent_difference_implIS3_Lb1ELb0EPKdPdN6thrust23THRUST_200600_302600_NS4plusIdEEEE10hipError_tPvRmT2_T3_mT4_P12ihipStream_tbEUlmE_dEESD_NS0_8identityIvEEEESI_SL_SM_mSN_SP_bEUlT_E_NS1_11comp_targetILNS1_3genE2ELNS1_11target_archE906ELNS1_3gpuE6ELNS1_3repE0EEENS1_30default_config_static_selectorELNS0_4arch9wavefront6targetE1EEEvT1_.has_dyn_sized_stack, 0
	.set _ZN7rocprim17ROCPRIM_400000_NS6detail17trampoline_kernelINS0_14default_configENS1_25transform_config_selectorIdLb0EEEZNS1_14transform_implILb0ES3_S5_NS0_18transform_iteratorINS0_17counting_iteratorImlEEZNS1_24adjacent_difference_implIS3_Lb1ELb0EPKdPdN6thrust23THRUST_200600_302600_NS4plusIdEEEE10hipError_tPvRmT2_T3_mT4_P12ihipStream_tbEUlmE_dEESD_NS0_8identityIvEEEESI_SL_SM_mSN_SP_bEUlT_E_NS1_11comp_targetILNS1_3genE2ELNS1_11target_archE906ELNS1_3gpuE6ELNS1_3repE0EEENS1_30default_config_static_selectorELNS0_4arch9wavefront6targetE1EEEvT1_.has_recursion, 0
	.set _ZN7rocprim17ROCPRIM_400000_NS6detail17trampoline_kernelINS0_14default_configENS1_25transform_config_selectorIdLb0EEEZNS1_14transform_implILb0ES3_S5_NS0_18transform_iteratorINS0_17counting_iteratorImlEEZNS1_24adjacent_difference_implIS3_Lb1ELb0EPKdPdN6thrust23THRUST_200600_302600_NS4plusIdEEEE10hipError_tPvRmT2_T3_mT4_P12ihipStream_tbEUlmE_dEESD_NS0_8identityIvEEEESI_SL_SM_mSN_SP_bEUlT_E_NS1_11comp_targetILNS1_3genE2ELNS1_11target_archE906ELNS1_3gpuE6ELNS1_3repE0EEENS1_30default_config_static_selectorELNS0_4arch9wavefront6targetE1EEEvT1_.has_indirect_call, 0
	.section	.AMDGPU.csdata,"",@progbits
; Kernel info:
; codeLenInByte = 228
; TotalNumSgprs: 16
; NumVgprs: 5
; ScratchSize: 0
; MemoryBound: 0
; FloatMode: 240
; IeeeMode: 1
; LDSByteSize: 0 bytes/workgroup (compile time only)
; SGPRBlocks: 1
; VGPRBlocks: 1
; NumSGPRsForWavesPerEU: 16
; NumVGPRsForWavesPerEU: 5
; Occupancy: 10
; WaveLimiterHint : 0
; COMPUTE_PGM_RSRC2:SCRATCH_EN: 0
; COMPUTE_PGM_RSRC2:USER_SGPR: 6
; COMPUTE_PGM_RSRC2:TRAP_HANDLER: 0
; COMPUTE_PGM_RSRC2:TGID_X_EN: 1
; COMPUTE_PGM_RSRC2:TGID_Y_EN: 0
; COMPUTE_PGM_RSRC2:TGID_Z_EN: 0
; COMPUTE_PGM_RSRC2:TIDIG_COMP_CNT: 0
	.section	.text._ZN7rocprim17ROCPRIM_400000_NS6detail17trampoline_kernelINS0_14default_configENS1_25transform_config_selectorIdLb0EEEZNS1_14transform_implILb0ES3_S5_NS0_18transform_iteratorINS0_17counting_iteratorImlEEZNS1_24adjacent_difference_implIS3_Lb1ELb0EPKdPdN6thrust23THRUST_200600_302600_NS4plusIdEEEE10hipError_tPvRmT2_T3_mT4_P12ihipStream_tbEUlmE_dEESD_NS0_8identityIvEEEESI_SL_SM_mSN_SP_bEUlT_E_NS1_11comp_targetILNS1_3genE10ELNS1_11target_archE1201ELNS1_3gpuE5ELNS1_3repE0EEENS1_30default_config_static_selectorELNS0_4arch9wavefront6targetE1EEEvT1_,"axG",@progbits,_ZN7rocprim17ROCPRIM_400000_NS6detail17trampoline_kernelINS0_14default_configENS1_25transform_config_selectorIdLb0EEEZNS1_14transform_implILb0ES3_S5_NS0_18transform_iteratorINS0_17counting_iteratorImlEEZNS1_24adjacent_difference_implIS3_Lb1ELb0EPKdPdN6thrust23THRUST_200600_302600_NS4plusIdEEEE10hipError_tPvRmT2_T3_mT4_P12ihipStream_tbEUlmE_dEESD_NS0_8identityIvEEEESI_SL_SM_mSN_SP_bEUlT_E_NS1_11comp_targetILNS1_3genE10ELNS1_11target_archE1201ELNS1_3gpuE5ELNS1_3repE0EEENS1_30default_config_static_selectorELNS0_4arch9wavefront6targetE1EEEvT1_,comdat
	.protected	_ZN7rocprim17ROCPRIM_400000_NS6detail17trampoline_kernelINS0_14default_configENS1_25transform_config_selectorIdLb0EEEZNS1_14transform_implILb0ES3_S5_NS0_18transform_iteratorINS0_17counting_iteratorImlEEZNS1_24adjacent_difference_implIS3_Lb1ELb0EPKdPdN6thrust23THRUST_200600_302600_NS4plusIdEEEE10hipError_tPvRmT2_T3_mT4_P12ihipStream_tbEUlmE_dEESD_NS0_8identityIvEEEESI_SL_SM_mSN_SP_bEUlT_E_NS1_11comp_targetILNS1_3genE10ELNS1_11target_archE1201ELNS1_3gpuE5ELNS1_3repE0EEENS1_30default_config_static_selectorELNS0_4arch9wavefront6targetE1EEEvT1_ ; -- Begin function _ZN7rocprim17ROCPRIM_400000_NS6detail17trampoline_kernelINS0_14default_configENS1_25transform_config_selectorIdLb0EEEZNS1_14transform_implILb0ES3_S5_NS0_18transform_iteratorINS0_17counting_iteratorImlEEZNS1_24adjacent_difference_implIS3_Lb1ELb0EPKdPdN6thrust23THRUST_200600_302600_NS4plusIdEEEE10hipError_tPvRmT2_T3_mT4_P12ihipStream_tbEUlmE_dEESD_NS0_8identityIvEEEESI_SL_SM_mSN_SP_bEUlT_E_NS1_11comp_targetILNS1_3genE10ELNS1_11target_archE1201ELNS1_3gpuE5ELNS1_3repE0EEENS1_30default_config_static_selectorELNS0_4arch9wavefront6targetE1EEEvT1_
	.globl	_ZN7rocprim17ROCPRIM_400000_NS6detail17trampoline_kernelINS0_14default_configENS1_25transform_config_selectorIdLb0EEEZNS1_14transform_implILb0ES3_S5_NS0_18transform_iteratorINS0_17counting_iteratorImlEEZNS1_24adjacent_difference_implIS3_Lb1ELb0EPKdPdN6thrust23THRUST_200600_302600_NS4plusIdEEEE10hipError_tPvRmT2_T3_mT4_P12ihipStream_tbEUlmE_dEESD_NS0_8identityIvEEEESI_SL_SM_mSN_SP_bEUlT_E_NS1_11comp_targetILNS1_3genE10ELNS1_11target_archE1201ELNS1_3gpuE5ELNS1_3repE0EEENS1_30default_config_static_selectorELNS0_4arch9wavefront6targetE1EEEvT1_
	.p2align	8
	.type	_ZN7rocprim17ROCPRIM_400000_NS6detail17trampoline_kernelINS0_14default_configENS1_25transform_config_selectorIdLb0EEEZNS1_14transform_implILb0ES3_S5_NS0_18transform_iteratorINS0_17counting_iteratorImlEEZNS1_24adjacent_difference_implIS3_Lb1ELb0EPKdPdN6thrust23THRUST_200600_302600_NS4plusIdEEEE10hipError_tPvRmT2_T3_mT4_P12ihipStream_tbEUlmE_dEESD_NS0_8identityIvEEEESI_SL_SM_mSN_SP_bEUlT_E_NS1_11comp_targetILNS1_3genE10ELNS1_11target_archE1201ELNS1_3gpuE5ELNS1_3repE0EEENS1_30default_config_static_selectorELNS0_4arch9wavefront6targetE1EEEvT1_,@function
_ZN7rocprim17ROCPRIM_400000_NS6detail17trampoline_kernelINS0_14default_configENS1_25transform_config_selectorIdLb0EEEZNS1_14transform_implILb0ES3_S5_NS0_18transform_iteratorINS0_17counting_iteratorImlEEZNS1_24adjacent_difference_implIS3_Lb1ELb0EPKdPdN6thrust23THRUST_200600_302600_NS4plusIdEEEE10hipError_tPvRmT2_T3_mT4_P12ihipStream_tbEUlmE_dEESD_NS0_8identityIvEEEESI_SL_SM_mSN_SP_bEUlT_E_NS1_11comp_targetILNS1_3genE10ELNS1_11target_archE1201ELNS1_3gpuE5ELNS1_3repE0EEENS1_30default_config_static_selectorELNS0_4arch9wavefront6targetE1EEEvT1_: ; @_ZN7rocprim17ROCPRIM_400000_NS6detail17trampoline_kernelINS0_14default_configENS1_25transform_config_selectorIdLb0EEEZNS1_14transform_implILb0ES3_S5_NS0_18transform_iteratorINS0_17counting_iteratorImlEEZNS1_24adjacent_difference_implIS3_Lb1ELb0EPKdPdN6thrust23THRUST_200600_302600_NS4plusIdEEEE10hipError_tPvRmT2_T3_mT4_P12ihipStream_tbEUlmE_dEESD_NS0_8identityIvEEEESI_SL_SM_mSN_SP_bEUlT_E_NS1_11comp_targetILNS1_3genE10ELNS1_11target_archE1201ELNS1_3gpuE5ELNS1_3repE0EEENS1_30default_config_static_selectorELNS0_4arch9wavefront6targetE1EEEvT1_
; %bb.0:
	.section	.rodata,"a",@progbits
	.p2align	6, 0x0
	.amdhsa_kernel _ZN7rocprim17ROCPRIM_400000_NS6detail17trampoline_kernelINS0_14default_configENS1_25transform_config_selectorIdLb0EEEZNS1_14transform_implILb0ES3_S5_NS0_18transform_iteratorINS0_17counting_iteratorImlEEZNS1_24adjacent_difference_implIS3_Lb1ELb0EPKdPdN6thrust23THRUST_200600_302600_NS4plusIdEEEE10hipError_tPvRmT2_T3_mT4_P12ihipStream_tbEUlmE_dEESD_NS0_8identityIvEEEESI_SL_SM_mSN_SP_bEUlT_E_NS1_11comp_targetILNS1_3genE10ELNS1_11target_archE1201ELNS1_3gpuE5ELNS1_3repE0EEENS1_30default_config_static_selectorELNS0_4arch9wavefront6targetE1EEEvT1_
		.amdhsa_group_segment_fixed_size 0
		.amdhsa_private_segment_fixed_size 0
		.amdhsa_kernarg_size 56
		.amdhsa_user_sgpr_count 6
		.amdhsa_user_sgpr_private_segment_buffer 1
		.amdhsa_user_sgpr_dispatch_ptr 0
		.amdhsa_user_sgpr_queue_ptr 0
		.amdhsa_user_sgpr_kernarg_segment_ptr 1
		.amdhsa_user_sgpr_dispatch_id 0
		.amdhsa_user_sgpr_flat_scratch_init 0
		.amdhsa_user_sgpr_private_segment_size 0
		.amdhsa_uses_dynamic_stack 0
		.amdhsa_system_sgpr_private_segment_wavefront_offset 0
		.amdhsa_system_sgpr_workgroup_id_x 1
		.amdhsa_system_sgpr_workgroup_id_y 0
		.amdhsa_system_sgpr_workgroup_id_z 0
		.amdhsa_system_sgpr_workgroup_info 0
		.amdhsa_system_vgpr_workitem_id 0
		.amdhsa_next_free_vgpr 1
		.amdhsa_next_free_sgpr 0
		.amdhsa_reserve_vcc 0
		.amdhsa_reserve_flat_scratch 0
		.amdhsa_float_round_mode_32 0
		.amdhsa_float_round_mode_16_64 0
		.amdhsa_float_denorm_mode_32 3
		.amdhsa_float_denorm_mode_16_64 3
		.amdhsa_dx10_clamp 1
		.amdhsa_ieee_mode 1
		.amdhsa_fp16_overflow 0
		.amdhsa_exception_fp_ieee_invalid_op 0
		.amdhsa_exception_fp_denorm_src 0
		.amdhsa_exception_fp_ieee_div_zero 0
		.amdhsa_exception_fp_ieee_overflow 0
		.amdhsa_exception_fp_ieee_underflow 0
		.amdhsa_exception_fp_ieee_inexact 0
		.amdhsa_exception_int_div_zero 0
	.end_amdhsa_kernel
	.section	.text._ZN7rocprim17ROCPRIM_400000_NS6detail17trampoline_kernelINS0_14default_configENS1_25transform_config_selectorIdLb0EEEZNS1_14transform_implILb0ES3_S5_NS0_18transform_iteratorINS0_17counting_iteratorImlEEZNS1_24adjacent_difference_implIS3_Lb1ELb0EPKdPdN6thrust23THRUST_200600_302600_NS4plusIdEEEE10hipError_tPvRmT2_T3_mT4_P12ihipStream_tbEUlmE_dEESD_NS0_8identityIvEEEESI_SL_SM_mSN_SP_bEUlT_E_NS1_11comp_targetILNS1_3genE10ELNS1_11target_archE1201ELNS1_3gpuE5ELNS1_3repE0EEENS1_30default_config_static_selectorELNS0_4arch9wavefront6targetE1EEEvT1_,"axG",@progbits,_ZN7rocprim17ROCPRIM_400000_NS6detail17trampoline_kernelINS0_14default_configENS1_25transform_config_selectorIdLb0EEEZNS1_14transform_implILb0ES3_S5_NS0_18transform_iteratorINS0_17counting_iteratorImlEEZNS1_24adjacent_difference_implIS3_Lb1ELb0EPKdPdN6thrust23THRUST_200600_302600_NS4plusIdEEEE10hipError_tPvRmT2_T3_mT4_P12ihipStream_tbEUlmE_dEESD_NS0_8identityIvEEEESI_SL_SM_mSN_SP_bEUlT_E_NS1_11comp_targetILNS1_3genE10ELNS1_11target_archE1201ELNS1_3gpuE5ELNS1_3repE0EEENS1_30default_config_static_selectorELNS0_4arch9wavefront6targetE1EEEvT1_,comdat
.Lfunc_end586:
	.size	_ZN7rocprim17ROCPRIM_400000_NS6detail17trampoline_kernelINS0_14default_configENS1_25transform_config_selectorIdLb0EEEZNS1_14transform_implILb0ES3_S5_NS0_18transform_iteratorINS0_17counting_iteratorImlEEZNS1_24adjacent_difference_implIS3_Lb1ELb0EPKdPdN6thrust23THRUST_200600_302600_NS4plusIdEEEE10hipError_tPvRmT2_T3_mT4_P12ihipStream_tbEUlmE_dEESD_NS0_8identityIvEEEESI_SL_SM_mSN_SP_bEUlT_E_NS1_11comp_targetILNS1_3genE10ELNS1_11target_archE1201ELNS1_3gpuE5ELNS1_3repE0EEENS1_30default_config_static_selectorELNS0_4arch9wavefront6targetE1EEEvT1_, .Lfunc_end586-_ZN7rocprim17ROCPRIM_400000_NS6detail17trampoline_kernelINS0_14default_configENS1_25transform_config_selectorIdLb0EEEZNS1_14transform_implILb0ES3_S5_NS0_18transform_iteratorINS0_17counting_iteratorImlEEZNS1_24adjacent_difference_implIS3_Lb1ELb0EPKdPdN6thrust23THRUST_200600_302600_NS4plusIdEEEE10hipError_tPvRmT2_T3_mT4_P12ihipStream_tbEUlmE_dEESD_NS0_8identityIvEEEESI_SL_SM_mSN_SP_bEUlT_E_NS1_11comp_targetILNS1_3genE10ELNS1_11target_archE1201ELNS1_3gpuE5ELNS1_3repE0EEENS1_30default_config_static_selectorELNS0_4arch9wavefront6targetE1EEEvT1_
                                        ; -- End function
	.set _ZN7rocprim17ROCPRIM_400000_NS6detail17trampoline_kernelINS0_14default_configENS1_25transform_config_selectorIdLb0EEEZNS1_14transform_implILb0ES3_S5_NS0_18transform_iteratorINS0_17counting_iteratorImlEEZNS1_24adjacent_difference_implIS3_Lb1ELb0EPKdPdN6thrust23THRUST_200600_302600_NS4plusIdEEEE10hipError_tPvRmT2_T3_mT4_P12ihipStream_tbEUlmE_dEESD_NS0_8identityIvEEEESI_SL_SM_mSN_SP_bEUlT_E_NS1_11comp_targetILNS1_3genE10ELNS1_11target_archE1201ELNS1_3gpuE5ELNS1_3repE0EEENS1_30default_config_static_selectorELNS0_4arch9wavefront6targetE1EEEvT1_.num_vgpr, 0
	.set _ZN7rocprim17ROCPRIM_400000_NS6detail17trampoline_kernelINS0_14default_configENS1_25transform_config_selectorIdLb0EEEZNS1_14transform_implILb0ES3_S5_NS0_18transform_iteratorINS0_17counting_iteratorImlEEZNS1_24adjacent_difference_implIS3_Lb1ELb0EPKdPdN6thrust23THRUST_200600_302600_NS4plusIdEEEE10hipError_tPvRmT2_T3_mT4_P12ihipStream_tbEUlmE_dEESD_NS0_8identityIvEEEESI_SL_SM_mSN_SP_bEUlT_E_NS1_11comp_targetILNS1_3genE10ELNS1_11target_archE1201ELNS1_3gpuE5ELNS1_3repE0EEENS1_30default_config_static_selectorELNS0_4arch9wavefront6targetE1EEEvT1_.num_agpr, 0
	.set _ZN7rocprim17ROCPRIM_400000_NS6detail17trampoline_kernelINS0_14default_configENS1_25transform_config_selectorIdLb0EEEZNS1_14transform_implILb0ES3_S5_NS0_18transform_iteratorINS0_17counting_iteratorImlEEZNS1_24adjacent_difference_implIS3_Lb1ELb0EPKdPdN6thrust23THRUST_200600_302600_NS4plusIdEEEE10hipError_tPvRmT2_T3_mT4_P12ihipStream_tbEUlmE_dEESD_NS0_8identityIvEEEESI_SL_SM_mSN_SP_bEUlT_E_NS1_11comp_targetILNS1_3genE10ELNS1_11target_archE1201ELNS1_3gpuE5ELNS1_3repE0EEENS1_30default_config_static_selectorELNS0_4arch9wavefront6targetE1EEEvT1_.numbered_sgpr, 0
	.set _ZN7rocprim17ROCPRIM_400000_NS6detail17trampoline_kernelINS0_14default_configENS1_25transform_config_selectorIdLb0EEEZNS1_14transform_implILb0ES3_S5_NS0_18transform_iteratorINS0_17counting_iteratorImlEEZNS1_24adjacent_difference_implIS3_Lb1ELb0EPKdPdN6thrust23THRUST_200600_302600_NS4plusIdEEEE10hipError_tPvRmT2_T3_mT4_P12ihipStream_tbEUlmE_dEESD_NS0_8identityIvEEEESI_SL_SM_mSN_SP_bEUlT_E_NS1_11comp_targetILNS1_3genE10ELNS1_11target_archE1201ELNS1_3gpuE5ELNS1_3repE0EEENS1_30default_config_static_selectorELNS0_4arch9wavefront6targetE1EEEvT1_.num_named_barrier, 0
	.set _ZN7rocprim17ROCPRIM_400000_NS6detail17trampoline_kernelINS0_14default_configENS1_25transform_config_selectorIdLb0EEEZNS1_14transform_implILb0ES3_S5_NS0_18transform_iteratorINS0_17counting_iteratorImlEEZNS1_24adjacent_difference_implIS3_Lb1ELb0EPKdPdN6thrust23THRUST_200600_302600_NS4plusIdEEEE10hipError_tPvRmT2_T3_mT4_P12ihipStream_tbEUlmE_dEESD_NS0_8identityIvEEEESI_SL_SM_mSN_SP_bEUlT_E_NS1_11comp_targetILNS1_3genE10ELNS1_11target_archE1201ELNS1_3gpuE5ELNS1_3repE0EEENS1_30default_config_static_selectorELNS0_4arch9wavefront6targetE1EEEvT1_.private_seg_size, 0
	.set _ZN7rocprim17ROCPRIM_400000_NS6detail17trampoline_kernelINS0_14default_configENS1_25transform_config_selectorIdLb0EEEZNS1_14transform_implILb0ES3_S5_NS0_18transform_iteratorINS0_17counting_iteratorImlEEZNS1_24adjacent_difference_implIS3_Lb1ELb0EPKdPdN6thrust23THRUST_200600_302600_NS4plusIdEEEE10hipError_tPvRmT2_T3_mT4_P12ihipStream_tbEUlmE_dEESD_NS0_8identityIvEEEESI_SL_SM_mSN_SP_bEUlT_E_NS1_11comp_targetILNS1_3genE10ELNS1_11target_archE1201ELNS1_3gpuE5ELNS1_3repE0EEENS1_30default_config_static_selectorELNS0_4arch9wavefront6targetE1EEEvT1_.uses_vcc, 0
	.set _ZN7rocprim17ROCPRIM_400000_NS6detail17trampoline_kernelINS0_14default_configENS1_25transform_config_selectorIdLb0EEEZNS1_14transform_implILb0ES3_S5_NS0_18transform_iteratorINS0_17counting_iteratorImlEEZNS1_24adjacent_difference_implIS3_Lb1ELb0EPKdPdN6thrust23THRUST_200600_302600_NS4plusIdEEEE10hipError_tPvRmT2_T3_mT4_P12ihipStream_tbEUlmE_dEESD_NS0_8identityIvEEEESI_SL_SM_mSN_SP_bEUlT_E_NS1_11comp_targetILNS1_3genE10ELNS1_11target_archE1201ELNS1_3gpuE5ELNS1_3repE0EEENS1_30default_config_static_selectorELNS0_4arch9wavefront6targetE1EEEvT1_.uses_flat_scratch, 0
	.set _ZN7rocprim17ROCPRIM_400000_NS6detail17trampoline_kernelINS0_14default_configENS1_25transform_config_selectorIdLb0EEEZNS1_14transform_implILb0ES3_S5_NS0_18transform_iteratorINS0_17counting_iteratorImlEEZNS1_24adjacent_difference_implIS3_Lb1ELb0EPKdPdN6thrust23THRUST_200600_302600_NS4plusIdEEEE10hipError_tPvRmT2_T3_mT4_P12ihipStream_tbEUlmE_dEESD_NS0_8identityIvEEEESI_SL_SM_mSN_SP_bEUlT_E_NS1_11comp_targetILNS1_3genE10ELNS1_11target_archE1201ELNS1_3gpuE5ELNS1_3repE0EEENS1_30default_config_static_selectorELNS0_4arch9wavefront6targetE1EEEvT1_.has_dyn_sized_stack, 0
	.set _ZN7rocprim17ROCPRIM_400000_NS6detail17trampoline_kernelINS0_14default_configENS1_25transform_config_selectorIdLb0EEEZNS1_14transform_implILb0ES3_S5_NS0_18transform_iteratorINS0_17counting_iteratorImlEEZNS1_24adjacent_difference_implIS3_Lb1ELb0EPKdPdN6thrust23THRUST_200600_302600_NS4plusIdEEEE10hipError_tPvRmT2_T3_mT4_P12ihipStream_tbEUlmE_dEESD_NS0_8identityIvEEEESI_SL_SM_mSN_SP_bEUlT_E_NS1_11comp_targetILNS1_3genE10ELNS1_11target_archE1201ELNS1_3gpuE5ELNS1_3repE0EEENS1_30default_config_static_selectorELNS0_4arch9wavefront6targetE1EEEvT1_.has_recursion, 0
	.set _ZN7rocprim17ROCPRIM_400000_NS6detail17trampoline_kernelINS0_14default_configENS1_25transform_config_selectorIdLb0EEEZNS1_14transform_implILb0ES3_S5_NS0_18transform_iteratorINS0_17counting_iteratorImlEEZNS1_24adjacent_difference_implIS3_Lb1ELb0EPKdPdN6thrust23THRUST_200600_302600_NS4plusIdEEEE10hipError_tPvRmT2_T3_mT4_P12ihipStream_tbEUlmE_dEESD_NS0_8identityIvEEEESI_SL_SM_mSN_SP_bEUlT_E_NS1_11comp_targetILNS1_3genE10ELNS1_11target_archE1201ELNS1_3gpuE5ELNS1_3repE0EEENS1_30default_config_static_selectorELNS0_4arch9wavefront6targetE1EEEvT1_.has_indirect_call, 0
	.section	.AMDGPU.csdata,"",@progbits
; Kernel info:
; codeLenInByte = 0
; TotalNumSgprs: 4
; NumVgprs: 0
; ScratchSize: 0
; MemoryBound: 0
; FloatMode: 240
; IeeeMode: 1
; LDSByteSize: 0 bytes/workgroup (compile time only)
; SGPRBlocks: 0
; VGPRBlocks: 0
; NumSGPRsForWavesPerEU: 4
; NumVGPRsForWavesPerEU: 1
; Occupancy: 10
; WaveLimiterHint : 0
; COMPUTE_PGM_RSRC2:SCRATCH_EN: 0
; COMPUTE_PGM_RSRC2:USER_SGPR: 6
; COMPUTE_PGM_RSRC2:TRAP_HANDLER: 0
; COMPUTE_PGM_RSRC2:TGID_X_EN: 1
; COMPUTE_PGM_RSRC2:TGID_Y_EN: 0
; COMPUTE_PGM_RSRC2:TGID_Z_EN: 0
; COMPUTE_PGM_RSRC2:TIDIG_COMP_CNT: 0
	.section	.text._ZN7rocprim17ROCPRIM_400000_NS6detail17trampoline_kernelINS0_14default_configENS1_25transform_config_selectorIdLb0EEEZNS1_14transform_implILb0ES3_S5_NS0_18transform_iteratorINS0_17counting_iteratorImlEEZNS1_24adjacent_difference_implIS3_Lb1ELb0EPKdPdN6thrust23THRUST_200600_302600_NS4plusIdEEEE10hipError_tPvRmT2_T3_mT4_P12ihipStream_tbEUlmE_dEESD_NS0_8identityIvEEEESI_SL_SM_mSN_SP_bEUlT_E_NS1_11comp_targetILNS1_3genE10ELNS1_11target_archE1200ELNS1_3gpuE4ELNS1_3repE0EEENS1_30default_config_static_selectorELNS0_4arch9wavefront6targetE1EEEvT1_,"axG",@progbits,_ZN7rocprim17ROCPRIM_400000_NS6detail17trampoline_kernelINS0_14default_configENS1_25transform_config_selectorIdLb0EEEZNS1_14transform_implILb0ES3_S5_NS0_18transform_iteratorINS0_17counting_iteratorImlEEZNS1_24adjacent_difference_implIS3_Lb1ELb0EPKdPdN6thrust23THRUST_200600_302600_NS4plusIdEEEE10hipError_tPvRmT2_T3_mT4_P12ihipStream_tbEUlmE_dEESD_NS0_8identityIvEEEESI_SL_SM_mSN_SP_bEUlT_E_NS1_11comp_targetILNS1_3genE10ELNS1_11target_archE1200ELNS1_3gpuE4ELNS1_3repE0EEENS1_30default_config_static_selectorELNS0_4arch9wavefront6targetE1EEEvT1_,comdat
	.protected	_ZN7rocprim17ROCPRIM_400000_NS6detail17trampoline_kernelINS0_14default_configENS1_25transform_config_selectorIdLb0EEEZNS1_14transform_implILb0ES3_S5_NS0_18transform_iteratorINS0_17counting_iteratorImlEEZNS1_24adjacent_difference_implIS3_Lb1ELb0EPKdPdN6thrust23THRUST_200600_302600_NS4plusIdEEEE10hipError_tPvRmT2_T3_mT4_P12ihipStream_tbEUlmE_dEESD_NS0_8identityIvEEEESI_SL_SM_mSN_SP_bEUlT_E_NS1_11comp_targetILNS1_3genE10ELNS1_11target_archE1200ELNS1_3gpuE4ELNS1_3repE0EEENS1_30default_config_static_selectorELNS0_4arch9wavefront6targetE1EEEvT1_ ; -- Begin function _ZN7rocprim17ROCPRIM_400000_NS6detail17trampoline_kernelINS0_14default_configENS1_25transform_config_selectorIdLb0EEEZNS1_14transform_implILb0ES3_S5_NS0_18transform_iteratorINS0_17counting_iteratorImlEEZNS1_24adjacent_difference_implIS3_Lb1ELb0EPKdPdN6thrust23THRUST_200600_302600_NS4plusIdEEEE10hipError_tPvRmT2_T3_mT4_P12ihipStream_tbEUlmE_dEESD_NS0_8identityIvEEEESI_SL_SM_mSN_SP_bEUlT_E_NS1_11comp_targetILNS1_3genE10ELNS1_11target_archE1200ELNS1_3gpuE4ELNS1_3repE0EEENS1_30default_config_static_selectorELNS0_4arch9wavefront6targetE1EEEvT1_
	.globl	_ZN7rocprim17ROCPRIM_400000_NS6detail17trampoline_kernelINS0_14default_configENS1_25transform_config_selectorIdLb0EEEZNS1_14transform_implILb0ES3_S5_NS0_18transform_iteratorINS0_17counting_iteratorImlEEZNS1_24adjacent_difference_implIS3_Lb1ELb0EPKdPdN6thrust23THRUST_200600_302600_NS4plusIdEEEE10hipError_tPvRmT2_T3_mT4_P12ihipStream_tbEUlmE_dEESD_NS0_8identityIvEEEESI_SL_SM_mSN_SP_bEUlT_E_NS1_11comp_targetILNS1_3genE10ELNS1_11target_archE1200ELNS1_3gpuE4ELNS1_3repE0EEENS1_30default_config_static_selectorELNS0_4arch9wavefront6targetE1EEEvT1_
	.p2align	8
	.type	_ZN7rocprim17ROCPRIM_400000_NS6detail17trampoline_kernelINS0_14default_configENS1_25transform_config_selectorIdLb0EEEZNS1_14transform_implILb0ES3_S5_NS0_18transform_iteratorINS0_17counting_iteratorImlEEZNS1_24adjacent_difference_implIS3_Lb1ELb0EPKdPdN6thrust23THRUST_200600_302600_NS4plusIdEEEE10hipError_tPvRmT2_T3_mT4_P12ihipStream_tbEUlmE_dEESD_NS0_8identityIvEEEESI_SL_SM_mSN_SP_bEUlT_E_NS1_11comp_targetILNS1_3genE10ELNS1_11target_archE1200ELNS1_3gpuE4ELNS1_3repE0EEENS1_30default_config_static_selectorELNS0_4arch9wavefront6targetE1EEEvT1_,@function
_ZN7rocprim17ROCPRIM_400000_NS6detail17trampoline_kernelINS0_14default_configENS1_25transform_config_selectorIdLb0EEEZNS1_14transform_implILb0ES3_S5_NS0_18transform_iteratorINS0_17counting_iteratorImlEEZNS1_24adjacent_difference_implIS3_Lb1ELb0EPKdPdN6thrust23THRUST_200600_302600_NS4plusIdEEEE10hipError_tPvRmT2_T3_mT4_P12ihipStream_tbEUlmE_dEESD_NS0_8identityIvEEEESI_SL_SM_mSN_SP_bEUlT_E_NS1_11comp_targetILNS1_3genE10ELNS1_11target_archE1200ELNS1_3gpuE4ELNS1_3repE0EEENS1_30default_config_static_selectorELNS0_4arch9wavefront6targetE1EEEvT1_: ; @_ZN7rocprim17ROCPRIM_400000_NS6detail17trampoline_kernelINS0_14default_configENS1_25transform_config_selectorIdLb0EEEZNS1_14transform_implILb0ES3_S5_NS0_18transform_iteratorINS0_17counting_iteratorImlEEZNS1_24adjacent_difference_implIS3_Lb1ELb0EPKdPdN6thrust23THRUST_200600_302600_NS4plusIdEEEE10hipError_tPvRmT2_T3_mT4_P12ihipStream_tbEUlmE_dEESD_NS0_8identityIvEEEESI_SL_SM_mSN_SP_bEUlT_E_NS1_11comp_targetILNS1_3genE10ELNS1_11target_archE1200ELNS1_3gpuE4ELNS1_3repE0EEENS1_30default_config_static_selectorELNS0_4arch9wavefront6targetE1EEEvT1_
; %bb.0:
	.section	.rodata,"a",@progbits
	.p2align	6, 0x0
	.amdhsa_kernel _ZN7rocprim17ROCPRIM_400000_NS6detail17trampoline_kernelINS0_14default_configENS1_25transform_config_selectorIdLb0EEEZNS1_14transform_implILb0ES3_S5_NS0_18transform_iteratorINS0_17counting_iteratorImlEEZNS1_24adjacent_difference_implIS3_Lb1ELb0EPKdPdN6thrust23THRUST_200600_302600_NS4plusIdEEEE10hipError_tPvRmT2_T3_mT4_P12ihipStream_tbEUlmE_dEESD_NS0_8identityIvEEEESI_SL_SM_mSN_SP_bEUlT_E_NS1_11comp_targetILNS1_3genE10ELNS1_11target_archE1200ELNS1_3gpuE4ELNS1_3repE0EEENS1_30default_config_static_selectorELNS0_4arch9wavefront6targetE1EEEvT1_
		.amdhsa_group_segment_fixed_size 0
		.amdhsa_private_segment_fixed_size 0
		.amdhsa_kernarg_size 56
		.amdhsa_user_sgpr_count 6
		.amdhsa_user_sgpr_private_segment_buffer 1
		.amdhsa_user_sgpr_dispatch_ptr 0
		.amdhsa_user_sgpr_queue_ptr 0
		.amdhsa_user_sgpr_kernarg_segment_ptr 1
		.amdhsa_user_sgpr_dispatch_id 0
		.amdhsa_user_sgpr_flat_scratch_init 0
		.amdhsa_user_sgpr_private_segment_size 0
		.amdhsa_uses_dynamic_stack 0
		.amdhsa_system_sgpr_private_segment_wavefront_offset 0
		.amdhsa_system_sgpr_workgroup_id_x 1
		.amdhsa_system_sgpr_workgroup_id_y 0
		.amdhsa_system_sgpr_workgroup_id_z 0
		.amdhsa_system_sgpr_workgroup_info 0
		.amdhsa_system_vgpr_workitem_id 0
		.amdhsa_next_free_vgpr 1
		.amdhsa_next_free_sgpr 0
		.amdhsa_reserve_vcc 0
		.amdhsa_reserve_flat_scratch 0
		.amdhsa_float_round_mode_32 0
		.amdhsa_float_round_mode_16_64 0
		.amdhsa_float_denorm_mode_32 3
		.amdhsa_float_denorm_mode_16_64 3
		.amdhsa_dx10_clamp 1
		.amdhsa_ieee_mode 1
		.amdhsa_fp16_overflow 0
		.amdhsa_exception_fp_ieee_invalid_op 0
		.amdhsa_exception_fp_denorm_src 0
		.amdhsa_exception_fp_ieee_div_zero 0
		.amdhsa_exception_fp_ieee_overflow 0
		.amdhsa_exception_fp_ieee_underflow 0
		.amdhsa_exception_fp_ieee_inexact 0
		.amdhsa_exception_int_div_zero 0
	.end_amdhsa_kernel
	.section	.text._ZN7rocprim17ROCPRIM_400000_NS6detail17trampoline_kernelINS0_14default_configENS1_25transform_config_selectorIdLb0EEEZNS1_14transform_implILb0ES3_S5_NS0_18transform_iteratorINS0_17counting_iteratorImlEEZNS1_24adjacent_difference_implIS3_Lb1ELb0EPKdPdN6thrust23THRUST_200600_302600_NS4plusIdEEEE10hipError_tPvRmT2_T3_mT4_P12ihipStream_tbEUlmE_dEESD_NS0_8identityIvEEEESI_SL_SM_mSN_SP_bEUlT_E_NS1_11comp_targetILNS1_3genE10ELNS1_11target_archE1200ELNS1_3gpuE4ELNS1_3repE0EEENS1_30default_config_static_selectorELNS0_4arch9wavefront6targetE1EEEvT1_,"axG",@progbits,_ZN7rocprim17ROCPRIM_400000_NS6detail17trampoline_kernelINS0_14default_configENS1_25transform_config_selectorIdLb0EEEZNS1_14transform_implILb0ES3_S5_NS0_18transform_iteratorINS0_17counting_iteratorImlEEZNS1_24adjacent_difference_implIS3_Lb1ELb0EPKdPdN6thrust23THRUST_200600_302600_NS4plusIdEEEE10hipError_tPvRmT2_T3_mT4_P12ihipStream_tbEUlmE_dEESD_NS0_8identityIvEEEESI_SL_SM_mSN_SP_bEUlT_E_NS1_11comp_targetILNS1_3genE10ELNS1_11target_archE1200ELNS1_3gpuE4ELNS1_3repE0EEENS1_30default_config_static_selectorELNS0_4arch9wavefront6targetE1EEEvT1_,comdat
.Lfunc_end587:
	.size	_ZN7rocprim17ROCPRIM_400000_NS6detail17trampoline_kernelINS0_14default_configENS1_25transform_config_selectorIdLb0EEEZNS1_14transform_implILb0ES3_S5_NS0_18transform_iteratorINS0_17counting_iteratorImlEEZNS1_24adjacent_difference_implIS3_Lb1ELb0EPKdPdN6thrust23THRUST_200600_302600_NS4plusIdEEEE10hipError_tPvRmT2_T3_mT4_P12ihipStream_tbEUlmE_dEESD_NS0_8identityIvEEEESI_SL_SM_mSN_SP_bEUlT_E_NS1_11comp_targetILNS1_3genE10ELNS1_11target_archE1200ELNS1_3gpuE4ELNS1_3repE0EEENS1_30default_config_static_selectorELNS0_4arch9wavefront6targetE1EEEvT1_, .Lfunc_end587-_ZN7rocprim17ROCPRIM_400000_NS6detail17trampoline_kernelINS0_14default_configENS1_25transform_config_selectorIdLb0EEEZNS1_14transform_implILb0ES3_S5_NS0_18transform_iteratorINS0_17counting_iteratorImlEEZNS1_24adjacent_difference_implIS3_Lb1ELb0EPKdPdN6thrust23THRUST_200600_302600_NS4plusIdEEEE10hipError_tPvRmT2_T3_mT4_P12ihipStream_tbEUlmE_dEESD_NS0_8identityIvEEEESI_SL_SM_mSN_SP_bEUlT_E_NS1_11comp_targetILNS1_3genE10ELNS1_11target_archE1200ELNS1_3gpuE4ELNS1_3repE0EEENS1_30default_config_static_selectorELNS0_4arch9wavefront6targetE1EEEvT1_
                                        ; -- End function
	.set _ZN7rocprim17ROCPRIM_400000_NS6detail17trampoline_kernelINS0_14default_configENS1_25transform_config_selectorIdLb0EEEZNS1_14transform_implILb0ES3_S5_NS0_18transform_iteratorINS0_17counting_iteratorImlEEZNS1_24adjacent_difference_implIS3_Lb1ELb0EPKdPdN6thrust23THRUST_200600_302600_NS4plusIdEEEE10hipError_tPvRmT2_T3_mT4_P12ihipStream_tbEUlmE_dEESD_NS0_8identityIvEEEESI_SL_SM_mSN_SP_bEUlT_E_NS1_11comp_targetILNS1_3genE10ELNS1_11target_archE1200ELNS1_3gpuE4ELNS1_3repE0EEENS1_30default_config_static_selectorELNS0_4arch9wavefront6targetE1EEEvT1_.num_vgpr, 0
	.set _ZN7rocprim17ROCPRIM_400000_NS6detail17trampoline_kernelINS0_14default_configENS1_25transform_config_selectorIdLb0EEEZNS1_14transform_implILb0ES3_S5_NS0_18transform_iteratorINS0_17counting_iteratorImlEEZNS1_24adjacent_difference_implIS3_Lb1ELb0EPKdPdN6thrust23THRUST_200600_302600_NS4plusIdEEEE10hipError_tPvRmT2_T3_mT4_P12ihipStream_tbEUlmE_dEESD_NS0_8identityIvEEEESI_SL_SM_mSN_SP_bEUlT_E_NS1_11comp_targetILNS1_3genE10ELNS1_11target_archE1200ELNS1_3gpuE4ELNS1_3repE0EEENS1_30default_config_static_selectorELNS0_4arch9wavefront6targetE1EEEvT1_.num_agpr, 0
	.set _ZN7rocprim17ROCPRIM_400000_NS6detail17trampoline_kernelINS0_14default_configENS1_25transform_config_selectorIdLb0EEEZNS1_14transform_implILb0ES3_S5_NS0_18transform_iteratorINS0_17counting_iteratorImlEEZNS1_24adjacent_difference_implIS3_Lb1ELb0EPKdPdN6thrust23THRUST_200600_302600_NS4plusIdEEEE10hipError_tPvRmT2_T3_mT4_P12ihipStream_tbEUlmE_dEESD_NS0_8identityIvEEEESI_SL_SM_mSN_SP_bEUlT_E_NS1_11comp_targetILNS1_3genE10ELNS1_11target_archE1200ELNS1_3gpuE4ELNS1_3repE0EEENS1_30default_config_static_selectorELNS0_4arch9wavefront6targetE1EEEvT1_.numbered_sgpr, 0
	.set _ZN7rocprim17ROCPRIM_400000_NS6detail17trampoline_kernelINS0_14default_configENS1_25transform_config_selectorIdLb0EEEZNS1_14transform_implILb0ES3_S5_NS0_18transform_iteratorINS0_17counting_iteratorImlEEZNS1_24adjacent_difference_implIS3_Lb1ELb0EPKdPdN6thrust23THRUST_200600_302600_NS4plusIdEEEE10hipError_tPvRmT2_T3_mT4_P12ihipStream_tbEUlmE_dEESD_NS0_8identityIvEEEESI_SL_SM_mSN_SP_bEUlT_E_NS1_11comp_targetILNS1_3genE10ELNS1_11target_archE1200ELNS1_3gpuE4ELNS1_3repE0EEENS1_30default_config_static_selectorELNS0_4arch9wavefront6targetE1EEEvT1_.num_named_barrier, 0
	.set _ZN7rocprim17ROCPRIM_400000_NS6detail17trampoline_kernelINS0_14default_configENS1_25transform_config_selectorIdLb0EEEZNS1_14transform_implILb0ES3_S5_NS0_18transform_iteratorINS0_17counting_iteratorImlEEZNS1_24adjacent_difference_implIS3_Lb1ELb0EPKdPdN6thrust23THRUST_200600_302600_NS4plusIdEEEE10hipError_tPvRmT2_T3_mT4_P12ihipStream_tbEUlmE_dEESD_NS0_8identityIvEEEESI_SL_SM_mSN_SP_bEUlT_E_NS1_11comp_targetILNS1_3genE10ELNS1_11target_archE1200ELNS1_3gpuE4ELNS1_3repE0EEENS1_30default_config_static_selectorELNS0_4arch9wavefront6targetE1EEEvT1_.private_seg_size, 0
	.set _ZN7rocprim17ROCPRIM_400000_NS6detail17trampoline_kernelINS0_14default_configENS1_25transform_config_selectorIdLb0EEEZNS1_14transform_implILb0ES3_S5_NS0_18transform_iteratorINS0_17counting_iteratorImlEEZNS1_24adjacent_difference_implIS3_Lb1ELb0EPKdPdN6thrust23THRUST_200600_302600_NS4plusIdEEEE10hipError_tPvRmT2_T3_mT4_P12ihipStream_tbEUlmE_dEESD_NS0_8identityIvEEEESI_SL_SM_mSN_SP_bEUlT_E_NS1_11comp_targetILNS1_3genE10ELNS1_11target_archE1200ELNS1_3gpuE4ELNS1_3repE0EEENS1_30default_config_static_selectorELNS0_4arch9wavefront6targetE1EEEvT1_.uses_vcc, 0
	.set _ZN7rocprim17ROCPRIM_400000_NS6detail17trampoline_kernelINS0_14default_configENS1_25transform_config_selectorIdLb0EEEZNS1_14transform_implILb0ES3_S5_NS0_18transform_iteratorINS0_17counting_iteratorImlEEZNS1_24adjacent_difference_implIS3_Lb1ELb0EPKdPdN6thrust23THRUST_200600_302600_NS4plusIdEEEE10hipError_tPvRmT2_T3_mT4_P12ihipStream_tbEUlmE_dEESD_NS0_8identityIvEEEESI_SL_SM_mSN_SP_bEUlT_E_NS1_11comp_targetILNS1_3genE10ELNS1_11target_archE1200ELNS1_3gpuE4ELNS1_3repE0EEENS1_30default_config_static_selectorELNS0_4arch9wavefront6targetE1EEEvT1_.uses_flat_scratch, 0
	.set _ZN7rocprim17ROCPRIM_400000_NS6detail17trampoline_kernelINS0_14default_configENS1_25transform_config_selectorIdLb0EEEZNS1_14transform_implILb0ES3_S5_NS0_18transform_iteratorINS0_17counting_iteratorImlEEZNS1_24adjacent_difference_implIS3_Lb1ELb0EPKdPdN6thrust23THRUST_200600_302600_NS4plusIdEEEE10hipError_tPvRmT2_T3_mT4_P12ihipStream_tbEUlmE_dEESD_NS0_8identityIvEEEESI_SL_SM_mSN_SP_bEUlT_E_NS1_11comp_targetILNS1_3genE10ELNS1_11target_archE1200ELNS1_3gpuE4ELNS1_3repE0EEENS1_30default_config_static_selectorELNS0_4arch9wavefront6targetE1EEEvT1_.has_dyn_sized_stack, 0
	.set _ZN7rocprim17ROCPRIM_400000_NS6detail17trampoline_kernelINS0_14default_configENS1_25transform_config_selectorIdLb0EEEZNS1_14transform_implILb0ES3_S5_NS0_18transform_iteratorINS0_17counting_iteratorImlEEZNS1_24adjacent_difference_implIS3_Lb1ELb0EPKdPdN6thrust23THRUST_200600_302600_NS4plusIdEEEE10hipError_tPvRmT2_T3_mT4_P12ihipStream_tbEUlmE_dEESD_NS0_8identityIvEEEESI_SL_SM_mSN_SP_bEUlT_E_NS1_11comp_targetILNS1_3genE10ELNS1_11target_archE1200ELNS1_3gpuE4ELNS1_3repE0EEENS1_30default_config_static_selectorELNS0_4arch9wavefront6targetE1EEEvT1_.has_recursion, 0
	.set _ZN7rocprim17ROCPRIM_400000_NS6detail17trampoline_kernelINS0_14default_configENS1_25transform_config_selectorIdLb0EEEZNS1_14transform_implILb0ES3_S5_NS0_18transform_iteratorINS0_17counting_iteratorImlEEZNS1_24adjacent_difference_implIS3_Lb1ELb0EPKdPdN6thrust23THRUST_200600_302600_NS4plusIdEEEE10hipError_tPvRmT2_T3_mT4_P12ihipStream_tbEUlmE_dEESD_NS0_8identityIvEEEESI_SL_SM_mSN_SP_bEUlT_E_NS1_11comp_targetILNS1_3genE10ELNS1_11target_archE1200ELNS1_3gpuE4ELNS1_3repE0EEENS1_30default_config_static_selectorELNS0_4arch9wavefront6targetE1EEEvT1_.has_indirect_call, 0
	.section	.AMDGPU.csdata,"",@progbits
; Kernel info:
; codeLenInByte = 0
; TotalNumSgprs: 4
; NumVgprs: 0
; ScratchSize: 0
; MemoryBound: 0
; FloatMode: 240
; IeeeMode: 1
; LDSByteSize: 0 bytes/workgroup (compile time only)
; SGPRBlocks: 0
; VGPRBlocks: 0
; NumSGPRsForWavesPerEU: 4
; NumVGPRsForWavesPerEU: 1
; Occupancy: 10
; WaveLimiterHint : 0
; COMPUTE_PGM_RSRC2:SCRATCH_EN: 0
; COMPUTE_PGM_RSRC2:USER_SGPR: 6
; COMPUTE_PGM_RSRC2:TRAP_HANDLER: 0
; COMPUTE_PGM_RSRC2:TGID_X_EN: 1
; COMPUTE_PGM_RSRC2:TGID_Y_EN: 0
; COMPUTE_PGM_RSRC2:TGID_Z_EN: 0
; COMPUTE_PGM_RSRC2:TIDIG_COMP_CNT: 0
	.section	.text._ZN7rocprim17ROCPRIM_400000_NS6detail17trampoline_kernelINS0_14default_configENS1_25transform_config_selectorIdLb0EEEZNS1_14transform_implILb0ES3_S5_NS0_18transform_iteratorINS0_17counting_iteratorImlEEZNS1_24adjacent_difference_implIS3_Lb1ELb0EPKdPdN6thrust23THRUST_200600_302600_NS4plusIdEEEE10hipError_tPvRmT2_T3_mT4_P12ihipStream_tbEUlmE_dEESD_NS0_8identityIvEEEESI_SL_SM_mSN_SP_bEUlT_E_NS1_11comp_targetILNS1_3genE9ELNS1_11target_archE1100ELNS1_3gpuE3ELNS1_3repE0EEENS1_30default_config_static_selectorELNS0_4arch9wavefront6targetE1EEEvT1_,"axG",@progbits,_ZN7rocprim17ROCPRIM_400000_NS6detail17trampoline_kernelINS0_14default_configENS1_25transform_config_selectorIdLb0EEEZNS1_14transform_implILb0ES3_S5_NS0_18transform_iteratorINS0_17counting_iteratorImlEEZNS1_24adjacent_difference_implIS3_Lb1ELb0EPKdPdN6thrust23THRUST_200600_302600_NS4plusIdEEEE10hipError_tPvRmT2_T3_mT4_P12ihipStream_tbEUlmE_dEESD_NS0_8identityIvEEEESI_SL_SM_mSN_SP_bEUlT_E_NS1_11comp_targetILNS1_3genE9ELNS1_11target_archE1100ELNS1_3gpuE3ELNS1_3repE0EEENS1_30default_config_static_selectorELNS0_4arch9wavefront6targetE1EEEvT1_,comdat
	.protected	_ZN7rocprim17ROCPRIM_400000_NS6detail17trampoline_kernelINS0_14default_configENS1_25transform_config_selectorIdLb0EEEZNS1_14transform_implILb0ES3_S5_NS0_18transform_iteratorINS0_17counting_iteratorImlEEZNS1_24adjacent_difference_implIS3_Lb1ELb0EPKdPdN6thrust23THRUST_200600_302600_NS4plusIdEEEE10hipError_tPvRmT2_T3_mT4_P12ihipStream_tbEUlmE_dEESD_NS0_8identityIvEEEESI_SL_SM_mSN_SP_bEUlT_E_NS1_11comp_targetILNS1_3genE9ELNS1_11target_archE1100ELNS1_3gpuE3ELNS1_3repE0EEENS1_30default_config_static_selectorELNS0_4arch9wavefront6targetE1EEEvT1_ ; -- Begin function _ZN7rocprim17ROCPRIM_400000_NS6detail17trampoline_kernelINS0_14default_configENS1_25transform_config_selectorIdLb0EEEZNS1_14transform_implILb0ES3_S5_NS0_18transform_iteratorINS0_17counting_iteratorImlEEZNS1_24adjacent_difference_implIS3_Lb1ELb0EPKdPdN6thrust23THRUST_200600_302600_NS4plusIdEEEE10hipError_tPvRmT2_T3_mT4_P12ihipStream_tbEUlmE_dEESD_NS0_8identityIvEEEESI_SL_SM_mSN_SP_bEUlT_E_NS1_11comp_targetILNS1_3genE9ELNS1_11target_archE1100ELNS1_3gpuE3ELNS1_3repE0EEENS1_30default_config_static_selectorELNS0_4arch9wavefront6targetE1EEEvT1_
	.globl	_ZN7rocprim17ROCPRIM_400000_NS6detail17trampoline_kernelINS0_14default_configENS1_25transform_config_selectorIdLb0EEEZNS1_14transform_implILb0ES3_S5_NS0_18transform_iteratorINS0_17counting_iteratorImlEEZNS1_24adjacent_difference_implIS3_Lb1ELb0EPKdPdN6thrust23THRUST_200600_302600_NS4plusIdEEEE10hipError_tPvRmT2_T3_mT4_P12ihipStream_tbEUlmE_dEESD_NS0_8identityIvEEEESI_SL_SM_mSN_SP_bEUlT_E_NS1_11comp_targetILNS1_3genE9ELNS1_11target_archE1100ELNS1_3gpuE3ELNS1_3repE0EEENS1_30default_config_static_selectorELNS0_4arch9wavefront6targetE1EEEvT1_
	.p2align	8
	.type	_ZN7rocprim17ROCPRIM_400000_NS6detail17trampoline_kernelINS0_14default_configENS1_25transform_config_selectorIdLb0EEEZNS1_14transform_implILb0ES3_S5_NS0_18transform_iteratorINS0_17counting_iteratorImlEEZNS1_24adjacent_difference_implIS3_Lb1ELb0EPKdPdN6thrust23THRUST_200600_302600_NS4plusIdEEEE10hipError_tPvRmT2_T3_mT4_P12ihipStream_tbEUlmE_dEESD_NS0_8identityIvEEEESI_SL_SM_mSN_SP_bEUlT_E_NS1_11comp_targetILNS1_3genE9ELNS1_11target_archE1100ELNS1_3gpuE3ELNS1_3repE0EEENS1_30default_config_static_selectorELNS0_4arch9wavefront6targetE1EEEvT1_,@function
_ZN7rocprim17ROCPRIM_400000_NS6detail17trampoline_kernelINS0_14default_configENS1_25transform_config_selectorIdLb0EEEZNS1_14transform_implILb0ES3_S5_NS0_18transform_iteratorINS0_17counting_iteratorImlEEZNS1_24adjacent_difference_implIS3_Lb1ELb0EPKdPdN6thrust23THRUST_200600_302600_NS4plusIdEEEE10hipError_tPvRmT2_T3_mT4_P12ihipStream_tbEUlmE_dEESD_NS0_8identityIvEEEESI_SL_SM_mSN_SP_bEUlT_E_NS1_11comp_targetILNS1_3genE9ELNS1_11target_archE1100ELNS1_3gpuE3ELNS1_3repE0EEENS1_30default_config_static_selectorELNS0_4arch9wavefront6targetE1EEEvT1_: ; @_ZN7rocprim17ROCPRIM_400000_NS6detail17trampoline_kernelINS0_14default_configENS1_25transform_config_selectorIdLb0EEEZNS1_14transform_implILb0ES3_S5_NS0_18transform_iteratorINS0_17counting_iteratorImlEEZNS1_24adjacent_difference_implIS3_Lb1ELb0EPKdPdN6thrust23THRUST_200600_302600_NS4plusIdEEEE10hipError_tPvRmT2_T3_mT4_P12ihipStream_tbEUlmE_dEESD_NS0_8identityIvEEEESI_SL_SM_mSN_SP_bEUlT_E_NS1_11comp_targetILNS1_3genE9ELNS1_11target_archE1100ELNS1_3gpuE3ELNS1_3repE0EEENS1_30default_config_static_selectorELNS0_4arch9wavefront6targetE1EEEvT1_
; %bb.0:
	.section	.rodata,"a",@progbits
	.p2align	6, 0x0
	.amdhsa_kernel _ZN7rocprim17ROCPRIM_400000_NS6detail17trampoline_kernelINS0_14default_configENS1_25transform_config_selectorIdLb0EEEZNS1_14transform_implILb0ES3_S5_NS0_18transform_iteratorINS0_17counting_iteratorImlEEZNS1_24adjacent_difference_implIS3_Lb1ELb0EPKdPdN6thrust23THRUST_200600_302600_NS4plusIdEEEE10hipError_tPvRmT2_T3_mT4_P12ihipStream_tbEUlmE_dEESD_NS0_8identityIvEEEESI_SL_SM_mSN_SP_bEUlT_E_NS1_11comp_targetILNS1_3genE9ELNS1_11target_archE1100ELNS1_3gpuE3ELNS1_3repE0EEENS1_30default_config_static_selectorELNS0_4arch9wavefront6targetE1EEEvT1_
		.amdhsa_group_segment_fixed_size 0
		.amdhsa_private_segment_fixed_size 0
		.amdhsa_kernarg_size 56
		.amdhsa_user_sgpr_count 6
		.amdhsa_user_sgpr_private_segment_buffer 1
		.amdhsa_user_sgpr_dispatch_ptr 0
		.amdhsa_user_sgpr_queue_ptr 0
		.amdhsa_user_sgpr_kernarg_segment_ptr 1
		.amdhsa_user_sgpr_dispatch_id 0
		.amdhsa_user_sgpr_flat_scratch_init 0
		.amdhsa_user_sgpr_private_segment_size 0
		.amdhsa_uses_dynamic_stack 0
		.amdhsa_system_sgpr_private_segment_wavefront_offset 0
		.amdhsa_system_sgpr_workgroup_id_x 1
		.amdhsa_system_sgpr_workgroup_id_y 0
		.amdhsa_system_sgpr_workgroup_id_z 0
		.amdhsa_system_sgpr_workgroup_info 0
		.amdhsa_system_vgpr_workitem_id 0
		.amdhsa_next_free_vgpr 1
		.amdhsa_next_free_sgpr 0
		.amdhsa_reserve_vcc 0
		.amdhsa_reserve_flat_scratch 0
		.amdhsa_float_round_mode_32 0
		.amdhsa_float_round_mode_16_64 0
		.amdhsa_float_denorm_mode_32 3
		.amdhsa_float_denorm_mode_16_64 3
		.amdhsa_dx10_clamp 1
		.amdhsa_ieee_mode 1
		.amdhsa_fp16_overflow 0
		.amdhsa_exception_fp_ieee_invalid_op 0
		.amdhsa_exception_fp_denorm_src 0
		.amdhsa_exception_fp_ieee_div_zero 0
		.amdhsa_exception_fp_ieee_overflow 0
		.amdhsa_exception_fp_ieee_underflow 0
		.amdhsa_exception_fp_ieee_inexact 0
		.amdhsa_exception_int_div_zero 0
	.end_amdhsa_kernel
	.section	.text._ZN7rocprim17ROCPRIM_400000_NS6detail17trampoline_kernelINS0_14default_configENS1_25transform_config_selectorIdLb0EEEZNS1_14transform_implILb0ES3_S5_NS0_18transform_iteratorINS0_17counting_iteratorImlEEZNS1_24adjacent_difference_implIS3_Lb1ELb0EPKdPdN6thrust23THRUST_200600_302600_NS4plusIdEEEE10hipError_tPvRmT2_T3_mT4_P12ihipStream_tbEUlmE_dEESD_NS0_8identityIvEEEESI_SL_SM_mSN_SP_bEUlT_E_NS1_11comp_targetILNS1_3genE9ELNS1_11target_archE1100ELNS1_3gpuE3ELNS1_3repE0EEENS1_30default_config_static_selectorELNS0_4arch9wavefront6targetE1EEEvT1_,"axG",@progbits,_ZN7rocprim17ROCPRIM_400000_NS6detail17trampoline_kernelINS0_14default_configENS1_25transform_config_selectorIdLb0EEEZNS1_14transform_implILb0ES3_S5_NS0_18transform_iteratorINS0_17counting_iteratorImlEEZNS1_24adjacent_difference_implIS3_Lb1ELb0EPKdPdN6thrust23THRUST_200600_302600_NS4plusIdEEEE10hipError_tPvRmT2_T3_mT4_P12ihipStream_tbEUlmE_dEESD_NS0_8identityIvEEEESI_SL_SM_mSN_SP_bEUlT_E_NS1_11comp_targetILNS1_3genE9ELNS1_11target_archE1100ELNS1_3gpuE3ELNS1_3repE0EEENS1_30default_config_static_selectorELNS0_4arch9wavefront6targetE1EEEvT1_,comdat
.Lfunc_end588:
	.size	_ZN7rocprim17ROCPRIM_400000_NS6detail17trampoline_kernelINS0_14default_configENS1_25transform_config_selectorIdLb0EEEZNS1_14transform_implILb0ES3_S5_NS0_18transform_iteratorINS0_17counting_iteratorImlEEZNS1_24adjacent_difference_implIS3_Lb1ELb0EPKdPdN6thrust23THRUST_200600_302600_NS4plusIdEEEE10hipError_tPvRmT2_T3_mT4_P12ihipStream_tbEUlmE_dEESD_NS0_8identityIvEEEESI_SL_SM_mSN_SP_bEUlT_E_NS1_11comp_targetILNS1_3genE9ELNS1_11target_archE1100ELNS1_3gpuE3ELNS1_3repE0EEENS1_30default_config_static_selectorELNS0_4arch9wavefront6targetE1EEEvT1_, .Lfunc_end588-_ZN7rocprim17ROCPRIM_400000_NS6detail17trampoline_kernelINS0_14default_configENS1_25transform_config_selectorIdLb0EEEZNS1_14transform_implILb0ES3_S5_NS0_18transform_iteratorINS0_17counting_iteratorImlEEZNS1_24adjacent_difference_implIS3_Lb1ELb0EPKdPdN6thrust23THRUST_200600_302600_NS4plusIdEEEE10hipError_tPvRmT2_T3_mT4_P12ihipStream_tbEUlmE_dEESD_NS0_8identityIvEEEESI_SL_SM_mSN_SP_bEUlT_E_NS1_11comp_targetILNS1_3genE9ELNS1_11target_archE1100ELNS1_3gpuE3ELNS1_3repE0EEENS1_30default_config_static_selectorELNS0_4arch9wavefront6targetE1EEEvT1_
                                        ; -- End function
	.set _ZN7rocprim17ROCPRIM_400000_NS6detail17trampoline_kernelINS0_14default_configENS1_25transform_config_selectorIdLb0EEEZNS1_14transform_implILb0ES3_S5_NS0_18transform_iteratorINS0_17counting_iteratorImlEEZNS1_24adjacent_difference_implIS3_Lb1ELb0EPKdPdN6thrust23THRUST_200600_302600_NS4plusIdEEEE10hipError_tPvRmT2_T3_mT4_P12ihipStream_tbEUlmE_dEESD_NS0_8identityIvEEEESI_SL_SM_mSN_SP_bEUlT_E_NS1_11comp_targetILNS1_3genE9ELNS1_11target_archE1100ELNS1_3gpuE3ELNS1_3repE0EEENS1_30default_config_static_selectorELNS0_4arch9wavefront6targetE1EEEvT1_.num_vgpr, 0
	.set _ZN7rocprim17ROCPRIM_400000_NS6detail17trampoline_kernelINS0_14default_configENS1_25transform_config_selectorIdLb0EEEZNS1_14transform_implILb0ES3_S5_NS0_18transform_iteratorINS0_17counting_iteratorImlEEZNS1_24adjacent_difference_implIS3_Lb1ELb0EPKdPdN6thrust23THRUST_200600_302600_NS4plusIdEEEE10hipError_tPvRmT2_T3_mT4_P12ihipStream_tbEUlmE_dEESD_NS0_8identityIvEEEESI_SL_SM_mSN_SP_bEUlT_E_NS1_11comp_targetILNS1_3genE9ELNS1_11target_archE1100ELNS1_3gpuE3ELNS1_3repE0EEENS1_30default_config_static_selectorELNS0_4arch9wavefront6targetE1EEEvT1_.num_agpr, 0
	.set _ZN7rocprim17ROCPRIM_400000_NS6detail17trampoline_kernelINS0_14default_configENS1_25transform_config_selectorIdLb0EEEZNS1_14transform_implILb0ES3_S5_NS0_18transform_iteratorINS0_17counting_iteratorImlEEZNS1_24adjacent_difference_implIS3_Lb1ELb0EPKdPdN6thrust23THRUST_200600_302600_NS4plusIdEEEE10hipError_tPvRmT2_T3_mT4_P12ihipStream_tbEUlmE_dEESD_NS0_8identityIvEEEESI_SL_SM_mSN_SP_bEUlT_E_NS1_11comp_targetILNS1_3genE9ELNS1_11target_archE1100ELNS1_3gpuE3ELNS1_3repE0EEENS1_30default_config_static_selectorELNS0_4arch9wavefront6targetE1EEEvT1_.numbered_sgpr, 0
	.set _ZN7rocprim17ROCPRIM_400000_NS6detail17trampoline_kernelINS0_14default_configENS1_25transform_config_selectorIdLb0EEEZNS1_14transform_implILb0ES3_S5_NS0_18transform_iteratorINS0_17counting_iteratorImlEEZNS1_24adjacent_difference_implIS3_Lb1ELb0EPKdPdN6thrust23THRUST_200600_302600_NS4plusIdEEEE10hipError_tPvRmT2_T3_mT4_P12ihipStream_tbEUlmE_dEESD_NS0_8identityIvEEEESI_SL_SM_mSN_SP_bEUlT_E_NS1_11comp_targetILNS1_3genE9ELNS1_11target_archE1100ELNS1_3gpuE3ELNS1_3repE0EEENS1_30default_config_static_selectorELNS0_4arch9wavefront6targetE1EEEvT1_.num_named_barrier, 0
	.set _ZN7rocprim17ROCPRIM_400000_NS6detail17trampoline_kernelINS0_14default_configENS1_25transform_config_selectorIdLb0EEEZNS1_14transform_implILb0ES3_S5_NS0_18transform_iteratorINS0_17counting_iteratorImlEEZNS1_24adjacent_difference_implIS3_Lb1ELb0EPKdPdN6thrust23THRUST_200600_302600_NS4plusIdEEEE10hipError_tPvRmT2_T3_mT4_P12ihipStream_tbEUlmE_dEESD_NS0_8identityIvEEEESI_SL_SM_mSN_SP_bEUlT_E_NS1_11comp_targetILNS1_3genE9ELNS1_11target_archE1100ELNS1_3gpuE3ELNS1_3repE0EEENS1_30default_config_static_selectorELNS0_4arch9wavefront6targetE1EEEvT1_.private_seg_size, 0
	.set _ZN7rocprim17ROCPRIM_400000_NS6detail17trampoline_kernelINS0_14default_configENS1_25transform_config_selectorIdLb0EEEZNS1_14transform_implILb0ES3_S5_NS0_18transform_iteratorINS0_17counting_iteratorImlEEZNS1_24adjacent_difference_implIS3_Lb1ELb0EPKdPdN6thrust23THRUST_200600_302600_NS4plusIdEEEE10hipError_tPvRmT2_T3_mT4_P12ihipStream_tbEUlmE_dEESD_NS0_8identityIvEEEESI_SL_SM_mSN_SP_bEUlT_E_NS1_11comp_targetILNS1_3genE9ELNS1_11target_archE1100ELNS1_3gpuE3ELNS1_3repE0EEENS1_30default_config_static_selectorELNS0_4arch9wavefront6targetE1EEEvT1_.uses_vcc, 0
	.set _ZN7rocprim17ROCPRIM_400000_NS6detail17trampoline_kernelINS0_14default_configENS1_25transform_config_selectorIdLb0EEEZNS1_14transform_implILb0ES3_S5_NS0_18transform_iteratorINS0_17counting_iteratorImlEEZNS1_24adjacent_difference_implIS3_Lb1ELb0EPKdPdN6thrust23THRUST_200600_302600_NS4plusIdEEEE10hipError_tPvRmT2_T3_mT4_P12ihipStream_tbEUlmE_dEESD_NS0_8identityIvEEEESI_SL_SM_mSN_SP_bEUlT_E_NS1_11comp_targetILNS1_3genE9ELNS1_11target_archE1100ELNS1_3gpuE3ELNS1_3repE0EEENS1_30default_config_static_selectorELNS0_4arch9wavefront6targetE1EEEvT1_.uses_flat_scratch, 0
	.set _ZN7rocprim17ROCPRIM_400000_NS6detail17trampoline_kernelINS0_14default_configENS1_25transform_config_selectorIdLb0EEEZNS1_14transform_implILb0ES3_S5_NS0_18transform_iteratorINS0_17counting_iteratorImlEEZNS1_24adjacent_difference_implIS3_Lb1ELb0EPKdPdN6thrust23THRUST_200600_302600_NS4plusIdEEEE10hipError_tPvRmT2_T3_mT4_P12ihipStream_tbEUlmE_dEESD_NS0_8identityIvEEEESI_SL_SM_mSN_SP_bEUlT_E_NS1_11comp_targetILNS1_3genE9ELNS1_11target_archE1100ELNS1_3gpuE3ELNS1_3repE0EEENS1_30default_config_static_selectorELNS0_4arch9wavefront6targetE1EEEvT1_.has_dyn_sized_stack, 0
	.set _ZN7rocprim17ROCPRIM_400000_NS6detail17trampoline_kernelINS0_14default_configENS1_25transform_config_selectorIdLb0EEEZNS1_14transform_implILb0ES3_S5_NS0_18transform_iteratorINS0_17counting_iteratorImlEEZNS1_24adjacent_difference_implIS3_Lb1ELb0EPKdPdN6thrust23THRUST_200600_302600_NS4plusIdEEEE10hipError_tPvRmT2_T3_mT4_P12ihipStream_tbEUlmE_dEESD_NS0_8identityIvEEEESI_SL_SM_mSN_SP_bEUlT_E_NS1_11comp_targetILNS1_3genE9ELNS1_11target_archE1100ELNS1_3gpuE3ELNS1_3repE0EEENS1_30default_config_static_selectorELNS0_4arch9wavefront6targetE1EEEvT1_.has_recursion, 0
	.set _ZN7rocprim17ROCPRIM_400000_NS6detail17trampoline_kernelINS0_14default_configENS1_25transform_config_selectorIdLb0EEEZNS1_14transform_implILb0ES3_S5_NS0_18transform_iteratorINS0_17counting_iteratorImlEEZNS1_24adjacent_difference_implIS3_Lb1ELb0EPKdPdN6thrust23THRUST_200600_302600_NS4plusIdEEEE10hipError_tPvRmT2_T3_mT4_P12ihipStream_tbEUlmE_dEESD_NS0_8identityIvEEEESI_SL_SM_mSN_SP_bEUlT_E_NS1_11comp_targetILNS1_3genE9ELNS1_11target_archE1100ELNS1_3gpuE3ELNS1_3repE0EEENS1_30default_config_static_selectorELNS0_4arch9wavefront6targetE1EEEvT1_.has_indirect_call, 0
	.section	.AMDGPU.csdata,"",@progbits
; Kernel info:
; codeLenInByte = 0
; TotalNumSgprs: 4
; NumVgprs: 0
; ScratchSize: 0
; MemoryBound: 0
; FloatMode: 240
; IeeeMode: 1
; LDSByteSize: 0 bytes/workgroup (compile time only)
; SGPRBlocks: 0
; VGPRBlocks: 0
; NumSGPRsForWavesPerEU: 4
; NumVGPRsForWavesPerEU: 1
; Occupancy: 10
; WaveLimiterHint : 0
; COMPUTE_PGM_RSRC2:SCRATCH_EN: 0
; COMPUTE_PGM_RSRC2:USER_SGPR: 6
; COMPUTE_PGM_RSRC2:TRAP_HANDLER: 0
; COMPUTE_PGM_RSRC2:TGID_X_EN: 1
; COMPUTE_PGM_RSRC2:TGID_Y_EN: 0
; COMPUTE_PGM_RSRC2:TGID_Z_EN: 0
; COMPUTE_PGM_RSRC2:TIDIG_COMP_CNT: 0
	.section	.text._ZN7rocprim17ROCPRIM_400000_NS6detail17trampoline_kernelINS0_14default_configENS1_25transform_config_selectorIdLb0EEEZNS1_14transform_implILb0ES3_S5_NS0_18transform_iteratorINS0_17counting_iteratorImlEEZNS1_24adjacent_difference_implIS3_Lb1ELb0EPKdPdN6thrust23THRUST_200600_302600_NS4plusIdEEEE10hipError_tPvRmT2_T3_mT4_P12ihipStream_tbEUlmE_dEESD_NS0_8identityIvEEEESI_SL_SM_mSN_SP_bEUlT_E_NS1_11comp_targetILNS1_3genE8ELNS1_11target_archE1030ELNS1_3gpuE2ELNS1_3repE0EEENS1_30default_config_static_selectorELNS0_4arch9wavefront6targetE1EEEvT1_,"axG",@progbits,_ZN7rocprim17ROCPRIM_400000_NS6detail17trampoline_kernelINS0_14default_configENS1_25transform_config_selectorIdLb0EEEZNS1_14transform_implILb0ES3_S5_NS0_18transform_iteratorINS0_17counting_iteratorImlEEZNS1_24adjacent_difference_implIS3_Lb1ELb0EPKdPdN6thrust23THRUST_200600_302600_NS4plusIdEEEE10hipError_tPvRmT2_T3_mT4_P12ihipStream_tbEUlmE_dEESD_NS0_8identityIvEEEESI_SL_SM_mSN_SP_bEUlT_E_NS1_11comp_targetILNS1_3genE8ELNS1_11target_archE1030ELNS1_3gpuE2ELNS1_3repE0EEENS1_30default_config_static_selectorELNS0_4arch9wavefront6targetE1EEEvT1_,comdat
	.protected	_ZN7rocprim17ROCPRIM_400000_NS6detail17trampoline_kernelINS0_14default_configENS1_25transform_config_selectorIdLb0EEEZNS1_14transform_implILb0ES3_S5_NS0_18transform_iteratorINS0_17counting_iteratorImlEEZNS1_24adjacent_difference_implIS3_Lb1ELb0EPKdPdN6thrust23THRUST_200600_302600_NS4plusIdEEEE10hipError_tPvRmT2_T3_mT4_P12ihipStream_tbEUlmE_dEESD_NS0_8identityIvEEEESI_SL_SM_mSN_SP_bEUlT_E_NS1_11comp_targetILNS1_3genE8ELNS1_11target_archE1030ELNS1_3gpuE2ELNS1_3repE0EEENS1_30default_config_static_selectorELNS0_4arch9wavefront6targetE1EEEvT1_ ; -- Begin function _ZN7rocprim17ROCPRIM_400000_NS6detail17trampoline_kernelINS0_14default_configENS1_25transform_config_selectorIdLb0EEEZNS1_14transform_implILb0ES3_S5_NS0_18transform_iteratorINS0_17counting_iteratorImlEEZNS1_24adjacent_difference_implIS3_Lb1ELb0EPKdPdN6thrust23THRUST_200600_302600_NS4plusIdEEEE10hipError_tPvRmT2_T3_mT4_P12ihipStream_tbEUlmE_dEESD_NS0_8identityIvEEEESI_SL_SM_mSN_SP_bEUlT_E_NS1_11comp_targetILNS1_3genE8ELNS1_11target_archE1030ELNS1_3gpuE2ELNS1_3repE0EEENS1_30default_config_static_selectorELNS0_4arch9wavefront6targetE1EEEvT1_
	.globl	_ZN7rocprim17ROCPRIM_400000_NS6detail17trampoline_kernelINS0_14default_configENS1_25transform_config_selectorIdLb0EEEZNS1_14transform_implILb0ES3_S5_NS0_18transform_iteratorINS0_17counting_iteratorImlEEZNS1_24adjacent_difference_implIS3_Lb1ELb0EPKdPdN6thrust23THRUST_200600_302600_NS4plusIdEEEE10hipError_tPvRmT2_T3_mT4_P12ihipStream_tbEUlmE_dEESD_NS0_8identityIvEEEESI_SL_SM_mSN_SP_bEUlT_E_NS1_11comp_targetILNS1_3genE8ELNS1_11target_archE1030ELNS1_3gpuE2ELNS1_3repE0EEENS1_30default_config_static_selectorELNS0_4arch9wavefront6targetE1EEEvT1_
	.p2align	8
	.type	_ZN7rocprim17ROCPRIM_400000_NS6detail17trampoline_kernelINS0_14default_configENS1_25transform_config_selectorIdLb0EEEZNS1_14transform_implILb0ES3_S5_NS0_18transform_iteratorINS0_17counting_iteratorImlEEZNS1_24adjacent_difference_implIS3_Lb1ELb0EPKdPdN6thrust23THRUST_200600_302600_NS4plusIdEEEE10hipError_tPvRmT2_T3_mT4_P12ihipStream_tbEUlmE_dEESD_NS0_8identityIvEEEESI_SL_SM_mSN_SP_bEUlT_E_NS1_11comp_targetILNS1_3genE8ELNS1_11target_archE1030ELNS1_3gpuE2ELNS1_3repE0EEENS1_30default_config_static_selectorELNS0_4arch9wavefront6targetE1EEEvT1_,@function
_ZN7rocprim17ROCPRIM_400000_NS6detail17trampoline_kernelINS0_14default_configENS1_25transform_config_selectorIdLb0EEEZNS1_14transform_implILb0ES3_S5_NS0_18transform_iteratorINS0_17counting_iteratorImlEEZNS1_24adjacent_difference_implIS3_Lb1ELb0EPKdPdN6thrust23THRUST_200600_302600_NS4plusIdEEEE10hipError_tPvRmT2_T3_mT4_P12ihipStream_tbEUlmE_dEESD_NS0_8identityIvEEEESI_SL_SM_mSN_SP_bEUlT_E_NS1_11comp_targetILNS1_3genE8ELNS1_11target_archE1030ELNS1_3gpuE2ELNS1_3repE0EEENS1_30default_config_static_selectorELNS0_4arch9wavefront6targetE1EEEvT1_: ; @_ZN7rocprim17ROCPRIM_400000_NS6detail17trampoline_kernelINS0_14default_configENS1_25transform_config_selectorIdLb0EEEZNS1_14transform_implILb0ES3_S5_NS0_18transform_iteratorINS0_17counting_iteratorImlEEZNS1_24adjacent_difference_implIS3_Lb1ELb0EPKdPdN6thrust23THRUST_200600_302600_NS4plusIdEEEE10hipError_tPvRmT2_T3_mT4_P12ihipStream_tbEUlmE_dEESD_NS0_8identityIvEEEESI_SL_SM_mSN_SP_bEUlT_E_NS1_11comp_targetILNS1_3genE8ELNS1_11target_archE1030ELNS1_3gpuE2ELNS1_3repE0EEENS1_30default_config_static_selectorELNS0_4arch9wavefront6targetE1EEEvT1_
; %bb.0:
	.section	.rodata,"a",@progbits
	.p2align	6, 0x0
	.amdhsa_kernel _ZN7rocprim17ROCPRIM_400000_NS6detail17trampoline_kernelINS0_14default_configENS1_25transform_config_selectorIdLb0EEEZNS1_14transform_implILb0ES3_S5_NS0_18transform_iteratorINS0_17counting_iteratorImlEEZNS1_24adjacent_difference_implIS3_Lb1ELb0EPKdPdN6thrust23THRUST_200600_302600_NS4plusIdEEEE10hipError_tPvRmT2_T3_mT4_P12ihipStream_tbEUlmE_dEESD_NS0_8identityIvEEEESI_SL_SM_mSN_SP_bEUlT_E_NS1_11comp_targetILNS1_3genE8ELNS1_11target_archE1030ELNS1_3gpuE2ELNS1_3repE0EEENS1_30default_config_static_selectorELNS0_4arch9wavefront6targetE1EEEvT1_
		.amdhsa_group_segment_fixed_size 0
		.amdhsa_private_segment_fixed_size 0
		.amdhsa_kernarg_size 56
		.amdhsa_user_sgpr_count 6
		.amdhsa_user_sgpr_private_segment_buffer 1
		.amdhsa_user_sgpr_dispatch_ptr 0
		.amdhsa_user_sgpr_queue_ptr 0
		.amdhsa_user_sgpr_kernarg_segment_ptr 1
		.amdhsa_user_sgpr_dispatch_id 0
		.amdhsa_user_sgpr_flat_scratch_init 0
		.amdhsa_user_sgpr_private_segment_size 0
		.amdhsa_uses_dynamic_stack 0
		.amdhsa_system_sgpr_private_segment_wavefront_offset 0
		.amdhsa_system_sgpr_workgroup_id_x 1
		.amdhsa_system_sgpr_workgroup_id_y 0
		.amdhsa_system_sgpr_workgroup_id_z 0
		.amdhsa_system_sgpr_workgroup_info 0
		.amdhsa_system_vgpr_workitem_id 0
		.amdhsa_next_free_vgpr 1
		.amdhsa_next_free_sgpr 0
		.amdhsa_reserve_vcc 0
		.amdhsa_reserve_flat_scratch 0
		.amdhsa_float_round_mode_32 0
		.amdhsa_float_round_mode_16_64 0
		.amdhsa_float_denorm_mode_32 3
		.amdhsa_float_denorm_mode_16_64 3
		.amdhsa_dx10_clamp 1
		.amdhsa_ieee_mode 1
		.amdhsa_fp16_overflow 0
		.amdhsa_exception_fp_ieee_invalid_op 0
		.amdhsa_exception_fp_denorm_src 0
		.amdhsa_exception_fp_ieee_div_zero 0
		.amdhsa_exception_fp_ieee_overflow 0
		.amdhsa_exception_fp_ieee_underflow 0
		.amdhsa_exception_fp_ieee_inexact 0
		.amdhsa_exception_int_div_zero 0
	.end_amdhsa_kernel
	.section	.text._ZN7rocprim17ROCPRIM_400000_NS6detail17trampoline_kernelINS0_14default_configENS1_25transform_config_selectorIdLb0EEEZNS1_14transform_implILb0ES3_S5_NS0_18transform_iteratorINS0_17counting_iteratorImlEEZNS1_24adjacent_difference_implIS3_Lb1ELb0EPKdPdN6thrust23THRUST_200600_302600_NS4plusIdEEEE10hipError_tPvRmT2_T3_mT4_P12ihipStream_tbEUlmE_dEESD_NS0_8identityIvEEEESI_SL_SM_mSN_SP_bEUlT_E_NS1_11comp_targetILNS1_3genE8ELNS1_11target_archE1030ELNS1_3gpuE2ELNS1_3repE0EEENS1_30default_config_static_selectorELNS0_4arch9wavefront6targetE1EEEvT1_,"axG",@progbits,_ZN7rocprim17ROCPRIM_400000_NS6detail17trampoline_kernelINS0_14default_configENS1_25transform_config_selectorIdLb0EEEZNS1_14transform_implILb0ES3_S5_NS0_18transform_iteratorINS0_17counting_iteratorImlEEZNS1_24adjacent_difference_implIS3_Lb1ELb0EPKdPdN6thrust23THRUST_200600_302600_NS4plusIdEEEE10hipError_tPvRmT2_T3_mT4_P12ihipStream_tbEUlmE_dEESD_NS0_8identityIvEEEESI_SL_SM_mSN_SP_bEUlT_E_NS1_11comp_targetILNS1_3genE8ELNS1_11target_archE1030ELNS1_3gpuE2ELNS1_3repE0EEENS1_30default_config_static_selectorELNS0_4arch9wavefront6targetE1EEEvT1_,comdat
.Lfunc_end589:
	.size	_ZN7rocprim17ROCPRIM_400000_NS6detail17trampoline_kernelINS0_14default_configENS1_25transform_config_selectorIdLb0EEEZNS1_14transform_implILb0ES3_S5_NS0_18transform_iteratorINS0_17counting_iteratorImlEEZNS1_24adjacent_difference_implIS3_Lb1ELb0EPKdPdN6thrust23THRUST_200600_302600_NS4plusIdEEEE10hipError_tPvRmT2_T3_mT4_P12ihipStream_tbEUlmE_dEESD_NS0_8identityIvEEEESI_SL_SM_mSN_SP_bEUlT_E_NS1_11comp_targetILNS1_3genE8ELNS1_11target_archE1030ELNS1_3gpuE2ELNS1_3repE0EEENS1_30default_config_static_selectorELNS0_4arch9wavefront6targetE1EEEvT1_, .Lfunc_end589-_ZN7rocprim17ROCPRIM_400000_NS6detail17trampoline_kernelINS0_14default_configENS1_25transform_config_selectorIdLb0EEEZNS1_14transform_implILb0ES3_S5_NS0_18transform_iteratorINS0_17counting_iteratorImlEEZNS1_24adjacent_difference_implIS3_Lb1ELb0EPKdPdN6thrust23THRUST_200600_302600_NS4plusIdEEEE10hipError_tPvRmT2_T3_mT4_P12ihipStream_tbEUlmE_dEESD_NS0_8identityIvEEEESI_SL_SM_mSN_SP_bEUlT_E_NS1_11comp_targetILNS1_3genE8ELNS1_11target_archE1030ELNS1_3gpuE2ELNS1_3repE0EEENS1_30default_config_static_selectorELNS0_4arch9wavefront6targetE1EEEvT1_
                                        ; -- End function
	.set _ZN7rocprim17ROCPRIM_400000_NS6detail17trampoline_kernelINS0_14default_configENS1_25transform_config_selectorIdLb0EEEZNS1_14transform_implILb0ES3_S5_NS0_18transform_iteratorINS0_17counting_iteratorImlEEZNS1_24adjacent_difference_implIS3_Lb1ELb0EPKdPdN6thrust23THRUST_200600_302600_NS4plusIdEEEE10hipError_tPvRmT2_T3_mT4_P12ihipStream_tbEUlmE_dEESD_NS0_8identityIvEEEESI_SL_SM_mSN_SP_bEUlT_E_NS1_11comp_targetILNS1_3genE8ELNS1_11target_archE1030ELNS1_3gpuE2ELNS1_3repE0EEENS1_30default_config_static_selectorELNS0_4arch9wavefront6targetE1EEEvT1_.num_vgpr, 0
	.set _ZN7rocprim17ROCPRIM_400000_NS6detail17trampoline_kernelINS0_14default_configENS1_25transform_config_selectorIdLb0EEEZNS1_14transform_implILb0ES3_S5_NS0_18transform_iteratorINS0_17counting_iteratorImlEEZNS1_24adjacent_difference_implIS3_Lb1ELb0EPKdPdN6thrust23THRUST_200600_302600_NS4plusIdEEEE10hipError_tPvRmT2_T3_mT4_P12ihipStream_tbEUlmE_dEESD_NS0_8identityIvEEEESI_SL_SM_mSN_SP_bEUlT_E_NS1_11comp_targetILNS1_3genE8ELNS1_11target_archE1030ELNS1_3gpuE2ELNS1_3repE0EEENS1_30default_config_static_selectorELNS0_4arch9wavefront6targetE1EEEvT1_.num_agpr, 0
	.set _ZN7rocprim17ROCPRIM_400000_NS6detail17trampoline_kernelINS0_14default_configENS1_25transform_config_selectorIdLb0EEEZNS1_14transform_implILb0ES3_S5_NS0_18transform_iteratorINS0_17counting_iteratorImlEEZNS1_24adjacent_difference_implIS3_Lb1ELb0EPKdPdN6thrust23THRUST_200600_302600_NS4plusIdEEEE10hipError_tPvRmT2_T3_mT4_P12ihipStream_tbEUlmE_dEESD_NS0_8identityIvEEEESI_SL_SM_mSN_SP_bEUlT_E_NS1_11comp_targetILNS1_3genE8ELNS1_11target_archE1030ELNS1_3gpuE2ELNS1_3repE0EEENS1_30default_config_static_selectorELNS0_4arch9wavefront6targetE1EEEvT1_.numbered_sgpr, 0
	.set _ZN7rocprim17ROCPRIM_400000_NS6detail17trampoline_kernelINS0_14default_configENS1_25transform_config_selectorIdLb0EEEZNS1_14transform_implILb0ES3_S5_NS0_18transform_iteratorINS0_17counting_iteratorImlEEZNS1_24adjacent_difference_implIS3_Lb1ELb0EPKdPdN6thrust23THRUST_200600_302600_NS4plusIdEEEE10hipError_tPvRmT2_T3_mT4_P12ihipStream_tbEUlmE_dEESD_NS0_8identityIvEEEESI_SL_SM_mSN_SP_bEUlT_E_NS1_11comp_targetILNS1_3genE8ELNS1_11target_archE1030ELNS1_3gpuE2ELNS1_3repE0EEENS1_30default_config_static_selectorELNS0_4arch9wavefront6targetE1EEEvT1_.num_named_barrier, 0
	.set _ZN7rocprim17ROCPRIM_400000_NS6detail17trampoline_kernelINS0_14default_configENS1_25transform_config_selectorIdLb0EEEZNS1_14transform_implILb0ES3_S5_NS0_18transform_iteratorINS0_17counting_iteratorImlEEZNS1_24adjacent_difference_implIS3_Lb1ELb0EPKdPdN6thrust23THRUST_200600_302600_NS4plusIdEEEE10hipError_tPvRmT2_T3_mT4_P12ihipStream_tbEUlmE_dEESD_NS0_8identityIvEEEESI_SL_SM_mSN_SP_bEUlT_E_NS1_11comp_targetILNS1_3genE8ELNS1_11target_archE1030ELNS1_3gpuE2ELNS1_3repE0EEENS1_30default_config_static_selectorELNS0_4arch9wavefront6targetE1EEEvT1_.private_seg_size, 0
	.set _ZN7rocprim17ROCPRIM_400000_NS6detail17trampoline_kernelINS0_14default_configENS1_25transform_config_selectorIdLb0EEEZNS1_14transform_implILb0ES3_S5_NS0_18transform_iteratorINS0_17counting_iteratorImlEEZNS1_24adjacent_difference_implIS3_Lb1ELb0EPKdPdN6thrust23THRUST_200600_302600_NS4plusIdEEEE10hipError_tPvRmT2_T3_mT4_P12ihipStream_tbEUlmE_dEESD_NS0_8identityIvEEEESI_SL_SM_mSN_SP_bEUlT_E_NS1_11comp_targetILNS1_3genE8ELNS1_11target_archE1030ELNS1_3gpuE2ELNS1_3repE0EEENS1_30default_config_static_selectorELNS0_4arch9wavefront6targetE1EEEvT1_.uses_vcc, 0
	.set _ZN7rocprim17ROCPRIM_400000_NS6detail17trampoline_kernelINS0_14default_configENS1_25transform_config_selectorIdLb0EEEZNS1_14transform_implILb0ES3_S5_NS0_18transform_iteratorINS0_17counting_iteratorImlEEZNS1_24adjacent_difference_implIS3_Lb1ELb0EPKdPdN6thrust23THRUST_200600_302600_NS4plusIdEEEE10hipError_tPvRmT2_T3_mT4_P12ihipStream_tbEUlmE_dEESD_NS0_8identityIvEEEESI_SL_SM_mSN_SP_bEUlT_E_NS1_11comp_targetILNS1_3genE8ELNS1_11target_archE1030ELNS1_3gpuE2ELNS1_3repE0EEENS1_30default_config_static_selectorELNS0_4arch9wavefront6targetE1EEEvT1_.uses_flat_scratch, 0
	.set _ZN7rocprim17ROCPRIM_400000_NS6detail17trampoline_kernelINS0_14default_configENS1_25transform_config_selectorIdLb0EEEZNS1_14transform_implILb0ES3_S5_NS0_18transform_iteratorINS0_17counting_iteratorImlEEZNS1_24adjacent_difference_implIS3_Lb1ELb0EPKdPdN6thrust23THRUST_200600_302600_NS4plusIdEEEE10hipError_tPvRmT2_T3_mT4_P12ihipStream_tbEUlmE_dEESD_NS0_8identityIvEEEESI_SL_SM_mSN_SP_bEUlT_E_NS1_11comp_targetILNS1_3genE8ELNS1_11target_archE1030ELNS1_3gpuE2ELNS1_3repE0EEENS1_30default_config_static_selectorELNS0_4arch9wavefront6targetE1EEEvT1_.has_dyn_sized_stack, 0
	.set _ZN7rocprim17ROCPRIM_400000_NS6detail17trampoline_kernelINS0_14default_configENS1_25transform_config_selectorIdLb0EEEZNS1_14transform_implILb0ES3_S5_NS0_18transform_iteratorINS0_17counting_iteratorImlEEZNS1_24adjacent_difference_implIS3_Lb1ELb0EPKdPdN6thrust23THRUST_200600_302600_NS4plusIdEEEE10hipError_tPvRmT2_T3_mT4_P12ihipStream_tbEUlmE_dEESD_NS0_8identityIvEEEESI_SL_SM_mSN_SP_bEUlT_E_NS1_11comp_targetILNS1_3genE8ELNS1_11target_archE1030ELNS1_3gpuE2ELNS1_3repE0EEENS1_30default_config_static_selectorELNS0_4arch9wavefront6targetE1EEEvT1_.has_recursion, 0
	.set _ZN7rocprim17ROCPRIM_400000_NS6detail17trampoline_kernelINS0_14default_configENS1_25transform_config_selectorIdLb0EEEZNS1_14transform_implILb0ES3_S5_NS0_18transform_iteratorINS0_17counting_iteratorImlEEZNS1_24adjacent_difference_implIS3_Lb1ELb0EPKdPdN6thrust23THRUST_200600_302600_NS4plusIdEEEE10hipError_tPvRmT2_T3_mT4_P12ihipStream_tbEUlmE_dEESD_NS0_8identityIvEEEESI_SL_SM_mSN_SP_bEUlT_E_NS1_11comp_targetILNS1_3genE8ELNS1_11target_archE1030ELNS1_3gpuE2ELNS1_3repE0EEENS1_30default_config_static_selectorELNS0_4arch9wavefront6targetE1EEEvT1_.has_indirect_call, 0
	.section	.AMDGPU.csdata,"",@progbits
; Kernel info:
; codeLenInByte = 0
; TotalNumSgprs: 4
; NumVgprs: 0
; ScratchSize: 0
; MemoryBound: 0
; FloatMode: 240
; IeeeMode: 1
; LDSByteSize: 0 bytes/workgroup (compile time only)
; SGPRBlocks: 0
; VGPRBlocks: 0
; NumSGPRsForWavesPerEU: 4
; NumVGPRsForWavesPerEU: 1
; Occupancy: 10
; WaveLimiterHint : 0
; COMPUTE_PGM_RSRC2:SCRATCH_EN: 0
; COMPUTE_PGM_RSRC2:USER_SGPR: 6
; COMPUTE_PGM_RSRC2:TRAP_HANDLER: 0
; COMPUTE_PGM_RSRC2:TGID_X_EN: 1
; COMPUTE_PGM_RSRC2:TGID_Y_EN: 0
; COMPUTE_PGM_RSRC2:TGID_Z_EN: 0
; COMPUTE_PGM_RSRC2:TIDIG_COMP_CNT: 0
	.section	.text._ZN7rocprim17ROCPRIM_400000_NS6detail17trampoline_kernelINS0_14default_configENS1_35adjacent_difference_config_selectorILb1EdEEZNS1_24adjacent_difference_implIS3_Lb1ELb0EPKdPdN6thrust23THRUST_200600_302600_NS4plusIdEEEE10hipError_tPvRmT2_T3_mT4_P12ihipStream_tbEUlT_E_NS1_11comp_targetILNS1_3genE0ELNS1_11target_archE4294967295ELNS1_3gpuE0ELNS1_3repE0EEENS1_30default_config_static_selectorELNS0_4arch9wavefront6targetE1EEEvT1_,"axG",@progbits,_ZN7rocprim17ROCPRIM_400000_NS6detail17trampoline_kernelINS0_14default_configENS1_35adjacent_difference_config_selectorILb1EdEEZNS1_24adjacent_difference_implIS3_Lb1ELb0EPKdPdN6thrust23THRUST_200600_302600_NS4plusIdEEEE10hipError_tPvRmT2_T3_mT4_P12ihipStream_tbEUlT_E_NS1_11comp_targetILNS1_3genE0ELNS1_11target_archE4294967295ELNS1_3gpuE0ELNS1_3repE0EEENS1_30default_config_static_selectorELNS0_4arch9wavefront6targetE1EEEvT1_,comdat
	.protected	_ZN7rocprim17ROCPRIM_400000_NS6detail17trampoline_kernelINS0_14default_configENS1_35adjacent_difference_config_selectorILb1EdEEZNS1_24adjacent_difference_implIS3_Lb1ELb0EPKdPdN6thrust23THRUST_200600_302600_NS4plusIdEEEE10hipError_tPvRmT2_T3_mT4_P12ihipStream_tbEUlT_E_NS1_11comp_targetILNS1_3genE0ELNS1_11target_archE4294967295ELNS1_3gpuE0ELNS1_3repE0EEENS1_30default_config_static_selectorELNS0_4arch9wavefront6targetE1EEEvT1_ ; -- Begin function _ZN7rocprim17ROCPRIM_400000_NS6detail17trampoline_kernelINS0_14default_configENS1_35adjacent_difference_config_selectorILb1EdEEZNS1_24adjacent_difference_implIS3_Lb1ELb0EPKdPdN6thrust23THRUST_200600_302600_NS4plusIdEEEE10hipError_tPvRmT2_T3_mT4_P12ihipStream_tbEUlT_E_NS1_11comp_targetILNS1_3genE0ELNS1_11target_archE4294967295ELNS1_3gpuE0ELNS1_3repE0EEENS1_30default_config_static_selectorELNS0_4arch9wavefront6targetE1EEEvT1_
	.globl	_ZN7rocprim17ROCPRIM_400000_NS6detail17trampoline_kernelINS0_14default_configENS1_35adjacent_difference_config_selectorILb1EdEEZNS1_24adjacent_difference_implIS3_Lb1ELb0EPKdPdN6thrust23THRUST_200600_302600_NS4plusIdEEEE10hipError_tPvRmT2_T3_mT4_P12ihipStream_tbEUlT_E_NS1_11comp_targetILNS1_3genE0ELNS1_11target_archE4294967295ELNS1_3gpuE0ELNS1_3repE0EEENS1_30default_config_static_selectorELNS0_4arch9wavefront6targetE1EEEvT1_
	.p2align	8
	.type	_ZN7rocprim17ROCPRIM_400000_NS6detail17trampoline_kernelINS0_14default_configENS1_35adjacent_difference_config_selectorILb1EdEEZNS1_24adjacent_difference_implIS3_Lb1ELb0EPKdPdN6thrust23THRUST_200600_302600_NS4plusIdEEEE10hipError_tPvRmT2_T3_mT4_P12ihipStream_tbEUlT_E_NS1_11comp_targetILNS1_3genE0ELNS1_11target_archE4294967295ELNS1_3gpuE0ELNS1_3repE0EEENS1_30default_config_static_selectorELNS0_4arch9wavefront6targetE1EEEvT1_,@function
_ZN7rocprim17ROCPRIM_400000_NS6detail17trampoline_kernelINS0_14default_configENS1_35adjacent_difference_config_selectorILb1EdEEZNS1_24adjacent_difference_implIS3_Lb1ELb0EPKdPdN6thrust23THRUST_200600_302600_NS4plusIdEEEE10hipError_tPvRmT2_T3_mT4_P12ihipStream_tbEUlT_E_NS1_11comp_targetILNS1_3genE0ELNS1_11target_archE4294967295ELNS1_3gpuE0ELNS1_3repE0EEENS1_30default_config_static_selectorELNS0_4arch9wavefront6targetE1EEEvT1_: ; @_ZN7rocprim17ROCPRIM_400000_NS6detail17trampoline_kernelINS0_14default_configENS1_35adjacent_difference_config_selectorILb1EdEEZNS1_24adjacent_difference_implIS3_Lb1ELb0EPKdPdN6thrust23THRUST_200600_302600_NS4plusIdEEEE10hipError_tPvRmT2_T3_mT4_P12ihipStream_tbEUlT_E_NS1_11comp_targetILNS1_3genE0ELNS1_11target_archE4294967295ELNS1_3gpuE0ELNS1_3repE0EEENS1_30default_config_static_selectorELNS0_4arch9wavefront6targetE1EEEvT1_
; %bb.0:
	.section	.rodata,"a",@progbits
	.p2align	6, 0x0
	.amdhsa_kernel _ZN7rocprim17ROCPRIM_400000_NS6detail17trampoline_kernelINS0_14default_configENS1_35adjacent_difference_config_selectorILb1EdEEZNS1_24adjacent_difference_implIS3_Lb1ELb0EPKdPdN6thrust23THRUST_200600_302600_NS4plusIdEEEE10hipError_tPvRmT2_T3_mT4_P12ihipStream_tbEUlT_E_NS1_11comp_targetILNS1_3genE0ELNS1_11target_archE4294967295ELNS1_3gpuE0ELNS1_3repE0EEENS1_30default_config_static_selectorELNS0_4arch9wavefront6targetE1EEEvT1_
		.amdhsa_group_segment_fixed_size 0
		.amdhsa_private_segment_fixed_size 0
		.amdhsa_kernarg_size 56
		.amdhsa_user_sgpr_count 6
		.amdhsa_user_sgpr_private_segment_buffer 1
		.amdhsa_user_sgpr_dispatch_ptr 0
		.amdhsa_user_sgpr_queue_ptr 0
		.amdhsa_user_sgpr_kernarg_segment_ptr 1
		.amdhsa_user_sgpr_dispatch_id 0
		.amdhsa_user_sgpr_flat_scratch_init 0
		.amdhsa_user_sgpr_private_segment_size 0
		.amdhsa_uses_dynamic_stack 0
		.amdhsa_system_sgpr_private_segment_wavefront_offset 0
		.amdhsa_system_sgpr_workgroup_id_x 1
		.amdhsa_system_sgpr_workgroup_id_y 0
		.amdhsa_system_sgpr_workgroup_id_z 0
		.amdhsa_system_sgpr_workgroup_info 0
		.amdhsa_system_vgpr_workitem_id 0
		.amdhsa_next_free_vgpr 1
		.amdhsa_next_free_sgpr 0
		.amdhsa_reserve_vcc 0
		.amdhsa_reserve_flat_scratch 0
		.amdhsa_float_round_mode_32 0
		.amdhsa_float_round_mode_16_64 0
		.amdhsa_float_denorm_mode_32 3
		.amdhsa_float_denorm_mode_16_64 3
		.amdhsa_dx10_clamp 1
		.amdhsa_ieee_mode 1
		.amdhsa_fp16_overflow 0
		.amdhsa_exception_fp_ieee_invalid_op 0
		.amdhsa_exception_fp_denorm_src 0
		.amdhsa_exception_fp_ieee_div_zero 0
		.amdhsa_exception_fp_ieee_overflow 0
		.amdhsa_exception_fp_ieee_underflow 0
		.amdhsa_exception_fp_ieee_inexact 0
		.amdhsa_exception_int_div_zero 0
	.end_amdhsa_kernel
	.section	.text._ZN7rocprim17ROCPRIM_400000_NS6detail17trampoline_kernelINS0_14default_configENS1_35adjacent_difference_config_selectorILb1EdEEZNS1_24adjacent_difference_implIS3_Lb1ELb0EPKdPdN6thrust23THRUST_200600_302600_NS4plusIdEEEE10hipError_tPvRmT2_T3_mT4_P12ihipStream_tbEUlT_E_NS1_11comp_targetILNS1_3genE0ELNS1_11target_archE4294967295ELNS1_3gpuE0ELNS1_3repE0EEENS1_30default_config_static_selectorELNS0_4arch9wavefront6targetE1EEEvT1_,"axG",@progbits,_ZN7rocprim17ROCPRIM_400000_NS6detail17trampoline_kernelINS0_14default_configENS1_35adjacent_difference_config_selectorILb1EdEEZNS1_24adjacent_difference_implIS3_Lb1ELb0EPKdPdN6thrust23THRUST_200600_302600_NS4plusIdEEEE10hipError_tPvRmT2_T3_mT4_P12ihipStream_tbEUlT_E_NS1_11comp_targetILNS1_3genE0ELNS1_11target_archE4294967295ELNS1_3gpuE0ELNS1_3repE0EEENS1_30default_config_static_selectorELNS0_4arch9wavefront6targetE1EEEvT1_,comdat
.Lfunc_end590:
	.size	_ZN7rocprim17ROCPRIM_400000_NS6detail17trampoline_kernelINS0_14default_configENS1_35adjacent_difference_config_selectorILb1EdEEZNS1_24adjacent_difference_implIS3_Lb1ELb0EPKdPdN6thrust23THRUST_200600_302600_NS4plusIdEEEE10hipError_tPvRmT2_T3_mT4_P12ihipStream_tbEUlT_E_NS1_11comp_targetILNS1_3genE0ELNS1_11target_archE4294967295ELNS1_3gpuE0ELNS1_3repE0EEENS1_30default_config_static_selectorELNS0_4arch9wavefront6targetE1EEEvT1_, .Lfunc_end590-_ZN7rocprim17ROCPRIM_400000_NS6detail17trampoline_kernelINS0_14default_configENS1_35adjacent_difference_config_selectorILb1EdEEZNS1_24adjacent_difference_implIS3_Lb1ELb0EPKdPdN6thrust23THRUST_200600_302600_NS4plusIdEEEE10hipError_tPvRmT2_T3_mT4_P12ihipStream_tbEUlT_E_NS1_11comp_targetILNS1_3genE0ELNS1_11target_archE4294967295ELNS1_3gpuE0ELNS1_3repE0EEENS1_30default_config_static_selectorELNS0_4arch9wavefront6targetE1EEEvT1_
                                        ; -- End function
	.set _ZN7rocprim17ROCPRIM_400000_NS6detail17trampoline_kernelINS0_14default_configENS1_35adjacent_difference_config_selectorILb1EdEEZNS1_24adjacent_difference_implIS3_Lb1ELb0EPKdPdN6thrust23THRUST_200600_302600_NS4plusIdEEEE10hipError_tPvRmT2_T3_mT4_P12ihipStream_tbEUlT_E_NS1_11comp_targetILNS1_3genE0ELNS1_11target_archE4294967295ELNS1_3gpuE0ELNS1_3repE0EEENS1_30default_config_static_selectorELNS0_4arch9wavefront6targetE1EEEvT1_.num_vgpr, 0
	.set _ZN7rocprim17ROCPRIM_400000_NS6detail17trampoline_kernelINS0_14default_configENS1_35adjacent_difference_config_selectorILb1EdEEZNS1_24adjacent_difference_implIS3_Lb1ELb0EPKdPdN6thrust23THRUST_200600_302600_NS4plusIdEEEE10hipError_tPvRmT2_T3_mT4_P12ihipStream_tbEUlT_E_NS1_11comp_targetILNS1_3genE0ELNS1_11target_archE4294967295ELNS1_3gpuE0ELNS1_3repE0EEENS1_30default_config_static_selectorELNS0_4arch9wavefront6targetE1EEEvT1_.num_agpr, 0
	.set _ZN7rocprim17ROCPRIM_400000_NS6detail17trampoline_kernelINS0_14default_configENS1_35adjacent_difference_config_selectorILb1EdEEZNS1_24adjacent_difference_implIS3_Lb1ELb0EPKdPdN6thrust23THRUST_200600_302600_NS4plusIdEEEE10hipError_tPvRmT2_T3_mT4_P12ihipStream_tbEUlT_E_NS1_11comp_targetILNS1_3genE0ELNS1_11target_archE4294967295ELNS1_3gpuE0ELNS1_3repE0EEENS1_30default_config_static_selectorELNS0_4arch9wavefront6targetE1EEEvT1_.numbered_sgpr, 0
	.set _ZN7rocprim17ROCPRIM_400000_NS6detail17trampoline_kernelINS0_14default_configENS1_35adjacent_difference_config_selectorILb1EdEEZNS1_24adjacent_difference_implIS3_Lb1ELb0EPKdPdN6thrust23THRUST_200600_302600_NS4plusIdEEEE10hipError_tPvRmT2_T3_mT4_P12ihipStream_tbEUlT_E_NS1_11comp_targetILNS1_3genE0ELNS1_11target_archE4294967295ELNS1_3gpuE0ELNS1_3repE0EEENS1_30default_config_static_selectorELNS0_4arch9wavefront6targetE1EEEvT1_.num_named_barrier, 0
	.set _ZN7rocprim17ROCPRIM_400000_NS6detail17trampoline_kernelINS0_14default_configENS1_35adjacent_difference_config_selectorILb1EdEEZNS1_24adjacent_difference_implIS3_Lb1ELb0EPKdPdN6thrust23THRUST_200600_302600_NS4plusIdEEEE10hipError_tPvRmT2_T3_mT4_P12ihipStream_tbEUlT_E_NS1_11comp_targetILNS1_3genE0ELNS1_11target_archE4294967295ELNS1_3gpuE0ELNS1_3repE0EEENS1_30default_config_static_selectorELNS0_4arch9wavefront6targetE1EEEvT1_.private_seg_size, 0
	.set _ZN7rocprim17ROCPRIM_400000_NS6detail17trampoline_kernelINS0_14default_configENS1_35adjacent_difference_config_selectorILb1EdEEZNS1_24adjacent_difference_implIS3_Lb1ELb0EPKdPdN6thrust23THRUST_200600_302600_NS4plusIdEEEE10hipError_tPvRmT2_T3_mT4_P12ihipStream_tbEUlT_E_NS1_11comp_targetILNS1_3genE0ELNS1_11target_archE4294967295ELNS1_3gpuE0ELNS1_3repE0EEENS1_30default_config_static_selectorELNS0_4arch9wavefront6targetE1EEEvT1_.uses_vcc, 0
	.set _ZN7rocprim17ROCPRIM_400000_NS6detail17trampoline_kernelINS0_14default_configENS1_35adjacent_difference_config_selectorILb1EdEEZNS1_24adjacent_difference_implIS3_Lb1ELb0EPKdPdN6thrust23THRUST_200600_302600_NS4plusIdEEEE10hipError_tPvRmT2_T3_mT4_P12ihipStream_tbEUlT_E_NS1_11comp_targetILNS1_3genE0ELNS1_11target_archE4294967295ELNS1_3gpuE0ELNS1_3repE0EEENS1_30default_config_static_selectorELNS0_4arch9wavefront6targetE1EEEvT1_.uses_flat_scratch, 0
	.set _ZN7rocprim17ROCPRIM_400000_NS6detail17trampoline_kernelINS0_14default_configENS1_35adjacent_difference_config_selectorILb1EdEEZNS1_24adjacent_difference_implIS3_Lb1ELb0EPKdPdN6thrust23THRUST_200600_302600_NS4plusIdEEEE10hipError_tPvRmT2_T3_mT4_P12ihipStream_tbEUlT_E_NS1_11comp_targetILNS1_3genE0ELNS1_11target_archE4294967295ELNS1_3gpuE0ELNS1_3repE0EEENS1_30default_config_static_selectorELNS0_4arch9wavefront6targetE1EEEvT1_.has_dyn_sized_stack, 0
	.set _ZN7rocprim17ROCPRIM_400000_NS6detail17trampoline_kernelINS0_14default_configENS1_35adjacent_difference_config_selectorILb1EdEEZNS1_24adjacent_difference_implIS3_Lb1ELb0EPKdPdN6thrust23THRUST_200600_302600_NS4plusIdEEEE10hipError_tPvRmT2_T3_mT4_P12ihipStream_tbEUlT_E_NS1_11comp_targetILNS1_3genE0ELNS1_11target_archE4294967295ELNS1_3gpuE0ELNS1_3repE0EEENS1_30default_config_static_selectorELNS0_4arch9wavefront6targetE1EEEvT1_.has_recursion, 0
	.set _ZN7rocprim17ROCPRIM_400000_NS6detail17trampoline_kernelINS0_14default_configENS1_35adjacent_difference_config_selectorILb1EdEEZNS1_24adjacent_difference_implIS3_Lb1ELb0EPKdPdN6thrust23THRUST_200600_302600_NS4plusIdEEEE10hipError_tPvRmT2_T3_mT4_P12ihipStream_tbEUlT_E_NS1_11comp_targetILNS1_3genE0ELNS1_11target_archE4294967295ELNS1_3gpuE0ELNS1_3repE0EEENS1_30default_config_static_selectorELNS0_4arch9wavefront6targetE1EEEvT1_.has_indirect_call, 0
	.section	.AMDGPU.csdata,"",@progbits
; Kernel info:
; codeLenInByte = 0
; TotalNumSgprs: 4
; NumVgprs: 0
; ScratchSize: 0
; MemoryBound: 0
; FloatMode: 240
; IeeeMode: 1
; LDSByteSize: 0 bytes/workgroup (compile time only)
; SGPRBlocks: 0
; VGPRBlocks: 0
; NumSGPRsForWavesPerEU: 4
; NumVGPRsForWavesPerEU: 1
; Occupancy: 10
; WaveLimiterHint : 0
; COMPUTE_PGM_RSRC2:SCRATCH_EN: 0
; COMPUTE_PGM_RSRC2:USER_SGPR: 6
; COMPUTE_PGM_RSRC2:TRAP_HANDLER: 0
; COMPUTE_PGM_RSRC2:TGID_X_EN: 1
; COMPUTE_PGM_RSRC2:TGID_Y_EN: 0
; COMPUTE_PGM_RSRC2:TGID_Z_EN: 0
; COMPUTE_PGM_RSRC2:TIDIG_COMP_CNT: 0
	.section	.text._ZN7rocprim17ROCPRIM_400000_NS6detail17trampoline_kernelINS0_14default_configENS1_35adjacent_difference_config_selectorILb1EdEEZNS1_24adjacent_difference_implIS3_Lb1ELb0EPKdPdN6thrust23THRUST_200600_302600_NS4plusIdEEEE10hipError_tPvRmT2_T3_mT4_P12ihipStream_tbEUlT_E_NS1_11comp_targetILNS1_3genE10ELNS1_11target_archE1201ELNS1_3gpuE5ELNS1_3repE0EEENS1_30default_config_static_selectorELNS0_4arch9wavefront6targetE1EEEvT1_,"axG",@progbits,_ZN7rocprim17ROCPRIM_400000_NS6detail17trampoline_kernelINS0_14default_configENS1_35adjacent_difference_config_selectorILb1EdEEZNS1_24adjacent_difference_implIS3_Lb1ELb0EPKdPdN6thrust23THRUST_200600_302600_NS4plusIdEEEE10hipError_tPvRmT2_T3_mT4_P12ihipStream_tbEUlT_E_NS1_11comp_targetILNS1_3genE10ELNS1_11target_archE1201ELNS1_3gpuE5ELNS1_3repE0EEENS1_30default_config_static_selectorELNS0_4arch9wavefront6targetE1EEEvT1_,comdat
	.protected	_ZN7rocprim17ROCPRIM_400000_NS6detail17trampoline_kernelINS0_14default_configENS1_35adjacent_difference_config_selectorILb1EdEEZNS1_24adjacent_difference_implIS3_Lb1ELb0EPKdPdN6thrust23THRUST_200600_302600_NS4plusIdEEEE10hipError_tPvRmT2_T3_mT4_P12ihipStream_tbEUlT_E_NS1_11comp_targetILNS1_3genE10ELNS1_11target_archE1201ELNS1_3gpuE5ELNS1_3repE0EEENS1_30default_config_static_selectorELNS0_4arch9wavefront6targetE1EEEvT1_ ; -- Begin function _ZN7rocprim17ROCPRIM_400000_NS6detail17trampoline_kernelINS0_14default_configENS1_35adjacent_difference_config_selectorILb1EdEEZNS1_24adjacent_difference_implIS3_Lb1ELb0EPKdPdN6thrust23THRUST_200600_302600_NS4plusIdEEEE10hipError_tPvRmT2_T3_mT4_P12ihipStream_tbEUlT_E_NS1_11comp_targetILNS1_3genE10ELNS1_11target_archE1201ELNS1_3gpuE5ELNS1_3repE0EEENS1_30default_config_static_selectorELNS0_4arch9wavefront6targetE1EEEvT1_
	.globl	_ZN7rocprim17ROCPRIM_400000_NS6detail17trampoline_kernelINS0_14default_configENS1_35adjacent_difference_config_selectorILb1EdEEZNS1_24adjacent_difference_implIS3_Lb1ELb0EPKdPdN6thrust23THRUST_200600_302600_NS4plusIdEEEE10hipError_tPvRmT2_T3_mT4_P12ihipStream_tbEUlT_E_NS1_11comp_targetILNS1_3genE10ELNS1_11target_archE1201ELNS1_3gpuE5ELNS1_3repE0EEENS1_30default_config_static_selectorELNS0_4arch9wavefront6targetE1EEEvT1_
	.p2align	8
	.type	_ZN7rocprim17ROCPRIM_400000_NS6detail17trampoline_kernelINS0_14default_configENS1_35adjacent_difference_config_selectorILb1EdEEZNS1_24adjacent_difference_implIS3_Lb1ELb0EPKdPdN6thrust23THRUST_200600_302600_NS4plusIdEEEE10hipError_tPvRmT2_T3_mT4_P12ihipStream_tbEUlT_E_NS1_11comp_targetILNS1_3genE10ELNS1_11target_archE1201ELNS1_3gpuE5ELNS1_3repE0EEENS1_30default_config_static_selectorELNS0_4arch9wavefront6targetE1EEEvT1_,@function
_ZN7rocprim17ROCPRIM_400000_NS6detail17trampoline_kernelINS0_14default_configENS1_35adjacent_difference_config_selectorILb1EdEEZNS1_24adjacent_difference_implIS3_Lb1ELb0EPKdPdN6thrust23THRUST_200600_302600_NS4plusIdEEEE10hipError_tPvRmT2_T3_mT4_P12ihipStream_tbEUlT_E_NS1_11comp_targetILNS1_3genE10ELNS1_11target_archE1201ELNS1_3gpuE5ELNS1_3repE0EEENS1_30default_config_static_selectorELNS0_4arch9wavefront6targetE1EEEvT1_: ; @_ZN7rocprim17ROCPRIM_400000_NS6detail17trampoline_kernelINS0_14default_configENS1_35adjacent_difference_config_selectorILb1EdEEZNS1_24adjacent_difference_implIS3_Lb1ELb0EPKdPdN6thrust23THRUST_200600_302600_NS4plusIdEEEE10hipError_tPvRmT2_T3_mT4_P12ihipStream_tbEUlT_E_NS1_11comp_targetILNS1_3genE10ELNS1_11target_archE1201ELNS1_3gpuE5ELNS1_3repE0EEENS1_30default_config_static_selectorELNS0_4arch9wavefront6targetE1EEEvT1_
; %bb.0:
	.section	.rodata,"a",@progbits
	.p2align	6, 0x0
	.amdhsa_kernel _ZN7rocprim17ROCPRIM_400000_NS6detail17trampoline_kernelINS0_14default_configENS1_35adjacent_difference_config_selectorILb1EdEEZNS1_24adjacent_difference_implIS3_Lb1ELb0EPKdPdN6thrust23THRUST_200600_302600_NS4plusIdEEEE10hipError_tPvRmT2_T3_mT4_P12ihipStream_tbEUlT_E_NS1_11comp_targetILNS1_3genE10ELNS1_11target_archE1201ELNS1_3gpuE5ELNS1_3repE0EEENS1_30default_config_static_selectorELNS0_4arch9wavefront6targetE1EEEvT1_
		.amdhsa_group_segment_fixed_size 0
		.amdhsa_private_segment_fixed_size 0
		.amdhsa_kernarg_size 56
		.amdhsa_user_sgpr_count 6
		.amdhsa_user_sgpr_private_segment_buffer 1
		.amdhsa_user_sgpr_dispatch_ptr 0
		.amdhsa_user_sgpr_queue_ptr 0
		.amdhsa_user_sgpr_kernarg_segment_ptr 1
		.amdhsa_user_sgpr_dispatch_id 0
		.amdhsa_user_sgpr_flat_scratch_init 0
		.amdhsa_user_sgpr_private_segment_size 0
		.amdhsa_uses_dynamic_stack 0
		.amdhsa_system_sgpr_private_segment_wavefront_offset 0
		.amdhsa_system_sgpr_workgroup_id_x 1
		.amdhsa_system_sgpr_workgroup_id_y 0
		.amdhsa_system_sgpr_workgroup_id_z 0
		.amdhsa_system_sgpr_workgroup_info 0
		.amdhsa_system_vgpr_workitem_id 0
		.amdhsa_next_free_vgpr 1
		.amdhsa_next_free_sgpr 0
		.amdhsa_reserve_vcc 0
		.amdhsa_reserve_flat_scratch 0
		.amdhsa_float_round_mode_32 0
		.amdhsa_float_round_mode_16_64 0
		.amdhsa_float_denorm_mode_32 3
		.amdhsa_float_denorm_mode_16_64 3
		.amdhsa_dx10_clamp 1
		.amdhsa_ieee_mode 1
		.amdhsa_fp16_overflow 0
		.amdhsa_exception_fp_ieee_invalid_op 0
		.amdhsa_exception_fp_denorm_src 0
		.amdhsa_exception_fp_ieee_div_zero 0
		.amdhsa_exception_fp_ieee_overflow 0
		.amdhsa_exception_fp_ieee_underflow 0
		.amdhsa_exception_fp_ieee_inexact 0
		.amdhsa_exception_int_div_zero 0
	.end_amdhsa_kernel
	.section	.text._ZN7rocprim17ROCPRIM_400000_NS6detail17trampoline_kernelINS0_14default_configENS1_35adjacent_difference_config_selectorILb1EdEEZNS1_24adjacent_difference_implIS3_Lb1ELb0EPKdPdN6thrust23THRUST_200600_302600_NS4plusIdEEEE10hipError_tPvRmT2_T3_mT4_P12ihipStream_tbEUlT_E_NS1_11comp_targetILNS1_3genE10ELNS1_11target_archE1201ELNS1_3gpuE5ELNS1_3repE0EEENS1_30default_config_static_selectorELNS0_4arch9wavefront6targetE1EEEvT1_,"axG",@progbits,_ZN7rocprim17ROCPRIM_400000_NS6detail17trampoline_kernelINS0_14default_configENS1_35adjacent_difference_config_selectorILb1EdEEZNS1_24adjacent_difference_implIS3_Lb1ELb0EPKdPdN6thrust23THRUST_200600_302600_NS4plusIdEEEE10hipError_tPvRmT2_T3_mT4_P12ihipStream_tbEUlT_E_NS1_11comp_targetILNS1_3genE10ELNS1_11target_archE1201ELNS1_3gpuE5ELNS1_3repE0EEENS1_30default_config_static_selectorELNS0_4arch9wavefront6targetE1EEEvT1_,comdat
.Lfunc_end591:
	.size	_ZN7rocprim17ROCPRIM_400000_NS6detail17trampoline_kernelINS0_14default_configENS1_35adjacent_difference_config_selectorILb1EdEEZNS1_24adjacent_difference_implIS3_Lb1ELb0EPKdPdN6thrust23THRUST_200600_302600_NS4plusIdEEEE10hipError_tPvRmT2_T3_mT4_P12ihipStream_tbEUlT_E_NS1_11comp_targetILNS1_3genE10ELNS1_11target_archE1201ELNS1_3gpuE5ELNS1_3repE0EEENS1_30default_config_static_selectorELNS0_4arch9wavefront6targetE1EEEvT1_, .Lfunc_end591-_ZN7rocprim17ROCPRIM_400000_NS6detail17trampoline_kernelINS0_14default_configENS1_35adjacent_difference_config_selectorILb1EdEEZNS1_24adjacent_difference_implIS3_Lb1ELb0EPKdPdN6thrust23THRUST_200600_302600_NS4plusIdEEEE10hipError_tPvRmT2_T3_mT4_P12ihipStream_tbEUlT_E_NS1_11comp_targetILNS1_3genE10ELNS1_11target_archE1201ELNS1_3gpuE5ELNS1_3repE0EEENS1_30default_config_static_selectorELNS0_4arch9wavefront6targetE1EEEvT1_
                                        ; -- End function
	.set _ZN7rocprim17ROCPRIM_400000_NS6detail17trampoline_kernelINS0_14default_configENS1_35adjacent_difference_config_selectorILb1EdEEZNS1_24adjacent_difference_implIS3_Lb1ELb0EPKdPdN6thrust23THRUST_200600_302600_NS4plusIdEEEE10hipError_tPvRmT2_T3_mT4_P12ihipStream_tbEUlT_E_NS1_11comp_targetILNS1_3genE10ELNS1_11target_archE1201ELNS1_3gpuE5ELNS1_3repE0EEENS1_30default_config_static_selectorELNS0_4arch9wavefront6targetE1EEEvT1_.num_vgpr, 0
	.set _ZN7rocprim17ROCPRIM_400000_NS6detail17trampoline_kernelINS0_14default_configENS1_35adjacent_difference_config_selectorILb1EdEEZNS1_24adjacent_difference_implIS3_Lb1ELb0EPKdPdN6thrust23THRUST_200600_302600_NS4plusIdEEEE10hipError_tPvRmT2_T3_mT4_P12ihipStream_tbEUlT_E_NS1_11comp_targetILNS1_3genE10ELNS1_11target_archE1201ELNS1_3gpuE5ELNS1_3repE0EEENS1_30default_config_static_selectorELNS0_4arch9wavefront6targetE1EEEvT1_.num_agpr, 0
	.set _ZN7rocprim17ROCPRIM_400000_NS6detail17trampoline_kernelINS0_14default_configENS1_35adjacent_difference_config_selectorILb1EdEEZNS1_24adjacent_difference_implIS3_Lb1ELb0EPKdPdN6thrust23THRUST_200600_302600_NS4plusIdEEEE10hipError_tPvRmT2_T3_mT4_P12ihipStream_tbEUlT_E_NS1_11comp_targetILNS1_3genE10ELNS1_11target_archE1201ELNS1_3gpuE5ELNS1_3repE0EEENS1_30default_config_static_selectorELNS0_4arch9wavefront6targetE1EEEvT1_.numbered_sgpr, 0
	.set _ZN7rocprim17ROCPRIM_400000_NS6detail17trampoline_kernelINS0_14default_configENS1_35adjacent_difference_config_selectorILb1EdEEZNS1_24adjacent_difference_implIS3_Lb1ELb0EPKdPdN6thrust23THRUST_200600_302600_NS4plusIdEEEE10hipError_tPvRmT2_T3_mT4_P12ihipStream_tbEUlT_E_NS1_11comp_targetILNS1_3genE10ELNS1_11target_archE1201ELNS1_3gpuE5ELNS1_3repE0EEENS1_30default_config_static_selectorELNS0_4arch9wavefront6targetE1EEEvT1_.num_named_barrier, 0
	.set _ZN7rocprim17ROCPRIM_400000_NS6detail17trampoline_kernelINS0_14default_configENS1_35adjacent_difference_config_selectorILb1EdEEZNS1_24adjacent_difference_implIS3_Lb1ELb0EPKdPdN6thrust23THRUST_200600_302600_NS4plusIdEEEE10hipError_tPvRmT2_T3_mT4_P12ihipStream_tbEUlT_E_NS1_11comp_targetILNS1_3genE10ELNS1_11target_archE1201ELNS1_3gpuE5ELNS1_3repE0EEENS1_30default_config_static_selectorELNS0_4arch9wavefront6targetE1EEEvT1_.private_seg_size, 0
	.set _ZN7rocprim17ROCPRIM_400000_NS6detail17trampoline_kernelINS0_14default_configENS1_35adjacent_difference_config_selectorILb1EdEEZNS1_24adjacent_difference_implIS3_Lb1ELb0EPKdPdN6thrust23THRUST_200600_302600_NS4plusIdEEEE10hipError_tPvRmT2_T3_mT4_P12ihipStream_tbEUlT_E_NS1_11comp_targetILNS1_3genE10ELNS1_11target_archE1201ELNS1_3gpuE5ELNS1_3repE0EEENS1_30default_config_static_selectorELNS0_4arch9wavefront6targetE1EEEvT1_.uses_vcc, 0
	.set _ZN7rocprim17ROCPRIM_400000_NS6detail17trampoline_kernelINS0_14default_configENS1_35adjacent_difference_config_selectorILb1EdEEZNS1_24adjacent_difference_implIS3_Lb1ELb0EPKdPdN6thrust23THRUST_200600_302600_NS4plusIdEEEE10hipError_tPvRmT2_T3_mT4_P12ihipStream_tbEUlT_E_NS1_11comp_targetILNS1_3genE10ELNS1_11target_archE1201ELNS1_3gpuE5ELNS1_3repE0EEENS1_30default_config_static_selectorELNS0_4arch9wavefront6targetE1EEEvT1_.uses_flat_scratch, 0
	.set _ZN7rocprim17ROCPRIM_400000_NS6detail17trampoline_kernelINS0_14default_configENS1_35adjacent_difference_config_selectorILb1EdEEZNS1_24adjacent_difference_implIS3_Lb1ELb0EPKdPdN6thrust23THRUST_200600_302600_NS4plusIdEEEE10hipError_tPvRmT2_T3_mT4_P12ihipStream_tbEUlT_E_NS1_11comp_targetILNS1_3genE10ELNS1_11target_archE1201ELNS1_3gpuE5ELNS1_3repE0EEENS1_30default_config_static_selectorELNS0_4arch9wavefront6targetE1EEEvT1_.has_dyn_sized_stack, 0
	.set _ZN7rocprim17ROCPRIM_400000_NS6detail17trampoline_kernelINS0_14default_configENS1_35adjacent_difference_config_selectorILb1EdEEZNS1_24adjacent_difference_implIS3_Lb1ELb0EPKdPdN6thrust23THRUST_200600_302600_NS4plusIdEEEE10hipError_tPvRmT2_T3_mT4_P12ihipStream_tbEUlT_E_NS1_11comp_targetILNS1_3genE10ELNS1_11target_archE1201ELNS1_3gpuE5ELNS1_3repE0EEENS1_30default_config_static_selectorELNS0_4arch9wavefront6targetE1EEEvT1_.has_recursion, 0
	.set _ZN7rocprim17ROCPRIM_400000_NS6detail17trampoline_kernelINS0_14default_configENS1_35adjacent_difference_config_selectorILb1EdEEZNS1_24adjacent_difference_implIS3_Lb1ELb0EPKdPdN6thrust23THRUST_200600_302600_NS4plusIdEEEE10hipError_tPvRmT2_T3_mT4_P12ihipStream_tbEUlT_E_NS1_11comp_targetILNS1_3genE10ELNS1_11target_archE1201ELNS1_3gpuE5ELNS1_3repE0EEENS1_30default_config_static_selectorELNS0_4arch9wavefront6targetE1EEEvT1_.has_indirect_call, 0
	.section	.AMDGPU.csdata,"",@progbits
; Kernel info:
; codeLenInByte = 0
; TotalNumSgprs: 4
; NumVgprs: 0
; ScratchSize: 0
; MemoryBound: 0
; FloatMode: 240
; IeeeMode: 1
; LDSByteSize: 0 bytes/workgroup (compile time only)
; SGPRBlocks: 0
; VGPRBlocks: 0
; NumSGPRsForWavesPerEU: 4
; NumVGPRsForWavesPerEU: 1
; Occupancy: 10
; WaveLimiterHint : 0
; COMPUTE_PGM_RSRC2:SCRATCH_EN: 0
; COMPUTE_PGM_RSRC2:USER_SGPR: 6
; COMPUTE_PGM_RSRC2:TRAP_HANDLER: 0
; COMPUTE_PGM_RSRC2:TGID_X_EN: 1
; COMPUTE_PGM_RSRC2:TGID_Y_EN: 0
; COMPUTE_PGM_RSRC2:TGID_Z_EN: 0
; COMPUTE_PGM_RSRC2:TIDIG_COMP_CNT: 0
	.section	.text._ZN7rocprim17ROCPRIM_400000_NS6detail17trampoline_kernelINS0_14default_configENS1_35adjacent_difference_config_selectorILb1EdEEZNS1_24adjacent_difference_implIS3_Lb1ELb0EPKdPdN6thrust23THRUST_200600_302600_NS4plusIdEEEE10hipError_tPvRmT2_T3_mT4_P12ihipStream_tbEUlT_E_NS1_11comp_targetILNS1_3genE5ELNS1_11target_archE942ELNS1_3gpuE9ELNS1_3repE0EEENS1_30default_config_static_selectorELNS0_4arch9wavefront6targetE1EEEvT1_,"axG",@progbits,_ZN7rocprim17ROCPRIM_400000_NS6detail17trampoline_kernelINS0_14default_configENS1_35adjacent_difference_config_selectorILb1EdEEZNS1_24adjacent_difference_implIS3_Lb1ELb0EPKdPdN6thrust23THRUST_200600_302600_NS4plusIdEEEE10hipError_tPvRmT2_T3_mT4_P12ihipStream_tbEUlT_E_NS1_11comp_targetILNS1_3genE5ELNS1_11target_archE942ELNS1_3gpuE9ELNS1_3repE0EEENS1_30default_config_static_selectorELNS0_4arch9wavefront6targetE1EEEvT1_,comdat
	.protected	_ZN7rocprim17ROCPRIM_400000_NS6detail17trampoline_kernelINS0_14default_configENS1_35adjacent_difference_config_selectorILb1EdEEZNS1_24adjacent_difference_implIS3_Lb1ELb0EPKdPdN6thrust23THRUST_200600_302600_NS4plusIdEEEE10hipError_tPvRmT2_T3_mT4_P12ihipStream_tbEUlT_E_NS1_11comp_targetILNS1_3genE5ELNS1_11target_archE942ELNS1_3gpuE9ELNS1_3repE0EEENS1_30default_config_static_selectorELNS0_4arch9wavefront6targetE1EEEvT1_ ; -- Begin function _ZN7rocprim17ROCPRIM_400000_NS6detail17trampoline_kernelINS0_14default_configENS1_35adjacent_difference_config_selectorILb1EdEEZNS1_24adjacent_difference_implIS3_Lb1ELb0EPKdPdN6thrust23THRUST_200600_302600_NS4plusIdEEEE10hipError_tPvRmT2_T3_mT4_P12ihipStream_tbEUlT_E_NS1_11comp_targetILNS1_3genE5ELNS1_11target_archE942ELNS1_3gpuE9ELNS1_3repE0EEENS1_30default_config_static_selectorELNS0_4arch9wavefront6targetE1EEEvT1_
	.globl	_ZN7rocprim17ROCPRIM_400000_NS6detail17trampoline_kernelINS0_14default_configENS1_35adjacent_difference_config_selectorILb1EdEEZNS1_24adjacent_difference_implIS3_Lb1ELb0EPKdPdN6thrust23THRUST_200600_302600_NS4plusIdEEEE10hipError_tPvRmT2_T3_mT4_P12ihipStream_tbEUlT_E_NS1_11comp_targetILNS1_3genE5ELNS1_11target_archE942ELNS1_3gpuE9ELNS1_3repE0EEENS1_30default_config_static_selectorELNS0_4arch9wavefront6targetE1EEEvT1_
	.p2align	8
	.type	_ZN7rocprim17ROCPRIM_400000_NS6detail17trampoline_kernelINS0_14default_configENS1_35adjacent_difference_config_selectorILb1EdEEZNS1_24adjacent_difference_implIS3_Lb1ELb0EPKdPdN6thrust23THRUST_200600_302600_NS4plusIdEEEE10hipError_tPvRmT2_T3_mT4_P12ihipStream_tbEUlT_E_NS1_11comp_targetILNS1_3genE5ELNS1_11target_archE942ELNS1_3gpuE9ELNS1_3repE0EEENS1_30default_config_static_selectorELNS0_4arch9wavefront6targetE1EEEvT1_,@function
_ZN7rocprim17ROCPRIM_400000_NS6detail17trampoline_kernelINS0_14default_configENS1_35adjacent_difference_config_selectorILb1EdEEZNS1_24adjacent_difference_implIS3_Lb1ELb0EPKdPdN6thrust23THRUST_200600_302600_NS4plusIdEEEE10hipError_tPvRmT2_T3_mT4_P12ihipStream_tbEUlT_E_NS1_11comp_targetILNS1_3genE5ELNS1_11target_archE942ELNS1_3gpuE9ELNS1_3repE0EEENS1_30default_config_static_selectorELNS0_4arch9wavefront6targetE1EEEvT1_: ; @_ZN7rocprim17ROCPRIM_400000_NS6detail17trampoline_kernelINS0_14default_configENS1_35adjacent_difference_config_selectorILb1EdEEZNS1_24adjacent_difference_implIS3_Lb1ELb0EPKdPdN6thrust23THRUST_200600_302600_NS4plusIdEEEE10hipError_tPvRmT2_T3_mT4_P12ihipStream_tbEUlT_E_NS1_11comp_targetILNS1_3genE5ELNS1_11target_archE942ELNS1_3gpuE9ELNS1_3repE0EEENS1_30default_config_static_selectorELNS0_4arch9wavefront6targetE1EEEvT1_
; %bb.0:
	.section	.rodata,"a",@progbits
	.p2align	6, 0x0
	.amdhsa_kernel _ZN7rocprim17ROCPRIM_400000_NS6detail17trampoline_kernelINS0_14default_configENS1_35adjacent_difference_config_selectorILb1EdEEZNS1_24adjacent_difference_implIS3_Lb1ELb0EPKdPdN6thrust23THRUST_200600_302600_NS4plusIdEEEE10hipError_tPvRmT2_T3_mT4_P12ihipStream_tbEUlT_E_NS1_11comp_targetILNS1_3genE5ELNS1_11target_archE942ELNS1_3gpuE9ELNS1_3repE0EEENS1_30default_config_static_selectorELNS0_4arch9wavefront6targetE1EEEvT1_
		.amdhsa_group_segment_fixed_size 0
		.amdhsa_private_segment_fixed_size 0
		.amdhsa_kernarg_size 56
		.amdhsa_user_sgpr_count 6
		.amdhsa_user_sgpr_private_segment_buffer 1
		.amdhsa_user_sgpr_dispatch_ptr 0
		.amdhsa_user_sgpr_queue_ptr 0
		.amdhsa_user_sgpr_kernarg_segment_ptr 1
		.amdhsa_user_sgpr_dispatch_id 0
		.amdhsa_user_sgpr_flat_scratch_init 0
		.amdhsa_user_sgpr_private_segment_size 0
		.amdhsa_uses_dynamic_stack 0
		.amdhsa_system_sgpr_private_segment_wavefront_offset 0
		.amdhsa_system_sgpr_workgroup_id_x 1
		.amdhsa_system_sgpr_workgroup_id_y 0
		.amdhsa_system_sgpr_workgroup_id_z 0
		.amdhsa_system_sgpr_workgroup_info 0
		.amdhsa_system_vgpr_workitem_id 0
		.amdhsa_next_free_vgpr 1
		.amdhsa_next_free_sgpr 0
		.amdhsa_reserve_vcc 0
		.amdhsa_reserve_flat_scratch 0
		.amdhsa_float_round_mode_32 0
		.amdhsa_float_round_mode_16_64 0
		.amdhsa_float_denorm_mode_32 3
		.amdhsa_float_denorm_mode_16_64 3
		.amdhsa_dx10_clamp 1
		.amdhsa_ieee_mode 1
		.amdhsa_fp16_overflow 0
		.amdhsa_exception_fp_ieee_invalid_op 0
		.amdhsa_exception_fp_denorm_src 0
		.amdhsa_exception_fp_ieee_div_zero 0
		.amdhsa_exception_fp_ieee_overflow 0
		.amdhsa_exception_fp_ieee_underflow 0
		.amdhsa_exception_fp_ieee_inexact 0
		.amdhsa_exception_int_div_zero 0
	.end_amdhsa_kernel
	.section	.text._ZN7rocprim17ROCPRIM_400000_NS6detail17trampoline_kernelINS0_14default_configENS1_35adjacent_difference_config_selectorILb1EdEEZNS1_24adjacent_difference_implIS3_Lb1ELb0EPKdPdN6thrust23THRUST_200600_302600_NS4plusIdEEEE10hipError_tPvRmT2_T3_mT4_P12ihipStream_tbEUlT_E_NS1_11comp_targetILNS1_3genE5ELNS1_11target_archE942ELNS1_3gpuE9ELNS1_3repE0EEENS1_30default_config_static_selectorELNS0_4arch9wavefront6targetE1EEEvT1_,"axG",@progbits,_ZN7rocprim17ROCPRIM_400000_NS6detail17trampoline_kernelINS0_14default_configENS1_35adjacent_difference_config_selectorILb1EdEEZNS1_24adjacent_difference_implIS3_Lb1ELb0EPKdPdN6thrust23THRUST_200600_302600_NS4plusIdEEEE10hipError_tPvRmT2_T3_mT4_P12ihipStream_tbEUlT_E_NS1_11comp_targetILNS1_3genE5ELNS1_11target_archE942ELNS1_3gpuE9ELNS1_3repE0EEENS1_30default_config_static_selectorELNS0_4arch9wavefront6targetE1EEEvT1_,comdat
.Lfunc_end592:
	.size	_ZN7rocprim17ROCPRIM_400000_NS6detail17trampoline_kernelINS0_14default_configENS1_35adjacent_difference_config_selectorILb1EdEEZNS1_24adjacent_difference_implIS3_Lb1ELb0EPKdPdN6thrust23THRUST_200600_302600_NS4plusIdEEEE10hipError_tPvRmT2_T3_mT4_P12ihipStream_tbEUlT_E_NS1_11comp_targetILNS1_3genE5ELNS1_11target_archE942ELNS1_3gpuE9ELNS1_3repE0EEENS1_30default_config_static_selectorELNS0_4arch9wavefront6targetE1EEEvT1_, .Lfunc_end592-_ZN7rocprim17ROCPRIM_400000_NS6detail17trampoline_kernelINS0_14default_configENS1_35adjacent_difference_config_selectorILb1EdEEZNS1_24adjacent_difference_implIS3_Lb1ELb0EPKdPdN6thrust23THRUST_200600_302600_NS4plusIdEEEE10hipError_tPvRmT2_T3_mT4_P12ihipStream_tbEUlT_E_NS1_11comp_targetILNS1_3genE5ELNS1_11target_archE942ELNS1_3gpuE9ELNS1_3repE0EEENS1_30default_config_static_selectorELNS0_4arch9wavefront6targetE1EEEvT1_
                                        ; -- End function
	.set _ZN7rocprim17ROCPRIM_400000_NS6detail17trampoline_kernelINS0_14default_configENS1_35adjacent_difference_config_selectorILb1EdEEZNS1_24adjacent_difference_implIS3_Lb1ELb0EPKdPdN6thrust23THRUST_200600_302600_NS4plusIdEEEE10hipError_tPvRmT2_T3_mT4_P12ihipStream_tbEUlT_E_NS1_11comp_targetILNS1_3genE5ELNS1_11target_archE942ELNS1_3gpuE9ELNS1_3repE0EEENS1_30default_config_static_selectorELNS0_4arch9wavefront6targetE1EEEvT1_.num_vgpr, 0
	.set _ZN7rocprim17ROCPRIM_400000_NS6detail17trampoline_kernelINS0_14default_configENS1_35adjacent_difference_config_selectorILb1EdEEZNS1_24adjacent_difference_implIS3_Lb1ELb0EPKdPdN6thrust23THRUST_200600_302600_NS4plusIdEEEE10hipError_tPvRmT2_T3_mT4_P12ihipStream_tbEUlT_E_NS1_11comp_targetILNS1_3genE5ELNS1_11target_archE942ELNS1_3gpuE9ELNS1_3repE0EEENS1_30default_config_static_selectorELNS0_4arch9wavefront6targetE1EEEvT1_.num_agpr, 0
	.set _ZN7rocprim17ROCPRIM_400000_NS6detail17trampoline_kernelINS0_14default_configENS1_35adjacent_difference_config_selectorILb1EdEEZNS1_24adjacent_difference_implIS3_Lb1ELb0EPKdPdN6thrust23THRUST_200600_302600_NS4plusIdEEEE10hipError_tPvRmT2_T3_mT4_P12ihipStream_tbEUlT_E_NS1_11comp_targetILNS1_3genE5ELNS1_11target_archE942ELNS1_3gpuE9ELNS1_3repE0EEENS1_30default_config_static_selectorELNS0_4arch9wavefront6targetE1EEEvT1_.numbered_sgpr, 0
	.set _ZN7rocprim17ROCPRIM_400000_NS6detail17trampoline_kernelINS0_14default_configENS1_35adjacent_difference_config_selectorILb1EdEEZNS1_24adjacent_difference_implIS3_Lb1ELb0EPKdPdN6thrust23THRUST_200600_302600_NS4plusIdEEEE10hipError_tPvRmT2_T3_mT4_P12ihipStream_tbEUlT_E_NS1_11comp_targetILNS1_3genE5ELNS1_11target_archE942ELNS1_3gpuE9ELNS1_3repE0EEENS1_30default_config_static_selectorELNS0_4arch9wavefront6targetE1EEEvT1_.num_named_barrier, 0
	.set _ZN7rocprim17ROCPRIM_400000_NS6detail17trampoline_kernelINS0_14default_configENS1_35adjacent_difference_config_selectorILb1EdEEZNS1_24adjacent_difference_implIS3_Lb1ELb0EPKdPdN6thrust23THRUST_200600_302600_NS4plusIdEEEE10hipError_tPvRmT2_T3_mT4_P12ihipStream_tbEUlT_E_NS1_11comp_targetILNS1_3genE5ELNS1_11target_archE942ELNS1_3gpuE9ELNS1_3repE0EEENS1_30default_config_static_selectorELNS0_4arch9wavefront6targetE1EEEvT1_.private_seg_size, 0
	.set _ZN7rocprim17ROCPRIM_400000_NS6detail17trampoline_kernelINS0_14default_configENS1_35adjacent_difference_config_selectorILb1EdEEZNS1_24adjacent_difference_implIS3_Lb1ELb0EPKdPdN6thrust23THRUST_200600_302600_NS4plusIdEEEE10hipError_tPvRmT2_T3_mT4_P12ihipStream_tbEUlT_E_NS1_11comp_targetILNS1_3genE5ELNS1_11target_archE942ELNS1_3gpuE9ELNS1_3repE0EEENS1_30default_config_static_selectorELNS0_4arch9wavefront6targetE1EEEvT1_.uses_vcc, 0
	.set _ZN7rocprim17ROCPRIM_400000_NS6detail17trampoline_kernelINS0_14default_configENS1_35adjacent_difference_config_selectorILb1EdEEZNS1_24adjacent_difference_implIS3_Lb1ELb0EPKdPdN6thrust23THRUST_200600_302600_NS4plusIdEEEE10hipError_tPvRmT2_T3_mT4_P12ihipStream_tbEUlT_E_NS1_11comp_targetILNS1_3genE5ELNS1_11target_archE942ELNS1_3gpuE9ELNS1_3repE0EEENS1_30default_config_static_selectorELNS0_4arch9wavefront6targetE1EEEvT1_.uses_flat_scratch, 0
	.set _ZN7rocprim17ROCPRIM_400000_NS6detail17trampoline_kernelINS0_14default_configENS1_35adjacent_difference_config_selectorILb1EdEEZNS1_24adjacent_difference_implIS3_Lb1ELb0EPKdPdN6thrust23THRUST_200600_302600_NS4plusIdEEEE10hipError_tPvRmT2_T3_mT4_P12ihipStream_tbEUlT_E_NS1_11comp_targetILNS1_3genE5ELNS1_11target_archE942ELNS1_3gpuE9ELNS1_3repE0EEENS1_30default_config_static_selectorELNS0_4arch9wavefront6targetE1EEEvT1_.has_dyn_sized_stack, 0
	.set _ZN7rocprim17ROCPRIM_400000_NS6detail17trampoline_kernelINS0_14default_configENS1_35adjacent_difference_config_selectorILb1EdEEZNS1_24adjacent_difference_implIS3_Lb1ELb0EPKdPdN6thrust23THRUST_200600_302600_NS4plusIdEEEE10hipError_tPvRmT2_T3_mT4_P12ihipStream_tbEUlT_E_NS1_11comp_targetILNS1_3genE5ELNS1_11target_archE942ELNS1_3gpuE9ELNS1_3repE0EEENS1_30default_config_static_selectorELNS0_4arch9wavefront6targetE1EEEvT1_.has_recursion, 0
	.set _ZN7rocprim17ROCPRIM_400000_NS6detail17trampoline_kernelINS0_14default_configENS1_35adjacent_difference_config_selectorILb1EdEEZNS1_24adjacent_difference_implIS3_Lb1ELb0EPKdPdN6thrust23THRUST_200600_302600_NS4plusIdEEEE10hipError_tPvRmT2_T3_mT4_P12ihipStream_tbEUlT_E_NS1_11comp_targetILNS1_3genE5ELNS1_11target_archE942ELNS1_3gpuE9ELNS1_3repE0EEENS1_30default_config_static_selectorELNS0_4arch9wavefront6targetE1EEEvT1_.has_indirect_call, 0
	.section	.AMDGPU.csdata,"",@progbits
; Kernel info:
; codeLenInByte = 0
; TotalNumSgprs: 4
; NumVgprs: 0
; ScratchSize: 0
; MemoryBound: 0
; FloatMode: 240
; IeeeMode: 1
; LDSByteSize: 0 bytes/workgroup (compile time only)
; SGPRBlocks: 0
; VGPRBlocks: 0
; NumSGPRsForWavesPerEU: 4
; NumVGPRsForWavesPerEU: 1
; Occupancy: 10
; WaveLimiterHint : 0
; COMPUTE_PGM_RSRC2:SCRATCH_EN: 0
; COMPUTE_PGM_RSRC2:USER_SGPR: 6
; COMPUTE_PGM_RSRC2:TRAP_HANDLER: 0
; COMPUTE_PGM_RSRC2:TGID_X_EN: 1
; COMPUTE_PGM_RSRC2:TGID_Y_EN: 0
; COMPUTE_PGM_RSRC2:TGID_Z_EN: 0
; COMPUTE_PGM_RSRC2:TIDIG_COMP_CNT: 0
	.section	.text._ZN7rocprim17ROCPRIM_400000_NS6detail17trampoline_kernelINS0_14default_configENS1_35adjacent_difference_config_selectorILb1EdEEZNS1_24adjacent_difference_implIS3_Lb1ELb0EPKdPdN6thrust23THRUST_200600_302600_NS4plusIdEEEE10hipError_tPvRmT2_T3_mT4_P12ihipStream_tbEUlT_E_NS1_11comp_targetILNS1_3genE4ELNS1_11target_archE910ELNS1_3gpuE8ELNS1_3repE0EEENS1_30default_config_static_selectorELNS0_4arch9wavefront6targetE1EEEvT1_,"axG",@progbits,_ZN7rocprim17ROCPRIM_400000_NS6detail17trampoline_kernelINS0_14default_configENS1_35adjacent_difference_config_selectorILb1EdEEZNS1_24adjacent_difference_implIS3_Lb1ELb0EPKdPdN6thrust23THRUST_200600_302600_NS4plusIdEEEE10hipError_tPvRmT2_T3_mT4_P12ihipStream_tbEUlT_E_NS1_11comp_targetILNS1_3genE4ELNS1_11target_archE910ELNS1_3gpuE8ELNS1_3repE0EEENS1_30default_config_static_selectorELNS0_4arch9wavefront6targetE1EEEvT1_,comdat
	.protected	_ZN7rocprim17ROCPRIM_400000_NS6detail17trampoline_kernelINS0_14default_configENS1_35adjacent_difference_config_selectorILb1EdEEZNS1_24adjacent_difference_implIS3_Lb1ELb0EPKdPdN6thrust23THRUST_200600_302600_NS4plusIdEEEE10hipError_tPvRmT2_T3_mT4_P12ihipStream_tbEUlT_E_NS1_11comp_targetILNS1_3genE4ELNS1_11target_archE910ELNS1_3gpuE8ELNS1_3repE0EEENS1_30default_config_static_selectorELNS0_4arch9wavefront6targetE1EEEvT1_ ; -- Begin function _ZN7rocprim17ROCPRIM_400000_NS6detail17trampoline_kernelINS0_14default_configENS1_35adjacent_difference_config_selectorILb1EdEEZNS1_24adjacent_difference_implIS3_Lb1ELb0EPKdPdN6thrust23THRUST_200600_302600_NS4plusIdEEEE10hipError_tPvRmT2_T3_mT4_P12ihipStream_tbEUlT_E_NS1_11comp_targetILNS1_3genE4ELNS1_11target_archE910ELNS1_3gpuE8ELNS1_3repE0EEENS1_30default_config_static_selectorELNS0_4arch9wavefront6targetE1EEEvT1_
	.globl	_ZN7rocprim17ROCPRIM_400000_NS6detail17trampoline_kernelINS0_14default_configENS1_35adjacent_difference_config_selectorILb1EdEEZNS1_24adjacent_difference_implIS3_Lb1ELb0EPKdPdN6thrust23THRUST_200600_302600_NS4plusIdEEEE10hipError_tPvRmT2_T3_mT4_P12ihipStream_tbEUlT_E_NS1_11comp_targetILNS1_3genE4ELNS1_11target_archE910ELNS1_3gpuE8ELNS1_3repE0EEENS1_30default_config_static_selectorELNS0_4arch9wavefront6targetE1EEEvT1_
	.p2align	8
	.type	_ZN7rocprim17ROCPRIM_400000_NS6detail17trampoline_kernelINS0_14default_configENS1_35adjacent_difference_config_selectorILb1EdEEZNS1_24adjacent_difference_implIS3_Lb1ELb0EPKdPdN6thrust23THRUST_200600_302600_NS4plusIdEEEE10hipError_tPvRmT2_T3_mT4_P12ihipStream_tbEUlT_E_NS1_11comp_targetILNS1_3genE4ELNS1_11target_archE910ELNS1_3gpuE8ELNS1_3repE0EEENS1_30default_config_static_selectorELNS0_4arch9wavefront6targetE1EEEvT1_,@function
_ZN7rocprim17ROCPRIM_400000_NS6detail17trampoline_kernelINS0_14default_configENS1_35adjacent_difference_config_selectorILb1EdEEZNS1_24adjacent_difference_implIS3_Lb1ELb0EPKdPdN6thrust23THRUST_200600_302600_NS4plusIdEEEE10hipError_tPvRmT2_T3_mT4_P12ihipStream_tbEUlT_E_NS1_11comp_targetILNS1_3genE4ELNS1_11target_archE910ELNS1_3gpuE8ELNS1_3repE0EEENS1_30default_config_static_selectorELNS0_4arch9wavefront6targetE1EEEvT1_: ; @_ZN7rocprim17ROCPRIM_400000_NS6detail17trampoline_kernelINS0_14default_configENS1_35adjacent_difference_config_selectorILb1EdEEZNS1_24adjacent_difference_implIS3_Lb1ELb0EPKdPdN6thrust23THRUST_200600_302600_NS4plusIdEEEE10hipError_tPvRmT2_T3_mT4_P12ihipStream_tbEUlT_E_NS1_11comp_targetILNS1_3genE4ELNS1_11target_archE910ELNS1_3gpuE8ELNS1_3repE0EEENS1_30default_config_static_selectorELNS0_4arch9wavefront6targetE1EEEvT1_
; %bb.0:
	.section	.rodata,"a",@progbits
	.p2align	6, 0x0
	.amdhsa_kernel _ZN7rocprim17ROCPRIM_400000_NS6detail17trampoline_kernelINS0_14default_configENS1_35adjacent_difference_config_selectorILb1EdEEZNS1_24adjacent_difference_implIS3_Lb1ELb0EPKdPdN6thrust23THRUST_200600_302600_NS4plusIdEEEE10hipError_tPvRmT2_T3_mT4_P12ihipStream_tbEUlT_E_NS1_11comp_targetILNS1_3genE4ELNS1_11target_archE910ELNS1_3gpuE8ELNS1_3repE0EEENS1_30default_config_static_selectorELNS0_4arch9wavefront6targetE1EEEvT1_
		.amdhsa_group_segment_fixed_size 0
		.amdhsa_private_segment_fixed_size 0
		.amdhsa_kernarg_size 56
		.amdhsa_user_sgpr_count 6
		.amdhsa_user_sgpr_private_segment_buffer 1
		.amdhsa_user_sgpr_dispatch_ptr 0
		.amdhsa_user_sgpr_queue_ptr 0
		.amdhsa_user_sgpr_kernarg_segment_ptr 1
		.amdhsa_user_sgpr_dispatch_id 0
		.amdhsa_user_sgpr_flat_scratch_init 0
		.amdhsa_user_sgpr_private_segment_size 0
		.amdhsa_uses_dynamic_stack 0
		.amdhsa_system_sgpr_private_segment_wavefront_offset 0
		.amdhsa_system_sgpr_workgroup_id_x 1
		.amdhsa_system_sgpr_workgroup_id_y 0
		.amdhsa_system_sgpr_workgroup_id_z 0
		.amdhsa_system_sgpr_workgroup_info 0
		.amdhsa_system_vgpr_workitem_id 0
		.amdhsa_next_free_vgpr 1
		.amdhsa_next_free_sgpr 0
		.amdhsa_reserve_vcc 0
		.amdhsa_reserve_flat_scratch 0
		.amdhsa_float_round_mode_32 0
		.amdhsa_float_round_mode_16_64 0
		.amdhsa_float_denorm_mode_32 3
		.amdhsa_float_denorm_mode_16_64 3
		.amdhsa_dx10_clamp 1
		.amdhsa_ieee_mode 1
		.amdhsa_fp16_overflow 0
		.amdhsa_exception_fp_ieee_invalid_op 0
		.amdhsa_exception_fp_denorm_src 0
		.amdhsa_exception_fp_ieee_div_zero 0
		.amdhsa_exception_fp_ieee_overflow 0
		.amdhsa_exception_fp_ieee_underflow 0
		.amdhsa_exception_fp_ieee_inexact 0
		.amdhsa_exception_int_div_zero 0
	.end_amdhsa_kernel
	.section	.text._ZN7rocprim17ROCPRIM_400000_NS6detail17trampoline_kernelINS0_14default_configENS1_35adjacent_difference_config_selectorILb1EdEEZNS1_24adjacent_difference_implIS3_Lb1ELb0EPKdPdN6thrust23THRUST_200600_302600_NS4plusIdEEEE10hipError_tPvRmT2_T3_mT4_P12ihipStream_tbEUlT_E_NS1_11comp_targetILNS1_3genE4ELNS1_11target_archE910ELNS1_3gpuE8ELNS1_3repE0EEENS1_30default_config_static_selectorELNS0_4arch9wavefront6targetE1EEEvT1_,"axG",@progbits,_ZN7rocprim17ROCPRIM_400000_NS6detail17trampoline_kernelINS0_14default_configENS1_35adjacent_difference_config_selectorILb1EdEEZNS1_24adjacent_difference_implIS3_Lb1ELb0EPKdPdN6thrust23THRUST_200600_302600_NS4plusIdEEEE10hipError_tPvRmT2_T3_mT4_P12ihipStream_tbEUlT_E_NS1_11comp_targetILNS1_3genE4ELNS1_11target_archE910ELNS1_3gpuE8ELNS1_3repE0EEENS1_30default_config_static_selectorELNS0_4arch9wavefront6targetE1EEEvT1_,comdat
.Lfunc_end593:
	.size	_ZN7rocprim17ROCPRIM_400000_NS6detail17trampoline_kernelINS0_14default_configENS1_35adjacent_difference_config_selectorILb1EdEEZNS1_24adjacent_difference_implIS3_Lb1ELb0EPKdPdN6thrust23THRUST_200600_302600_NS4plusIdEEEE10hipError_tPvRmT2_T3_mT4_P12ihipStream_tbEUlT_E_NS1_11comp_targetILNS1_3genE4ELNS1_11target_archE910ELNS1_3gpuE8ELNS1_3repE0EEENS1_30default_config_static_selectorELNS0_4arch9wavefront6targetE1EEEvT1_, .Lfunc_end593-_ZN7rocprim17ROCPRIM_400000_NS6detail17trampoline_kernelINS0_14default_configENS1_35adjacent_difference_config_selectorILb1EdEEZNS1_24adjacent_difference_implIS3_Lb1ELb0EPKdPdN6thrust23THRUST_200600_302600_NS4plusIdEEEE10hipError_tPvRmT2_T3_mT4_P12ihipStream_tbEUlT_E_NS1_11comp_targetILNS1_3genE4ELNS1_11target_archE910ELNS1_3gpuE8ELNS1_3repE0EEENS1_30default_config_static_selectorELNS0_4arch9wavefront6targetE1EEEvT1_
                                        ; -- End function
	.set _ZN7rocprim17ROCPRIM_400000_NS6detail17trampoline_kernelINS0_14default_configENS1_35adjacent_difference_config_selectorILb1EdEEZNS1_24adjacent_difference_implIS3_Lb1ELb0EPKdPdN6thrust23THRUST_200600_302600_NS4plusIdEEEE10hipError_tPvRmT2_T3_mT4_P12ihipStream_tbEUlT_E_NS1_11comp_targetILNS1_3genE4ELNS1_11target_archE910ELNS1_3gpuE8ELNS1_3repE0EEENS1_30default_config_static_selectorELNS0_4arch9wavefront6targetE1EEEvT1_.num_vgpr, 0
	.set _ZN7rocprim17ROCPRIM_400000_NS6detail17trampoline_kernelINS0_14default_configENS1_35adjacent_difference_config_selectorILb1EdEEZNS1_24adjacent_difference_implIS3_Lb1ELb0EPKdPdN6thrust23THRUST_200600_302600_NS4plusIdEEEE10hipError_tPvRmT2_T3_mT4_P12ihipStream_tbEUlT_E_NS1_11comp_targetILNS1_3genE4ELNS1_11target_archE910ELNS1_3gpuE8ELNS1_3repE0EEENS1_30default_config_static_selectorELNS0_4arch9wavefront6targetE1EEEvT1_.num_agpr, 0
	.set _ZN7rocprim17ROCPRIM_400000_NS6detail17trampoline_kernelINS0_14default_configENS1_35adjacent_difference_config_selectorILb1EdEEZNS1_24adjacent_difference_implIS3_Lb1ELb0EPKdPdN6thrust23THRUST_200600_302600_NS4plusIdEEEE10hipError_tPvRmT2_T3_mT4_P12ihipStream_tbEUlT_E_NS1_11comp_targetILNS1_3genE4ELNS1_11target_archE910ELNS1_3gpuE8ELNS1_3repE0EEENS1_30default_config_static_selectorELNS0_4arch9wavefront6targetE1EEEvT1_.numbered_sgpr, 0
	.set _ZN7rocprim17ROCPRIM_400000_NS6detail17trampoline_kernelINS0_14default_configENS1_35adjacent_difference_config_selectorILb1EdEEZNS1_24adjacent_difference_implIS3_Lb1ELb0EPKdPdN6thrust23THRUST_200600_302600_NS4plusIdEEEE10hipError_tPvRmT2_T3_mT4_P12ihipStream_tbEUlT_E_NS1_11comp_targetILNS1_3genE4ELNS1_11target_archE910ELNS1_3gpuE8ELNS1_3repE0EEENS1_30default_config_static_selectorELNS0_4arch9wavefront6targetE1EEEvT1_.num_named_barrier, 0
	.set _ZN7rocprim17ROCPRIM_400000_NS6detail17trampoline_kernelINS0_14default_configENS1_35adjacent_difference_config_selectorILb1EdEEZNS1_24adjacent_difference_implIS3_Lb1ELb0EPKdPdN6thrust23THRUST_200600_302600_NS4plusIdEEEE10hipError_tPvRmT2_T3_mT4_P12ihipStream_tbEUlT_E_NS1_11comp_targetILNS1_3genE4ELNS1_11target_archE910ELNS1_3gpuE8ELNS1_3repE0EEENS1_30default_config_static_selectorELNS0_4arch9wavefront6targetE1EEEvT1_.private_seg_size, 0
	.set _ZN7rocprim17ROCPRIM_400000_NS6detail17trampoline_kernelINS0_14default_configENS1_35adjacent_difference_config_selectorILb1EdEEZNS1_24adjacent_difference_implIS3_Lb1ELb0EPKdPdN6thrust23THRUST_200600_302600_NS4plusIdEEEE10hipError_tPvRmT2_T3_mT4_P12ihipStream_tbEUlT_E_NS1_11comp_targetILNS1_3genE4ELNS1_11target_archE910ELNS1_3gpuE8ELNS1_3repE0EEENS1_30default_config_static_selectorELNS0_4arch9wavefront6targetE1EEEvT1_.uses_vcc, 0
	.set _ZN7rocprim17ROCPRIM_400000_NS6detail17trampoline_kernelINS0_14default_configENS1_35adjacent_difference_config_selectorILb1EdEEZNS1_24adjacent_difference_implIS3_Lb1ELb0EPKdPdN6thrust23THRUST_200600_302600_NS4plusIdEEEE10hipError_tPvRmT2_T3_mT4_P12ihipStream_tbEUlT_E_NS1_11comp_targetILNS1_3genE4ELNS1_11target_archE910ELNS1_3gpuE8ELNS1_3repE0EEENS1_30default_config_static_selectorELNS0_4arch9wavefront6targetE1EEEvT1_.uses_flat_scratch, 0
	.set _ZN7rocprim17ROCPRIM_400000_NS6detail17trampoline_kernelINS0_14default_configENS1_35adjacent_difference_config_selectorILb1EdEEZNS1_24adjacent_difference_implIS3_Lb1ELb0EPKdPdN6thrust23THRUST_200600_302600_NS4plusIdEEEE10hipError_tPvRmT2_T3_mT4_P12ihipStream_tbEUlT_E_NS1_11comp_targetILNS1_3genE4ELNS1_11target_archE910ELNS1_3gpuE8ELNS1_3repE0EEENS1_30default_config_static_selectorELNS0_4arch9wavefront6targetE1EEEvT1_.has_dyn_sized_stack, 0
	.set _ZN7rocprim17ROCPRIM_400000_NS6detail17trampoline_kernelINS0_14default_configENS1_35adjacent_difference_config_selectorILb1EdEEZNS1_24adjacent_difference_implIS3_Lb1ELb0EPKdPdN6thrust23THRUST_200600_302600_NS4plusIdEEEE10hipError_tPvRmT2_T3_mT4_P12ihipStream_tbEUlT_E_NS1_11comp_targetILNS1_3genE4ELNS1_11target_archE910ELNS1_3gpuE8ELNS1_3repE0EEENS1_30default_config_static_selectorELNS0_4arch9wavefront6targetE1EEEvT1_.has_recursion, 0
	.set _ZN7rocprim17ROCPRIM_400000_NS6detail17trampoline_kernelINS0_14default_configENS1_35adjacent_difference_config_selectorILb1EdEEZNS1_24adjacent_difference_implIS3_Lb1ELb0EPKdPdN6thrust23THRUST_200600_302600_NS4plusIdEEEE10hipError_tPvRmT2_T3_mT4_P12ihipStream_tbEUlT_E_NS1_11comp_targetILNS1_3genE4ELNS1_11target_archE910ELNS1_3gpuE8ELNS1_3repE0EEENS1_30default_config_static_selectorELNS0_4arch9wavefront6targetE1EEEvT1_.has_indirect_call, 0
	.section	.AMDGPU.csdata,"",@progbits
; Kernel info:
; codeLenInByte = 0
; TotalNumSgprs: 4
; NumVgprs: 0
; ScratchSize: 0
; MemoryBound: 0
; FloatMode: 240
; IeeeMode: 1
; LDSByteSize: 0 bytes/workgroup (compile time only)
; SGPRBlocks: 0
; VGPRBlocks: 0
; NumSGPRsForWavesPerEU: 4
; NumVGPRsForWavesPerEU: 1
; Occupancy: 10
; WaveLimiterHint : 0
; COMPUTE_PGM_RSRC2:SCRATCH_EN: 0
; COMPUTE_PGM_RSRC2:USER_SGPR: 6
; COMPUTE_PGM_RSRC2:TRAP_HANDLER: 0
; COMPUTE_PGM_RSRC2:TGID_X_EN: 1
; COMPUTE_PGM_RSRC2:TGID_Y_EN: 0
; COMPUTE_PGM_RSRC2:TGID_Z_EN: 0
; COMPUTE_PGM_RSRC2:TIDIG_COMP_CNT: 0
	.section	.text._ZN7rocprim17ROCPRIM_400000_NS6detail17trampoline_kernelINS0_14default_configENS1_35adjacent_difference_config_selectorILb1EdEEZNS1_24adjacent_difference_implIS3_Lb1ELb0EPKdPdN6thrust23THRUST_200600_302600_NS4plusIdEEEE10hipError_tPvRmT2_T3_mT4_P12ihipStream_tbEUlT_E_NS1_11comp_targetILNS1_3genE3ELNS1_11target_archE908ELNS1_3gpuE7ELNS1_3repE0EEENS1_30default_config_static_selectorELNS0_4arch9wavefront6targetE1EEEvT1_,"axG",@progbits,_ZN7rocprim17ROCPRIM_400000_NS6detail17trampoline_kernelINS0_14default_configENS1_35adjacent_difference_config_selectorILb1EdEEZNS1_24adjacent_difference_implIS3_Lb1ELb0EPKdPdN6thrust23THRUST_200600_302600_NS4plusIdEEEE10hipError_tPvRmT2_T3_mT4_P12ihipStream_tbEUlT_E_NS1_11comp_targetILNS1_3genE3ELNS1_11target_archE908ELNS1_3gpuE7ELNS1_3repE0EEENS1_30default_config_static_selectorELNS0_4arch9wavefront6targetE1EEEvT1_,comdat
	.protected	_ZN7rocprim17ROCPRIM_400000_NS6detail17trampoline_kernelINS0_14default_configENS1_35adjacent_difference_config_selectorILb1EdEEZNS1_24adjacent_difference_implIS3_Lb1ELb0EPKdPdN6thrust23THRUST_200600_302600_NS4plusIdEEEE10hipError_tPvRmT2_T3_mT4_P12ihipStream_tbEUlT_E_NS1_11comp_targetILNS1_3genE3ELNS1_11target_archE908ELNS1_3gpuE7ELNS1_3repE0EEENS1_30default_config_static_selectorELNS0_4arch9wavefront6targetE1EEEvT1_ ; -- Begin function _ZN7rocprim17ROCPRIM_400000_NS6detail17trampoline_kernelINS0_14default_configENS1_35adjacent_difference_config_selectorILb1EdEEZNS1_24adjacent_difference_implIS3_Lb1ELb0EPKdPdN6thrust23THRUST_200600_302600_NS4plusIdEEEE10hipError_tPvRmT2_T3_mT4_P12ihipStream_tbEUlT_E_NS1_11comp_targetILNS1_3genE3ELNS1_11target_archE908ELNS1_3gpuE7ELNS1_3repE0EEENS1_30default_config_static_selectorELNS0_4arch9wavefront6targetE1EEEvT1_
	.globl	_ZN7rocprim17ROCPRIM_400000_NS6detail17trampoline_kernelINS0_14default_configENS1_35adjacent_difference_config_selectorILb1EdEEZNS1_24adjacent_difference_implIS3_Lb1ELb0EPKdPdN6thrust23THRUST_200600_302600_NS4plusIdEEEE10hipError_tPvRmT2_T3_mT4_P12ihipStream_tbEUlT_E_NS1_11comp_targetILNS1_3genE3ELNS1_11target_archE908ELNS1_3gpuE7ELNS1_3repE0EEENS1_30default_config_static_selectorELNS0_4arch9wavefront6targetE1EEEvT1_
	.p2align	8
	.type	_ZN7rocprim17ROCPRIM_400000_NS6detail17trampoline_kernelINS0_14default_configENS1_35adjacent_difference_config_selectorILb1EdEEZNS1_24adjacent_difference_implIS3_Lb1ELb0EPKdPdN6thrust23THRUST_200600_302600_NS4plusIdEEEE10hipError_tPvRmT2_T3_mT4_P12ihipStream_tbEUlT_E_NS1_11comp_targetILNS1_3genE3ELNS1_11target_archE908ELNS1_3gpuE7ELNS1_3repE0EEENS1_30default_config_static_selectorELNS0_4arch9wavefront6targetE1EEEvT1_,@function
_ZN7rocprim17ROCPRIM_400000_NS6detail17trampoline_kernelINS0_14default_configENS1_35adjacent_difference_config_selectorILb1EdEEZNS1_24adjacent_difference_implIS3_Lb1ELb0EPKdPdN6thrust23THRUST_200600_302600_NS4plusIdEEEE10hipError_tPvRmT2_T3_mT4_P12ihipStream_tbEUlT_E_NS1_11comp_targetILNS1_3genE3ELNS1_11target_archE908ELNS1_3gpuE7ELNS1_3repE0EEENS1_30default_config_static_selectorELNS0_4arch9wavefront6targetE1EEEvT1_: ; @_ZN7rocprim17ROCPRIM_400000_NS6detail17trampoline_kernelINS0_14default_configENS1_35adjacent_difference_config_selectorILb1EdEEZNS1_24adjacent_difference_implIS3_Lb1ELb0EPKdPdN6thrust23THRUST_200600_302600_NS4plusIdEEEE10hipError_tPvRmT2_T3_mT4_P12ihipStream_tbEUlT_E_NS1_11comp_targetILNS1_3genE3ELNS1_11target_archE908ELNS1_3gpuE7ELNS1_3repE0EEENS1_30default_config_static_selectorELNS0_4arch9wavefront6targetE1EEEvT1_
; %bb.0:
	.section	.rodata,"a",@progbits
	.p2align	6, 0x0
	.amdhsa_kernel _ZN7rocprim17ROCPRIM_400000_NS6detail17trampoline_kernelINS0_14default_configENS1_35adjacent_difference_config_selectorILb1EdEEZNS1_24adjacent_difference_implIS3_Lb1ELb0EPKdPdN6thrust23THRUST_200600_302600_NS4plusIdEEEE10hipError_tPvRmT2_T3_mT4_P12ihipStream_tbEUlT_E_NS1_11comp_targetILNS1_3genE3ELNS1_11target_archE908ELNS1_3gpuE7ELNS1_3repE0EEENS1_30default_config_static_selectorELNS0_4arch9wavefront6targetE1EEEvT1_
		.amdhsa_group_segment_fixed_size 0
		.amdhsa_private_segment_fixed_size 0
		.amdhsa_kernarg_size 56
		.amdhsa_user_sgpr_count 6
		.amdhsa_user_sgpr_private_segment_buffer 1
		.amdhsa_user_sgpr_dispatch_ptr 0
		.amdhsa_user_sgpr_queue_ptr 0
		.amdhsa_user_sgpr_kernarg_segment_ptr 1
		.amdhsa_user_sgpr_dispatch_id 0
		.amdhsa_user_sgpr_flat_scratch_init 0
		.amdhsa_user_sgpr_private_segment_size 0
		.amdhsa_uses_dynamic_stack 0
		.amdhsa_system_sgpr_private_segment_wavefront_offset 0
		.amdhsa_system_sgpr_workgroup_id_x 1
		.amdhsa_system_sgpr_workgroup_id_y 0
		.amdhsa_system_sgpr_workgroup_id_z 0
		.amdhsa_system_sgpr_workgroup_info 0
		.amdhsa_system_vgpr_workitem_id 0
		.amdhsa_next_free_vgpr 1
		.amdhsa_next_free_sgpr 0
		.amdhsa_reserve_vcc 0
		.amdhsa_reserve_flat_scratch 0
		.amdhsa_float_round_mode_32 0
		.amdhsa_float_round_mode_16_64 0
		.amdhsa_float_denorm_mode_32 3
		.amdhsa_float_denorm_mode_16_64 3
		.amdhsa_dx10_clamp 1
		.amdhsa_ieee_mode 1
		.amdhsa_fp16_overflow 0
		.amdhsa_exception_fp_ieee_invalid_op 0
		.amdhsa_exception_fp_denorm_src 0
		.amdhsa_exception_fp_ieee_div_zero 0
		.amdhsa_exception_fp_ieee_overflow 0
		.amdhsa_exception_fp_ieee_underflow 0
		.amdhsa_exception_fp_ieee_inexact 0
		.amdhsa_exception_int_div_zero 0
	.end_amdhsa_kernel
	.section	.text._ZN7rocprim17ROCPRIM_400000_NS6detail17trampoline_kernelINS0_14default_configENS1_35adjacent_difference_config_selectorILb1EdEEZNS1_24adjacent_difference_implIS3_Lb1ELb0EPKdPdN6thrust23THRUST_200600_302600_NS4plusIdEEEE10hipError_tPvRmT2_T3_mT4_P12ihipStream_tbEUlT_E_NS1_11comp_targetILNS1_3genE3ELNS1_11target_archE908ELNS1_3gpuE7ELNS1_3repE0EEENS1_30default_config_static_selectorELNS0_4arch9wavefront6targetE1EEEvT1_,"axG",@progbits,_ZN7rocprim17ROCPRIM_400000_NS6detail17trampoline_kernelINS0_14default_configENS1_35adjacent_difference_config_selectorILb1EdEEZNS1_24adjacent_difference_implIS3_Lb1ELb0EPKdPdN6thrust23THRUST_200600_302600_NS4plusIdEEEE10hipError_tPvRmT2_T3_mT4_P12ihipStream_tbEUlT_E_NS1_11comp_targetILNS1_3genE3ELNS1_11target_archE908ELNS1_3gpuE7ELNS1_3repE0EEENS1_30default_config_static_selectorELNS0_4arch9wavefront6targetE1EEEvT1_,comdat
.Lfunc_end594:
	.size	_ZN7rocprim17ROCPRIM_400000_NS6detail17trampoline_kernelINS0_14default_configENS1_35adjacent_difference_config_selectorILb1EdEEZNS1_24adjacent_difference_implIS3_Lb1ELb0EPKdPdN6thrust23THRUST_200600_302600_NS4plusIdEEEE10hipError_tPvRmT2_T3_mT4_P12ihipStream_tbEUlT_E_NS1_11comp_targetILNS1_3genE3ELNS1_11target_archE908ELNS1_3gpuE7ELNS1_3repE0EEENS1_30default_config_static_selectorELNS0_4arch9wavefront6targetE1EEEvT1_, .Lfunc_end594-_ZN7rocprim17ROCPRIM_400000_NS6detail17trampoline_kernelINS0_14default_configENS1_35adjacent_difference_config_selectorILb1EdEEZNS1_24adjacent_difference_implIS3_Lb1ELb0EPKdPdN6thrust23THRUST_200600_302600_NS4plusIdEEEE10hipError_tPvRmT2_T3_mT4_P12ihipStream_tbEUlT_E_NS1_11comp_targetILNS1_3genE3ELNS1_11target_archE908ELNS1_3gpuE7ELNS1_3repE0EEENS1_30default_config_static_selectorELNS0_4arch9wavefront6targetE1EEEvT1_
                                        ; -- End function
	.set _ZN7rocprim17ROCPRIM_400000_NS6detail17trampoline_kernelINS0_14default_configENS1_35adjacent_difference_config_selectorILb1EdEEZNS1_24adjacent_difference_implIS3_Lb1ELb0EPKdPdN6thrust23THRUST_200600_302600_NS4plusIdEEEE10hipError_tPvRmT2_T3_mT4_P12ihipStream_tbEUlT_E_NS1_11comp_targetILNS1_3genE3ELNS1_11target_archE908ELNS1_3gpuE7ELNS1_3repE0EEENS1_30default_config_static_selectorELNS0_4arch9wavefront6targetE1EEEvT1_.num_vgpr, 0
	.set _ZN7rocprim17ROCPRIM_400000_NS6detail17trampoline_kernelINS0_14default_configENS1_35adjacent_difference_config_selectorILb1EdEEZNS1_24adjacent_difference_implIS3_Lb1ELb0EPKdPdN6thrust23THRUST_200600_302600_NS4plusIdEEEE10hipError_tPvRmT2_T3_mT4_P12ihipStream_tbEUlT_E_NS1_11comp_targetILNS1_3genE3ELNS1_11target_archE908ELNS1_3gpuE7ELNS1_3repE0EEENS1_30default_config_static_selectorELNS0_4arch9wavefront6targetE1EEEvT1_.num_agpr, 0
	.set _ZN7rocprim17ROCPRIM_400000_NS6detail17trampoline_kernelINS0_14default_configENS1_35adjacent_difference_config_selectorILb1EdEEZNS1_24adjacent_difference_implIS3_Lb1ELb0EPKdPdN6thrust23THRUST_200600_302600_NS4plusIdEEEE10hipError_tPvRmT2_T3_mT4_P12ihipStream_tbEUlT_E_NS1_11comp_targetILNS1_3genE3ELNS1_11target_archE908ELNS1_3gpuE7ELNS1_3repE0EEENS1_30default_config_static_selectorELNS0_4arch9wavefront6targetE1EEEvT1_.numbered_sgpr, 0
	.set _ZN7rocprim17ROCPRIM_400000_NS6detail17trampoline_kernelINS0_14default_configENS1_35adjacent_difference_config_selectorILb1EdEEZNS1_24adjacent_difference_implIS3_Lb1ELb0EPKdPdN6thrust23THRUST_200600_302600_NS4plusIdEEEE10hipError_tPvRmT2_T3_mT4_P12ihipStream_tbEUlT_E_NS1_11comp_targetILNS1_3genE3ELNS1_11target_archE908ELNS1_3gpuE7ELNS1_3repE0EEENS1_30default_config_static_selectorELNS0_4arch9wavefront6targetE1EEEvT1_.num_named_barrier, 0
	.set _ZN7rocprim17ROCPRIM_400000_NS6detail17trampoline_kernelINS0_14default_configENS1_35adjacent_difference_config_selectorILb1EdEEZNS1_24adjacent_difference_implIS3_Lb1ELb0EPKdPdN6thrust23THRUST_200600_302600_NS4plusIdEEEE10hipError_tPvRmT2_T3_mT4_P12ihipStream_tbEUlT_E_NS1_11comp_targetILNS1_3genE3ELNS1_11target_archE908ELNS1_3gpuE7ELNS1_3repE0EEENS1_30default_config_static_selectorELNS0_4arch9wavefront6targetE1EEEvT1_.private_seg_size, 0
	.set _ZN7rocprim17ROCPRIM_400000_NS6detail17trampoline_kernelINS0_14default_configENS1_35adjacent_difference_config_selectorILb1EdEEZNS1_24adjacent_difference_implIS3_Lb1ELb0EPKdPdN6thrust23THRUST_200600_302600_NS4plusIdEEEE10hipError_tPvRmT2_T3_mT4_P12ihipStream_tbEUlT_E_NS1_11comp_targetILNS1_3genE3ELNS1_11target_archE908ELNS1_3gpuE7ELNS1_3repE0EEENS1_30default_config_static_selectorELNS0_4arch9wavefront6targetE1EEEvT1_.uses_vcc, 0
	.set _ZN7rocprim17ROCPRIM_400000_NS6detail17trampoline_kernelINS0_14default_configENS1_35adjacent_difference_config_selectorILb1EdEEZNS1_24adjacent_difference_implIS3_Lb1ELb0EPKdPdN6thrust23THRUST_200600_302600_NS4plusIdEEEE10hipError_tPvRmT2_T3_mT4_P12ihipStream_tbEUlT_E_NS1_11comp_targetILNS1_3genE3ELNS1_11target_archE908ELNS1_3gpuE7ELNS1_3repE0EEENS1_30default_config_static_selectorELNS0_4arch9wavefront6targetE1EEEvT1_.uses_flat_scratch, 0
	.set _ZN7rocprim17ROCPRIM_400000_NS6detail17trampoline_kernelINS0_14default_configENS1_35adjacent_difference_config_selectorILb1EdEEZNS1_24adjacent_difference_implIS3_Lb1ELb0EPKdPdN6thrust23THRUST_200600_302600_NS4plusIdEEEE10hipError_tPvRmT2_T3_mT4_P12ihipStream_tbEUlT_E_NS1_11comp_targetILNS1_3genE3ELNS1_11target_archE908ELNS1_3gpuE7ELNS1_3repE0EEENS1_30default_config_static_selectorELNS0_4arch9wavefront6targetE1EEEvT1_.has_dyn_sized_stack, 0
	.set _ZN7rocprim17ROCPRIM_400000_NS6detail17trampoline_kernelINS0_14default_configENS1_35adjacent_difference_config_selectorILb1EdEEZNS1_24adjacent_difference_implIS3_Lb1ELb0EPKdPdN6thrust23THRUST_200600_302600_NS4plusIdEEEE10hipError_tPvRmT2_T3_mT4_P12ihipStream_tbEUlT_E_NS1_11comp_targetILNS1_3genE3ELNS1_11target_archE908ELNS1_3gpuE7ELNS1_3repE0EEENS1_30default_config_static_selectorELNS0_4arch9wavefront6targetE1EEEvT1_.has_recursion, 0
	.set _ZN7rocprim17ROCPRIM_400000_NS6detail17trampoline_kernelINS0_14default_configENS1_35adjacent_difference_config_selectorILb1EdEEZNS1_24adjacent_difference_implIS3_Lb1ELb0EPKdPdN6thrust23THRUST_200600_302600_NS4plusIdEEEE10hipError_tPvRmT2_T3_mT4_P12ihipStream_tbEUlT_E_NS1_11comp_targetILNS1_3genE3ELNS1_11target_archE908ELNS1_3gpuE7ELNS1_3repE0EEENS1_30default_config_static_selectorELNS0_4arch9wavefront6targetE1EEEvT1_.has_indirect_call, 0
	.section	.AMDGPU.csdata,"",@progbits
; Kernel info:
; codeLenInByte = 0
; TotalNumSgprs: 4
; NumVgprs: 0
; ScratchSize: 0
; MemoryBound: 0
; FloatMode: 240
; IeeeMode: 1
; LDSByteSize: 0 bytes/workgroup (compile time only)
; SGPRBlocks: 0
; VGPRBlocks: 0
; NumSGPRsForWavesPerEU: 4
; NumVGPRsForWavesPerEU: 1
; Occupancy: 10
; WaveLimiterHint : 0
; COMPUTE_PGM_RSRC2:SCRATCH_EN: 0
; COMPUTE_PGM_RSRC2:USER_SGPR: 6
; COMPUTE_PGM_RSRC2:TRAP_HANDLER: 0
; COMPUTE_PGM_RSRC2:TGID_X_EN: 1
; COMPUTE_PGM_RSRC2:TGID_Y_EN: 0
; COMPUTE_PGM_RSRC2:TGID_Z_EN: 0
; COMPUTE_PGM_RSRC2:TIDIG_COMP_CNT: 0
	.section	.text._ZN7rocprim17ROCPRIM_400000_NS6detail17trampoline_kernelINS0_14default_configENS1_35adjacent_difference_config_selectorILb1EdEEZNS1_24adjacent_difference_implIS3_Lb1ELb0EPKdPdN6thrust23THRUST_200600_302600_NS4plusIdEEEE10hipError_tPvRmT2_T3_mT4_P12ihipStream_tbEUlT_E_NS1_11comp_targetILNS1_3genE2ELNS1_11target_archE906ELNS1_3gpuE6ELNS1_3repE0EEENS1_30default_config_static_selectorELNS0_4arch9wavefront6targetE1EEEvT1_,"axG",@progbits,_ZN7rocprim17ROCPRIM_400000_NS6detail17trampoline_kernelINS0_14default_configENS1_35adjacent_difference_config_selectorILb1EdEEZNS1_24adjacent_difference_implIS3_Lb1ELb0EPKdPdN6thrust23THRUST_200600_302600_NS4plusIdEEEE10hipError_tPvRmT2_T3_mT4_P12ihipStream_tbEUlT_E_NS1_11comp_targetILNS1_3genE2ELNS1_11target_archE906ELNS1_3gpuE6ELNS1_3repE0EEENS1_30default_config_static_selectorELNS0_4arch9wavefront6targetE1EEEvT1_,comdat
	.protected	_ZN7rocprim17ROCPRIM_400000_NS6detail17trampoline_kernelINS0_14default_configENS1_35adjacent_difference_config_selectorILb1EdEEZNS1_24adjacent_difference_implIS3_Lb1ELb0EPKdPdN6thrust23THRUST_200600_302600_NS4plusIdEEEE10hipError_tPvRmT2_T3_mT4_P12ihipStream_tbEUlT_E_NS1_11comp_targetILNS1_3genE2ELNS1_11target_archE906ELNS1_3gpuE6ELNS1_3repE0EEENS1_30default_config_static_selectorELNS0_4arch9wavefront6targetE1EEEvT1_ ; -- Begin function _ZN7rocprim17ROCPRIM_400000_NS6detail17trampoline_kernelINS0_14default_configENS1_35adjacent_difference_config_selectorILb1EdEEZNS1_24adjacent_difference_implIS3_Lb1ELb0EPKdPdN6thrust23THRUST_200600_302600_NS4plusIdEEEE10hipError_tPvRmT2_T3_mT4_P12ihipStream_tbEUlT_E_NS1_11comp_targetILNS1_3genE2ELNS1_11target_archE906ELNS1_3gpuE6ELNS1_3repE0EEENS1_30default_config_static_selectorELNS0_4arch9wavefront6targetE1EEEvT1_
	.globl	_ZN7rocprim17ROCPRIM_400000_NS6detail17trampoline_kernelINS0_14default_configENS1_35adjacent_difference_config_selectorILb1EdEEZNS1_24adjacent_difference_implIS3_Lb1ELb0EPKdPdN6thrust23THRUST_200600_302600_NS4plusIdEEEE10hipError_tPvRmT2_T3_mT4_P12ihipStream_tbEUlT_E_NS1_11comp_targetILNS1_3genE2ELNS1_11target_archE906ELNS1_3gpuE6ELNS1_3repE0EEENS1_30default_config_static_selectorELNS0_4arch9wavefront6targetE1EEEvT1_
	.p2align	8
	.type	_ZN7rocprim17ROCPRIM_400000_NS6detail17trampoline_kernelINS0_14default_configENS1_35adjacent_difference_config_selectorILb1EdEEZNS1_24adjacent_difference_implIS3_Lb1ELb0EPKdPdN6thrust23THRUST_200600_302600_NS4plusIdEEEE10hipError_tPvRmT2_T3_mT4_P12ihipStream_tbEUlT_E_NS1_11comp_targetILNS1_3genE2ELNS1_11target_archE906ELNS1_3gpuE6ELNS1_3repE0EEENS1_30default_config_static_selectorELNS0_4arch9wavefront6targetE1EEEvT1_,@function
_ZN7rocprim17ROCPRIM_400000_NS6detail17trampoline_kernelINS0_14default_configENS1_35adjacent_difference_config_selectorILb1EdEEZNS1_24adjacent_difference_implIS3_Lb1ELb0EPKdPdN6thrust23THRUST_200600_302600_NS4plusIdEEEE10hipError_tPvRmT2_T3_mT4_P12ihipStream_tbEUlT_E_NS1_11comp_targetILNS1_3genE2ELNS1_11target_archE906ELNS1_3gpuE6ELNS1_3repE0EEENS1_30default_config_static_selectorELNS0_4arch9wavefront6targetE1EEEvT1_: ; @_ZN7rocprim17ROCPRIM_400000_NS6detail17trampoline_kernelINS0_14default_configENS1_35adjacent_difference_config_selectorILb1EdEEZNS1_24adjacent_difference_implIS3_Lb1ELb0EPKdPdN6thrust23THRUST_200600_302600_NS4plusIdEEEE10hipError_tPvRmT2_T3_mT4_P12ihipStream_tbEUlT_E_NS1_11comp_targetILNS1_3genE2ELNS1_11target_archE906ELNS1_3gpuE6ELNS1_3repE0EEENS1_30default_config_static_selectorELNS0_4arch9wavefront6targetE1EEEvT1_
; %bb.0:
	s_load_dwordx8 s[8:15], s[4:5], 0x0
	s_load_dwordx4 s[16:19], s[4:5], 0x28
	s_mul_i32 s4, s6, 0x580
	s_mov_b32 s7, 0
	s_mov_b64 s[22:23], -1
	s_waitcnt lgkmcnt(0)
	s_lshl_b64 s[10:11], s[10:11], 3
	s_add_u32 s26, s8, s10
	s_addc_u32 s27, s9, s11
	s_mul_i32 s3, s15, 0xba2e8ba3
	s_mul_hi_u32 s5, s14, 0xba2e8ba3
	s_mul_hi_u32 s2, s15, 0xba2e8ba3
	s_add_u32 s3, s3, s5
	s_mul_i32 s1, s14, 0x2e8ba2e8
	s_addc_u32 s2, s2, 0
	s_mul_hi_u32 s0, s14, 0x2e8ba2e8
	s_add_u32 s1, s1, s3
	s_addc_u32 s0, s0, 0
	s_add_u32 s0, s2, s0
	s_addc_u32 s1, 0, 0
	s_mul_i32 s3, s15, 0x2e8ba2e8
	s_mul_hi_u32 s2, s15, 0x2e8ba2e8
	s_add_u32 s0, s3, s0
	s_addc_u32 s1, s2, s1
	s_lshr_b64 s[2:3], s[0:1], 8
	s_lshr_b32 s0, s1, 8
	s_mulk_i32 s0, 0x580
	s_mul_hi_u32 s1, s2, 0x580
	s_add_i32 s1, s1, s0
	s_mul_i32 s0, s2, 0x580
	s_sub_u32 s0, s14, s0
	s_subb_u32 s1, s15, s1
	s_cmp_lg_u64 s[0:1], 0
	s_cselect_b64 s[0:1], -1, 0
	v_cndmask_b32_e64 v1, 0, 1, s[0:1]
	v_readfirstlane_b32 s0, v1
	s_add_u32 s2, s2, s0
	s_addc_u32 s3, s3, 0
	s_add_u32 s8, s18, s6
	s_addc_u32 s9, s19, 0
	s_add_u32 s20, s2, -1
	s_addc_u32 s21, s3, -1
	v_mov_b32_e32 v1, s20
	v_mov_b32_e32 v2, s21
	v_cmp_ge_u64_e64 s[0:1], s[8:9], v[1:2]
	s_mul_i32 s15, s20, 0xfffffa80
	s_and_b64 vcc, exec, s[0:1]
	s_cbranch_vccz .LBB595_24
; %bb.1:
	s_mov_b32 s5, s7
	s_add_i32 s28, s15, s14
	s_lshl_b64 s[22:23], s[4:5], 3
	s_add_u32 s22, s26, s22
	s_addc_u32 s23, s27, s23
	v_cmp_gt_u32_e32 vcc, s28, v0
                                        ; implicit-def: $vgpr1_vgpr2
	s_and_saveexec_b64 s[24:25], vcc
	s_cbranch_execz .LBB595_3
; %bb.2:
	v_lshlrev_b32_e32 v1, 3, v0
	global_load_dwordx2 v[1:2], v1, s[22:23]
.LBB595_3:
	s_or_b64 exec, exec, s[24:25]
	v_or_b32_e32 v3, 0x80, v0
	v_cmp_gt_u32_e32 vcc, s28, v3
                                        ; implicit-def: $vgpr3_vgpr4
	s_and_saveexec_b64 s[24:25], vcc
	s_cbranch_execz .LBB595_5
; %bb.4:
	v_lshlrev_b32_e32 v3, 3, v0
	global_load_dwordx2 v[3:4], v3, s[22:23] offset:1024
.LBB595_5:
	s_or_b64 exec, exec, s[24:25]
	v_or_b32_e32 v5, 0x100, v0
	v_cmp_gt_u32_e32 vcc, s28, v5
                                        ; implicit-def: $vgpr5_vgpr6
	s_and_saveexec_b64 s[24:25], vcc
	s_cbranch_execz .LBB595_7
; %bb.6:
	v_lshlrev_b32_e32 v5, 3, v0
	global_load_dwordx2 v[5:6], v5, s[22:23] offset:2048
.LBB595_7:
	s_or_b64 exec, exec, s[24:25]
	v_or_b32_e32 v7, 0x180, v0
	v_cmp_gt_u32_e32 vcc, s28, v7
                                        ; implicit-def: $vgpr7_vgpr8
	s_and_saveexec_b64 s[24:25], vcc
	s_cbranch_execz .LBB595_9
; %bb.8:
	v_lshlrev_b32_e32 v7, 3, v0
	global_load_dwordx2 v[7:8], v7, s[22:23] offset:3072
.LBB595_9:
	s_or_b64 exec, exec, s[24:25]
	v_or_b32_e32 v11, 0x200, v0
	v_cmp_gt_u32_e32 vcc, s28, v11
                                        ; implicit-def: $vgpr9_vgpr10
	s_and_saveexec_b64 s[24:25], vcc
	s_cbranch_execz .LBB595_11
; %bb.10:
	v_lshlrev_b32_e32 v9, 3, v11
	global_load_dwordx2 v[9:10], v9, s[22:23]
.LBB595_11:
	s_or_b64 exec, exec, s[24:25]
	v_or_b32_e32 v13, 0x280, v0
	v_cmp_gt_u32_e32 vcc, s28, v13
                                        ; implicit-def: $vgpr11_vgpr12
	s_and_saveexec_b64 s[24:25], vcc
	s_cbranch_execz .LBB595_13
; %bb.12:
	v_lshlrev_b32_e32 v11, 3, v13
	global_load_dwordx2 v[11:12], v11, s[22:23]
.LBB595_13:
	s_or_b64 exec, exec, s[24:25]
	v_or_b32_e32 v15, 0x300, v0
	v_cmp_gt_u32_e32 vcc, s28, v15
                                        ; implicit-def: $vgpr13_vgpr14
	s_and_saveexec_b64 s[24:25], vcc
	s_cbranch_execz .LBB595_15
; %bb.14:
	v_lshlrev_b32_e32 v13, 3, v15
	global_load_dwordx2 v[13:14], v13, s[22:23]
.LBB595_15:
	s_or_b64 exec, exec, s[24:25]
	v_or_b32_e32 v17, 0x380, v0
	v_cmp_gt_u32_e32 vcc, s28, v17
                                        ; implicit-def: $vgpr15_vgpr16
	s_and_saveexec_b64 s[24:25], vcc
	s_cbranch_execz .LBB595_17
; %bb.16:
	v_lshlrev_b32_e32 v15, 3, v17
	global_load_dwordx2 v[15:16], v15, s[22:23]
.LBB595_17:
	s_or_b64 exec, exec, s[24:25]
	v_or_b32_e32 v19, 0x400, v0
	v_cmp_gt_u32_e32 vcc, s28, v19
                                        ; implicit-def: $vgpr17_vgpr18
	s_and_saveexec_b64 s[24:25], vcc
	s_cbranch_execz .LBB595_19
; %bb.18:
	v_lshlrev_b32_e32 v17, 3, v19
	global_load_dwordx2 v[17:18], v17, s[22:23]
.LBB595_19:
	s_or_b64 exec, exec, s[24:25]
	v_or_b32_e32 v21, 0x480, v0
	v_cmp_gt_u32_e32 vcc, s28, v21
                                        ; implicit-def: $vgpr19_vgpr20
	s_and_saveexec_b64 s[24:25], vcc
	s_cbranch_execz .LBB595_21
; %bb.20:
	v_lshlrev_b32_e32 v19, 3, v21
	global_load_dwordx2 v[19:20], v19, s[22:23]
.LBB595_21:
	s_or_b64 exec, exec, s[24:25]
	v_or_b32_e32 v23, 0x500, v0
	v_cmp_gt_u32_e32 vcc, s28, v23
                                        ; implicit-def: $vgpr21_vgpr22
	s_and_saveexec_b64 s[24:25], vcc
	s_cbranch_execz .LBB595_23
; %bb.22:
	v_lshlrev_b32_e32 v21, 3, v23
	global_load_dwordx2 v[21:22], v21, s[22:23]
.LBB595_23:
	s_or_b64 exec, exec, s[24:25]
	v_lshlrev_b32_e32 v23, 3, v0
	s_mov_b64 s[22:23], 0
	s_waitcnt vmcnt(0)
	ds_write2st64_b64 v23, v[1:2], v[3:4] offset1:2
	ds_write2st64_b64 v23, v[5:6], v[7:8] offset0:4 offset1:6
	ds_write2st64_b64 v23, v[9:10], v[11:12] offset0:8 offset1:10
	;; [unrolled: 1-line block ×4, first 2 shown]
	ds_write_b64 v23, v[21:22] offset:10240
	s_waitcnt lgkmcnt(0)
	s_barrier
.LBB595_24:
	s_and_b64 vcc, exec, s[22:23]
	v_lshlrev_b32_e32 v45, 3, v0
	s_cbranch_vccz .LBB595_26
; %bb.25:
	s_mov_b32 s5, 0
	s_lshl_b64 s[22:23], s[4:5], 3
	s_add_u32 s22, s26, s22
	s_addc_u32 s23, s27, s23
	v_mov_b32_e32 v1, s23
	v_add_co_u32_e32 v19, vcc, s22, v45
	v_addc_co_u32_e32 v20, vcc, 0, v1, vcc
	v_add_co_u32_e32 v9, vcc, 0x1000, v19
	v_addc_co_u32_e32 v10, vcc, 0, v20, vcc
	global_load_dwordx2 v[1:2], v45, s[22:23]
	global_load_dwordx2 v[3:4], v45, s[22:23] offset:1024
	global_load_dwordx2 v[5:6], v45, s[22:23] offset:2048
	;; [unrolled: 1-line block ×3, first 2 shown]
	global_load_dwordx2 v[11:12], v[9:10], off
	global_load_dwordx2 v[13:14], v[9:10], off offset:1024
	global_load_dwordx2 v[15:16], v[9:10], off offset:2048
	;; [unrolled: 1-line block ×3, first 2 shown]
	v_add_co_u32_e32 v9, vcc, 0x2000, v19
	v_addc_co_u32_e32 v10, vcc, 0, v20, vcc
	global_load_dwordx2 v[19:20], v[9:10], off
	global_load_dwordx2 v[21:22], v[9:10], off offset:1024
	global_load_dwordx2 v[23:24], v[9:10], off offset:2048
	s_waitcnt vmcnt(9)
	ds_write2st64_b64 v45, v[1:2], v[3:4] offset1:2
	s_waitcnt vmcnt(7)
	ds_write2st64_b64 v45, v[5:6], v[7:8] offset0:4 offset1:6
	s_waitcnt vmcnt(5)
	ds_write2st64_b64 v45, v[11:12], v[13:14] offset0:8 offset1:10
	;; [unrolled: 2-line block ×4, first 2 shown]
	s_waitcnt vmcnt(0)
	ds_write_b64 v45, v[23:24] offset:10240
	s_waitcnt lgkmcnt(0)
	s_barrier
.LBB595_26:
	v_mul_u32_u24_e32 v13, 0x58, v0
	ds_read_b64 v[43:44], v13 offset:80
	ds_read2_b64 v[9:12], v13 offset0:8 offset1:9
	ds_read2_b64 v[1:4], v13 offset1:1
	ds_read2_b64 v[5:8], v13 offset0:2 offset1:3
	ds_read2_b64 v[17:20], v13 offset0:6 offset1:7
	;; [unrolled: 1-line block ×3, first 2 shown]
	s_cmp_eq_u64 s[8:9], 0
	s_waitcnt lgkmcnt(0)
	s_barrier
	s_cbranch_scc1 .LBB595_31
; %bb.27:
	s_lshl_b64 s[18:19], s[18:19], 3
	s_add_u32 s5, s16, s18
	s_addc_u32 s16, s17, s19
	s_lshl_b64 s[6:7], s[6:7], 3
	s_add_u32 s5, s5, s6
	s_addc_u32 s7, s16, s7
	s_add_u32 s6, s5, -8
	s_addc_u32 s7, s7, -1
	s_load_dwordx2 s[6:7], s[6:7], 0x0
	s_cmp_eq_u64 s[8:9], s[20:21]
	s_cbranch_scc1 .LBB595_32
; %bb.28:
	s_waitcnt lgkmcnt(0)
	v_mov_b32_e32 v42, s7
	v_cmp_ne_u32_e32 vcc, 0, v0
	v_mov_b32_e32 v41, s6
	ds_write_b64 v45, v[43:44]
	s_waitcnt lgkmcnt(0)
	s_barrier
	s_and_saveexec_b64 s[16:17], vcc
; %bb.29:
	v_add_u32_e32 v21, -8, v45
	ds_read_b64 v[41:42], v21
; %bb.30:
	s_or_b64 exec, exec, s[16:17]
	v_add_f64 v[21:22], v[43:44], v[11:12]
	v_add_f64 v[23:24], v[11:12], v[9:10]
	;; [unrolled: 1-line block ×10, first 2 shown]
	s_waitcnt lgkmcnt(0)
	v_add_f64 v[41:42], v[1:2], v[41:42]
	s_branch .LBB595_36
.LBB595_31:
                                        ; implicit-def: $vgpr41_vgpr42
                                        ; implicit-def: $vgpr35_vgpr36
                                        ; implicit-def: $vgpr31_vgpr32
                                        ; implicit-def: $vgpr29_vgpr30
                                        ; implicit-def: $vgpr25_vgpr26
                                        ; implicit-def: $vgpr21_vgpr22
                                        ; implicit-def: $vgpr23_vgpr24
                                        ; implicit-def: $vgpr27_vgpr28
                                        ; implicit-def: $vgpr33_vgpr34
                                        ; implicit-def: $vgpr37_vgpr38
                                        ; implicit-def: $vgpr39_vgpr40
	s_branch .LBB595_37
.LBB595_32:
                                        ; implicit-def: $vgpr41_vgpr42
                                        ; implicit-def: $vgpr35_vgpr36
                                        ; implicit-def: $vgpr31_vgpr32
                                        ; implicit-def: $vgpr29_vgpr30
                                        ; implicit-def: $vgpr25_vgpr26
                                        ; implicit-def: $vgpr21_vgpr22
                                        ; implicit-def: $vgpr23_vgpr24
                                        ; implicit-def: $vgpr27_vgpr28
                                        ; implicit-def: $vgpr33_vgpr34
                                        ; implicit-def: $vgpr37_vgpr38
                                        ; implicit-def: $vgpr39_vgpr40
	s_cbranch_execz .LBB595_36
; %bb.33:
	s_waitcnt lgkmcnt(0)
	v_mov_b32_e32 v36, s7
	v_mul_u32_u24_e32 v41, 11, v0
	v_cmp_ne_u32_e32 vcc, 0, v0
	v_mov_b32_e32 v35, s6
	ds_write_b64 v45, v[43:44]
	s_waitcnt lgkmcnt(0)
	s_barrier
	s_and_saveexec_b64 s[6:7], vcc
; %bb.34:
	v_add_u32_e32 v21, -8, v45
	ds_read_b64 v[35:36], v21
; %bb.35:
	s_or_b64 exec, exec, s[6:7]
	v_add_f64 v[21:22], v[43:44], v[11:12]
	v_add_f64 v[23:24], v[11:12], v[9:10]
	;; [unrolled: 1-line block ×3, first 2 shown]
	s_mul_i32 s5, s8, 0xfffffa80
	v_add_u32_e32 v27, 10, v41
	s_add_i32 s5, s5, s14
	v_cmp_gt_u32_e32 vcc, s5, v27
	v_add_u32_e32 v27, 9, v41
	v_cndmask_b32_e32 v22, v44, v22, vcc
	v_cndmask_b32_e32 v21, v43, v21, vcc
	v_cmp_gt_u32_e32 vcc, s5, v27
	v_add_f64 v[27:28], v[19:20], v[17:18]
	v_add_u32_e32 v29, 8, v41
	v_cndmask_b32_e32 v24, v12, v24, vcc
	v_cndmask_b32_e32 v23, v11, v23, vcc
	v_cmp_gt_u32_e32 vcc, s5, v29
	v_add_f64 v[29:30], v[17:18], v[15:16]
	;; [unrolled: 5-line block ×3, first 2 shown]
	v_add_f64 v[37:38], v[7:8], v[13:14]
	v_add_f64 v[39:40], v[5:6], v[7:8]
	v_add_u32_e32 v33, 6, v41
	v_cndmask_b32_e32 v28, v20, v28, vcc
	v_cndmask_b32_e32 v27, v19, v27, vcc
	v_cmp_gt_u32_e32 vcc, s5, v33
	v_add_u32_e32 v33, 5, v41
	v_cndmask_b32_e32 v30, v18, v30, vcc
	v_cndmask_b32_e32 v29, v17, v29, vcc
	v_cmp_gt_u32_e32 vcc, s5, v33
	v_cndmask_b32_e32 v33, v15, v31, vcc
	v_add_u32_e32 v31, 4, v41
	v_cndmask_b32_e32 v34, v16, v32, vcc
	v_cmp_gt_u32_e32 vcc, s5, v31
	v_cndmask_b32_e32 v31, v13, v37, vcc
	v_add_u32_e32 v37, 3, v41
	v_cndmask_b32_e32 v32, v14, v38, vcc
	v_add_f64 v[46:47], v[3:4], v[5:6]
	v_cmp_gt_u32_e32 vcc, s5, v37
	v_cndmask_b32_e32 v38, v8, v40, vcc
	v_cndmask_b32_e32 v37, v7, v39, vcc
	v_add_f64 v[39:40], v[1:2], v[3:4]
	s_waitcnt lgkmcnt(0)
	v_add_f64 v[48:49], v[1:2], v[35:36]
	v_add_u32_e32 v42, 2, v41
	v_cmp_gt_u32_e32 vcc, s5, v42
	v_add_u32_e32 v42, 1, v41
	v_cndmask_b32_e32 v36, v6, v47, vcc
	v_cndmask_b32_e32 v35, v5, v46, vcc
	v_cmp_gt_u32_e32 vcc, s5, v42
	v_cndmask_b32_e32 v40, v4, v40, vcc
	v_cndmask_b32_e32 v39, v3, v39, vcc
	v_cmp_gt_u32_e32 vcc, s5, v41
	v_cndmask_b32_e32 v42, v2, v49, vcc
	v_cndmask_b32_e32 v41, v1, v48, vcc
.LBB595_36:
	s_waitcnt lgkmcnt(0)
	s_cbranch_execnz .LBB595_45
.LBB595_37:
	v_add_f64 v[21:22], v[43:44], v[11:12]
	v_add_f64 v[23:24], v[11:12], v[9:10]
	;; [unrolled: 1-line block ×10, first 2 shown]
	s_cmp_eq_u64 s[2:3], 1
	v_cmp_ne_u32_e32 vcc, 0, v0
	s_cbranch_scc1 .LBB595_41
; %bb.38:
	v_mov_b32_e32 v42, v2
	v_mov_b32_e32 v41, v1
	ds_write_b64 v45, v[43:44]
	s_waitcnt lgkmcnt(0)
	s_barrier
	s_and_saveexec_b64 s[2:3], vcc
	s_cbranch_execz .LBB595_40
; %bb.39:
	v_add_u32_e32 v41, -8, v45
	ds_read_b64 v[41:42], v41
	s_waitcnt lgkmcnt(0)
	v_add_f64 v[41:42], v[1:2], v[41:42]
.LBB595_40:
	s_or_b64 exec, exec, s[2:3]
	s_cbranch_execz .LBB595_42
	s_branch .LBB595_45
.LBB595_41:
                                        ; implicit-def: $vgpr41_vgpr42
.LBB595_42:
	v_mul_u32_u24_e32 v41, 11, v0
	v_add_u32_e32 v42, 10, v41
	v_cmp_gt_u32_e32 vcc, s14, v42
	v_add_u32_e32 v42, 9, v41
	v_cndmask_b32_e32 v22, v44, v22, vcc
	v_cndmask_b32_e32 v21, v43, v21, vcc
	v_cmp_gt_u32_e32 vcc, s14, v42
	v_cndmask_b32_e32 v23, v11, v23, vcc
	v_add_u32_e32 v11, 8, v41
	v_cndmask_b32_e32 v24, v12, v24, vcc
	v_cmp_gt_u32_e32 vcc, s14, v11
	v_cndmask_b32_e32 v25, v9, v25, vcc
	v_add_u32_e32 v9, 7, v41
	v_cndmask_b32_e32 v26, v10, v26, vcc
	v_cmp_gt_u32_e32 vcc, s14, v9
	v_add_u32_e32 v9, 6, v41
	v_cndmask_b32_e32 v28, v20, v28, vcc
	v_cndmask_b32_e32 v27, v19, v27, vcc
	v_cmp_gt_u32_e32 vcc, s14, v9
	v_add_u32_e32 v9, 5, v41
	v_cndmask_b32_e32 v30, v18, v30, vcc
	;; [unrolled: 4-line block ×4, first 2 shown]
	v_cndmask_b32_e32 v31, v13, v31, vcc
	v_cmp_gt_u32_e32 vcc, s14, v9
	v_cndmask_b32_e32 v37, v7, v37, vcc
	v_add_u32_e32 v7, 2, v41
	v_cndmask_b32_e32 v38, v8, v38, vcc
	v_cmp_gt_u32_e32 vcc, s14, v7
	v_cndmask_b32_e32 v35, v5, v35, vcc
	v_add_u32_e32 v5, 1, v41
	v_cndmask_b32_e32 v36, v6, v36, vcc
	v_cmp_gt_u32_e32 vcc, s14, v5
	v_cndmask_b32_e32 v40, v4, v40, vcc
	v_cndmask_b32_e32 v39, v3, v39, vcc
	v_cmp_ne_u32_e32 vcc, 0, v0
	v_cmp_gt_u32_e64 s[2:3], s14, v41
	s_and_b64 s[6:7], vcc, s[2:3]
	ds_write_b64 v45, v[43:44]
	s_waitcnt lgkmcnt(0)
	s_barrier
	s_and_saveexec_b64 s[2:3], s[6:7]
	s_cbranch_execz .LBB595_44
; %bb.43:
	v_add_u32_e32 v3, -8, v45
	ds_read_b64 v[3:4], v3
	s_waitcnt lgkmcnt(0)
	v_add_f64 v[1:2], v[1:2], v[3:4]
.LBB595_44:
	s_or_b64 exec, exec, s[2:3]
	v_mov_b32_e32 v42, v2
	v_mov_b32_e32 v41, v1
.LBB595_45:
	s_add_u32 s6, s12, s10
	s_addc_u32 s7, s13, s11
	s_and_b64 vcc, exec, s[0:1]
	s_barrier
	s_cbranch_vccz .LBB595_67
; %bb.46:
	s_movk_i32 s2, 0x58
	v_mul_i32_i24_e32 v47, 0xffffffb0, v0
	v_mul_u32_u24_e32 v46, 0x58, v0
	v_mad_u32_u24 v1, v0, s2, v47
	ds_write2_b64 v46, v[41:42], v[39:40] offset1:1
	ds_write2_b64 v46, v[35:36], v[37:38] offset0:2 offset1:3
	ds_write2_b64 v46, v[31:32], v[33:34] offset0:4 offset1:5
	;; [unrolled: 1-line block ×4, first 2 shown]
	ds_write_b64 v46, v[21:22] offset:80
	s_waitcnt lgkmcnt(0)
	s_barrier
	ds_read2st64_b64 v[17:20], v1 offset0:2 offset1:4
	ds_read2st64_b64 v[13:16], v1 offset0:6 offset1:8
	;; [unrolled: 1-line block ×5, first 2 shown]
	s_mov_b32 s5, 0
	s_add_i32 s15, s15, s14
	s_lshl_b64 s[0:1], s[4:5], 3
	s_add_u32 s0, s6, s0
	s_addc_u32 s1, s7, s1
	v_mov_b32_e32 v44, s1
	v_add_co_u32_e32 v43, vcc, s0, v45
	v_addc_co_u32_e32 v44, vcc, 0, v44, vcc
	v_cmp_gt_u32_e32 vcc, s15, v0
	s_and_saveexec_b64 s[0:1], vcc
	s_cbranch_execz .LBB595_48
; %bb.47:
	v_add_u32_e32 v46, v46, v47
	ds_read_b64 v[46:47], v46
	s_waitcnt lgkmcnt(0)
	global_store_dwordx2 v[43:44], v[46:47], off
.LBB595_48:
	s_or_b64 exec, exec, s[0:1]
	v_or_b32_e32 v46, 0x80, v0
	v_cmp_gt_u32_e32 vcc, s15, v46
	s_and_saveexec_b64 s[0:1], vcc
	s_cbranch_execz .LBB595_50
; %bb.49:
	s_waitcnt lgkmcnt(4)
	global_store_dwordx2 v[43:44], v[17:18], off offset:1024
.LBB595_50:
	s_or_b64 exec, exec, s[0:1]
	s_waitcnt lgkmcnt(4)
	v_or_b32_e32 v17, 0x100, v0
	v_cmp_gt_u32_e32 vcc, s15, v17
	s_and_saveexec_b64 s[0:1], vcc
	s_cbranch_execz .LBB595_52
; %bb.51:
	global_store_dwordx2 v[43:44], v[19:20], off offset:2048
.LBB595_52:
	s_or_b64 exec, exec, s[0:1]
	v_or_b32_e32 v17, 0x180, v0
	v_cmp_gt_u32_e32 vcc, s15, v17
	s_and_saveexec_b64 s[0:1], vcc
	s_cbranch_execz .LBB595_54
; %bb.53:
	s_waitcnt lgkmcnt(3)
	global_store_dwordx2 v[43:44], v[13:14], off offset:3072
.LBB595_54:
	s_or_b64 exec, exec, s[0:1]
	s_waitcnt lgkmcnt(3)
	v_or_b32_e32 v13, 0x200, v0
	v_cmp_gt_u32_e32 vcc, s15, v13
	s_and_saveexec_b64 s[0:1], vcc
	s_cbranch_execz .LBB595_56
; %bb.55:
	v_add_co_u32_e32 v13, vcc, 0x1000, v43
	v_addc_co_u32_e32 v14, vcc, 0, v44, vcc
	global_store_dwordx2 v[13:14], v[15:16], off
.LBB595_56:
	s_or_b64 exec, exec, s[0:1]
	v_or_b32_e32 v13, 0x280, v0
	v_cmp_gt_u32_e32 vcc, s15, v13
	s_and_saveexec_b64 s[0:1], vcc
	s_cbranch_execz .LBB595_58
; %bb.57:
	v_add_co_u32_e32 v13, vcc, 0x1000, v43
	v_addc_co_u32_e32 v14, vcc, 0, v44, vcc
	s_waitcnt lgkmcnt(2)
	global_store_dwordx2 v[13:14], v[9:10], off offset:1024
.LBB595_58:
	s_or_b64 exec, exec, s[0:1]
	s_waitcnt lgkmcnt(2)
	v_or_b32_e32 v9, 0x300, v0
	v_cmp_gt_u32_e32 vcc, s15, v9
	s_and_saveexec_b64 s[0:1], vcc
	s_cbranch_execz .LBB595_60
; %bb.59:
	v_add_co_u32_e32 v9, vcc, 0x1000, v43
	v_addc_co_u32_e32 v10, vcc, 0, v44, vcc
	global_store_dwordx2 v[9:10], v[11:12], off offset:2048
.LBB595_60:
	s_or_b64 exec, exec, s[0:1]
	v_or_b32_e32 v9, 0x380, v0
	v_cmp_gt_u32_e32 vcc, s15, v9
	s_and_saveexec_b64 s[0:1], vcc
	s_cbranch_execz .LBB595_62
; %bb.61:
	v_add_co_u32_e32 v9, vcc, 0x1000, v43
	v_addc_co_u32_e32 v10, vcc, 0, v44, vcc
	s_waitcnt lgkmcnt(1)
	global_store_dwordx2 v[9:10], v[5:6], off offset:3072
.LBB595_62:
	s_or_b64 exec, exec, s[0:1]
	s_waitcnt lgkmcnt(1)
	v_or_b32_e32 v5, 0x400, v0
	v_cmp_gt_u32_e32 vcc, s15, v5
	s_and_saveexec_b64 s[0:1], vcc
	s_cbranch_execz .LBB595_64
; %bb.63:
	v_add_co_u32_e32 v5, vcc, 0x2000, v43
	v_addc_co_u32_e32 v6, vcc, 0, v44, vcc
	global_store_dwordx2 v[5:6], v[7:8], off
.LBB595_64:
	s_or_b64 exec, exec, s[0:1]
	v_or_b32_e32 v5, 0x480, v0
	v_cmp_gt_u32_e32 vcc, s15, v5
	s_and_saveexec_b64 s[0:1], vcc
	s_cbranch_execz .LBB595_66
; %bb.65:
	v_add_co_u32_e32 v5, vcc, 0x2000, v43
	v_addc_co_u32_e32 v6, vcc, 0, v44, vcc
	s_waitcnt lgkmcnt(0)
	global_store_dwordx2 v[5:6], v[1:2], off offset:1024
.LBB595_66:
	s_or_b64 exec, exec, s[0:1]
	s_waitcnt lgkmcnt(0)
	v_or_b32_e32 v1, 0x500, v0
	v_cmp_gt_u32_e64 s[0:1], s15, v1
	s_branch .LBB595_69
.LBB595_67:
	s_mov_b64 s[0:1], 0
                                        ; implicit-def: $vgpr3_vgpr4
                                        ; implicit-def: $vgpr43_vgpr44
	s_cbranch_execz .LBB595_69
; %bb.68:
	s_mov_b32 s5, 0
	s_lshl_b64 s[2:3], s[4:5], 3
	v_mul_u32_u24_e32 v1, 0x58, v0
	s_add_u32 s2, s6, s2
	s_movk_i32 s4, 0x58
	ds_write2_b64 v1, v[41:42], v[39:40] offset1:1
	ds_write2_b64 v1, v[35:36], v[37:38] offset0:2 offset1:3
	ds_write2_b64 v1, v[31:32], v[33:34] offset0:4 offset1:5
	;; [unrolled: 1-line block ×4, first 2 shown]
	ds_write_b64 v1, v[21:22] offset:80
	v_mul_i32_i24_e32 v1, 0xffffffb0, v0
	s_addc_u32 s3, s7, s3
	v_mad_u32_u24 v0, v0, s4, v1
	s_waitcnt vmcnt(0) lgkmcnt(0)
	s_barrier
	ds_read2st64_b64 v[5:8], v0 offset1:2
	ds_read2st64_b64 v[9:12], v0 offset0:4 offset1:6
	ds_read2st64_b64 v[13:16], v0 offset0:8 offset1:10
	ds_read2st64_b64 v[17:20], v0 offset0:12 offset1:14
	ds_read2st64_b64 v[21:24], v0 offset0:16 offset1:18
	ds_read_b64 v[3:4], v0 offset:10240
	v_mov_b32_e32 v0, s3
	v_add_co_u32_e32 v43, vcc, s2, v45
	v_addc_co_u32_e32 v44, vcc, 0, v0, vcc
	s_waitcnt lgkmcnt(5)
	global_store_dwordx2 v45, v[5:6], s[2:3]
	global_store_dwordx2 v45, v[7:8], s[2:3] offset:1024
	s_waitcnt lgkmcnt(4)
	global_store_dwordx2 v45, v[9:10], s[2:3] offset:2048
	global_store_dwordx2 v45, v[11:12], s[2:3] offset:3072
	s_movk_i32 s2, 0x1000
	v_add_co_u32_e32 v0, vcc, s2, v43
	v_addc_co_u32_e32 v1, vcc, 0, v44, vcc
	s_waitcnt lgkmcnt(3)
	global_store_dwordx2 v[0:1], v[13:14], off
	global_store_dwordx2 v[0:1], v[15:16], off offset:1024
	s_waitcnt lgkmcnt(2)
	global_store_dwordx2 v[0:1], v[17:18], off offset:2048
	global_store_dwordx2 v[0:1], v[19:20], off offset:3072
	v_add_co_u32_e32 v0, vcc, 0x2000, v43
	v_addc_co_u32_e32 v1, vcc, 0, v44, vcc
	s_or_b64 s[0:1], s[0:1], exec
	s_waitcnt lgkmcnt(1)
	global_store_dwordx2 v[0:1], v[21:22], off
	global_store_dwordx2 v[0:1], v[23:24], off offset:1024
.LBB595_69:
	s_and_saveexec_b64 s[2:3], s[0:1]
	s_cbranch_execnz .LBB595_71
; %bb.70:
	s_endpgm
.LBB595_71:
	v_add_co_u32_e32 v0, vcc, 0x2000, v43
	v_addc_co_u32_e32 v1, vcc, 0, v44, vcc
	s_waitcnt lgkmcnt(0)
	global_store_dwordx2 v[0:1], v[3:4], off offset:2048
	s_endpgm
	.section	.rodata,"a",@progbits
	.p2align	6, 0x0
	.amdhsa_kernel _ZN7rocprim17ROCPRIM_400000_NS6detail17trampoline_kernelINS0_14default_configENS1_35adjacent_difference_config_selectorILb1EdEEZNS1_24adjacent_difference_implIS3_Lb1ELb0EPKdPdN6thrust23THRUST_200600_302600_NS4plusIdEEEE10hipError_tPvRmT2_T3_mT4_P12ihipStream_tbEUlT_E_NS1_11comp_targetILNS1_3genE2ELNS1_11target_archE906ELNS1_3gpuE6ELNS1_3repE0EEENS1_30default_config_static_selectorELNS0_4arch9wavefront6targetE1EEEvT1_
		.amdhsa_group_segment_fixed_size 11264
		.amdhsa_private_segment_fixed_size 0
		.amdhsa_kernarg_size 56
		.amdhsa_user_sgpr_count 6
		.amdhsa_user_sgpr_private_segment_buffer 1
		.amdhsa_user_sgpr_dispatch_ptr 0
		.amdhsa_user_sgpr_queue_ptr 0
		.amdhsa_user_sgpr_kernarg_segment_ptr 1
		.amdhsa_user_sgpr_dispatch_id 0
		.amdhsa_user_sgpr_flat_scratch_init 0
		.amdhsa_user_sgpr_private_segment_size 0
		.amdhsa_uses_dynamic_stack 0
		.amdhsa_system_sgpr_private_segment_wavefront_offset 0
		.amdhsa_system_sgpr_workgroup_id_x 1
		.amdhsa_system_sgpr_workgroup_id_y 0
		.amdhsa_system_sgpr_workgroup_id_z 0
		.amdhsa_system_sgpr_workgroup_info 0
		.amdhsa_system_vgpr_workitem_id 0
		.amdhsa_next_free_vgpr 65
		.amdhsa_next_free_sgpr 98
		.amdhsa_reserve_vcc 1
		.amdhsa_reserve_flat_scratch 0
		.amdhsa_float_round_mode_32 0
		.amdhsa_float_round_mode_16_64 0
		.amdhsa_float_denorm_mode_32 3
		.amdhsa_float_denorm_mode_16_64 3
		.amdhsa_dx10_clamp 1
		.amdhsa_ieee_mode 1
		.amdhsa_fp16_overflow 0
		.amdhsa_exception_fp_ieee_invalid_op 0
		.amdhsa_exception_fp_denorm_src 0
		.amdhsa_exception_fp_ieee_div_zero 0
		.amdhsa_exception_fp_ieee_overflow 0
		.amdhsa_exception_fp_ieee_underflow 0
		.amdhsa_exception_fp_ieee_inexact 0
		.amdhsa_exception_int_div_zero 0
	.end_amdhsa_kernel
	.section	.text._ZN7rocprim17ROCPRIM_400000_NS6detail17trampoline_kernelINS0_14default_configENS1_35adjacent_difference_config_selectorILb1EdEEZNS1_24adjacent_difference_implIS3_Lb1ELb0EPKdPdN6thrust23THRUST_200600_302600_NS4plusIdEEEE10hipError_tPvRmT2_T3_mT4_P12ihipStream_tbEUlT_E_NS1_11comp_targetILNS1_3genE2ELNS1_11target_archE906ELNS1_3gpuE6ELNS1_3repE0EEENS1_30default_config_static_selectorELNS0_4arch9wavefront6targetE1EEEvT1_,"axG",@progbits,_ZN7rocprim17ROCPRIM_400000_NS6detail17trampoline_kernelINS0_14default_configENS1_35adjacent_difference_config_selectorILb1EdEEZNS1_24adjacent_difference_implIS3_Lb1ELb0EPKdPdN6thrust23THRUST_200600_302600_NS4plusIdEEEE10hipError_tPvRmT2_T3_mT4_P12ihipStream_tbEUlT_E_NS1_11comp_targetILNS1_3genE2ELNS1_11target_archE906ELNS1_3gpuE6ELNS1_3repE0EEENS1_30default_config_static_selectorELNS0_4arch9wavefront6targetE1EEEvT1_,comdat
.Lfunc_end595:
	.size	_ZN7rocprim17ROCPRIM_400000_NS6detail17trampoline_kernelINS0_14default_configENS1_35adjacent_difference_config_selectorILb1EdEEZNS1_24adjacent_difference_implIS3_Lb1ELb0EPKdPdN6thrust23THRUST_200600_302600_NS4plusIdEEEE10hipError_tPvRmT2_T3_mT4_P12ihipStream_tbEUlT_E_NS1_11comp_targetILNS1_3genE2ELNS1_11target_archE906ELNS1_3gpuE6ELNS1_3repE0EEENS1_30default_config_static_selectorELNS0_4arch9wavefront6targetE1EEEvT1_, .Lfunc_end595-_ZN7rocprim17ROCPRIM_400000_NS6detail17trampoline_kernelINS0_14default_configENS1_35adjacent_difference_config_selectorILb1EdEEZNS1_24adjacent_difference_implIS3_Lb1ELb0EPKdPdN6thrust23THRUST_200600_302600_NS4plusIdEEEE10hipError_tPvRmT2_T3_mT4_P12ihipStream_tbEUlT_E_NS1_11comp_targetILNS1_3genE2ELNS1_11target_archE906ELNS1_3gpuE6ELNS1_3repE0EEENS1_30default_config_static_selectorELNS0_4arch9wavefront6targetE1EEEvT1_
                                        ; -- End function
	.set _ZN7rocprim17ROCPRIM_400000_NS6detail17trampoline_kernelINS0_14default_configENS1_35adjacent_difference_config_selectorILb1EdEEZNS1_24adjacent_difference_implIS3_Lb1ELb0EPKdPdN6thrust23THRUST_200600_302600_NS4plusIdEEEE10hipError_tPvRmT2_T3_mT4_P12ihipStream_tbEUlT_E_NS1_11comp_targetILNS1_3genE2ELNS1_11target_archE906ELNS1_3gpuE6ELNS1_3repE0EEENS1_30default_config_static_selectorELNS0_4arch9wavefront6targetE1EEEvT1_.num_vgpr, 50
	.set _ZN7rocprim17ROCPRIM_400000_NS6detail17trampoline_kernelINS0_14default_configENS1_35adjacent_difference_config_selectorILb1EdEEZNS1_24adjacent_difference_implIS3_Lb1ELb0EPKdPdN6thrust23THRUST_200600_302600_NS4plusIdEEEE10hipError_tPvRmT2_T3_mT4_P12ihipStream_tbEUlT_E_NS1_11comp_targetILNS1_3genE2ELNS1_11target_archE906ELNS1_3gpuE6ELNS1_3repE0EEENS1_30default_config_static_selectorELNS0_4arch9wavefront6targetE1EEEvT1_.num_agpr, 0
	.set _ZN7rocprim17ROCPRIM_400000_NS6detail17trampoline_kernelINS0_14default_configENS1_35adjacent_difference_config_selectorILb1EdEEZNS1_24adjacent_difference_implIS3_Lb1ELb0EPKdPdN6thrust23THRUST_200600_302600_NS4plusIdEEEE10hipError_tPvRmT2_T3_mT4_P12ihipStream_tbEUlT_E_NS1_11comp_targetILNS1_3genE2ELNS1_11target_archE906ELNS1_3gpuE6ELNS1_3repE0EEENS1_30default_config_static_selectorELNS0_4arch9wavefront6targetE1EEEvT1_.numbered_sgpr, 29
	.set _ZN7rocprim17ROCPRIM_400000_NS6detail17trampoline_kernelINS0_14default_configENS1_35adjacent_difference_config_selectorILb1EdEEZNS1_24adjacent_difference_implIS3_Lb1ELb0EPKdPdN6thrust23THRUST_200600_302600_NS4plusIdEEEE10hipError_tPvRmT2_T3_mT4_P12ihipStream_tbEUlT_E_NS1_11comp_targetILNS1_3genE2ELNS1_11target_archE906ELNS1_3gpuE6ELNS1_3repE0EEENS1_30default_config_static_selectorELNS0_4arch9wavefront6targetE1EEEvT1_.num_named_barrier, 0
	.set _ZN7rocprim17ROCPRIM_400000_NS6detail17trampoline_kernelINS0_14default_configENS1_35adjacent_difference_config_selectorILb1EdEEZNS1_24adjacent_difference_implIS3_Lb1ELb0EPKdPdN6thrust23THRUST_200600_302600_NS4plusIdEEEE10hipError_tPvRmT2_T3_mT4_P12ihipStream_tbEUlT_E_NS1_11comp_targetILNS1_3genE2ELNS1_11target_archE906ELNS1_3gpuE6ELNS1_3repE0EEENS1_30default_config_static_selectorELNS0_4arch9wavefront6targetE1EEEvT1_.private_seg_size, 0
	.set _ZN7rocprim17ROCPRIM_400000_NS6detail17trampoline_kernelINS0_14default_configENS1_35adjacent_difference_config_selectorILb1EdEEZNS1_24adjacent_difference_implIS3_Lb1ELb0EPKdPdN6thrust23THRUST_200600_302600_NS4plusIdEEEE10hipError_tPvRmT2_T3_mT4_P12ihipStream_tbEUlT_E_NS1_11comp_targetILNS1_3genE2ELNS1_11target_archE906ELNS1_3gpuE6ELNS1_3repE0EEENS1_30default_config_static_selectorELNS0_4arch9wavefront6targetE1EEEvT1_.uses_vcc, 1
	.set _ZN7rocprim17ROCPRIM_400000_NS6detail17trampoline_kernelINS0_14default_configENS1_35adjacent_difference_config_selectorILb1EdEEZNS1_24adjacent_difference_implIS3_Lb1ELb0EPKdPdN6thrust23THRUST_200600_302600_NS4plusIdEEEE10hipError_tPvRmT2_T3_mT4_P12ihipStream_tbEUlT_E_NS1_11comp_targetILNS1_3genE2ELNS1_11target_archE906ELNS1_3gpuE6ELNS1_3repE0EEENS1_30default_config_static_selectorELNS0_4arch9wavefront6targetE1EEEvT1_.uses_flat_scratch, 0
	.set _ZN7rocprim17ROCPRIM_400000_NS6detail17trampoline_kernelINS0_14default_configENS1_35adjacent_difference_config_selectorILb1EdEEZNS1_24adjacent_difference_implIS3_Lb1ELb0EPKdPdN6thrust23THRUST_200600_302600_NS4plusIdEEEE10hipError_tPvRmT2_T3_mT4_P12ihipStream_tbEUlT_E_NS1_11comp_targetILNS1_3genE2ELNS1_11target_archE906ELNS1_3gpuE6ELNS1_3repE0EEENS1_30default_config_static_selectorELNS0_4arch9wavefront6targetE1EEEvT1_.has_dyn_sized_stack, 0
	.set _ZN7rocprim17ROCPRIM_400000_NS6detail17trampoline_kernelINS0_14default_configENS1_35adjacent_difference_config_selectorILb1EdEEZNS1_24adjacent_difference_implIS3_Lb1ELb0EPKdPdN6thrust23THRUST_200600_302600_NS4plusIdEEEE10hipError_tPvRmT2_T3_mT4_P12ihipStream_tbEUlT_E_NS1_11comp_targetILNS1_3genE2ELNS1_11target_archE906ELNS1_3gpuE6ELNS1_3repE0EEENS1_30default_config_static_selectorELNS0_4arch9wavefront6targetE1EEEvT1_.has_recursion, 0
	.set _ZN7rocprim17ROCPRIM_400000_NS6detail17trampoline_kernelINS0_14default_configENS1_35adjacent_difference_config_selectorILb1EdEEZNS1_24adjacent_difference_implIS3_Lb1ELb0EPKdPdN6thrust23THRUST_200600_302600_NS4plusIdEEEE10hipError_tPvRmT2_T3_mT4_P12ihipStream_tbEUlT_E_NS1_11comp_targetILNS1_3genE2ELNS1_11target_archE906ELNS1_3gpuE6ELNS1_3repE0EEENS1_30default_config_static_selectorELNS0_4arch9wavefront6targetE1EEEvT1_.has_indirect_call, 0
	.section	.AMDGPU.csdata,"",@progbits
; Kernel info:
; codeLenInByte = 2948
; TotalNumSgprs: 33
; NumVgprs: 50
; ScratchSize: 0
; MemoryBound: 0
; FloatMode: 240
; IeeeMode: 1
; LDSByteSize: 11264 bytes/workgroup (compile time only)
; SGPRBlocks: 12
; VGPRBlocks: 16
; NumSGPRsForWavesPerEU: 102
; NumVGPRsForWavesPerEU: 65
; Occupancy: 3
; WaveLimiterHint : 1
; COMPUTE_PGM_RSRC2:SCRATCH_EN: 0
; COMPUTE_PGM_RSRC2:USER_SGPR: 6
; COMPUTE_PGM_RSRC2:TRAP_HANDLER: 0
; COMPUTE_PGM_RSRC2:TGID_X_EN: 1
; COMPUTE_PGM_RSRC2:TGID_Y_EN: 0
; COMPUTE_PGM_RSRC2:TGID_Z_EN: 0
; COMPUTE_PGM_RSRC2:TIDIG_COMP_CNT: 0
	.section	.text._ZN7rocprim17ROCPRIM_400000_NS6detail17trampoline_kernelINS0_14default_configENS1_35adjacent_difference_config_selectorILb1EdEEZNS1_24adjacent_difference_implIS3_Lb1ELb0EPKdPdN6thrust23THRUST_200600_302600_NS4plusIdEEEE10hipError_tPvRmT2_T3_mT4_P12ihipStream_tbEUlT_E_NS1_11comp_targetILNS1_3genE9ELNS1_11target_archE1100ELNS1_3gpuE3ELNS1_3repE0EEENS1_30default_config_static_selectorELNS0_4arch9wavefront6targetE1EEEvT1_,"axG",@progbits,_ZN7rocprim17ROCPRIM_400000_NS6detail17trampoline_kernelINS0_14default_configENS1_35adjacent_difference_config_selectorILb1EdEEZNS1_24adjacent_difference_implIS3_Lb1ELb0EPKdPdN6thrust23THRUST_200600_302600_NS4plusIdEEEE10hipError_tPvRmT2_T3_mT4_P12ihipStream_tbEUlT_E_NS1_11comp_targetILNS1_3genE9ELNS1_11target_archE1100ELNS1_3gpuE3ELNS1_3repE0EEENS1_30default_config_static_selectorELNS0_4arch9wavefront6targetE1EEEvT1_,comdat
	.protected	_ZN7rocprim17ROCPRIM_400000_NS6detail17trampoline_kernelINS0_14default_configENS1_35adjacent_difference_config_selectorILb1EdEEZNS1_24adjacent_difference_implIS3_Lb1ELb0EPKdPdN6thrust23THRUST_200600_302600_NS4plusIdEEEE10hipError_tPvRmT2_T3_mT4_P12ihipStream_tbEUlT_E_NS1_11comp_targetILNS1_3genE9ELNS1_11target_archE1100ELNS1_3gpuE3ELNS1_3repE0EEENS1_30default_config_static_selectorELNS0_4arch9wavefront6targetE1EEEvT1_ ; -- Begin function _ZN7rocprim17ROCPRIM_400000_NS6detail17trampoline_kernelINS0_14default_configENS1_35adjacent_difference_config_selectorILb1EdEEZNS1_24adjacent_difference_implIS3_Lb1ELb0EPKdPdN6thrust23THRUST_200600_302600_NS4plusIdEEEE10hipError_tPvRmT2_T3_mT4_P12ihipStream_tbEUlT_E_NS1_11comp_targetILNS1_3genE9ELNS1_11target_archE1100ELNS1_3gpuE3ELNS1_3repE0EEENS1_30default_config_static_selectorELNS0_4arch9wavefront6targetE1EEEvT1_
	.globl	_ZN7rocprim17ROCPRIM_400000_NS6detail17trampoline_kernelINS0_14default_configENS1_35adjacent_difference_config_selectorILb1EdEEZNS1_24adjacent_difference_implIS3_Lb1ELb0EPKdPdN6thrust23THRUST_200600_302600_NS4plusIdEEEE10hipError_tPvRmT2_T3_mT4_P12ihipStream_tbEUlT_E_NS1_11comp_targetILNS1_3genE9ELNS1_11target_archE1100ELNS1_3gpuE3ELNS1_3repE0EEENS1_30default_config_static_selectorELNS0_4arch9wavefront6targetE1EEEvT1_
	.p2align	8
	.type	_ZN7rocprim17ROCPRIM_400000_NS6detail17trampoline_kernelINS0_14default_configENS1_35adjacent_difference_config_selectorILb1EdEEZNS1_24adjacent_difference_implIS3_Lb1ELb0EPKdPdN6thrust23THRUST_200600_302600_NS4plusIdEEEE10hipError_tPvRmT2_T3_mT4_P12ihipStream_tbEUlT_E_NS1_11comp_targetILNS1_3genE9ELNS1_11target_archE1100ELNS1_3gpuE3ELNS1_3repE0EEENS1_30default_config_static_selectorELNS0_4arch9wavefront6targetE1EEEvT1_,@function
_ZN7rocprim17ROCPRIM_400000_NS6detail17trampoline_kernelINS0_14default_configENS1_35adjacent_difference_config_selectorILb1EdEEZNS1_24adjacent_difference_implIS3_Lb1ELb0EPKdPdN6thrust23THRUST_200600_302600_NS4plusIdEEEE10hipError_tPvRmT2_T3_mT4_P12ihipStream_tbEUlT_E_NS1_11comp_targetILNS1_3genE9ELNS1_11target_archE1100ELNS1_3gpuE3ELNS1_3repE0EEENS1_30default_config_static_selectorELNS0_4arch9wavefront6targetE1EEEvT1_: ; @_ZN7rocprim17ROCPRIM_400000_NS6detail17trampoline_kernelINS0_14default_configENS1_35adjacent_difference_config_selectorILb1EdEEZNS1_24adjacent_difference_implIS3_Lb1ELb0EPKdPdN6thrust23THRUST_200600_302600_NS4plusIdEEEE10hipError_tPvRmT2_T3_mT4_P12ihipStream_tbEUlT_E_NS1_11comp_targetILNS1_3genE9ELNS1_11target_archE1100ELNS1_3gpuE3ELNS1_3repE0EEENS1_30default_config_static_selectorELNS0_4arch9wavefront6targetE1EEEvT1_
; %bb.0:
	.section	.rodata,"a",@progbits
	.p2align	6, 0x0
	.amdhsa_kernel _ZN7rocprim17ROCPRIM_400000_NS6detail17trampoline_kernelINS0_14default_configENS1_35adjacent_difference_config_selectorILb1EdEEZNS1_24adjacent_difference_implIS3_Lb1ELb0EPKdPdN6thrust23THRUST_200600_302600_NS4plusIdEEEE10hipError_tPvRmT2_T3_mT4_P12ihipStream_tbEUlT_E_NS1_11comp_targetILNS1_3genE9ELNS1_11target_archE1100ELNS1_3gpuE3ELNS1_3repE0EEENS1_30default_config_static_selectorELNS0_4arch9wavefront6targetE1EEEvT1_
		.amdhsa_group_segment_fixed_size 0
		.amdhsa_private_segment_fixed_size 0
		.amdhsa_kernarg_size 56
		.amdhsa_user_sgpr_count 6
		.amdhsa_user_sgpr_private_segment_buffer 1
		.amdhsa_user_sgpr_dispatch_ptr 0
		.amdhsa_user_sgpr_queue_ptr 0
		.amdhsa_user_sgpr_kernarg_segment_ptr 1
		.amdhsa_user_sgpr_dispatch_id 0
		.amdhsa_user_sgpr_flat_scratch_init 0
		.amdhsa_user_sgpr_private_segment_size 0
		.amdhsa_uses_dynamic_stack 0
		.amdhsa_system_sgpr_private_segment_wavefront_offset 0
		.amdhsa_system_sgpr_workgroup_id_x 1
		.amdhsa_system_sgpr_workgroup_id_y 0
		.amdhsa_system_sgpr_workgroup_id_z 0
		.amdhsa_system_sgpr_workgroup_info 0
		.amdhsa_system_vgpr_workitem_id 0
		.amdhsa_next_free_vgpr 1
		.amdhsa_next_free_sgpr 0
		.amdhsa_reserve_vcc 0
		.amdhsa_reserve_flat_scratch 0
		.amdhsa_float_round_mode_32 0
		.amdhsa_float_round_mode_16_64 0
		.amdhsa_float_denorm_mode_32 3
		.amdhsa_float_denorm_mode_16_64 3
		.amdhsa_dx10_clamp 1
		.amdhsa_ieee_mode 1
		.amdhsa_fp16_overflow 0
		.amdhsa_exception_fp_ieee_invalid_op 0
		.amdhsa_exception_fp_denorm_src 0
		.amdhsa_exception_fp_ieee_div_zero 0
		.amdhsa_exception_fp_ieee_overflow 0
		.amdhsa_exception_fp_ieee_underflow 0
		.amdhsa_exception_fp_ieee_inexact 0
		.amdhsa_exception_int_div_zero 0
	.end_amdhsa_kernel
	.section	.text._ZN7rocprim17ROCPRIM_400000_NS6detail17trampoline_kernelINS0_14default_configENS1_35adjacent_difference_config_selectorILb1EdEEZNS1_24adjacent_difference_implIS3_Lb1ELb0EPKdPdN6thrust23THRUST_200600_302600_NS4plusIdEEEE10hipError_tPvRmT2_T3_mT4_P12ihipStream_tbEUlT_E_NS1_11comp_targetILNS1_3genE9ELNS1_11target_archE1100ELNS1_3gpuE3ELNS1_3repE0EEENS1_30default_config_static_selectorELNS0_4arch9wavefront6targetE1EEEvT1_,"axG",@progbits,_ZN7rocprim17ROCPRIM_400000_NS6detail17trampoline_kernelINS0_14default_configENS1_35adjacent_difference_config_selectorILb1EdEEZNS1_24adjacent_difference_implIS3_Lb1ELb0EPKdPdN6thrust23THRUST_200600_302600_NS4plusIdEEEE10hipError_tPvRmT2_T3_mT4_P12ihipStream_tbEUlT_E_NS1_11comp_targetILNS1_3genE9ELNS1_11target_archE1100ELNS1_3gpuE3ELNS1_3repE0EEENS1_30default_config_static_selectorELNS0_4arch9wavefront6targetE1EEEvT1_,comdat
.Lfunc_end596:
	.size	_ZN7rocprim17ROCPRIM_400000_NS6detail17trampoline_kernelINS0_14default_configENS1_35adjacent_difference_config_selectorILb1EdEEZNS1_24adjacent_difference_implIS3_Lb1ELb0EPKdPdN6thrust23THRUST_200600_302600_NS4plusIdEEEE10hipError_tPvRmT2_T3_mT4_P12ihipStream_tbEUlT_E_NS1_11comp_targetILNS1_3genE9ELNS1_11target_archE1100ELNS1_3gpuE3ELNS1_3repE0EEENS1_30default_config_static_selectorELNS0_4arch9wavefront6targetE1EEEvT1_, .Lfunc_end596-_ZN7rocprim17ROCPRIM_400000_NS6detail17trampoline_kernelINS0_14default_configENS1_35adjacent_difference_config_selectorILb1EdEEZNS1_24adjacent_difference_implIS3_Lb1ELb0EPKdPdN6thrust23THRUST_200600_302600_NS4plusIdEEEE10hipError_tPvRmT2_T3_mT4_P12ihipStream_tbEUlT_E_NS1_11comp_targetILNS1_3genE9ELNS1_11target_archE1100ELNS1_3gpuE3ELNS1_3repE0EEENS1_30default_config_static_selectorELNS0_4arch9wavefront6targetE1EEEvT1_
                                        ; -- End function
	.set _ZN7rocprim17ROCPRIM_400000_NS6detail17trampoline_kernelINS0_14default_configENS1_35adjacent_difference_config_selectorILb1EdEEZNS1_24adjacent_difference_implIS3_Lb1ELb0EPKdPdN6thrust23THRUST_200600_302600_NS4plusIdEEEE10hipError_tPvRmT2_T3_mT4_P12ihipStream_tbEUlT_E_NS1_11comp_targetILNS1_3genE9ELNS1_11target_archE1100ELNS1_3gpuE3ELNS1_3repE0EEENS1_30default_config_static_selectorELNS0_4arch9wavefront6targetE1EEEvT1_.num_vgpr, 0
	.set _ZN7rocprim17ROCPRIM_400000_NS6detail17trampoline_kernelINS0_14default_configENS1_35adjacent_difference_config_selectorILb1EdEEZNS1_24adjacent_difference_implIS3_Lb1ELb0EPKdPdN6thrust23THRUST_200600_302600_NS4plusIdEEEE10hipError_tPvRmT2_T3_mT4_P12ihipStream_tbEUlT_E_NS1_11comp_targetILNS1_3genE9ELNS1_11target_archE1100ELNS1_3gpuE3ELNS1_3repE0EEENS1_30default_config_static_selectorELNS0_4arch9wavefront6targetE1EEEvT1_.num_agpr, 0
	.set _ZN7rocprim17ROCPRIM_400000_NS6detail17trampoline_kernelINS0_14default_configENS1_35adjacent_difference_config_selectorILb1EdEEZNS1_24adjacent_difference_implIS3_Lb1ELb0EPKdPdN6thrust23THRUST_200600_302600_NS4plusIdEEEE10hipError_tPvRmT2_T3_mT4_P12ihipStream_tbEUlT_E_NS1_11comp_targetILNS1_3genE9ELNS1_11target_archE1100ELNS1_3gpuE3ELNS1_3repE0EEENS1_30default_config_static_selectorELNS0_4arch9wavefront6targetE1EEEvT1_.numbered_sgpr, 0
	.set _ZN7rocprim17ROCPRIM_400000_NS6detail17trampoline_kernelINS0_14default_configENS1_35adjacent_difference_config_selectorILb1EdEEZNS1_24adjacent_difference_implIS3_Lb1ELb0EPKdPdN6thrust23THRUST_200600_302600_NS4plusIdEEEE10hipError_tPvRmT2_T3_mT4_P12ihipStream_tbEUlT_E_NS1_11comp_targetILNS1_3genE9ELNS1_11target_archE1100ELNS1_3gpuE3ELNS1_3repE0EEENS1_30default_config_static_selectorELNS0_4arch9wavefront6targetE1EEEvT1_.num_named_barrier, 0
	.set _ZN7rocprim17ROCPRIM_400000_NS6detail17trampoline_kernelINS0_14default_configENS1_35adjacent_difference_config_selectorILb1EdEEZNS1_24adjacent_difference_implIS3_Lb1ELb0EPKdPdN6thrust23THRUST_200600_302600_NS4plusIdEEEE10hipError_tPvRmT2_T3_mT4_P12ihipStream_tbEUlT_E_NS1_11comp_targetILNS1_3genE9ELNS1_11target_archE1100ELNS1_3gpuE3ELNS1_3repE0EEENS1_30default_config_static_selectorELNS0_4arch9wavefront6targetE1EEEvT1_.private_seg_size, 0
	.set _ZN7rocprim17ROCPRIM_400000_NS6detail17trampoline_kernelINS0_14default_configENS1_35adjacent_difference_config_selectorILb1EdEEZNS1_24adjacent_difference_implIS3_Lb1ELb0EPKdPdN6thrust23THRUST_200600_302600_NS4plusIdEEEE10hipError_tPvRmT2_T3_mT4_P12ihipStream_tbEUlT_E_NS1_11comp_targetILNS1_3genE9ELNS1_11target_archE1100ELNS1_3gpuE3ELNS1_3repE0EEENS1_30default_config_static_selectorELNS0_4arch9wavefront6targetE1EEEvT1_.uses_vcc, 0
	.set _ZN7rocprim17ROCPRIM_400000_NS6detail17trampoline_kernelINS0_14default_configENS1_35adjacent_difference_config_selectorILb1EdEEZNS1_24adjacent_difference_implIS3_Lb1ELb0EPKdPdN6thrust23THRUST_200600_302600_NS4plusIdEEEE10hipError_tPvRmT2_T3_mT4_P12ihipStream_tbEUlT_E_NS1_11comp_targetILNS1_3genE9ELNS1_11target_archE1100ELNS1_3gpuE3ELNS1_3repE0EEENS1_30default_config_static_selectorELNS0_4arch9wavefront6targetE1EEEvT1_.uses_flat_scratch, 0
	.set _ZN7rocprim17ROCPRIM_400000_NS6detail17trampoline_kernelINS0_14default_configENS1_35adjacent_difference_config_selectorILb1EdEEZNS1_24adjacent_difference_implIS3_Lb1ELb0EPKdPdN6thrust23THRUST_200600_302600_NS4plusIdEEEE10hipError_tPvRmT2_T3_mT4_P12ihipStream_tbEUlT_E_NS1_11comp_targetILNS1_3genE9ELNS1_11target_archE1100ELNS1_3gpuE3ELNS1_3repE0EEENS1_30default_config_static_selectorELNS0_4arch9wavefront6targetE1EEEvT1_.has_dyn_sized_stack, 0
	.set _ZN7rocprim17ROCPRIM_400000_NS6detail17trampoline_kernelINS0_14default_configENS1_35adjacent_difference_config_selectorILb1EdEEZNS1_24adjacent_difference_implIS3_Lb1ELb0EPKdPdN6thrust23THRUST_200600_302600_NS4plusIdEEEE10hipError_tPvRmT2_T3_mT4_P12ihipStream_tbEUlT_E_NS1_11comp_targetILNS1_3genE9ELNS1_11target_archE1100ELNS1_3gpuE3ELNS1_3repE0EEENS1_30default_config_static_selectorELNS0_4arch9wavefront6targetE1EEEvT1_.has_recursion, 0
	.set _ZN7rocprim17ROCPRIM_400000_NS6detail17trampoline_kernelINS0_14default_configENS1_35adjacent_difference_config_selectorILb1EdEEZNS1_24adjacent_difference_implIS3_Lb1ELb0EPKdPdN6thrust23THRUST_200600_302600_NS4plusIdEEEE10hipError_tPvRmT2_T3_mT4_P12ihipStream_tbEUlT_E_NS1_11comp_targetILNS1_3genE9ELNS1_11target_archE1100ELNS1_3gpuE3ELNS1_3repE0EEENS1_30default_config_static_selectorELNS0_4arch9wavefront6targetE1EEEvT1_.has_indirect_call, 0
	.section	.AMDGPU.csdata,"",@progbits
; Kernel info:
; codeLenInByte = 0
; TotalNumSgprs: 4
; NumVgprs: 0
; ScratchSize: 0
; MemoryBound: 0
; FloatMode: 240
; IeeeMode: 1
; LDSByteSize: 0 bytes/workgroup (compile time only)
; SGPRBlocks: 0
; VGPRBlocks: 0
; NumSGPRsForWavesPerEU: 4
; NumVGPRsForWavesPerEU: 1
; Occupancy: 10
; WaveLimiterHint : 0
; COMPUTE_PGM_RSRC2:SCRATCH_EN: 0
; COMPUTE_PGM_RSRC2:USER_SGPR: 6
; COMPUTE_PGM_RSRC2:TRAP_HANDLER: 0
; COMPUTE_PGM_RSRC2:TGID_X_EN: 1
; COMPUTE_PGM_RSRC2:TGID_Y_EN: 0
; COMPUTE_PGM_RSRC2:TGID_Z_EN: 0
; COMPUTE_PGM_RSRC2:TIDIG_COMP_CNT: 0
	.section	.text._ZN7rocprim17ROCPRIM_400000_NS6detail17trampoline_kernelINS0_14default_configENS1_35adjacent_difference_config_selectorILb1EdEEZNS1_24adjacent_difference_implIS3_Lb1ELb0EPKdPdN6thrust23THRUST_200600_302600_NS4plusIdEEEE10hipError_tPvRmT2_T3_mT4_P12ihipStream_tbEUlT_E_NS1_11comp_targetILNS1_3genE8ELNS1_11target_archE1030ELNS1_3gpuE2ELNS1_3repE0EEENS1_30default_config_static_selectorELNS0_4arch9wavefront6targetE1EEEvT1_,"axG",@progbits,_ZN7rocprim17ROCPRIM_400000_NS6detail17trampoline_kernelINS0_14default_configENS1_35adjacent_difference_config_selectorILb1EdEEZNS1_24adjacent_difference_implIS3_Lb1ELb0EPKdPdN6thrust23THRUST_200600_302600_NS4plusIdEEEE10hipError_tPvRmT2_T3_mT4_P12ihipStream_tbEUlT_E_NS1_11comp_targetILNS1_3genE8ELNS1_11target_archE1030ELNS1_3gpuE2ELNS1_3repE0EEENS1_30default_config_static_selectorELNS0_4arch9wavefront6targetE1EEEvT1_,comdat
	.protected	_ZN7rocprim17ROCPRIM_400000_NS6detail17trampoline_kernelINS0_14default_configENS1_35adjacent_difference_config_selectorILb1EdEEZNS1_24adjacent_difference_implIS3_Lb1ELb0EPKdPdN6thrust23THRUST_200600_302600_NS4plusIdEEEE10hipError_tPvRmT2_T3_mT4_P12ihipStream_tbEUlT_E_NS1_11comp_targetILNS1_3genE8ELNS1_11target_archE1030ELNS1_3gpuE2ELNS1_3repE0EEENS1_30default_config_static_selectorELNS0_4arch9wavefront6targetE1EEEvT1_ ; -- Begin function _ZN7rocprim17ROCPRIM_400000_NS6detail17trampoline_kernelINS0_14default_configENS1_35adjacent_difference_config_selectorILb1EdEEZNS1_24adjacent_difference_implIS3_Lb1ELb0EPKdPdN6thrust23THRUST_200600_302600_NS4plusIdEEEE10hipError_tPvRmT2_T3_mT4_P12ihipStream_tbEUlT_E_NS1_11comp_targetILNS1_3genE8ELNS1_11target_archE1030ELNS1_3gpuE2ELNS1_3repE0EEENS1_30default_config_static_selectorELNS0_4arch9wavefront6targetE1EEEvT1_
	.globl	_ZN7rocprim17ROCPRIM_400000_NS6detail17trampoline_kernelINS0_14default_configENS1_35adjacent_difference_config_selectorILb1EdEEZNS1_24adjacent_difference_implIS3_Lb1ELb0EPKdPdN6thrust23THRUST_200600_302600_NS4plusIdEEEE10hipError_tPvRmT2_T3_mT4_P12ihipStream_tbEUlT_E_NS1_11comp_targetILNS1_3genE8ELNS1_11target_archE1030ELNS1_3gpuE2ELNS1_3repE0EEENS1_30default_config_static_selectorELNS0_4arch9wavefront6targetE1EEEvT1_
	.p2align	8
	.type	_ZN7rocprim17ROCPRIM_400000_NS6detail17trampoline_kernelINS0_14default_configENS1_35adjacent_difference_config_selectorILb1EdEEZNS1_24adjacent_difference_implIS3_Lb1ELb0EPKdPdN6thrust23THRUST_200600_302600_NS4plusIdEEEE10hipError_tPvRmT2_T3_mT4_P12ihipStream_tbEUlT_E_NS1_11comp_targetILNS1_3genE8ELNS1_11target_archE1030ELNS1_3gpuE2ELNS1_3repE0EEENS1_30default_config_static_selectorELNS0_4arch9wavefront6targetE1EEEvT1_,@function
_ZN7rocprim17ROCPRIM_400000_NS6detail17trampoline_kernelINS0_14default_configENS1_35adjacent_difference_config_selectorILb1EdEEZNS1_24adjacent_difference_implIS3_Lb1ELb0EPKdPdN6thrust23THRUST_200600_302600_NS4plusIdEEEE10hipError_tPvRmT2_T3_mT4_P12ihipStream_tbEUlT_E_NS1_11comp_targetILNS1_3genE8ELNS1_11target_archE1030ELNS1_3gpuE2ELNS1_3repE0EEENS1_30default_config_static_selectorELNS0_4arch9wavefront6targetE1EEEvT1_: ; @_ZN7rocprim17ROCPRIM_400000_NS6detail17trampoline_kernelINS0_14default_configENS1_35adjacent_difference_config_selectorILb1EdEEZNS1_24adjacent_difference_implIS3_Lb1ELb0EPKdPdN6thrust23THRUST_200600_302600_NS4plusIdEEEE10hipError_tPvRmT2_T3_mT4_P12ihipStream_tbEUlT_E_NS1_11comp_targetILNS1_3genE8ELNS1_11target_archE1030ELNS1_3gpuE2ELNS1_3repE0EEENS1_30default_config_static_selectorELNS0_4arch9wavefront6targetE1EEEvT1_
; %bb.0:
	.section	.rodata,"a",@progbits
	.p2align	6, 0x0
	.amdhsa_kernel _ZN7rocprim17ROCPRIM_400000_NS6detail17trampoline_kernelINS0_14default_configENS1_35adjacent_difference_config_selectorILb1EdEEZNS1_24adjacent_difference_implIS3_Lb1ELb0EPKdPdN6thrust23THRUST_200600_302600_NS4plusIdEEEE10hipError_tPvRmT2_T3_mT4_P12ihipStream_tbEUlT_E_NS1_11comp_targetILNS1_3genE8ELNS1_11target_archE1030ELNS1_3gpuE2ELNS1_3repE0EEENS1_30default_config_static_selectorELNS0_4arch9wavefront6targetE1EEEvT1_
		.amdhsa_group_segment_fixed_size 0
		.amdhsa_private_segment_fixed_size 0
		.amdhsa_kernarg_size 56
		.amdhsa_user_sgpr_count 6
		.amdhsa_user_sgpr_private_segment_buffer 1
		.amdhsa_user_sgpr_dispatch_ptr 0
		.amdhsa_user_sgpr_queue_ptr 0
		.amdhsa_user_sgpr_kernarg_segment_ptr 1
		.amdhsa_user_sgpr_dispatch_id 0
		.amdhsa_user_sgpr_flat_scratch_init 0
		.amdhsa_user_sgpr_private_segment_size 0
		.amdhsa_uses_dynamic_stack 0
		.amdhsa_system_sgpr_private_segment_wavefront_offset 0
		.amdhsa_system_sgpr_workgroup_id_x 1
		.amdhsa_system_sgpr_workgroup_id_y 0
		.amdhsa_system_sgpr_workgroup_id_z 0
		.amdhsa_system_sgpr_workgroup_info 0
		.amdhsa_system_vgpr_workitem_id 0
		.amdhsa_next_free_vgpr 1
		.amdhsa_next_free_sgpr 0
		.amdhsa_reserve_vcc 0
		.amdhsa_reserve_flat_scratch 0
		.amdhsa_float_round_mode_32 0
		.amdhsa_float_round_mode_16_64 0
		.amdhsa_float_denorm_mode_32 3
		.amdhsa_float_denorm_mode_16_64 3
		.amdhsa_dx10_clamp 1
		.amdhsa_ieee_mode 1
		.amdhsa_fp16_overflow 0
		.amdhsa_exception_fp_ieee_invalid_op 0
		.amdhsa_exception_fp_denorm_src 0
		.amdhsa_exception_fp_ieee_div_zero 0
		.amdhsa_exception_fp_ieee_overflow 0
		.amdhsa_exception_fp_ieee_underflow 0
		.amdhsa_exception_fp_ieee_inexact 0
		.amdhsa_exception_int_div_zero 0
	.end_amdhsa_kernel
	.section	.text._ZN7rocprim17ROCPRIM_400000_NS6detail17trampoline_kernelINS0_14default_configENS1_35adjacent_difference_config_selectorILb1EdEEZNS1_24adjacent_difference_implIS3_Lb1ELb0EPKdPdN6thrust23THRUST_200600_302600_NS4plusIdEEEE10hipError_tPvRmT2_T3_mT4_P12ihipStream_tbEUlT_E_NS1_11comp_targetILNS1_3genE8ELNS1_11target_archE1030ELNS1_3gpuE2ELNS1_3repE0EEENS1_30default_config_static_selectorELNS0_4arch9wavefront6targetE1EEEvT1_,"axG",@progbits,_ZN7rocprim17ROCPRIM_400000_NS6detail17trampoline_kernelINS0_14default_configENS1_35adjacent_difference_config_selectorILb1EdEEZNS1_24adjacent_difference_implIS3_Lb1ELb0EPKdPdN6thrust23THRUST_200600_302600_NS4plusIdEEEE10hipError_tPvRmT2_T3_mT4_P12ihipStream_tbEUlT_E_NS1_11comp_targetILNS1_3genE8ELNS1_11target_archE1030ELNS1_3gpuE2ELNS1_3repE0EEENS1_30default_config_static_selectorELNS0_4arch9wavefront6targetE1EEEvT1_,comdat
.Lfunc_end597:
	.size	_ZN7rocprim17ROCPRIM_400000_NS6detail17trampoline_kernelINS0_14default_configENS1_35adjacent_difference_config_selectorILb1EdEEZNS1_24adjacent_difference_implIS3_Lb1ELb0EPKdPdN6thrust23THRUST_200600_302600_NS4plusIdEEEE10hipError_tPvRmT2_T3_mT4_P12ihipStream_tbEUlT_E_NS1_11comp_targetILNS1_3genE8ELNS1_11target_archE1030ELNS1_3gpuE2ELNS1_3repE0EEENS1_30default_config_static_selectorELNS0_4arch9wavefront6targetE1EEEvT1_, .Lfunc_end597-_ZN7rocprim17ROCPRIM_400000_NS6detail17trampoline_kernelINS0_14default_configENS1_35adjacent_difference_config_selectorILb1EdEEZNS1_24adjacent_difference_implIS3_Lb1ELb0EPKdPdN6thrust23THRUST_200600_302600_NS4plusIdEEEE10hipError_tPvRmT2_T3_mT4_P12ihipStream_tbEUlT_E_NS1_11comp_targetILNS1_3genE8ELNS1_11target_archE1030ELNS1_3gpuE2ELNS1_3repE0EEENS1_30default_config_static_selectorELNS0_4arch9wavefront6targetE1EEEvT1_
                                        ; -- End function
	.set _ZN7rocprim17ROCPRIM_400000_NS6detail17trampoline_kernelINS0_14default_configENS1_35adjacent_difference_config_selectorILb1EdEEZNS1_24adjacent_difference_implIS3_Lb1ELb0EPKdPdN6thrust23THRUST_200600_302600_NS4plusIdEEEE10hipError_tPvRmT2_T3_mT4_P12ihipStream_tbEUlT_E_NS1_11comp_targetILNS1_3genE8ELNS1_11target_archE1030ELNS1_3gpuE2ELNS1_3repE0EEENS1_30default_config_static_selectorELNS0_4arch9wavefront6targetE1EEEvT1_.num_vgpr, 0
	.set _ZN7rocprim17ROCPRIM_400000_NS6detail17trampoline_kernelINS0_14default_configENS1_35adjacent_difference_config_selectorILb1EdEEZNS1_24adjacent_difference_implIS3_Lb1ELb0EPKdPdN6thrust23THRUST_200600_302600_NS4plusIdEEEE10hipError_tPvRmT2_T3_mT4_P12ihipStream_tbEUlT_E_NS1_11comp_targetILNS1_3genE8ELNS1_11target_archE1030ELNS1_3gpuE2ELNS1_3repE0EEENS1_30default_config_static_selectorELNS0_4arch9wavefront6targetE1EEEvT1_.num_agpr, 0
	.set _ZN7rocprim17ROCPRIM_400000_NS6detail17trampoline_kernelINS0_14default_configENS1_35adjacent_difference_config_selectorILb1EdEEZNS1_24adjacent_difference_implIS3_Lb1ELb0EPKdPdN6thrust23THRUST_200600_302600_NS4plusIdEEEE10hipError_tPvRmT2_T3_mT4_P12ihipStream_tbEUlT_E_NS1_11comp_targetILNS1_3genE8ELNS1_11target_archE1030ELNS1_3gpuE2ELNS1_3repE0EEENS1_30default_config_static_selectorELNS0_4arch9wavefront6targetE1EEEvT1_.numbered_sgpr, 0
	.set _ZN7rocprim17ROCPRIM_400000_NS6detail17trampoline_kernelINS0_14default_configENS1_35adjacent_difference_config_selectorILb1EdEEZNS1_24adjacent_difference_implIS3_Lb1ELb0EPKdPdN6thrust23THRUST_200600_302600_NS4plusIdEEEE10hipError_tPvRmT2_T3_mT4_P12ihipStream_tbEUlT_E_NS1_11comp_targetILNS1_3genE8ELNS1_11target_archE1030ELNS1_3gpuE2ELNS1_3repE0EEENS1_30default_config_static_selectorELNS0_4arch9wavefront6targetE1EEEvT1_.num_named_barrier, 0
	.set _ZN7rocprim17ROCPRIM_400000_NS6detail17trampoline_kernelINS0_14default_configENS1_35adjacent_difference_config_selectorILb1EdEEZNS1_24adjacent_difference_implIS3_Lb1ELb0EPKdPdN6thrust23THRUST_200600_302600_NS4plusIdEEEE10hipError_tPvRmT2_T3_mT4_P12ihipStream_tbEUlT_E_NS1_11comp_targetILNS1_3genE8ELNS1_11target_archE1030ELNS1_3gpuE2ELNS1_3repE0EEENS1_30default_config_static_selectorELNS0_4arch9wavefront6targetE1EEEvT1_.private_seg_size, 0
	.set _ZN7rocprim17ROCPRIM_400000_NS6detail17trampoline_kernelINS0_14default_configENS1_35adjacent_difference_config_selectorILb1EdEEZNS1_24adjacent_difference_implIS3_Lb1ELb0EPKdPdN6thrust23THRUST_200600_302600_NS4plusIdEEEE10hipError_tPvRmT2_T3_mT4_P12ihipStream_tbEUlT_E_NS1_11comp_targetILNS1_3genE8ELNS1_11target_archE1030ELNS1_3gpuE2ELNS1_3repE0EEENS1_30default_config_static_selectorELNS0_4arch9wavefront6targetE1EEEvT1_.uses_vcc, 0
	.set _ZN7rocprim17ROCPRIM_400000_NS6detail17trampoline_kernelINS0_14default_configENS1_35adjacent_difference_config_selectorILb1EdEEZNS1_24adjacent_difference_implIS3_Lb1ELb0EPKdPdN6thrust23THRUST_200600_302600_NS4plusIdEEEE10hipError_tPvRmT2_T3_mT4_P12ihipStream_tbEUlT_E_NS1_11comp_targetILNS1_3genE8ELNS1_11target_archE1030ELNS1_3gpuE2ELNS1_3repE0EEENS1_30default_config_static_selectorELNS0_4arch9wavefront6targetE1EEEvT1_.uses_flat_scratch, 0
	.set _ZN7rocprim17ROCPRIM_400000_NS6detail17trampoline_kernelINS0_14default_configENS1_35adjacent_difference_config_selectorILb1EdEEZNS1_24adjacent_difference_implIS3_Lb1ELb0EPKdPdN6thrust23THRUST_200600_302600_NS4plusIdEEEE10hipError_tPvRmT2_T3_mT4_P12ihipStream_tbEUlT_E_NS1_11comp_targetILNS1_3genE8ELNS1_11target_archE1030ELNS1_3gpuE2ELNS1_3repE0EEENS1_30default_config_static_selectorELNS0_4arch9wavefront6targetE1EEEvT1_.has_dyn_sized_stack, 0
	.set _ZN7rocprim17ROCPRIM_400000_NS6detail17trampoline_kernelINS0_14default_configENS1_35adjacent_difference_config_selectorILb1EdEEZNS1_24adjacent_difference_implIS3_Lb1ELb0EPKdPdN6thrust23THRUST_200600_302600_NS4plusIdEEEE10hipError_tPvRmT2_T3_mT4_P12ihipStream_tbEUlT_E_NS1_11comp_targetILNS1_3genE8ELNS1_11target_archE1030ELNS1_3gpuE2ELNS1_3repE0EEENS1_30default_config_static_selectorELNS0_4arch9wavefront6targetE1EEEvT1_.has_recursion, 0
	.set _ZN7rocprim17ROCPRIM_400000_NS6detail17trampoline_kernelINS0_14default_configENS1_35adjacent_difference_config_selectorILb1EdEEZNS1_24adjacent_difference_implIS3_Lb1ELb0EPKdPdN6thrust23THRUST_200600_302600_NS4plusIdEEEE10hipError_tPvRmT2_T3_mT4_P12ihipStream_tbEUlT_E_NS1_11comp_targetILNS1_3genE8ELNS1_11target_archE1030ELNS1_3gpuE2ELNS1_3repE0EEENS1_30default_config_static_selectorELNS0_4arch9wavefront6targetE1EEEvT1_.has_indirect_call, 0
	.section	.AMDGPU.csdata,"",@progbits
; Kernel info:
; codeLenInByte = 0
; TotalNumSgprs: 4
; NumVgprs: 0
; ScratchSize: 0
; MemoryBound: 0
; FloatMode: 240
; IeeeMode: 1
; LDSByteSize: 0 bytes/workgroup (compile time only)
; SGPRBlocks: 0
; VGPRBlocks: 0
; NumSGPRsForWavesPerEU: 4
; NumVGPRsForWavesPerEU: 1
; Occupancy: 10
; WaveLimiterHint : 0
; COMPUTE_PGM_RSRC2:SCRATCH_EN: 0
; COMPUTE_PGM_RSRC2:USER_SGPR: 6
; COMPUTE_PGM_RSRC2:TRAP_HANDLER: 0
; COMPUTE_PGM_RSRC2:TGID_X_EN: 1
; COMPUTE_PGM_RSRC2:TGID_Y_EN: 0
; COMPUTE_PGM_RSRC2:TGID_Z_EN: 0
; COMPUTE_PGM_RSRC2:TIDIG_COMP_CNT: 0
	.section	.text._ZN7rocprim17ROCPRIM_400000_NS6detail17trampoline_kernelINS0_14default_configENS1_35adjacent_difference_config_selectorILb0EfEEZNS1_24adjacent_difference_implIS3_Lb0ELb0EPKfPfN6thrust23THRUST_200600_302600_NS4plusIfEEEE10hipError_tPvRmT2_T3_mT4_P12ihipStream_tbEUlT_E_NS1_11comp_targetILNS1_3genE0ELNS1_11target_archE4294967295ELNS1_3gpuE0ELNS1_3repE0EEENS1_30default_config_static_selectorELNS0_4arch9wavefront6targetE1EEEvT1_,"axG",@progbits,_ZN7rocprim17ROCPRIM_400000_NS6detail17trampoline_kernelINS0_14default_configENS1_35adjacent_difference_config_selectorILb0EfEEZNS1_24adjacent_difference_implIS3_Lb0ELb0EPKfPfN6thrust23THRUST_200600_302600_NS4plusIfEEEE10hipError_tPvRmT2_T3_mT4_P12ihipStream_tbEUlT_E_NS1_11comp_targetILNS1_3genE0ELNS1_11target_archE4294967295ELNS1_3gpuE0ELNS1_3repE0EEENS1_30default_config_static_selectorELNS0_4arch9wavefront6targetE1EEEvT1_,comdat
	.protected	_ZN7rocprim17ROCPRIM_400000_NS6detail17trampoline_kernelINS0_14default_configENS1_35adjacent_difference_config_selectorILb0EfEEZNS1_24adjacent_difference_implIS3_Lb0ELb0EPKfPfN6thrust23THRUST_200600_302600_NS4plusIfEEEE10hipError_tPvRmT2_T3_mT4_P12ihipStream_tbEUlT_E_NS1_11comp_targetILNS1_3genE0ELNS1_11target_archE4294967295ELNS1_3gpuE0ELNS1_3repE0EEENS1_30default_config_static_selectorELNS0_4arch9wavefront6targetE1EEEvT1_ ; -- Begin function _ZN7rocprim17ROCPRIM_400000_NS6detail17trampoline_kernelINS0_14default_configENS1_35adjacent_difference_config_selectorILb0EfEEZNS1_24adjacent_difference_implIS3_Lb0ELb0EPKfPfN6thrust23THRUST_200600_302600_NS4plusIfEEEE10hipError_tPvRmT2_T3_mT4_P12ihipStream_tbEUlT_E_NS1_11comp_targetILNS1_3genE0ELNS1_11target_archE4294967295ELNS1_3gpuE0ELNS1_3repE0EEENS1_30default_config_static_selectorELNS0_4arch9wavefront6targetE1EEEvT1_
	.globl	_ZN7rocprim17ROCPRIM_400000_NS6detail17trampoline_kernelINS0_14default_configENS1_35adjacent_difference_config_selectorILb0EfEEZNS1_24adjacent_difference_implIS3_Lb0ELb0EPKfPfN6thrust23THRUST_200600_302600_NS4plusIfEEEE10hipError_tPvRmT2_T3_mT4_P12ihipStream_tbEUlT_E_NS1_11comp_targetILNS1_3genE0ELNS1_11target_archE4294967295ELNS1_3gpuE0ELNS1_3repE0EEENS1_30default_config_static_selectorELNS0_4arch9wavefront6targetE1EEEvT1_
	.p2align	8
	.type	_ZN7rocprim17ROCPRIM_400000_NS6detail17trampoline_kernelINS0_14default_configENS1_35adjacent_difference_config_selectorILb0EfEEZNS1_24adjacent_difference_implIS3_Lb0ELb0EPKfPfN6thrust23THRUST_200600_302600_NS4plusIfEEEE10hipError_tPvRmT2_T3_mT4_P12ihipStream_tbEUlT_E_NS1_11comp_targetILNS1_3genE0ELNS1_11target_archE4294967295ELNS1_3gpuE0ELNS1_3repE0EEENS1_30default_config_static_selectorELNS0_4arch9wavefront6targetE1EEEvT1_,@function
_ZN7rocprim17ROCPRIM_400000_NS6detail17trampoline_kernelINS0_14default_configENS1_35adjacent_difference_config_selectorILb0EfEEZNS1_24adjacent_difference_implIS3_Lb0ELb0EPKfPfN6thrust23THRUST_200600_302600_NS4plusIfEEEE10hipError_tPvRmT2_T3_mT4_P12ihipStream_tbEUlT_E_NS1_11comp_targetILNS1_3genE0ELNS1_11target_archE4294967295ELNS1_3gpuE0ELNS1_3repE0EEENS1_30default_config_static_selectorELNS0_4arch9wavefront6targetE1EEEvT1_: ; @_ZN7rocprim17ROCPRIM_400000_NS6detail17trampoline_kernelINS0_14default_configENS1_35adjacent_difference_config_selectorILb0EfEEZNS1_24adjacent_difference_implIS3_Lb0ELb0EPKfPfN6thrust23THRUST_200600_302600_NS4plusIfEEEE10hipError_tPvRmT2_T3_mT4_P12ihipStream_tbEUlT_E_NS1_11comp_targetILNS1_3genE0ELNS1_11target_archE4294967295ELNS1_3gpuE0ELNS1_3repE0EEENS1_30default_config_static_selectorELNS0_4arch9wavefront6targetE1EEEvT1_
; %bb.0:
	.section	.rodata,"a",@progbits
	.p2align	6, 0x0
	.amdhsa_kernel _ZN7rocprim17ROCPRIM_400000_NS6detail17trampoline_kernelINS0_14default_configENS1_35adjacent_difference_config_selectorILb0EfEEZNS1_24adjacent_difference_implIS3_Lb0ELb0EPKfPfN6thrust23THRUST_200600_302600_NS4plusIfEEEE10hipError_tPvRmT2_T3_mT4_P12ihipStream_tbEUlT_E_NS1_11comp_targetILNS1_3genE0ELNS1_11target_archE4294967295ELNS1_3gpuE0ELNS1_3repE0EEENS1_30default_config_static_selectorELNS0_4arch9wavefront6targetE1EEEvT1_
		.amdhsa_group_segment_fixed_size 0
		.amdhsa_private_segment_fixed_size 0
		.amdhsa_kernarg_size 56
		.amdhsa_user_sgpr_count 6
		.amdhsa_user_sgpr_private_segment_buffer 1
		.amdhsa_user_sgpr_dispatch_ptr 0
		.amdhsa_user_sgpr_queue_ptr 0
		.amdhsa_user_sgpr_kernarg_segment_ptr 1
		.amdhsa_user_sgpr_dispatch_id 0
		.amdhsa_user_sgpr_flat_scratch_init 0
		.amdhsa_user_sgpr_private_segment_size 0
		.amdhsa_uses_dynamic_stack 0
		.amdhsa_system_sgpr_private_segment_wavefront_offset 0
		.amdhsa_system_sgpr_workgroup_id_x 1
		.amdhsa_system_sgpr_workgroup_id_y 0
		.amdhsa_system_sgpr_workgroup_id_z 0
		.amdhsa_system_sgpr_workgroup_info 0
		.amdhsa_system_vgpr_workitem_id 0
		.amdhsa_next_free_vgpr 1
		.amdhsa_next_free_sgpr 0
		.amdhsa_reserve_vcc 0
		.amdhsa_reserve_flat_scratch 0
		.amdhsa_float_round_mode_32 0
		.amdhsa_float_round_mode_16_64 0
		.amdhsa_float_denorm_mode_32 3
		.amdhsa_float_denorm_mode_16_64 3
		.amdhsa_dx10_clamp 1
		.amdhsa_ieee_mode 1
		.amdhsa_fp16_overflow 0
		.amdhsa_exception_fp_ieee_invalid_op 0
		.amdhsa_exception_fp_denorm_src 0
		.amdhsa_exception_fp_ieee_div_zero 0
		.amdhsa_exception_fp_ieee_overflow 0
		.amdhsa_exception_fp_ieee_underflow 0
		.amdhsa_exception_fp_ieee_inexact 0
		.amdhsa_exception_int_div_zero 0
	.end_amdhsa_kernel
	.section	.text._ZN7rocprim17ROCPRIM_400000_NS6detail17trampoline_kernelINS0_14default_configENS1_35adjacent_difference_config_selectorILb0EfEEZNS1_24adjacent_difference_implIS3_Lb0ELb0EPKfPfN6thrust23THRUST_200600_302600_NS4plusIfEEEE10hipError_tPvRmT2_T3_mT4_P12ihipStream_tbEUlT_E_NS1_11comp_targetILNS1_3genE0ELNS1_11target_archE4294967295ELNS1_3gpuE0ELNS1_3repE0EEENS1_30default_config_static_selectorELNS0_4arch9wavefront6targetE1EEEvT1_,"axG",@progbits,_ZN7rocprim17ROCPRIM_400000_NS6detail17trampoline_kernelINS0_14default_configENS1_35adjacent_difference_config_selectorILb0EfEEZNS1_24adjacent_difference_implIS3_Lb0ELb0EPKfPfN6thrust23THRUST_200600_302600_NS4plusIfEEEE10hipError_tPvRmT2_T3_mT4_P12ihipStream_tbEUlT_E_NS1_11comp_targetILNS1_3genE0ELNS1_11target_archE4294967295ELNS1_3gpuE0ELNS1_3repE0EEENS1_30default_config_static_selectorELNS0_4arch9wavefront6targetE1EEEvT1_,comdat
.Lfunc_end598:
	.size	_ZN7rocprim17ROCPRIM_400000_NS6detail17trampoline_kernelINS0_14default_configENS1_35adjacent_difference_config_selectorILb0EfEEZNS1_24adjacent_difference_implIS3_Lb0ELb0EPKfPfN6thrust23THRUST_200600_302600_NS4plusIfEEEE10hipError_tPvRmT2_T3_mT4_P12ihipStream_tbEUlT_E_NS1_11comp_targetILNS1_3genE0ELNS1_11target_archE4294967295ELNS1_3gpuE0ELNS1_3repE0EEENS1_30default_config_static_selectorELNS0_4arch9wavefront6targetE1EEEvT1_, .Lfunc_end598-_ZN7rocprim17ROCPRIM_400000_NS6detail17trampoline_kernelINS0_14default_configENS1_35adjacent_difference_config_selectorILb0EfEEZNS1_24adjacent_difference_implIS3_Lb0ELb0EPKfPfN6thrust23THRUST_200600_302600_NS4plusIfEEEE10hipError_tPvRmT2_T3_mT4_P12ihipStream_tbEUlT_E_NS1_11comp_targetILNS1_3genE0ELNS1_11target_archE4294967295ELNS1_3gpuE0ELNS1_3repE0EEENS1_30default_config_static_selectorELNS0_4arch9wavefront6targetE1EEEvT1_
                                        ; -- End function
	.set _ZN7rocprim17ROCPRIM_400000_NS6detail17trampoline_kernelINS0_14default_configENS1_35adjacent_difference_config_selectorILb0EfEEZNS1_24adjacent_difference_implIS3_Lb0ELb0EPKfPfN6thrust23THRUST_200600_302600_NS4plusIfEEEE10hipError_tPvRmT2_T3_mT4_P12ihipStream_tbEUlT_E_NS1_11comp_targetILNS1_3genE0ELNS1_11target_archE4294967295ELNS1_3gpuE0ELNS1_3repE0EEENS1_30default_config_static_selectorELNS0_4arch9wavefront6targetE1EEEvT1_.num_vgpr, 0
	.set _ZN7rocprim17ROCPRIM_400000_NS6detail17trampoline_kernelINS0_14default_configENS1_35adjacent_difference_config_selectorILb0EfEEZNS1_24adjacent_difference_implIS3_Lb0ELb0EPKfPfN6thrust23THRUST_200600_302600_NS4plusIfEEEE10hipError_tPvRmT2_T3_mT4_P12ihipStream_tbEUlT_E_NS1_11comp_targetILNS1_3genE0ELNS1_11target_archE4294967295ELNS1_3gpuE0ELNS1_3repE0EEENS1_30default_config_static_selectorELNS0_4arch9wavefront6targetE1EEEvT1_.num_agpr, 0
	.set _ZN7rocprim17ROCPRIM_400000_NS6detail17trampoline_kernelINS0_14default_configENS1_35adjacent_difference_config_selectorILb0EfEEZNS1_24adjacent_difference_implIS3_Lb0ELb0EPKfPfN6thrust23THRUST_200600_302600_NS4plusIfEEEE10hipError_tPvRmT2_T3_mT4_P12ihipStream_tbEUlT_E_NS1_11comp_targetILNS1_3genE0ELNS1_11target_archE4294967295ELNS1_3gpuE0ELNS1_3repE0EEENS1_30default_config_static_selectorELNS0_4arch9wavefront6targetE1EEEvT1_.numbered_sgpr, 0
	.set _ZN7rocprim17ROCPRIM_400000_NS6detail17trampoline_kernelINS0_14default_configENS1_35adjacent_difference_config_selectorILb0EfEEZNS1_24adjacent_difference_implIS3_Lb0ELb0EPKfPfN6thrust23THRUST_200600_302600_NS4plusIfEEEE10hipError_tPvRmT2_T3_mT4_P12ihipStream_tbEUlT_E_NS1_11comp_targetILNS1_3genE0ELNS1_11target_archE4294967295ELNS1_3gpuE0ELNS1_3repE0EEENS1_30default_config_static_selectorELNS0_4arch9wavefront6targetE1EEEvT1_.num_named_barrier, 0
	.set _ZN7rocprim17ROCPRIM_400000_NS6detail17trampoline_kernelINS0_14default_configENS1_35adjacent_difference_config_selectorILb0EfEEZNS1_24adjacent_difference_implIS3_Lb0ELb0EPKfPfN6thrust23THRUST_200600_302600_NS4plusIfEEEE10hipError_tPvRmT2_T3_mT4_P12ihipStream_tbEUlT_E_NS1_11comp_targetILNS1_3genE0ELNS1_11target_archE4294967295ELNS1_3gpuE0ELNS1_3repE0EEENS1_30default_config_static_selectorELNS0_4arch9wavefront6targetE1EEEvT1_.private_seg_size, 0
	.set _ZN7rocprim17ROCPRIM_400000_NS6detail17trampoline_kernelINS0_14default_configENS1_35adjacent_difference_config_selectorILb0EfEEZNS1_24adjacent_difference_implIS3_Lb0ELb0EPKfPfN6thrust23THRUST_200600_302600_NS4plusIfEEEE10hipError_tPvRmT2_T3_mT4_P12ihipStream_tbEUlT_E_NS1_11comp_targetILNS1_3genE0ELNS1_11target_archE4294967295ELNS1_3gpuE0ELNS1_3repE0EEENS1_30default_config_static_selectorELNS0_4arch9wavefront6targetE1EEEvT1_.uses_vcc, 0
	.set _ZN7rocprim17ROCPRIM_400000_NS6detail17trampoline_kernelINS0_14default_configENS1_35adjacent_difference_config_selectorILb0EfEEZNS1_24adjacent_difference_implIS3_Lb0ELb0EPKfPfN6thrust23THRUST_200600_302600_NS4plusIfEEEE10hipError_tPvRmT2_T3_mT4_P12ihipStream_tbEUlT_E_NS1_11comp_targetILNS1_3genE0ELNS1_11target_archE4294967295ELNS1_3gpuE0ELNS1_3repE0EEENS1_30default_config_static_selectorELNS0_4arch9wavefront6targetE1EEEvT1_.uses_flat_scratch, 0
	.set _ZN7rocprim17ROCPRIM_400000_NS6detail17trampoline_kernelINS0_14default_configENS1_35adjacent_difference_config_selectorILb0EfEEZNS1_24adjacent_difference_implIS3_Lb0ELb0EPKfPfN6thrust23THRUST_200600_302600_NS4plusIfEEEE10hipError_tPvRmT2_T3_mT4_P12ihipStream_tbEUlT_E_NS1_11comp_targetILNS1_3genE0ELNS1_11target_archE4294967295ELNS1_3gpuE0ELNS1_3repE0EEENS1_30default_config_static_selectorELNS0_4arch9wavefront6targetE1EEEvT1_.has_dyn_sized_stack, 0
	.set _ZN7rocprim17ROCPRIM_400000_NS6detail17trampoline_kernelINS0_14default_configENS1_35adjacent_difference_config_selectorILb0EfEEZNS1_24adjacent_difference_implIS3_Lb0ELb0EPKfPfN6thrust23THRUST_200600_302600_NS4plusIfEEEE10hipError_tPvRmT2_T3_mT4_P12ihipStream_tbEUlT_E_NS1_11comp_targetILNS1_3genE0ELNS1_11target_archE4294967295ELNS1_3gpuE0ELNS1_3repE0EEENS1_30default_config_static_selectorELNS0_4arch9wavefront6targetE1EEEvT1_.has_recursion, 0
	.set _ZN7rocprim17ROCPRIM_400000_NS6detail17trampoline_kernelINS0_14default_configENS1_35adjacent_difference_config_selectorILb0EfEEZNS1_24adjacent_difference_implIS3_Lb0ELb0EPKfPfN6thrust23THRUST_200600_302600_NS4plusIfEEEE10hipError_tPvRmT2_T3_mT4_P12ihipStream_tbEUlT_E_NS1_11comp_targetILNS1_3genE0ELNS1_11target_archE4294967295ELNS1_3gpuE0ELNS1_3repE0EEENS1_30default_config_static_selectorELNS0_4arch9wavefront6targetE1EEEvT1_.has_indirect_call, 0
	.section	.AMDGPU.csdata,"",@progbits
; Kernel info:
; codeLenInByte = 0
; TotalNumSgprs: 4
; NumVgprs: 0
; ScratchSize: 0
; MemoryBound: 0
; FloatMode: 240
; IeeeMode: 1
; LDSByteSize: 0 bytes/workgroup (compile time only)
; SGPRBlocks: 0
; VGPRBlocks: 0
; NumSGPRsForWavesPerEU: 4
; NumVGPRsForWavesPerEU: 1
; Occupancy: 10
; WaveLimiterHint : 0
; COMPUTE_PGM_RSRC2:SCRATCH_EN: 0
; COMPUTE_PGM_RSRC2:USER_SGPR: 6
; COMPUTE_PGM_RSRC2:TRAP_HANDLER: 0
; COMPUTE_PGM_RSRC2:TGID_X_EN: 1
; COMPUTE_PGM_RSRC2:TGID_Y_EN: 0
; COMPUTE_PGM_RSRC2:TGID_Z_EN: 0
; COMPUTE_PGM_RSRC2:TIDIG_COMP_CNT: 0
	.section	.text._ZN7rocprim17ROCPRIM_400000_NS6detail17trampoline_kernelINS0_14default_configENS1_35adjacent_difference_config_selectorILb0EfEEZNS1_24adjacent_difference_implIS3_Lb0ELb0EPKfPfN6thrust23THRUST_200600_302600_NS4plusIfEEEE10hipError_tPvRmT2_T3_mT4_P12ihipStream_tbEUlT_E_NS1_11comp_targetILNS1_3genE10ELNS1_11target_archE1201ELNS1_3gpuE5ELNS1_3repE0EEENS1_30default_config_static_selectorELNS0_4arch9wavefront6targetE1EEEvT1_,"axG",@progbits,_ZN7rocprim17ROCPRIM_400000_NS6detail17trampoline_kernelINS0_14default_configENS1_35adjacent_difference_config_selectorILb0EfEEZNS1_24adjacent_difference_implIS3_Lb0ELb0EPKfPfN6thrust23THRUST_200600_302600_NS4plusIfEEEE10hipError_tPvRmT2_T3_mT4_P12ihipStream_tbEUlT_E_NS1_11comp_targetILNS1_3genE10ELNS1_11target_archE1201ELNS1_3gpuE5ELNS1_3repE0EEENS1_30default_config_static_selectorELNS0_4arch9wavefront6targetE1EEEvT1_,comdat
	.protected	_ZN7rocprim17ROCPRIM_400000_NS6detail17trampoline_kernelINS0_14default_configENS1_35adjacent_difference_config_selectorILb0EfEEZNS1_24adjacent_difference_implIS3_Lb0ELb0EPKfPfN6thrust23THRUST_200600_302600_NS4plusIfEEEE10hipError_tPvRmT2_T3_mT4_P12ihipStream_tbEUlT_E_NS1_11comp_targetILNS1_3genE10ELNS1_11target_archE1201ELNS1_3gpuE5ELNS1_3repE0EEENS1_30default_config_static_selectorELNS0_4arch9wavefront6targetE1EEEvT1_ ; -- Begin function _ZN7rocprim17ROCPRIM_400000_NS6detail17trampoline_kernelINS0_14default_configENS1_35adjacent_difference_config_selectorILb0EfEEZNS1_24adjacent_difference_implIS3_Lb0ELb0EPKfPfN6thrust23THRUST_200600_302600_NS4plusIfEEEE10hipError_tPvRmT2_T3_mT4_P12ihipStream_tbEUlT_E_NS1_11comp_targetILNS1_3genE10ELNS1_11target_archE1201ELNS1_3gpuE5ELNS1_3repE0EEENS1_30default_config_static_selectorELNS0_4arch9wavefront6targetE1EEEvT1_
	.globl	_ZN7rocprim17ROCPRIM_400000_NS6detail17trampoline_kernelINS0_14default_configENS1_35adjacent_difference_config_selectorILb0EfEEZNS1_24adjacent_difference_implIS3_Lb0ELb0EPKfPfN6thrust23THRUST_200600_302600_NS4plusIfEEEE10hipError_tPvRmT2_T3_mT4_P12ihipStream_tbEUlT_E_NS1_11comp_targetILNS1_3genE10ELNS1_11target_archE1201ELNS1_3gpuE5ELNS1_3repE0EEENS1_30default_config_static_selectorELNS0_4arch9wavefront6targetE1EEEvT1_
	.p2align	8
	.type	_ZN7rocprim17ROCPRIM_400000_NS6detail17trampoline_kernelINS0_14default_configENS1_35adjacent_difference_config_selectorILb0EfEEZNS1_24adjacent_difference_implIS3_Lb0ELb0EPKfPfN6thrust23THRUST_200600_302600_NS4plusIfEEEE10hipError_tPvRmT2_T3_mT4_P12ihipStream_tbEUlT_E_NS1_11comp_targetILNS1_3genE10ELNS1_11target_archE1201ELNS1_3gpuE5ELNS1_3repE0EEENS1_30default_config_static_selectorELNS0_4arch9wavefront6targetE1EEEvT1_,@function
_ZN7rocprim17ROCPRIM_400000_NS6detail17trampoline_kernelINS0_14default_configENS1_35adjacent_difference_config_selectorILb0EfEEZNS1_24adjacent_difference_implIS3_Lb0ELb0EPKfPfN6thrust23THRUST_200600_302600_NS4plusIfEEEE10hipError_tPvRmT2_T3_mT4_P12ihipStream_tbEUlT_E_NS1_11comp_targetILNS1_3genE10ELNS1_11target_archE1201ELNS1_3gpuE5ELNS1_3repE0EEENS1_30default_config_static_selectorELNS0_4arch9wavefront6targetE1EEEvT1_: ; @_ZN7rocprim17ROCPRIM_400000_NS6detail17trampoline_kernelINS0_14default_configENS1_35adjacent_difference_config_selectorILb0EfEEZNS1_24adjacent_difference_implIS3_Lb0ELb0EPKfPfN6thrust23THRUST_200600_302600_NS4plusIfEEEE10hipError_tPvRmT2_T3_mT4_P12ihipStream_tbEUlT_E_NS1_11comp_targetILNS1_3genE10ELNS1_11target_archE1201ELNS1_3gpuE5ELNS1_3repE0EEENS1_30default_config_static_selectorELNS0_4arch9wavefront6targetE1EEEvT1_
; %bb.0:
	.section	.rodata,"a",@progbits
	.p2align	6, 0x0
	.amdhsa_kernel _ZN7rocprim17ROCPRIM_400000_NS6detail17trampoline_kernelINS0_14default_configENS1_35adjacent_difference_config_selectorILb0EfEEZNS1_24adjacent_difference_implIS3_Lb0ELb0EPKfPfN6thrust23THRUST_200600_302600_NS4plusIfEEEE10hipError_tPvRmT2_T3_mT4_P12ihipStream_tbEUlT_E_NS1_11comp_targetILNS1_3genE10ELNS1_11target_archE1201ELNS1_3gpuE5ELNS1_3repE0EEENS1_30default_config_static_selectorELNS0_4arch9wavefront6targetE1EEEvT1_
		.amdhsa_group_segment_fixed_size 0
		.amdhsa_private_segment_fixed_size 0
		.amdhsa_kernarg_size 56
		.amdhsa_user_sgpr_count 6
		.amdhsa_user_sgpr_private_segment_buffer 1
		.amdhsa_user_sgpr_dispatch_ptr 0
		.amdhsa_user_sgpr_queue_ptr 0
		.amdhsa_user_sgpr_kernarg_segment_ptr 1
		.amdhsa_user_sgpr_dispatch_id 0
		.amdhsa_user_sgpr_flat_scratch_init 0
		.amdhsa_user_sgpr_private_segment_size 0
		.amdhsa_uses_dynamic_stack 0
		.amdhsa_system_sgpr_private_segment_wavefront_offset 0
		.amdhsa_system_sgpr_workgroup_id_x 1
		.amdhsa_system_sgpr_workgroup_id_y 0
		.amdhsa_system_sgpr_workgroup_id_z 0
		.amdhsa_system_sgpr_workgroup_info 0
		.amdhsa_system_vgpr_workitem_id 0
		.amdhsa_next_free_vgpr 1
		.amdhsa_next_free_sgpr 0
		.amdhsa_reserve_vcc 0
		.amdhsa_reserve_flat_scratch 0
		.amdhsa_float_round_mode_32 0
		.amdhsa_float_round_mode_16_64 0
		.amdhsa_float_denorm_mode_32 3
		.amdhsa_float_denorm_mode_16_64 3
		.amdhsa_dx10_clamp 1
		.amdhsa_ieee_mode 1
		.amdhsa_fp16_overflow 0
		.amdhsa_exception_fp_ieee_invalid_op 0
		.amdhsa_exception_fp_denorm_src 0
		.amdhsa_exception_fp_ieee_div_zero 0
		.amdhsa_exception_fp_ieee_overflow 0
		.amdhsa_exception_fp_ieee_underflow 0
		.amdhsa_exception_fp_ieee_inexact 0
		.amdhsa_exception_int_div_zero 0
	.end_amdhsa_kernel
	.section	.text._ZN7rocprim17ROCPRIM_400000_NS6detail17trampoline_kernelINS0_14default_configENS1_35adjacent_difference_config_selectorILb0EfEEZNS1_24adjacent_difference_implIS3_Lb0ELb0EPKfPfN6thrust23THRUST_200600_302600_NS4plusIfEEEE10hipError_tPvRmT2_T3_mT4_P12ihipStream_tbEUlT_E_NS1_11comp_targetILNS1_3genE10ELNS1_11target_archE1201ELNS1_3gpuE5ELNS1_3repE0EEENS1_30default_config_static_selectorELNS0_4arch9wavefront6targetE1EEEvT1_,"axG",@progbits,_ZN7rocprim17ROCPRIM_400000_NS6detail17trampoline_kernelINS0_14default_configENS1_35adjacent_difference_config_selectorILb0EfEEZNS1_24adjacent_difference_implIS3_Lb0ELb0EPKfPfN6thrust23THRUST_200600_302600_NS4plusIfEEEE10hipError_tPvRmT2_T3_mT4_P12ihipStream_tbEUlT_E_NS1_11comp_targetILNS1_3genE10ELNS1_11target_archE1201ELNS1_3gpuE5ELNS1_3repE0EEENS1_30default_config_static_selectorELNS0_4arch9wavefront6targetE1EEEvT1_,comdat
.Lfunc_end599:
	.size	_ZN7rocprim17ROCPRIM_400000_NS6detail17trampoline_kernelINS0_14default_configENS1_35adjacent_difference_config_selectorILb0EfEEZNS1_24adjacent_difference_implIS3_Lb0ELb0EPKfPfN6thrust23THRUST_200600_302600_NS4plusIfEEEE10hipError_tPvRmT2_T3_mT4_P12ihipStream_tbEUlT_E_NS1_11comp_targetILNS1_3genE10ELNS1_11target_archE1201ELNS1_3gpuE5ELNS1_3repE0EEENS1_30default_config_static_selectorELNS0_4arch9wavefront6targetE1EEEvT1_, .Lfunc_end599-_ZN7rocprim17ROCPRIM_400000_NS6detail17trampoline_kernelINS0_14default_configENS1_35adjacent_difference_config_selectorILb0EfEEZNS1_24adjacent_difference_implIS3_Lb0ELb0EPKfPfN6thrust23THRUST_200600_302600_NS4plusIfEEEE10hipError_tPvRmT2_T3_mT4_P12ihipStream_tbEUlT_E_NS1_11comp_targetILNS1_3genE10ELNS1_11target_archE1201ELNS1_3gpuE5ELNS1_3repE0EEENS1_30default_config_static_selectorELNS0_4arch9wavefront6targetE1EEEvT1_
                                        ; -- End function
	.set _ZN7rocprim17ROCPRIM_400000_NS6detail17trampoline_kernelINS0_14default_configENS1_35adjacent_difference_config_selectorILb0EfEEZNS1_24adjacent_difference_implIS3_Lb0ELb0EPKfPfN6thrust23THRUST_200600_302600_NS4plusIfEEEE10hipError_tPvRmT2_T3_mT4_P12ihipStream_tbEUlT_E_NS1_11comp_targetILNS1_3genE10ELNS1_11target_archE1201ELNS1_3gpuE5ELNS1_3repE0EEENS1_30default_config_static_selectorELNS0_4arch9wavefront6targetE1EEEvT1_.num_vgpr, 0
	.set _ZN7rocprim17ROCPRIM_400000_NS6detail17trampoline_kernelINS0_14default_configENS1_35adjacent_difference_config_selectorILb0EfEEZNS1_24adjacent_difference_implIS3_Lb0ELb0EPKfPfN6thrust23THRUST_200600_302600_NS4plusIfEEEE10hipError_tPvRmT2_T3_mT4_P12ihipStream_tbEUlT_E_NS1_11comp_targetILNS1_3genE10ELNS1_11target_archE1201ELNS1_3gpuE5ELNS1_3repE0EEENS1_30default_config_static_selectorELNS0_4arch9wavefront6targetE1EEEvT1_.num_agpr, 0
	.set _ZN7rocprim17ROCPRIM_400000_NS6detail17trampoline_kernelINS0_14default_configENS1_35adjacent_difference_config_selectorILb0EfEEZNS1_24adjacent_difference_implIS3_Lb0ELb0EPKfPfN6thrust23THRUST_200600_302600_NS4plusIfEEEE10hipError_tPvRmT2_T3_mT4_P12ihipStream_tbEUlT_E_NS1_11comp_targetILNS1_3genE10ELNS1_11target_archE1201ELNS1_3gpuE5ELNS1_3repE0EEENS1_30default_config_static_selectorELNS0_4arch9wavefront6targetE1EEEvT1_.numbered_sgpr, 0
	.set _ZN7rocprim17ROCPRIM_400000_NS6detail17trampoline_kernelINS0_14default_configENS1_35adjacent_difference_config_selectorILb0EfEEZNS1_24adjacent_difference_implIS3_Lb0ELb0EPKfPfN6thrust23THRUST_200600_302600_NS4plusIfEEEE10hipError_tPvRmT2_T3_mT4_P12ihipStream_tbEUlT_E_NS1_11comp_targetILNS1_3genE10ELNS1_11target_archE1201ELNS1_3gpuE5ELNS1_3repE0EEENS1_30default_config_static_selectorELNS0_4arch9wavefront6targetE1EEEvT1_.num_named_barrier, 0
	.set _ZN7rocprim17ROCPRIM_400000_NS6detail17trampoline_kernelINS0_14default_configENS1_35adjacent_difference_config_selectorILb0EfEEZNS1_24adjacent_difference_implIS3_Lb0ELb0EPKfPfN6thrust23THRUST_200600_302600_NS4plusIfEEEE10hipError_tPvRmT2_T3_mT4_P12ihipStream_tbEUlT_E_NS1_11comp_targetILNS1_3genE10ELNS1_11target_archE1201ELNS1_3gpuE5ELNS1_3repE0EEENS1_30default_config_static_selectorELNS0_4arch9wavefront6targetE1EEEvT1_.private_seg_size, 0
	.set _ZN7rocprim17ROCPRIM_400000_NS6detail17trampoline_kernelINS0_14default_configENS1_35adjacent_difference_config_selectorILb0EfEEZNS1_24adjacent_difference_implIS3_Lb0ELb0EPKfPfN6thrust23THRUST_200600_302600_NS4plusIfEEEE10hipError_tPvRmT2_T3_mT4_P12ihipStream_tbEUlT_E_NS1_11comp_targetILNS1_3genE10ELNS1_11target_archE1201ELNS1_3gpuE5ELNS1_3repE0EEENS1_30default_config_static_selectorELNS0_4arch9wavefront6targetE1EEEvT1_.uses_vcc, 0
	.set _ZN7rocprim17ROCPRIM_400000_NS6detail17trampoline_kernelINS0_14default_configENS1_35adjacent_difference_config_selectorILb0EfEEZNS1_24adjacent_difference_implIS3_Lb0ELb0EPKfPfN6thrust23THRUST_200600_302600_NS4plusIfEEEE10hipError_tPvRmT2_T3_mT4_P12ihipStream_tbEUlT_E_NS1_11comp_targetILNS1_3genE10ELNS1_11target_archE1201ELNS1_3gpuE5ELNS1_3repE0EEENS1_30default_config_static_selectorELNS0_4arch9wavefront6targetE1EEEvT1_.uses_flat_scratch, 0
	.set _ZN7rocprim17ROCPRIM_400000_NS6detail17trampoline_kernelINS0_14default_configENS1_35adjacent_difference_config_selectorILb0EfEEZNS1_24adjacent_difference_implIS3_Lb0ELb0EPKfPfN6thrust23THRUST_200600_302600_NS4plusIfEEEE10hipError_tPvRmT2_T3_mT4_P12ihipStream_tbEUlT_E_NS1_11comp_targetILNS1_3genE10ELNS1_11target_archE1201ELNS1_3gpuE5ELNS1_3repE0EEENS1_30default_config_static_selectorELNS0_4arch9wavefront6targetE1EEEvT1_.has_dyn_sized_stack, 0
	.set _ZN7rocprim17ROCPRIM_400000_NS6detail17trampoline_kernelINS0_14default_configENS1_35adjacent_difference_config_selectorILb0EfEEZNS1_24adjacent_difference_implIS3_Lb0ELb0EPKfPfN6thrust23THRUST_200600_302600_NS4plusIfEEEE10hipError_tPvRmT2_T3_mT4_P12ihipStream_tbEUlT_E_NS1_11comp_targetILNS1_3genE10ELNS1_11target_archE1201ELNS1_3gpuE5ELNS1_3repE0EEENS1_30default_config_static_selectorELNS0_4arch9wavefront6targetE1EEEvT1_.has_recursion, 0
	.set _ZN7rocprim17ROCPRIM_400000_NS6detail17trampoline_kernelINS0_14default_configENS1_35adjacent_difference_config_selectorILb0EfEEZNS1_24adjacent_difference_implIS3_Lb0ELb0EPKfPfN6thrust23THRUST_200600_302600_NS4plusIfEEEE10hipError_tPvRmT2_T3_mT4_P12ihipStream_tbEUlT_E_NS1_11comp_targetILNS1_3genE10ELNS1_11target_archE1201ELNS1_3gpuE5ELNS1_3repE0EEENS1_30default_config_static_selectorELNS0_4arch9wavefront6targetE1EEEvT1_.has_indirect_call, 0
	.section	.AMDGPU.csdata,"",@progbits
; Kernel info:
; codeLenInByte = 0
; TotalNumSgprs: 4
; NumVgprs: 0
; ScratchSize: 0
; MemoryBound: 0
; FloatMode: 240
; IeeeMode: 1
; LDSByteSize: 0 bytes/workgroup (compile time only)
; SGPRBlocks: 0
; VGPRBlocks: 0
; NumSGPRsForWavesPerEU: 4
; NumVGPRsForWavesPerEU: 1
; Occupancy: 10
; WaveLimiterHint : 0
; COMPUTE_PGM_RSRC2:SCRATCH_EN: 0
; COMPUTE_PGM_RSRC2:USER_SGPR: 6
; COMPUTE_PGM_RSRC2:TRAP_HANDLER: 0
; COMPUTE_PGM_RSRC2:TGID_X_EN: 1
; COMPUTE_PGM_RSRC2:TGID_Y_EN: 0
; COMPUTE_PGM_RSRC2:TGID_Z_EN: 0
; COMPUTE_PGM_RSRC2:TIDIG_COMP_CNT: 0
	.section	.text._ZN7rocprim17ROCPRIM_400000_NS6detail17trampoline_kernelINS0_14default_configENS1_35adjacent_difference_config_selectorILb0EfEEZNS1_24adjacent_difference_implIS3_Lb0ELb0EPKfPfN6thrust23THRUST_200600_302600_NS4plusIfEEEE10hipError_tPvRmT2_T3_mT4_P12ihipStream_tbEUlT_E_NS1_11comp_targetILNS1_3genE5ELNS1_11target_archE942ELNS1_3gpuE9ELNS1_3repE0EEENS1_30default_config_static_selectorELNS0_4arch9wavefront6targetE1EEEvT1_,"axG",@progbits,_ZN7rocprim17ROCPRIM_400000_NS6detail17trampoline_kernelINS0_14default_configENS1_35adjacent_difference_config_selectorILb0EfEEZNS1_24adjacent_difference_implIS3_Lb0ELb0EPKfPfN6thrust23THRUST_200600_302600_NS4plusIfEEEE10hipError_tPvRmT2_T3_mT4_P12ihipStream_tbEUlT_E_NS1_11comp_targetILNS1_3genE5ELNS1_11target_archE942ELNS1_3gpuE9ELNS1_3repE0EEENS1_30default_config_static_selectorELNS0_4arch9wavefront6targetE1EEEvT1_,comdat
	.protected	_ZN7rocprim17ROCPRIM_400000_NS6detail17trampoline_kernelINS0_14default_configENS1_35adjacent_difference_config_selectorILb0EfEEZNS1_24adjacent_difference_implIS3_Lb0ELb0EPKfPfN6thrust23THRUST_200600_302600_NS4plusIfEEEE10hipError_tPvRmT2_T3_mT4_P12ihipStream_tbEUlT_E_NS1_11comp_targetILNS1_3genE5ELNS1_11target_archE942ELNS1_3gpuE9ELNS1_3repE0EEENS1_30default_config_static_selectorELNS0_4arch9wavefront6targetE1EEEvT1_ ; -- Begin function _ZN7rocprim17ROCPRIM_400000_NS6detail17trampoline_kernelINS0_14default_configENS1_35adjacent_difference_config_selectorILb0EfEEZNS1_24adjacent_difference_implIS3_Lb0ELb0EPKfPfN6thrust23THRUST_200600_302600_NS4plusIfEEEE10hipError_tPvRmT2_T3_mT4_P12ihipStream_tbEUlT_E_NS1_11comp_targetILNS1_3genE5ELNS1_11target_archE942ELNS1_3gpuE9ELNS1_3repE0EEENS1_30default_config_static_selectorELNS0_4arch9wavefront6targetE1EEEvT1_
	.globl	_ZN7rocprim17ROCPRIM_400000_NS6detail17trampoline_kernelINS0_14default_configENS1_35adjacent_difference_config_selectorILb0EfEEZNS1_24adjacent_difference_implIS3_Lb0ELb0EPKfPfN6thrust23THRUST_200600_302600_NS4plusIfEEEE10hipError_tPvRmT2_T3_mT4_P12ihipStream_tbEUlT_E_NS1_11comp_targetILNS1_3genE5ELNS1_11target_archE942ELNS1_3gpuE9ELNS1_3repE0EEENS1_30default_config_static_selectorELNS0_4arch9wavefront6targetE1EEEvT1_
	.p2align	8
	.type	_ZN7rocprim17ROCPRIM_400000_NS6detail17trampoline_kernelINS0_14default_configENS1_35adjacent_difference_config_selectorILb0EfEEZNS1_24adjacent_difference_implIS3_Lb0ELb0EPKfPfN6thrust23THRUST_200600_302600_NS4plusIfEEEE10hipError_tPvRmT2_T3_mT4_P12ihipStream_tbEUlT_E_NS1_11comp_targetILNS1_3genE5ELNS1_11target_archE942ELNS1_3gpuE9ELNS1_3repE0EEENS1_30default_config_static_selectorELNS0_4arch9wavefront6targetE1EEEvT1_,@function
_ZN7rocprim17ROCPRIM_400000_NS6detail17trampoline_kernelINS0_14default_configENS1_35adjacent_difference_config_selectorILb0EfEEZNS1_24adjacent_difference_implIS3_Lb0ELb0EPKfPfN6thrust23THRUST_200600_302600_NS4plusIfEEEE10hipError_tPvRmT2_T3_mT4_P12ihipStream_tbEUlT_E_NS1_11comp_targetILNS1_3genE5ELNS1_11target_archE942ELNS1_3gpuE9ELNS1_3repE0EEENS1_30default_config_static_selectorELNS0_4arch9wavefront6targetE1EEEvT1_: ; @_ZN7rocprim17ROCPRIM_400000_NS6detail17trampoline_kernelINS0_14default_configENS1_35adjacent_difference_config_selectorILb0EfEEZNS1_24adjacent_difference_implIS3_Lb0ELb0EPKfPfN6thrust23THRUST_200600_302600_NS4plusIfEEEE10hipError_tPvRmT2_T3_mT4_P12ihipStream_tbEUlT_E_NS1_11comp_targetILNS1_3genE5ELNS1_11target_archE942ELNS1_3gpuE9ELNS1_3repE0EEENS1_30default_config_static_selectorELNS0_4arch9wavefront6targetE1EEEvT1_
; %bb.0:
	.section	.rodata,"a",@progbits
	.p2align	6, 0x0
	.amdhsa_kernel _ZN7rocprim17ROCPRIM_400000_NS6detail17trampoline_kernelINS0_14default_configENS1_35adjacent_difference_config_selectorILb0EfEEZNS1_24adjacent_difference_implIS3_Lb0ELb0EPKfPfN6thrust23THRUST_200600_302600_NS4plusIfEEEE10hipError_tPvRmT2_T3_mT4_P12ihipStream_tbEUlT_E_NS1_11comp_targetILNS1_3genE5ELNS1_11target_archE942ELNS1_3gpuE9ELNS1_3repE0EEENS1_30default_config_static_selectorELNS0_4arch9wavefront6targetE1EEEvT1_
		.amdhsa_group_segment_fixed_size 0
		.amdhsa_private_segment_fixed_size 0
		.amdhsa_kernarg_size 56
		.amdhsa_user_sgpr_count 6
		.amdhsa_user_sgpr_private_segment_buffer 1
		.amdhsa_user_sgpr_dispatch_ptr 0
		.amdhsa_user_sgpr_queue_ptr 0
		.amdhsa_user_sgpr_kernarg_segment_ptr 1
		.amdhsa_user_sgpr_dispatch_id 0
		.amdhsa_user_sgpr_flat_scratch_init 0
		.amdhsa_user_sgpr_private_segment_size 0
		.amdhsa_uses_dynamic_stack 0
		.amdhsa_system_sgpr_private_segment_wavefront_offset 0
		.amdhsa_system_sgpr_workgroup_id_x 1
		.amdhsa_system_sgpr_workgroup_id_y 0
		.amdhsa_system_sgpr_workgroup_id_z 0
		.amdhsa_system_sgpr_workgroup_info 0
		.amdhsa_system_vgpr_workitem_id 0
		.amdhsa_next_free_vgpr 1
		.amdhsa_next_free_sgpr 0
		.amdhsa_reserve_vcc 0
		.amdhsa_reserve_flat_scratch 0
		.amdhsa_float_round_mode_32 0
		.amdhsa_float_round_mode_16_64 0
		.amdhsa_float_denorm_mode_32 3
		.amdhsa_float_denorm_mode_16_64 3
		.amdhsa_dx10_clamp 1
		.amdhsa_ieee_mode 1
		.amdhsa_fp16_overflow 0
		.amdhsa_exception_fp_ieee_invalid_op 0
		.amdhsa_exception_fp_denorm_src 0
		.amdhsa_exception_fp_ieee_div_zero 0
		.amdhsa_exception_fp_ieee_overflow 0
		.amdhsa_exception_fp_ieee_underflow 0
		.amdhsa_exception_fp_ieee_inexact 0
		.amdhsa_exception_int_div_zero 0
	.end_amdhsa_kernel
	.section	.text._ZN7rocprim17ROCPRIM_400000_NS6detail17trampoline_kernelINS0_14default_configENS1_35adjacent_difference_config_selectorILb0EfEEZNS1_24adjacent_difference_implIS3_Lb0ELb0EPKfPfN6thrust23THRUST_200600_302600_NS4plusIfEEEE10hipError_tPvRmT2_T3_mT4_P12ihipStream_tbEUlT_E_NS1_11comp_targetILNS1_3genE5ELNS1_11target_archE942ELNS1_3gpuE9ELNS1_3repE0EEENS1_30default_config_static_selectorELNS0_4arch9wavefront6targetE1EEEvT1_,"axG",@progbits,_ZN7rocprim17ROCPRIM_400000_NS6detail17trampoline_kernelINS0_14default_configENS1_35adjacent_difference_config_selectorILb0EfEEZNS1_24adjacent_difference_implIS3_Lb0ELb0EPKfPfN6thrust23THRUST_200600_302600_NS4plusIfEEEE10hipError_tPvRmT2_T3_mT4_P12ihipStream_tbEUlT_E_NS1_11comp_targetILNS1_3genE5ELNS1_11target_archE942ELNS1_3gpuE9ELNS1_3repE0EEENS1_30default_config_static_selectorELNS0_4arch9wavefront6targetE1EEEvT1_,comdat
.Lfunc_end600:
	.size	_ZN7rocprim17ROCPRIM_400000_NS6detail17trampoline_kernelINS0_14default_configENS1_35adjacent_difference_config_selectorILb0EfEEZNS1_24adjacent_difference_implIS3_Lb0ELb0EPKfPfN6thrust23THRUST_200600_302600_NS4plusIfEEEE10hipError_tPvRmT2_T3_mT4_P12ihipStream_tbEUlT_E_NS1_11comp_targetILNS1_3genE5ELNS1_11target_archE942ELNS1_3gpuE9ELNS1_3repE0EEENS1_30default_config_static_selectorELNS0_4arch9wavefront6targetE1EEEvT1_, .Lfunc_end600-_ZN7rocprim17ROCPRIM_400000_NS6detail17trampoline_kernelINS0_14default_configENS1_35adjacent_difference_config_selectorILb0EfEEZNS1_24adjacent_difference_implIS3_Lb0ELb0EPKfPfN6thrust23THRUST_200600_302600_NS4plusIfEEEE10hipError_tPvRmT2_T3_mT4_P12ihipStream_tbEUlT_E_NS1_11comp_targetILNS1_3genE5ELNS1_11target_archE942ELNS1_3gpuE9ELNS1_3repE0EEENS1_30default_config_static_selectorELNS0_4arch9wavefront6targetE1EEEvT1_
                                        ; -- End function
	.set _ZN7rocprim17ROCPRIM_400000_NS6detail17trampoline_kernelINS0_14default_configENS1_35adjacent_difference_config_selectorILb0EfEEZNS1_24adjacent_difference_implIS3_Lb0ELb0EPKfPfN6thrust23THRUST_200600_302600_NS4plusIfEEEE10hipError_tPvRmT2_T3_mT4_P12ihipStream_tbEUlT_E_NS1_11comp_targetILNS1_3genE5ELNS1_11target_archE942ELNS1_3gpuE9ELNS1_3repE0EEENS1_30default_config_static_selectorELNS0_4arch9wavefront6targetE1EEEvT1_.num_vgpr, 0
	.set _ZN7rocprim17ROCPRIM_400000_NS6detail17trampoline_kernelINS0_14default_configENS1_35adjacent_difference_config_selectorILb0EfEEZNS1_24adjacent_difference_implIS3_Lb0ELb0EPKfPfN6thrust23THRUST_200600_302600_NS4plusIfEEEE10hipError_tPvRmT2_T3_mT4_P12ihipStream_tbEUlT_E_NS1_11comp_targetILNS1_3genE5ELNS1_11target_archE942ELNS1_3gpuE9ELNS1_3repE0EEENS1_30default_config_static_selectorELNS0_4arch9wavefront6targetE1EEEvT1_.num_agpr, 0
	.set _ZN7rocprim17ROCPRIM_400000_NS6detail17trampoline_kernelINS0_14default_configENS1_35adjacent_difference_config_selectorILb0EfEEZNS1_24adjacent_difference_implIS3_Lb0ELb0EPKfPfN6thrust23THRUST_200600_302600_NS4plusIfEEEE10hipError_tPvRmT2_T3_mT4_P12ihipStream_tbEUlT_E_NS1_11comp_targetILNS1_3genE5ELNS1_11target_archE942ELNS1_3gpuE9ELNS1_3repE0EEENS1_30default_config_static_selectorELNS0_4arch9wavefront6targetE1EEEvT1_.numbered_sgpr, 0
	.set _ZN7rocprim17ROCPRIM_400000_NS6detail17trampoline_kernelINS0_14default_configENS1_35adjacent_difference_config_selectorILb0EfEEZNS1_24adjacent_difference_implIS3_Lb0ELb0EPKfPfN6thrust23THRUST_200600_302600_NS4plusIfEEEE10hipError_tPvRmT2_T3_mT4_P12ihipStream_tbEUlT_E_NS1_11comp_targetILNS1_3genE5ELNS1_11target_archE942ELNS1_3gpuE9ELNS1_3repE0EEENS1_30default_config_static_selectorELNS0_4arch9wavefront6targetE1EEEvT1_.num_named_barrier, 0
	.set _ZN7rocprim17ROCPRIM_400000_NS6detail17trampoline_kernelINS0_14default_configENS1_35adjacent_difference_config_selectorILb0EfEEZNS1_24adjacent_difference_implIS3_Lb0ELb0EPKfPfN6thrust23THRUST_200600_302600_NS4plusIfEEEE10hipError_tPvRmT2_T3_mT4_P12ihipStream_tbEUlT_E_NS1_11comp_targetILNS1_3genE5ELNS1_11target_archE942ELNS1_3gpuE9ELNS1_3repE0EEENS1_30default_config_static_selectorELNS0_4arch9wavefront6targetE1EEEvT1_.private_seg_size, 0
	.set _ZN7rocprim17ROCPRIM_400000_NS6detail17trampoline_kernelINS0_14default_configENS1_35adjacent_difference_config_selectorILb0EfEEZNS1_24adjacent_difference_implIS3_Lb0ELb0EPKfPfN6thrust23THRUST_200600_302600_NS4plusIfEEEE10hipError_tPvRmT2_T3_mT4_P12ihipStream_tbEUlT_E_NS1_11comp_targetILNS1_3genE5ELNS1_11target_archE942ELNS1_3gpuE9ELNS1_3repE0EEENS1_30default_config_static_selectorELNS0_4arch9wavefront6targetE1EEEvT1_.uses_vcc, 0
	.set _ZN7rocprim17ROCPRIM_400000_NS6detail17trampoline_kernelINS0_14default_configENS1_35adjacent_difference_config_selectorILb0EfEEZNS1_24adjacent_difference_implIS3_Lb0ELb0EPKfPfN6thrust23THRUST_200600_302600_NS4plusIfEEEE10hipError_tPvRmT2_T3_mT4_P12ihipStream_tbEUlT_E_NS1_11comp_targetILNS1_3genE5ELNS1_11target_archE942ELNS1_3gpuE9ELNS1_3repE0EEENS1_30default_config_static_selectorELNS0_4arch9wavefront6targetE1EEEvT1_.uses_flat_scratch, 0
	.set _ZN7rocprim17ROCPRIM_400000_NS6detail17trampoline_kernelINS0_14default_configENS1_35adjacent_difference_config_selectorILb0EfEEZNS1_24adjacent_difference_implIS3_Lb0ELb0EPKfPfN6thrust23THRUST_200600_302600_NS4plusIfEEEE10hipError_tPvRmT2_T3_mT4_P12ihipStream_tbEUlT_E_NS1_11comp_targetILNS1_3genE5ELNS1_11target_archE942ELNS1_3gpuE9ELNS1_3repE0EEENS1_30default_config_static_selectorELNS0_4arch9wavefront6targetE1EEEvT1_.has_dyn_sized_stack, 0
	.set _ZN7rocprim17ROCPRIM_400000_NS6detail17trampoline_kernelINS0_14default_configENS1_35adjacent_difference_config_selectorILb0EfEEZNS1_24adjacent_difference_implIS3_Lb0ELb0EPKfPfN6thrust23THRUST_200600_302600_NS4plusIfEEEE10hipError_tPvRmT2_T3_mT4_P12ihipStream_tbEUlT_E_NS1_11comp_targetILNS1_3genE5ELNS1_11target_archE942ELNS1_3gpuE9ELNS1_3repE0EEENS1_30default_config_static_selectorELNS0_4arch9wavefront6targetE1EEEvT1_.has_recursion, 0
	.set _ZN7rocprim17ROCPRIM_400000_NS6detail17trampoline_kernelINS0_14default_configENS1_35adjacent_difference_config_selectorILb0EfEEZNS1_24adjacent_difference_implIS3_Lb0ELb0EPKfPfN6thrust23THRUST_200600_302600_NS4plusIfEEEE10hipError_tPvRmT2_T3_mT4_P12ihipStream_tbEUlT_E_NS1_11comp_targetILNS1_3genE5ELNS1_11target_archE942ELNS1_3gpuE9ELNS1_3repE0EEENS1_30default_config_static_selectorELNS0_4arch9wavefront6targetE1EEEvT1_.has_indirect_call, 0
	.section	.AMDGPU.csdata,"",@progbits
; Kernel info:
; codeLenInByte = 0
; TotalNumSgprs: 4
; NumVgprs: 0
; ScratchSize: 0
; MemoryBound: 0
; FloatMode: 240
; IeeeMode: 1
; LDSByteSize: 0 bytes/workgroup (compile time only)
; SGPRBlocks: 0
; VGPRBlocks: 0
; NumSGPRsForWavesPerEU: 4
; NumVGPRsForWavesPerEU: 1
; Occupancy: 10
; WaveLimiterHint : 0
; COMPUTE_PGM_RSRC2:SCRATCH_EN: 0
; COMPUTE_PGM_RSRC2:USER_SGPR: 6
; COMPUTE_PGM_RSRC2:TRAP_HANDLER: 0
; COMPUTE_PGM_RSRC2:TGID_X_EN: 1
; COMPUTE_PGM_RSRC2:TGID_Y_EN: 0
; COMPUTE_PGM_RSRC2:TGID_Z_EN: 0
; COMPUTE_PGM_RSRC2:TIDIG_COMP_CNT: 0
	.section	.text._ZN7rocprim17ROCPRIM_400000_NS6detail17trampoline_kernelINS0_14default_configENS1_35adjacent_difference_config_selectorILb0EfEEZNS1_24adjacent_difference_implIS3_Lb0ELb0EPKfPfN6thrust23THRUST_200600_302600_NS4plusIfEEEE10hipError_tPvRmT2_T3_mT4_P12ihipStream_tbEUlT_E_NS1_11comp_targetILNS1_3genE4ELNS1_11target_archE910ELNS1_3gpuE8ELNS1_3repE0EEENS1_30default_config_static_selectorELNS0_4arch9wavefront6targetE1EEEvT1_,"axG",@progbits,_ZN7rocprim17ROCPRIM_400000_NS6detail17trampoline_kernelINS0_14default_configENS1_35adjacent_difference_config_selectorILb0EfEEZNS1_24adjacent_difference_implIS3_Lb0ELb0EPKfPfN6thrust23THRUST_200600_302600_NS4plusIfEEEE10hipError_tPvRmT2_T3_mT4_P12ihipStream_tbEUlT_E_NS1_11comp_targetILNS1_3genE4ELNS1_11target_archE910ELNS1_3gpuE8ELNS1_3repE0EEENS1_30default_config_static_selectorELNS0_4arch9wavefront6targetE1EEEvT1_,comdat
	.protected	_ZN7rocprim17ROCPRIM_400000_NS6detail17trampoline_kernelINS0_14default_configENS1_35adjacent_difference_config_selectorILb0EfEEZNS1_24adjacent_difference_implIS3_Lb0ELb0EPKfPfN6thrust23THRUST_200600_302600_NS4plusIfEEEE10hipError_tPvRmT2_T3_mT4_P12ihipStream_tbEUlT_E_NS1_11comp_targetILNS1_3genE4ELNS1_11target_archE910ELNS1_3gpuE8ELNS1_3repE0EEENS1_30default_config_static_selectorELNS0_4arch9wavefront6targetE1EEEvT1_ ; -- Begin function _ZN7rocprim17ROCPRIM_400000_NS6detail17trampoline_kernelINS0_14default_configENS1_35adjacent_difference_config_selectorILb0EfEEZNS1_24adjacent_difference_implIS3_Lb0ELb0EPKfPfN6thrust23THRUST_200600_302600_NS4plusIfEEEE10hipError_tPvRmT2_T3_mT4_P12ihipStream_tbEUlT_E_NS1_11comp_targetILNS1_3genE4ELNS1_11target_archE910ELNS1_3gpuE8ELNS1_3repE0EEENS1_30default_config_static_selectorELNS0_4arch9wavefront6targetE1EEEvT1_
	.globl	_ZN7rocprim17ROCPRIM_400000_NS6detail17trampoline_kernelINS0_14default_configENS1_35adjacent_difference_config_selectorILb0EfEEZNS1_24adjacent_difference_implIS3_Lb0ELb0EPKfPfN6thrust23THRUST_200600_302600_NS4plusIfEEEE10hipError_tPvRmT2_T3_mT4_P12ihipStream_tbEUlT_E_NS1_11comp_targetILNS1_3genE4ELNS1_11target_archE910ELNS1_3gpuE8ELNS1_3repE0EEENS1_30default_config_static_selectorELNS0_4arch9wavefront6targetE1EEEvT1_
	.p2align	8
	.type	_ZN7rocprim17ROCPRIM_400000_NS6detail17trampoline_kernelINS0_14default_configENS1_35adjacent_difference_config_selectorILb0EfEEZNS1_24adjacent_difference_implIS3_Lb0ELb0EPKfPfN6thrust23THRUST_200600_302600_NS4plusIfEEEE10hipError_tPvRmT2_T3_mT4_P12ihipStream_tbEUlT_E_NS1_11comp_targetILNS1_3genE4ELNS1_11target_archE910ELNS1_3gpuE8ELNS1_3repE0EEENS1_30default_config_static_selectorELNS0_4arch9wavefront6targetE1EEEvT1_,@function
_ZN7rocprim17ROCPRIM_400000_NS6detail17trampoline_kernelINS0_14default_configENS1_35adjacent_difference_config_selectorILb0EfEEZNS1_24adjacent_difference_implIS3_Lb0ELb0EPKfPfN6thrust23THRUST_200600_302600_NS4plusIfEEEE10hipError_tPvRmT2_T3_mT4_P12ihipStream_tbEUlT_E_NS1_11comp_targetILNS1_3genE4ELNS1_11target_archE910ELNS1_3gpuE8ELNS1_3repE0EEENS1_30default_config_static_selectorELNS0_4arch9wavefront6targetE1EEEvT1_: ; @_ZN7rocprim17ROCPRIM_400000_NS6detail17trampoline_kernelINS0_14default_configENS1_35adjacent_difference_config_selectorILb0EfEEZNS1_24adjacent_difference_implIS3_Lb0ELb0EPKfPfN6thrust23THRUST_200600_302600_NS4plusIfEEEE10hipError_tPvRmT2_T3_mT4_P12ihipStream_tbEUlT_E_NS1_11comp_targetILNS1_3genE4ELNS1_11target_archE910ELNS1_3gpuE8ELNS1_3repE0EEENS1_30default_config_static_selectorELNS0_4arch9wavefront6targetE1EEEvT1_
; %bb.0:
	.section	.rodata,"a",@progbits
	.p2align	6, 0x0
	.amdhsa_kernel _ZN7rocprim17ROCPRIM_400000_NS6detail17trampoline_kernelINS0_14default_configENS1_35adjacent_difference_config_selectorILb0EfEEZNS1_24adjacent_difference_implIS3_Lb0ELb0EPKfPfN6thrust23THRUST_200600_302600_NS4plusIfEEEE10hipError_tPvRmT2_T3_mT4_P12ihipStream_tbEUlT_E_NS1_11comp_targetILNS1_3genE4ELNS1_11target_archE910ELNS1_3gpuE8ELNS1_3repE0EEENS1_30default_config_static_selectorELNS0_4arch9wavefront6targetE1EEEvT1_
		.amdhsa_group_segment_fixed_size 0
		.amdhsa_private_segment_fixed_size 0
		.amdhsa_kernarg_size 56
		.amdhsa_user_sgpr_count 6
		.amdhsa_user_sgpr_private_segment_buffer 1
		.amdhsa_user_sgpr_dispatch_ptr 0
		.amdhsa_user_sgpr_queue_ptr 0
		.amdhsa_user_sgpr_kernarg_segment_ptr 1
		.amdhsa_user_sgpr_dispatch_id 0
		.amdhsa_user_sgpr_flat_scratch_init 0
		.amdhsa_user_sgpr_private_segment_size 0
		.amdhsa_uses_dynamic_stack 0
		.amdhsa_system_sgpr_private_segment_wavefront_offset 0
		.amdhsa_system_sgpr_workgroup_id_x 1
		.amdhsa_system_sgpr_workgroup_id_y 0
		.amdhsa_system_sgpr_workgroup_id_z 0
		.amdhsa_system_sgpr_workgroup_info 0
		.amdhsa_system_vgpr_workitem_id 0
		.amdhsa_next_free_vgpr 1
		.amdhsa_next_free_sgpr 0
		.amdhsa_reserve_vcc 0
		.amdhsa_reserve_flat_scratch 0
		.amdhsa_float_round_mode_32 0
		.amdhsa_float_round_mode_16_64 0
		.amdhsa_float_denorm_mode_32 3
		.amdhsa_float_denorm_mode_16_64 3
		.amdhsa_dx10_clamp 1
		.amdhsa_ieee_mode 1
		.amdhsa_fp16_overflow 0
		.amdhsa_exception_fp_ieee_invalid_op 0
		.amdhsa_exception_fp_denorm_src 0
		.amdhsa_exception_fp_ieee_div_zero 0
		.amdhsa_exception_fp_ieee_overflow 0
		.amdhsa_exception_fp_ieee_underflow 0
		.amdhsa_exception_fp_ieee_inexact 0
		.amdhsa_exception_int_div_zero 0
	.end_amdhsa_kernel
	.section	.text._ZN7rocprim17ROCPRIM_400000_NS6detail17trampoline_kernelINS0_14default_configENS1_35adjacent_difference_config_selectorILb0EfEEZNS1_24adjacent_difference_implIS3_Lb0ELb0EPKfPfN6thrust23THRUST_200600_302600_NS4plusIfEEEE10hipError_tPvRmT2_T3_mT4_P12ihipStream_tbEUlT_E_NS1_11comp_targetILNS1_3genE4ELNS1_11target_archE910ELNS1_3gpuE8ELNS1_3repE0EEENS1_30default_config_static_selectorELNS0_4arch9wavefront6targetE1EEEvT1_,"axG",@progbits,_ZN7rocprim17ROCPRIM_400000_NS6detail17trampoline_kernelINS0_14default_configENS1_35adjacent_difference_config_selectorILb0EfEEZNS1_24adjacent_difference_implIS3_Lb0ELb0EPKfPfN6thrust23THRUST_200600_302600_NS4plusIfEEEE10hipError_tPvRmT2_T3_mT4_P12ihipStream_tbEUlT_E_NS1_11comp_targetILNS1_3genE4ELNS1_11target_archE910ELNS1_3gpuE8ELNS1_3repE0EEENS1_30default_config_static_selectorELNS0_4arch9wavefront6targetE1EEEvT1_,comdat
.Lfunc_end601:
	.size	_ZN7rocprim17ROCPRIM_400000_NS6detail17trampoline_kernelINS0_14default_configENS1_35adjacent_difference_config_selectorILb0EfEEZNS1_24adjacent_difference_implIS3_Lb0ELb0EPKfPfN6thrust23THRUST_200600_302600_NS4plusIfEEEE10hipError_tPvRmT2_T3_mT4_P12ihipStream_tbEUlT_E_NS1_11comp_targetILNS1_3genE4ELNS1_11target_archE910ELNS1_3gpuE8ELNS1_3repE0EEENS1_30default_config_static_selectorELNS0_4arch9wavefront6targetE1EEEvT1_, .Lfunc_end601-_ZN7rocprim17ROCPRIM_400000_NS6detail17trampoline_kernelINS0_14default_configENS1_35adjacent_difference_config_selectorILb0EfEEZNS1_24adjacent_difference_implIS3_Lb0ELb0EPKfPfN6thrust23THRUST_200600_302600_NS4plusIfEEEE10hipError_tPvRmT2_T3_mT4_P12ihipStream_tbEUlT_E_NS1_11comp_targetILNS1_3genE4ELNS1_11target_archE910ELNS1_3gpuE8ELNS1_3repE0EEENS1_30default_config_static_selectorELNS0_4arch9wavefront6targetE1EEEvT1_
                                        ; -- End function
	.set _ZN7rocprim17ROCPRIM_400000_NS6detail17trampoline_kernelINS0_14default_configENS1_35adjacent_difference_config_selectorILb0EfEEZNS1_24adjacent_difference_implIS3_Lb0ELb0EPKfPfN6thrust23THRUST_200600_302600_NS4plusIfEEEE10hipError_tPvRmT2_T3_mT4_P12ihipStream_tbEUlT_E_NS1_11comp_targetILNS1_3genE4ELNS1_11target_archE910ELNS1_3gpuE8ELNS1_3repE0EEENS1_30default_config_static_selectorELNS0_4arch9wavefront6targetE1EEEvT1_.num_vgpr, 0
	.set _ZN7rocprim17ROCPRIM_400000_NS6detail17trampoline_kernelINS0_14default_configENS1_35adjacent_difference_config_selectorILb0EfEEZNS1_24adjacent_difference_implIS3_Lb0ELb0EPKfPfN6thrust23THRUST_200600_302600_NS4plusIfEEEE10hipError_tPvRmT2_T3_mT4_P12ihipStream_tbEUlT_E_NS1_11comp_targetILNS1_3genE4ELNS1_11target_archE910ELNS1_3gpuE8ELNS1_3repE0EEENS1_30default_config_static_selectorELNS0_4arch9wavefront6targetE1EEEvT1_.num_agpr, 0
	.set _ZN7rocprim17ROCPRIM_400000_NS6detail17trampoline_kernelINS0_14default_configENS1_35adjacent_difference_config_selectorILb0EfEEZNS1_24adjacent_difference_implIS3_Lb0ELb0EPKfPfN6thrust23THRUST_200600_302600_NS4plusIfEEEE10hipError_tPvRmT2_T3_mT4_P12ihipStream_tbEUlT_E_NS1_11comp_targetILNS1_3genE4ELNS1_11target_archE910ELNS1_3gpuE8ELNS1_3repE0EEENS1_30default_config_static_selectorELNS0_4arch9wavefront6targetE1EEEvT1_.numbered_sgpr, 0
	.set _ZN7rocprim17ROCPRIM_400000_NS6detail17trampoline_kernelINS0_14default_configENS1_35adjacent_difference_config_selectorILb0EfEEZNS1_24adjacent_difference_implIS3_Lb0ELb0EPKfPfN6thrust23THRUST_200600_302600_NS4plusIfEEEE10hipError_tPvRmT2_T3_mT4_P12ihipStream_tbEUlT_E_NS1_11comp_targetILNS1_3genE4ELNS1_11target_archE910ELNS1_3gpuE8ELNS1_3repE0EEENS1_30default_config_static_selectorELNS0_4arch9wavefront6targetE1EEEvT1_.num_named_barrier, 0
	.set _ZN7rocprim17ROCPRIM_400000_NS6detail17trampoline_kernelINS0_14default_configENS1_35adjacent_difference_config_selectorILb0EfEEZNS1_24adjacent_difference_implIS3_Lb0ELb0EPKfPfN6thrust23THRUST_200600_302600_NS4plusIfEEEE10hipError_tPvRmT2_T3_mT4_P12ihipStream_tbEUlT_E_NS1_11comp_targetILNS1_3genE4ELNS1_11target_archE910ELNS1_3gpuE8ELNS1_3repE0EEENS1_30default_config_static_selectorELNS0_4arch9wavefront6targetE1EEEvT1_.private_seg_size, 0
	.set _ZN7rocprim17ROCPRIM_400000_NS6detail17trampoline_kernelINS0_14default_configENS1_35adjacent_difference_config_selectorILb0EfEEZNS1_24adjacent_difference_implIS3_Lb0ELb0EPKfPfN6thrust23THRUST_200600_302600_NS4plusIfEEEE10hipError_tPvRmT2_T3_mT4_P12ihipStream_tbEUlT_E_NS1_11comp_targetILNS1_3genE4ELNS1_11target_archE910ELNS1_3gpuE8ELNS1_3repE0EEENS1_30default_config_static_selectorELNS0_4arch9wavefront6targetE1EEEvT1_.uses_vcc, 0
	.set _ZN7rocprim17ROCPRIM_400000_NS6detail17trampoline_kernelINS0_14default_configENS1_35adjacent_difference_config_selectorILb0EfEEZNS1_24adjacent_difference_implIS3_Lb0ELb0EPKfPfN6thrust23THRUST_200600_302600_NS4plusIfEEEE10hipError_tPvRmT2_T3_mT4_P12ihipStream_tbEUlT_E_NS1_11comp_targetILNS1_3genE4ELNS1_11target_archE910ELNS1_3gpuE8ELNS1_3repE0EEENS1_30default_config_static_selectorELNS0_4arch9wavefront6targetE1EEEvT1_.uses_flat_scratch, 0
	.set _ZN7rocprim17ROCPRIM_400000_NS6detail17trampoline_kernelINS0_14default_configENS1_35adjacent_difference_config_selectorILb0EfEEZNS1_24adjacent_difference_implIS3_Lb0ELb0EPKfPfN6thrust23THRUST_200600_302600_NS4plusIfEEEE10hipError_tPvRmT2_T3_mT4_P12ihipStream_tbEUlT_E_NS1_11comp_targetILNS1_3genE4ELNS1_11target_archE910ELNS1_3gpuE8ELNS1_3repE0EEENS1_30default_config_static_selectorELNS0_4arch9wavefront6targetE1EEEvT1_.has_dyn_sized_stack, 0
	.set _ZN7rocprim17ROCPRIM_400000_NS6detail17trampoline_kernelINS0_14default_configENS1_35adjacent_difference_config_selectorILb0EfEEZNS1_24adjacent_difference_implIS3_Lb0ELb0EPKfPfN6thrust23THRUST_200600_302600_NS4plusIfEEEE10hipError_tPvRmT2_T3_mT4_P12ihipStream_tbEUlT_E_NS1_11comp_targetILNS1_3genE4ELNS1_11target_archE910ELNS1_3gpuE8ELNS1_3repE0EEENS1_30default_config_static_selectorELNS0_4arch9wavefront6targetE1EEEvT1_.has_recursion, 0
	.set _ZN7rocprim17ROCPRIM_400000_NS6detail17trampoline_kernelINS0_14default_configENS1_35adjacent_difference_config_selectorILb0EfEEZNS1_24adjacent_difference_implIS3_Lb0ELb0EPKfPfN6thrust23THRUST_200600_302600_NS4plusIfEEEE10hipError_tPvRmT2_T3_mT4_P12ihipStream_tbEUlT_E_NS1_11comp_targetILNS1_3genE4ELNS1_11target_archE910ELNS1_3gpuE8ELNS1_3repE0EEENS1_30default_config_static_selectorELNS0_4arch9wavefront6targetE1EEEvT1_.has_indirect_call, 0
	.section	.AMDGPU.csdata,"",@progbits
; Kernel info:
; codeLenInByte = 0
; TotalNumSgprs: 4
; NumVgprs: 0
; ScratchSize: 0
; MemoryBound: 0
; FloatMode: 240
; IeeeMode: 1
; LDSByteSize: 0 bytes/workgroup (compile time only)
; SGPRBlocks: 0
; VGPRBlocks: 0
; NumSGPRsForWavesPerEU: 4
; NumVGPRsForWavesPerEU: 1
; Occupancy: 10
; WaveLimiterHint : 0
; COMPUTE_PGM_RSRC2:SCRATCH_EN: 0
; COMPUTE_PGM_RSRC2:USER_SGPR: 6
; COMPUTE_PGM_RSRC2:TRAP_HANDLER: 0
; COMPUTE_PGM_RSRC2:TGID_X_EN: 1
; COMPUTE_PGM_RSRC2:TGID_Y_EN: 0
; COMPUTE_PGM_RSRC2:TGID_Z_EN: 0
; COMPUTE_PGM_RSRC2:TIDIG_COMP_CNT: 0
	.section	.text._ZN7rocprim17ROCPRIM_400000_NS6detail17trampoline_kernelINS0_14default_configENS1_35adjacent_difference_config_selectorILb0EfEEZNS1_24adjacent_difference_implIS3_Lb0ELb0EPKfPfN6thrust23THRUST_200600_302600_NS4plusIfEEEE10hipError_tPvRmT2_T3_mT4_P12ihipStream_tbEUlT_E_NS1_11comp_targetILNS1_3genE3ELNS1_11target_archE908ELNS1_3gpuE7ELNS1_3repE0EEENS1_30default_config_static_selectorELNS0_4arch9wavefront6targetE1EEEvT1_,"axG",@progbits,_ZN7rocprim17ROCPRIM_400000_NS6detail17trampoline_kernelINS0_14default_configENS1_35adjacent_difference_config_selectorILb0EfEEZNS1_24adjacent_difference_implIS3_Lb0ELb0EPKfPfN6thrust23THRUST_200600_302600_NS4plusIfEEEE10hipError_tPvRmT2_T3_mT4_P12ihipStream_tbEUlT_E_NS1_11comp_targetILNS1_3genE3ELNS1_11target_archE908ELNS1_3gpuE7ELNS1_3repE0EEENS1_30default_config_static_selectorELNS0_4arch9wavefront6targetE1EEEvT1_,comdat
	.protected	_ZN7rocprim17ROCPRIM_400000_NS6detail17trampoline_kernelINS0_14default_configENS1_35adjacent_difference_config_selectorILb0EfEEZNS1_24adjacent_difference_implIS3_Lb0ELb0EPKfPfN6thrust23THRUST_200600_302600_NS4plusIfEEEE10hipError_tPvRmT2_T3_mT4_P12ihipStream_tbEUlT_E_NS1_11comp_targetILNS1_3genE3ELNS1_11target_archE908ELNS1_3gpuE7ELNS1_3repE0EEENS1_30default_config_static_selectorELNS0_4arch9wavefront6targetE1EEEvT1_ ; -- Begin function _ZN7rocprim17ROCPRIM_400000_NS6detail17trampoline_kernelINS0_14default_configENS1_35adjacent_difference_config_selectorILb0EfEEZNS1_24adjacent_difference_implIS3_Lb0ELb0EPKfPfN6thrust23THRUST_200600_302600_NS4plusIfEEEE10hipError_tPvRmT2_T3_mT4_P12ihipStream_tbEUlT_E_NS1_11comp_targetILNS1_3genE3ELNS1_11target_archE908ELNS1_3gpuE7ELNS1_3repE0EEENS1_30default_config_static_selectorELNS0_4arch9wavefront6targetE1EEEvT1_
	.globl	_ZN7rocprim17ROCPRIM_400000_NS6detail17trampoline_kernelINS0_14default_configENS1_35adjacent_difference_config_selectorILb0EfEEZNS1_24adjacent_difference_implIS3_Lb0ELb0EPKfPfN6thrust23THRUST_200600_302600_NS4plusIfEEEE10hipError_tPvRmT2_T3_mT4_P12ihipStream_tbEUlT_E_NS1_11comp_targetILNS1_3genE3ELNS1_11target_archE908ELNS1_3gpuE7ELNS1_3repE0EEENS1_30default_config_static_selectorELNS0_4arch9wavefront6targetE1EEEvT1_
	.p2align	8
	.type	_ZN7rocprim17ROCPRIM_400000_NS6detail17trampoline_kernelINS0_14default_configENS1_35adjacent_difference_config_selectorILb0EfEEZNS1_24adjacent_difference_implIS3_Lb0ELb0EPKfPfN6thrust23THRUST_200600_302600_NS4plusIfEEEE10hipError_tPvRmT2_T3_mT4_P12ihipStream_tbEUlT_E_NS1_11comp_targetILNS1_3genE3ELNS1_11target_archE908ELNS1_3gpuE7ELNS1_3repE0EEENS1_30default_config_static_selectorELNS0_4arch9wavefront6targetE1EEEvT1_,@function
_ZN7rocprim17ROCPRIM_400000_NS6detail17trampoline_kernelINS0_14default_configENS1_35adjacent_difference_config_selectorILb0EfEEZNS1_24adjacent_difference_implIS3_Lb0ELb0EPKfPfN6thrust23THRUST_200600_302600_NS4plusIfEEEE10hipError_tPvRmT2_T3_mT4_P12ihipStream_tbEUlT_E_NS1_11comp_targetILNS1_3genE3ELNS1_11target_archE908ELNS1_3gpuE7ELNS1_3repE0EEENS1_30default_config_static_selectorELNS0_4arch9wavefront6targetE1EEEvT1_: ; @_ZN7rocprim17ROCPRIM_400000_NS6detail17trampoline_kernelINS0_14default_configENS1_35adjacent_difference_config_selectorILb0EfEEZNS1_24adjacent_difference_implIS3_Lb0ELb0EPKfPfN6thrust23THRUST_200600_302600_NS4plusIfEEEE10hipError_tPvRmT2_T3_mT4_P12ihipStream_tbEUlT_E_NS1_11comp_targetILNS1_3genE3ELNS1_11target_archE908ELNS1_3gpuE7ELNS1_3repE0EEENS1_30default_config_static_selectorELNS0_4arch9wavefront6targetE1EEEvT1_
; %bb.0:
	.section	.rodata,"a",@progbits
	.p2align	6, 0x0
	.amdhsa_kernel _ZN7rocprim17ROCPRIM_400000_NS6detail17trampoline_kernelINS0_14default_configENS1_35adjacent_difference_config_selectorILb0EfEEZNS1_24adjacent_difference_implIS3_Lb0ELb0EPKfPfN6thrust23THRUST_200600_302600_NS4plusIfEEEE10hipError_tPvRmT2_T3_mT4_P12ihipStream_tbEUlT_E_NS1_11comp_targetILNS1_3genE3ELNS1_11target_archE908ELNS1_3gpuE7ELNS1_3repE0EEENS1_30default_config_static_selectorELNS0_4arch9wavefront6targetE1EEEvT1_
		.amdhsa_group_segment_fixed_size 0
		.amdhsa_private_segment_fixed_size 0
		.amdhsa_kernarg_size 56
		.amdhsa_user_sgpr_count 6
		.amdhsa_user_sgpr_private_segment_buffer 1
		.amdhsa_user_sgpr_dispatch_ptr 0
		.amdhsa_user_sgpr_queue_ptr 0
		.amdhsa_user_sgpr_kernarg_segment_ptr 1
		.amdhsa_user_sgpr_dispatch_id 0
		.amdhsa_user_sgpr_flat_scratch_init 0
		.amdhsa_user_sgpr_private_segment_size 0
		.amdhsa_uses_dynamic_stack 0
		.amdhsa_system_sgpr_private_segment_wavefront_offset 0
		.amdhsa_system_sgpr_workgroup_id_x 1
		.amdhsa_system_sgpr_workgroup_id_y 0
		.amdhsa_system_sgpr_workgroup_id_z 0
		.amdhsa_system_sgpr_workgroup_info 0
		.amdhsa_system_vgpr_workitem_id 0
		.amdhsa_next_free_vgpr 1
		.amdhsa_next_free_sgpr 0
		.amdhsa_reserve_vcc 0
		.amdhsa_reserve_flat_scratch 0
		.amdhsa_float_round_mode_32 0
		.amdhsa_float_round_mode_16_64 0
		.amdhsa_float_denorm_mode_32 3
		.amdhsa_float_denorm_mode_16_64 3
		.amdhsa_dx10_clamp 1
		.amdhsa_ieee_mode 1
		.amdhsa_fp16_overflow 0
		.amdhsa_exception_fp_ieee_invalid_op 0
		.amdhsa_exception_fp_denorm_src 0
		.amdhsa_exception_fp_ieee_div_zero 0
		.amdhsa_exception_fp_ieee_overflow 0
		.amdhsa_exception_fp_ieee_underflow 0
		.amdhsa_exception_fp_ieee_inexact 0
		.amdhsa_exception_int_div_zero 0
	.end_amdhsa_kernel
	.section	.text._ZN7rocprim17ROCPRIM_400000_NS6detail17trampoline_kernelINS0_14default_configENS1_35adjacent_difference_config_selectorILb0EfEEZNS1_24adjacent_difference_implIS3_Lb0ELb0EPKfPfN6thrust23THRUST_200600_302600_NS4plusIfEEEE10hipError_tPvRmT2_T3_mT4_P12ihipStream_tbEUlT_E_NS1_11comp_targetILNS1_3genE3ELNS1_11target_archE908ELNS1_3gpuE7ELNS1_3repE0EEENS1_30default_config_static_selectorELNS0_4arch9wavefront6targetE1EEEvT1_,"axG",@progbits,_ZN7rocprim17ROCPRIM_400000_NS6detail17trampoline_kernelINS0_14default_configENS1_35adjacent_difference_config_selectorILb0EfEEZNS1_24adjacent_difference_implIS3_Lb0ELb0EPKfPfN6thrust23THRUST_200600_302600_NS4plusIfEEEE10hipError_tPvRmT2_T3_mT4_P12ihipStream_tbEUlT_E_NS1_11comp_targetILNS1_3genE3ELNS1_11target_archE908ELNS1_3gpuE7ELNS1_3repE0EEENS1_30default_config_static_selectorELNS0_4arch9wavefront6targetE1EEEvT1_,comdat
.Lfunc_end602:
	.size	_ZN7rocprim17ROCPRIM_400000_NS6detail17trampoline_kernelINS0_14default_configENS1_35adjacent_difference_config_selectorILb0EfEEZNS1_24adjacent_difference_implIS3_Lb0ELb0EPKfPfN6thrust23THRUST_200600_302600_NS4plusIfEEEE10hipError_tPvRmT2_T3_mT4_P12ihipStream_tbEUlT_E_NS1_11comp_targetILNS1_3genE3ELNS1_11target_archE908ELNS1_3gpuE7ELNS1_3repE0EEENS1_30default_config_static_selectorELNS0_4arch9wavefront6targetE1EEEvT1_, .Lfunc_end602-_ZN7rocprim17ROCPRIM_400000_NS6detail17trampoline_kernelINS0_14default_configENS1_35adjacent_difference_config_selectorILb0EfEEZNS1_24adjacent_difference_implIS3_Lb0ELb0EPKfPfN6thrust23THRUST_200600_302600_NS4plusIfEEEE10hipError_tPvRmT2_T3_mT4_P12ihipStream_tbEUlT_E_NS1_11comp_targetILNS1_3genE3ELNS1_11target_archE908ELNS1_3gpuE7ELNS1_3repE0EEENS1_30default_config_static_selectorELNS0_4arch9wavefront6targetE1EEEvT1_
                                        ; -- End function
	.set _ZN7rocprim17ROCPRIM_400000_NS6detail17trampoline_kernelINS0_14default_configENS1_35adjacent_difference_config_selectorILb0EfEEZNS1_24adjacent_difference_implIS3_Lb0ELb0EPKfPfN6thrust23THRUST_200600_302600_NS4plusIfEEEE10hipError_tPvRmT2_T3_mT4_P12ihipStream_tbEUlT_E_NS1_11comp_targetILNS1_3genE3ELNS1_11target_archE908ELNS1_3gpuE7ELNS1_3repE0EEENS1_30default_config_static_selectorELNS0_4arch9wavefront6targetE1EEEvT1_.num_vgpr, 0
	.set _ZN7rocprim17ROCPRIM_400000_NS6detail17trampoline_kernelINS0_14default_configENS1_35adjacent_difference_config_selectorILb0EfEEZNS1_24adjacent_difference_implIS3_Lb0ELb0EPKfPfN6thrust23THRUST_200600_302600_NS4plusIfEEEE10hipError_tPvRmT2_T3_mT4_P12ihipStream_tbEUlT_E_NS1_11comp_targetILNS1_3genE3ELNS1_11target_archE908ELNS1_3gpuE7ELNS1_3repE0EEENS1_30default_config_static_selectorELNS0_4arch9wavefront6targetE1EEEvT1_.num_agpr, 0
	.set _ZN7rocprim17ROCPRIM_400000_NS6detail17trampoline_kernelINS0_14default_configENS1_35adjacent_difference_config_selectorILb0EfEEZNS1_24adjacent_difference_implIS3_Lb0ELb0EPKfPfN6thrust23THRUST_200600_302600_NS4plusIfEEEE10hipError_tPvRmT2_T3_mT4_P12ihipStream_tbEUlT_E_NS1_11comp_targetILNS1_3genE3ELNS1_11target_archE908ELNS1_3gpuE7ELNS1_3repE0EEENS1_30default_config_static_selectorELNS0_4arch9wavefront6targetE1EEEvT1_.numbered_sgpr, 0
	.set _ZN7rocprim17ROCPRIM_400000_NS6detail17trampoline_kernelINS0_14default_configENS1_35adjacent_difference_config_selectorILb0EfEEZNS1_24adjacent_difference_implIS3_Lb0ELb0EPKfPfN6thrust23THRUST_200600_302600_NS4plusIfEEEE10hipError_tPvRmT2_T3_mT4_P12ihipStream_tbEUlT_E_NS1_11comp_targetILNS1_3genE3ELNS1_11target_archE908ELNS1_3gpuE7ELNS1_3repE0EEENS1_30default_config_static_selectorELNS0_4arch9wavefront6targetE1EEEvT1_.num_named_barrier, 0
	.set _ZN7rocprim17ROCPRIM_400000_NS6detail17trampoline_kernelINS0_14default_configENS1_35adjacent_difference_config_selectorILb0EfEEZNS1_24adjacent_difference_implIS3_Lb0ELb0EPKfPfN6thrust23THRUST_200600_302600_NS4plusIfEEEE10hipError_tPvRmT2_T3_mT4_P12ihipStream_tbEUlT_E_NS1_11comp_targetILNS1_3genE3ELNS1_11target_archE908ELNS1_3gpuE7ELNS1_3repE0EEENS1_30default_config_static_selectorELNS0_4arch9wavefront6targetE1EEEvT1_.private_seg_size, 0
	.set _ZN7rocprim17ROCPRIM_400000_NS6detail17trampoline_kernelINS0_14default_configENS1_35adjacent_difference_config_selectorILb0EfEEZNS1_24adjacent_difference_implIS3_Lb0ELb0EPKfPfN6thrust23THRUST_200600_302600_NS4plusIfEEEE10hipError_tPvRmT2_T3_mT4_P12ihipStream_tbEUlT_E_NS1_11comp_targetILNS1_3genE3ELNS1_11target_archE908ELNS1_3gpuE7ELNS1_3repE0EEENS1_30default_config_static_selectorELNS0_4arch9wavefront6targetE1EEEvT1_.uses_vcc, 0
	.set _ZN7rocprim17ROCPRIM_400000_NS6detail17trampoline_kernelINS0_14default_configENS1_35adjacent_difference_config_selectorILb0EfEEZNS1_24adjacent_difference_implIS3_Lb0ELb0EPKfPfN6thrust23THRUST_200600_302600_NS4plusIfEEEE10hipError_tPvRmT2_T3_mT4_P12ihipStream_tbEUlT_E_NS1_11comp_targetILNS1_3genE3ELNS1_11target_archE908ELNS1_3gpuE7ELNS1_3repE0EEENS1_30default_config_static_selectorELNS0_4arch9wavefront6targetE1EEEvT1_.uses_flat_scratch, 0
	.set _ZN7rocprim17ROCPRIM_400000_NS6detail17trampoline_kernelINS0_14default_configENS1_35adjacent_difference_config_selectorILb0EfEEZNS1_24adjacent_difference_implIS3_Lb0ELb0EPKfPfN6thrust23THRUST_200600_302600_NS4plusIfEEEE10hipError_tPvRmT2_T3_mT4_P12ihipStream_tbEUlT_E_NS1_11comp_targetILNS1_3genE3ELNS1_11target_archE908ELNS1_3gpuE7ELNS1_3repE0EEENS1_30default_config_static_selectorELNS0_4arch9wavefront6targetE1EEEvT1_.has_dyn_sized_stack, 0
	.set _ZN7rocprim17ROCPRIM_400000_NS6detail17trampoline_kernelINS0_14default_configENS1_35adjacent_difference_config_selectorILb0EfEEZNS1_24adjacent_difference_implIS3_Lb0ELb0EPKfPfN6thrust23THRUST_200600_302600_NS4plusIfEEEE10hipError_tPvRmT2_T3_mT4_P12ihipStream_tbEUlT_E_NS1_11comp_targetILNS1_3genE3ELNS1_11target_archE908ELNS1_3gpuE7ELNS1_3repE0EEENS1_30default_config_static_selectorELNS0_4arch9wavefront6targetE1EEEvT1_.has_recursion, 0
	.set _ZN7rocprim17ROCPRIM_400000_NS6detail17trampoline_kernelINS0_14default_configENS1_35adjacent_difference_config_selectorILb0EfEEZNS1_24adjacent_difference_implIS3_Lb0ELb0EPKfPfN6thrust23THRUST_200600_302600_NS4plusIfEEEE10hipError_tPvRmT2_T3_mT4_P12ihipStream_tbEUlT_E_NS1_11comp_targetILNS1_3genE3ELNS1_11target_archE908ELNS1_3gpuE7ELNS1_3repE0EEENS1_30default_config_static_selectorELNS0_4arch9wavefront6targetE1EEEvT1_.has_indirect_call, 0
	.section	.AMDGPU.csdata,"",@progbits
; Kernel info:
; codeLenInByte = 0
; TotalNumSgprs: 4
; NumVgprs: 0
; ScratchSize: 0
; MemoryBound: 0
; FloatMode: 240
; IeeeMode: 1
; LDSByteSize: 0 bytes/workgroup (compile time only)
; SGPRBlocks: 0
; VGPRBlocks: 0
; NumSGPRsForWavesPerEU: 4
; NumVGPRsForWavesPerEU: 1
; Occupancy: 10
; WaveLimiterHint : 0
; COMPUTE_PGM_RSRC2:SCRATCH_EN: 0
; COMPUTE_PGM_RSRC2:USER_SGPR: 6
; COMPUTE_PGM_RSRC2:TRAP_HANDLER: 0
; COMPUTE_PGM_RSRC2:TGID_X_EN: 1
; COMPUTE_PGM_RSRC2:TGID_Y_EN: 0
; COMPUTE_PGM_RSRC2:TGID_Z_EN: 0
; COMPUTE_PGM_RSRC2:TIDIG_COMP_CNT: 0
	.section	.text._ZN7rocprim17ROCPRIM_400000_NS6detail17trampoline_kernelINS0_14default_configENS1_35adjacent_difference_config_selectorILb0EfEEZNS1_24adjacent_difference_implIS3_Lb0ELb0EPKfPfN6thrust23THRUST_200600_302600_NS4plusIfEEEE10hipError_tPvRmT2_T3_mT4_P12ihipStream_tbEUlT_E_NS1_11comp_targetILNS1_3genE2ELNS1_11target_archE906ELNS1_3gpuE6ELNS1_3repE0EEENS1_30default_config_static_selectorELNS0_4arch9wavefront6targetE1EEEvT1_,"axG",@progbits,_ZN7rocprim17ROCPRIM_400000_NS6detail17trampoline_kernelINS0_14default_configENS1_35adjacent_difference_config_selectorILb0EfEEZNS1_24adjacent_difference_implIS3_Lb0ELb0EPKfPfN6thrust23THRUST_200600_302600_NS4plusIfEEEE10hipError_tPvRmT2_T3_mT4_P12ihipStream_tbEUlT_E_NS1_11comp_targetILNS1_3genE2ELNS1_11target_archE906ELNS1_3gpuE6ELNS1_3repE0EEENS1_30default_config_static_selectorELNS0_4arch9wavefront6targetE1EEEvT1_,comdat
	.protected	_ZN7rocprim17ROCPRIM_400000_NS6detail17trampoline_kernelINS0_14default_configENS1_35adjacent_difference_config_selectorILb0EfEEZNS1_24adjacent_difference_implIS3_Lb0ELb0EPKfPfN6thrust23THRUST_200600_302600_NS4plusIfEEEE10hipError_tPvRmT2_T3_mT4_P12ihipStream_tbEUlT_E_NS1_11comp_targetILNS1_3genE2ELNS1_11target_archE906ELNS1_3gpuE6ELNS1_3repE0EEENS1_30default_config_static_selectorELNS0_4arch9wavefront6targetE1EEEvT1_ ; -- Begin function _ZN7rocprim17ROCPRIM_400000_NS6detail17trampoline_kernelINS0_14default_configENS1_35adjacent_difference_config_selectorILb0EfEEZNS1_24adjacent_difference_implIS3_Lb0ELb0EPKfPfN6thrust23THRUST_200600_302600_NS4plusIfEEEE10hipError_tPvRmT2_T3_mT4_P12ihipStream_tbEUlT_E_NS1_11comp_targetILNS1_3genE2ELNS1_11target_archE906ELNS1_3gpuE6ELNS1_3repE0EEENS1_30default_config_static_selectorELNS0_4arch9wavefront6targetE1EEEvT1_
	.globl	_ZN7rocprim17ROCPRIM_400000_NS6detail17trampoline_kernelINS0_14default_configENS1_35adjacent_difference_config_selectorILb0EfEEZNS1_24adjacent_difference_implIS3_Lb0ELb0EPKfPfN6thrust23THRUST_200600_302600_NS4plusIfEEEE10hipError_tPvRmT2_T3_mT4_P12ihipStream_tbEUlT_E_NS1_11comp_targetILNS1_3genE2ELNS1_11target_archE906ELNS1_3gpuE6ELNS1_3repE0EEENS1_30default_config_static_selectorELNS0_4arch9wavefront6targetE1EEEvT1_
	.p2align	8
	.type	_ZN7rocprim17ROCPRIM_400000_NS6detail17trampoline_kernelINS0_14default_configENS1_35adjacent_difference_config_selectorILb0EfEEZNS1_24adjacent_difference_implIS3_Lb0ELb0EPKfPfN6thrust23THRUST_200600_302600_NS4plusIfEEEE10hipError_tPvRmT2_T3_mT4_P12ihipStream_tbEUlT_E_NS1_11comp_targetILNS1_3genE2ELNS1_11target_archE906ELNS1_3gpuE6ELNS1_3repE0EEENS1_30default_config_static_selectorELNS0_4arch9wavefront6targetE1EEEvT1_,@function
_ZN7rocprim17ROCPRIM_400000_NS6detail17trampoline_kernelINS0_14default_configENS1_35adjacent_difference_config_selectorILb0EfEEZNS1_24adjacent_difference_implIS3_Lb0ELb0EPKfPfN6thrust23THRUST_200600_302600_NS4plusIfEEEE10hipError_tPvRmT2_T3_mT4_P12ihipStream_tbEUlT_E_NS1_11comp_targetILNS1_3genE2ELNS1_11target_archE906ELNS1_3gpuE6ELNS1_3repE0EEENS1_30default_config_static_selectorELNS0_4arch9wavefront6targetE1EEEvT1_: ; @_ZN7rocprim17ROCPRIM_400000_NS6detail17trampoline_kernelINS0_14default_configENS1_35adjacent_difference_config_selectorILb0EfEEZNS1_24adjacent_difference_implIS3_Lb0ELb0EPKfPfN6thrust23THRUST_200600_302600_NS4plusIfEEEE10hipError_tPvRmT2_T3_mT4_P12ihipStream_tbEUlT_E_NS1_11comp_targetILNS1_3genE2ELNS1_11target_archE906ELNS1_3gpuE6ELNS1_3repE0EEENS1_30default_config_static_selectorELNS0_4arch9wavefront6targetE1EEEvT1_
; %bb.0:
	s_load_dwordx8 s[8:15], s[4:5], 0x0
	s_load_dwordx2 s[0:1], s[4:5], 0x30
	s_mul_i32 s16, s6, 0x1400
	s_mov_b32 s17, 0
	s_waitcnt lgkmcnt(0)
	s_lshl_b64 s[18:19], s[10:11], 2
	s_add_u32 s20, s8, s18
	s_addc_u32 s21, s9, s19
	s_mul_i32 s5, s15, 0xcccccccd
	s_mul_hi_u32 s7, s14, 0xcccccccd
	s_mul_hi_u32 s4, s15, 0xcccccccd
	s_add_u32 s5, s5, s7
	s_mul_i32 s3, s14, 0xcccccccc
	s_addc_u32 s4, s4, 0
	s_mul_hi_u32 s2, s14, 0xcccccccc
	s_add_u32 s3, s3, s5
	s_addc_u32 s2, s2, 0
	s_add_u32 s2, s4, s2
	s_addc_u32 s3, 0, 0
	s_mul_i32 s5, s15, 0xcccccccc
	s_mul_hi_u32 s4, s15, 0xcccccccc
	s_add_u32 s2, s5, s2
	s_addc_u32 s3, s4, s3
	s_lshr_b64 s[4:5], s[2:3], 12
	s_lshr_b32 s2, s3, 12
	s_mulk_i32 s2, 0x1400
	s_mul_hi_u32 s3, s4, 0x1400
	s_add_i32 s3, s3, s2
	s_mul_i32 s2, s4, 0x1400
	s_sub_u32 s2, s14, s2
	s_subb_u32 s3, s15, s3
	s_cmp_lg_u64 s[2:3], 0
	s_cselect_b64 s[2:3], -1, 0
	v_cndmask_b32_e64 v1, 0, 1, s[2:3]
	v_readfirstlane_b32 s2, v1
	s_add_u32 s2, s4, s2
	s_addc_u32 s3, s5, 0
	s_add_u32 s4, s0, s6
	s_addc_u32 s5, s1, 0
	s_add_u32 s6, s2, -1
	s_addc_u32 s7, s3, -1
	v_mov_b32_e32 v1, s6
	v_mov_b32_e32 v2, s7
	v_cmp_ge_u64_e64 s[0:1], s[4:5], v[1:2]
	s_mov_b64 s[8:9], -1
	s_and_b64 vcc, exec, s[0:1]
	s_mul_i32 s15, s6, 0xffffec00
	s_cbranch_vccz .LBB603_12
; %bb.1:
	s_add_i32 s22, s15, s14
	s_lshl_b64 s[8:9], s[16:17], 2
	s_add_u32 s8, s20, s8
	v_mov_b32_e32 v1, 0
	s_addc_u32 s9, s21, s9
	v_cmp_gt_u32_e32 vcc, s22, v0
	v_mov_b32_e32 v2, v1
	v_mov_b32_e32 v3, v1
	v_mov_b32_e32 v4, v1
	v_mov_b32_e32 v5, v1
	s_and_saveexec_b64 s[10:11], vcc
	s_cbranch_execz .LBB603_3
; %bb.2:
	v_lshlrev_b32_e32 v2, 2, v0
	global_load_dword v2, v2, s[8:9]
	v_mov_b32_e32 v3, v1
	v_mov_b32_e32 v4, v1
	;; [unrolled: 1-line block ×4, first 2 shown]
	s_waitcnt vmcnt(0)
	v_mov_b32_e32 v1, v2
	v_mov_b32_e32 v2, v3
	;; [unrolled: 1-line block ×5, first 2 shown]
.LBB603_3:
	s_or_b64 exec, exec, s[10:11]
	v_or_b32_e32 v6, 0x400, v0
	v_cmp_gt_u32_e32 vcc, s22, v6
	s_and_saveexec_b64 s[10:11], vcc
	s_cbranch_execz .LBB603_5
; %bb.4:
	v_lshlrev_b32_e32 v2, 2, v6
	global_load_dword v2, v2, s[8:9]
.LBB603_5:
	s_or_b64 exec, exec, s[10:11]
	v_or_b32_e32 v6, 0x800, v0
	v_cmp_gt_u32_e32 vcc, s22, v6
	s_and_saveexec_b64 s[10:11], vcc
	s_cbranch_execz .LBB603_7
; %bb.6:
	v_lshlrev_b32_e32 v3, 2, v6
	global_load_dword v3, v3, s[8:9]
.LBB603_7:
	;; [unrolled: 9-line block ×4, first 2 shown]
	s_or_b64 exec, exec, s[10:11]
	v_lshlrev_b32_e32 v6, 2, v0
	s_mov_b64 s[8:9], 0
	s_waitcnt vmcnt(0)
	ds_write2st64_b32 v6, v1, v2 offset1:16
	ds_write2st64_b32 v6, v3, v4 offset0:32 offset1:48
	ds_write_b32 v6, v5 offset:16384
	s_waitcnt lgkmcnt(0)
	s_barrier
.LBB603_12:
	s_and_b64 vcc, exec, s[8:9]
	v_lshlrev_b32_e32 v7, 2, v0
	s_cbranch_vccz .LBB603_14
; %bb.13:
	s_lshl_b64 s[8:9], s[16:17], 2
	s_add_u32 s8, s20, s8
	s_addc_u32 s9, s21, s9
	v_mov_b32_e32 v1, s9
	v_add_co_u32_e32 v8, vcc, s8, v7
	v_addc_co_u32_e32 v9, vcc, 0, v1, vcc
	v_add_co_u32_e32 v1, vcc, 0x1000, v8
	v_addc_co_u32_e32 v2, vcc, 0, v9, vcc
	;; [unrolled: 2-line block ×5, first 2 shown]
	global_load_dword v10, v7, s[8:9]
	global_load_dword v11, v[1:2], off
	global_load_dword v12, v[3:4], off
	;; [unrolled: 1-line block ×4, first 2 shown]
	s_waitcnt vmcnt(3)
	ds_write2st64_b32 v7, v10, v11 offset1:16
	s_waitcnt vmcnt(1)
	ds_write2st64_b32 v7, v12, v13 offset0:32 offset1:48
	s_waitcnt vmcnt(0)
	ds_write_b32 v7, v14 offset:16384
	s_waitcnt lgkmcnt(0)
	s_barrier
.LBB603_14:
	v_mul_u32_u24_e32 v8, 20, v0
	ds_read2_b32 v[1:2], v8 offset1:1
	ds_read2_b32 v[3:4], v8 offset0:2 offset1:3
	ds_read_b32 v5, v8 offset:16
	s_cmp_eq_u64 s[4:5], 0
	s_waitcnt lgkmcnt(0)
	s_barrier
	s_cbranch_scc1 .LBB603_19
; %bb.15:
	s_lshl_b64 s[8:9], s[16:17], 2
	s_add_u32 s8, s20, s8
	s_addc_u32 s9, s21, s9
	s_add_u32 s8, s8, -4
	s_addc_u32 s9, s9, -1
	s_load_dword s8, s[8:9], 0x0
	s_cmp_eq_u64 s[4:5], s[6:7]
	s_cbranch_scc1 .LBB603_20
; %bb.16:
	v_cmp_ne_u32_e32 vcc, 0, v0
	s_waitcnt lgkmcnt(0)
	v_mov_b32_e32 v6, s8
	ds_write_b32 v7, v5
	s_waitcnt lgkmcnt(0)
	s_barrier
	s_and_saveexec_b64 s[6:7], vcc
; %bb.17:
	v_add_u32_e32 v6, -4, v7
	ds_read_b32 v6, v6
; %bb.18:
	s_or_b64 exec, exec, s[6:7]
	v_add_f32_e32 v9, v4, v5
	v_add_f32_e32 v10, v3, v4
	;; [unrolled: 1-line block ×4, first 2 shown]
	s_waitcnt lgkmcnt(0)
	v_add_f32_e32 v13, v1, v6
	s_branch .LBB603_24
.LBB603_19:
                                        ; implicit-def: $vgpr9
                                        ; implicit-def: $vgpr10
                                        ; implicit-def: $vgpr11
                                        ; implicit-def: $vgpr12
                                        ; implicit-def: $vgpr13
	s_branch .LBB603_25
.LBB603_20:
                                        ; implicit-def: $vgpr9
                                        ; implicit-def: $vgpr10
                                        ; implicit-def: $vgpr11
                                        ; implicit-def: $vgpr12
                                        ; implicit-def: $vgpr13
	s_cbranch_execz .LBB603_24
; %bb.21:
	v_mul_u32_u24_e32 v6, 5, v0
	v_cmp_ne_u32_e32 vcc, 0, v0
	s_waitcnt lgkmcnt(0)
	v_mov_b32_e32 v13, s8
	ds_write_b32 v7, v5
	s_waitcnt lgkmcnt(0)
	s_barrier
	s_and_saveexec_b64 s[6:7], vcc
; %bb.22:
	v_add_u32_e32 v9, -4, v7
	ds_read_b32 v13, v9
; %bb.23:
	s_or_b64 exec, exec, s[6:7]
	s_mulk_i32 s4, 0xec00
	s_add_i32 s4, s4, s14
	v_add_u32_e32 v9, 4, v6
	v_add_f32_e32 v10, v4, v5
	v_cmp_gt_u32_e32 vcc, s4, v9
	v_cndmask_b32_e32 v9, v5, v10, vcc
	v_add_u32_e32 v10, 3, v6
	v_add_f32_e32 v11, v3, v4
	v_cmp_gt_u32_e32 vcc, s4, v10
	v_cndmask_b32_e32 v10, v4, v11, vcc
	;; [unrolled: 4-line block ×4, first 2 shown]
	s_waitcnt lgkmcnt(0)
	v_add_f32_e32 v13, v1, v13
	v_cmp_gt_u32_e32 vcc, s4, v6
	v_cndmask_b32_e32 v13, v1, v13, vcc
.LBB603_24:
	s_cbranch_execnz .LBB603_33
.LBB603_25:
	s_cmp_eq_u64 s[2:3], 1
	v_add_f32_e32 v9, v4, v5
	v_add_f32_e32 v10, v3, v4
	;; [unrolled: 1-line block ×4, first 2 shown]
	v_cmp_ne_u32_e32 vcc, 0, v0
	s_cbranch_scc1 .LBB603_29
; %bb.26:
	v_mov_b32_e32 v13, v1
	ds_write_b32 v7, v5
	s_waitcnt lgkmcnt(0)
	s_barrier
	s_and_saveexec_b64 s[2:3], vcc
	s_cbranch_execz .LBB603_28
; %bb.27:
	v_add_u32_e32 v6, -4, v7
	ds_read_b32 v6, v6
	s_waitcnt lgkmcnt(0)
	v_add_f32_e32 v13, v1, v6
.LBB603_28:
	s_or_b64 exec, exec, s[2:3]
	s_cbranch_execz .LBB603_30
	s_branch .LBB603_33
.LBB603_29:
                                        ; implicit-def: $vgpr13
.LBB603_30:
	v_mad_u32_u24 v13, v0, 5, 4
	v_cmp_gt_u32_e32 vcc, s14, v13
	v_mad_u32_u24 v13, v0, 5, 3
	v_mul_u32_u24_e32 v6, 5, v0
	v_cmp_gt_u32_e64 s[2:3], s14, v13
	v_mad_u32_u24 v13, v0, 5, 2
	v_cmp_gt_u32_e64 s[4:5], s14, v13
	v_mad_u32_u24 v13, v0, 5, 1
	s_waitcnt lgkmcnt(0)
	v_cmp_ne_u32_e64 s[8:9], 0, v0
	v_cmp_gt_u32_e64 s[10:11], s14, v6
	v_cmp_gt_u32_e64 s[6:7], s14, v13
	s_and_b64 s[10:11], s[8:9], s[10:11]
	ds_write_b32 v7, v5
	s_waitcnt lgkmcnt(0)
	s_barrier
	s_and_saveexec_b64 s[8:9], s[10:11]
	s_cbranch_execz .LBB603_32
; %bb.31:
	v_add_u32_e32 v6, -4, v7
	ds_read_b32 v6, v6
	s_waitcnt lgkmcnt(0)
	v_add_f32_e32 v1, v1, v6
.LBB603_32:
	s_or_b64 exec, exec, s[8:9]
	v_cndmask_b32_e32 v9, v5, v9, vcc
	v_cndmask_b32_e64 v10, v4, v10, s[2:3]
	v_cndmask_b32_e64 v11, v3, v11, s[4:5]
	;; [unrolled: 1-line block ×3, first 2 shown]
	v_mov_b32_e32 v13, v1
.LBB603_33:
	s_add_u32 s4, s12, s18
	s_addc_u32 s5, s13, s19
	s_and_b64 vcc, exec, s[0:1]
	v_lshlrev_b32_e32 v14, 4, v0
	s_waitcnt lgkmcnt(0)
	s_barrier
	s_cbranch_vccz .LBB603_43
; %bb.34:
	s_add_i32 s15, s15, s14
	s_lshl_b64 s[0:1], s[16:17], 2
	v_sub_u32_e32 v1, v8, v14
	s_add_u32 s0, s4, s0
	ds_write2_b32 v8, v13, v12 offset1:1
	ds_write2_b32 v8, v11, v10 offset0:2 offset1:3
	ds_write_b32 v8, v9 offset:16
	s_waitcnt lgkmcnt(0)
	s_barrier
	ds_read2st64_b32 v[5:6], v1 offset0:16 offset1:32
	ds_read2st64_b32 v[1:2], v1 offset0:48 offset1:64
	s_addc_u32 s1, s5, s1
	v_mov_b32_e32 v4, s1
	v_add_co_u32_e32 v3, vcc, s0, v7
	v_addc_co_u32_e32 v4, vcc, 0, v4, vcc
	v_cmp_gt_u32_e32 vcc, s15, v0
	s_and_saveexec_b64 s[0:1], vcc
	s_cbranch_execz .LBB603_36
; %bb.35:
	v_sub_u32_e32 v15, 0, v14
	v_add_u32_e32 v15, v8, v15
	ds_read_b32 v15, v15
	s_waitcnt lgkmcnt(0)
	global_store_dword v[3:4], v15, off
.LBB603_36:
	s_or_b64 exec, exec, s[0:1]
	v_or_b32_e32 v15, 0x400, v0
	v_cmp_gt_u32_e32 vcc, s15, v15
	s_and_saveexec_b64 s[0:1], vcc
	s_cbranch_execz .LBB603_38
; %bb.37:
	v_add_co_u32_e32 v15, vcc, 0x1000, v3
	v_addc_co_u32_e32 v16, vcc, 0, v4, vcc
	s_waitcnt lgkmcnt(1)
	global_store_dword v[15:16], v5, off
.LBB603_38:
	s_or_b64 exec, exec, s[0:1]
	s_waitcnt lgkmcnt(1)
	v_or_b32_e32 v5, 0x800, v0
	v_cmp_gt_u32_e32 vcc, s15, v5
	s_and_saveexec_b64 s[0:1], vcc
	s_cbranch_execz .LBB603_40
; %bb.39:
	v_add_co_u32_e32 v15, vcc, 0x2000, v3
	v_addc_co_u32_e32 v16, vcc, 0, v4, vcc
	global_store_dword v[15:16], v6, off
.LBB603_40:
	s_or_b64 exec, exec, s[0:1]
	v_or_b32_e32 v5, 0xc00, v0
	v_cmp_gt_u32_e32 vcc, s15, v5
	s_and_saveexec_b64 s[0:1], vcc
	s_cbranch_execz .LBB603_42
; %bb.41:
	v_add_co_u32_e32 v5, vcc, 0x3000, v3
	v_addc_co_u32_e32 v6, vcc, 0, v4, vcc
	s_waitcnt lgkmcnt(0)
	global_store_dword v[5:6], v1, off
.LBB603_42:
	s_or_b64 exec, exec, s[0:1]
	v_or_b32_e32 v0, 0x1000, v0
	v_cmp_gt_u32_e64 s[0:1], s15, v0
	s_branch .LBB603_45
.LBB603_43:
	s_mov_b64 s[0:1], 0
                                        ; implicit-def: $vgpr2
                                        ; implicit-def: $vgpr3_vgpr4
	s_cbranch_execz .LBB603_45
; %bb.44:
	s_lshl_b64 s[2:3], s[16:17], 2
	s_waitcnt lgkmcnt(0)
	v_sub_u32_e32 v2, v8, v14
	s_add_u32 s2, s4, s2
	ds_write2_b32 v8, v13, v12 offset1:1
	ds_write2_b32 v8, v11, v10 offset0:2 offset1:3
	ds_write_b32 v8, v9 offset:16
	s_waitcnt vmcnt(0) lgkmcnt(0)
	s_barrier
	ds_read2st64_b32 v[0:1], v2 offset1:16
	ds_read2st64_b32 v[5:6], v2 offset0:32 offset1:48
	ds_read_b32 v2, v2 offset:16384
	s_addc_u32 s3, s5, s3
	v_mov_b32_e32 v4, s3
	v_add_co_u32_e32 v3, vcc, s2, v7
	v_addc_co_u32_e32 v4, vcc, 0, v4, vcc
	s_waitcnt lgkmcnt(2)
	global_store_dword v7, v0, s[2:3]
	s_movk_i32 s2, 0x1000
	v_add_co_u32_e32 v7, vcc, s2, v3
	v_addc_co_u32_e32 v8, vcc, 0, v4, vcc
	v_add_co_u32_e32 v0, vcc, 0x2000, v3
	global_store_dword v[7:8], v1, off
	v_addc_co_u32_e32 v1, vcc, 0, v4, vcc
	s_waitcnt lgkmcnt(1)
	global_store_dword v[0:1], v5, off
	v_add_co_u32_e32 v0, vcc, 0x3000, v3
	v_addc_co_u32_e32 v1, vcc, 0, v4, vcc
	s_or_b64 s[0:1], s[0:1], exec
	global_store_dword v[0:1], v6, off
.LBB603_45:
	s_and_saveexec_b64 s[2:3], s[0:1]
	s_cbranch_execnz .LBB603_47
; %bb.46:
	s_endpgm
.LBB603_47:
	v_add_co_u32_e32 v0, vcc, 0x4000, v3
	s_waitcnt lgkmcnt(0)
	v_addc_co_u32_e32 v1, vcc, 0, v4, vcc
	global_store_dword v[0:1], v2, off
	s_endpgm
	.section	.rodata,"a",@progbits
	.p2align	6, 0x0
	.amdhsa_kernel _ZN7rocprim17ROCPRIM_400000_NS6detail17trampoline_kernelINS0_14default_configENS1_35adjacent_difference_config_selectorILb0EfEEZNS1_24adjacent_difference_implIS3_Lb0ELb0EPKfPfN6thrust23THRUST_200600_302600_NS4plusIfEEEE10hipError_tPvRmT2_T3_mT4_P12ihipStream_tbEUlT_E_NS1_11comp_targetILNS1_3genE2ELNS1_11target_archE906ELNS1_3gpuE6ELNS1_3repE0EEENS1_30default_config_static_selectorELNS0_4arch9wavefront6targetE1EEEvT1_
		.amdhsa_group_segment_fixed_size 20480
		.amdhsa_private_segment_fixed_size 0
		.amdhsa_kernarg_size 56
		.amdhsa_user_sgpr_count 6
		.amdhsa_user_sgpr_private_segment_buffer 1
		.amdhsa_user_sgpr_dispatch_ptr 0
		.amdhsa_user_sgpr_queue_ptr 0
		.amdhsa_user_sgpr_kernarg_segment_ptr 1
		.amdhsa_user_sgpr_dispatch_id 0
		.amdhsa_user_sgpr_flat_scratch_init 0
		.amdhsa_user_sgpr_private_segment_size 0
		.amdhsa_uses_dynamic_stack 0
		.amdhsa_system_sgpr_private_segment_wavefront_offset 0
		.amdhsa_system_sgpr_workgroup_id_x 1
		.amdhsa_system_sgpr_workgroup_id_y 0
		.amdhsa_system_sgpr_workgroup_id_z 0
		.amdhsa_system_sgpr_workgroup_info 0
		.amdhsa_system_vgpr_workitem_id 0
		.amdhsa_next_free_vgpr 29
		.amdhsa_next_free_sgpr 61
		.amdhsa_reserve_vcc 1
		.amdhsa_reserve_flat_scratch 0
		.amdhsa_float_round_mode_32 0
		.amdhsa_float_round_mode_16_64 0
		.amdhsa_float_denorm_mode_32 3
		.amdhsa_float_denorm_mode_16_64 3
		.amdhsa_dx10_clamp 1
		.amdhsa_ieee_mode 1
		.amdhsa_fp16_overflow 0
		.amdhsa_exception_fp_ieee_invalid_op 0
		.amdhsa_exception_fp_denorm_src 0
		.amdhsa_exception_fp_ieee_div_zero 0
		.amdhsa_exception_fp_ieee_overflow 0
		.amdhsa_exception_fp_ieee_underflow 0
		.amdhsa_exception_fp_ieee_inexact 0
		.amdhsa_exception_int_div_zero 0
	.end_amdhsa_kernel
	.section	.text._ZN7rocprim17ROCPRIM_400000_NS6detail17trampoline_kernelINS0_14default_configENS1_35adjacent_difference_config_selectorILb0EfEEZNS1_24adjacent_difference_implIS3_Lb0ELb0EPKfPfN6thrust23THRUST_200600_302600_NS4plusIfEEEE10hipError_tPvRmT2_T3_mT4_P12ihipStream_tbEUlT_E_NS1_11comp_targetILNS1_3genE2ELNS1_11target_archE906ELNS1_3gpuE6ELNS1_3repE0EEENS1_30default_config_static_selectorELNS0_4arch9wavefront6targetE1EEEvT1_,"axG",@progbits,_ZN7rocprim17ROCPRIM_400000_NS6detail17trampoline_kernelINS0_14default_configENS1_35adjacent_difference_config_selectorILb0EfEEZNS1_24adjacent_difference_implIS3_Lb0ELb0EPKfPfN6thrust23THRUST_200600_302600_NS4plusIfEEEE10hipError_tPvRmT2_T3_mT4_P12ihipStream_tbEUlT_E_NS1_11comp_targetILNS1_3genE2ELNS1_11target_archE906ELNS1_3gpuE6ELNS1_3repE0EEENS1_30default_config_static_selectorELNS0_4arch9wavefront6targetE1EEEvT1_,comdat
.Lfunc_end603:
	.size	_ZN7rocprim17ROCPRIM_400000_NS6detail17trampoline_kernelINS0_14default_configENS1_35adjacent_difference_config_selectorILb0EfEEZNS1_24adjacent_difference_implIS3_Lb0ELb0EPKfPfN6thrust23THRUST_200600_302600_NS4plusIfEEEE10hipError_tPvRmT2_T3_mT4_P12ihipStream_tbEUlT_E_NS1_11comp_targetILNS1_3genE2ELNS1_11target_archE906ELNS1_3gpuE6ELNS1_3repE0EEENS1_30default_config_static_selectorELNS0_4arch9wavefront6targetE1EEEvT1_, .Lfunc_end603-_ZN7rocprim17ROCPRIM_400000_NS6detail17trampoline_kernelINS0_14default_configENS1_35adjacent_difference_config_selectorILb0EfEEZNS1_24adjacent_difference_implIS3_Lb0ELb0EPKfPfN6thrust23THRUST_200600_302600_NS4plusIfEEEE10hipError_tPvRmT2_T3_mT4_P12ihipStream_tbEUlT_E_NS1_11comp_targetILNS1_3genE2ELNS1_11target_archE906ELNS1_3gpuE6ELNS1_3repE0EEENS1_30default_config_static_selectorELNS0_4arch9wavefront6targetE1EEEvT1_
                                        ; -- End function
	.set _ZN7rocprim17ROCPRIM_400000_NS6detail17trampoline_kernelINS0_14default_configENS1_35adjacent_difference_config_selectorILb0EfEEZNS1_24adjacent_difference_implIS3_Lb0ELb0EPKfPfN6thrust23THRUST_200600_302600_NS4plusIfEEEE10hipError_tPvRmT2_T3_mT4_P12ihipStream_tbEUlT_E_NS1_11comp_targetILNS1_3genE2ELNS1_11target_archE906ELNS1_3gpuE6ELNS1_3repE0EEENS1_30default_config_static_selectorELNS0_4arch9wavefront6targetE1EEEvT1_.num_vgpr, 17
	.set _ZN7rocprim17ROCPRIM_400000_NS6detail17trampoline_kernelINS0_14default_configENS1_35adjacent_difference_config_selectorILb0EfEEZNS1_24adjacent_difference_implIS3_Lb0ELb0EPKfPfN6thrust23THRUST_200600_302600_NS4plusIfEEEE10hipError_tPvRmT2_T3_mT4_P12ihipStream_tbEUlT_E_NS1_11comp_targetILNS1_3genE2ELNS1_11target_archE906ELNS1_3gpuE6ELNS1_3repE0EEENS1_30default_config_static_selectorELNS0_4arch9wavefront6targetE1EEEvT1_.num_agpr, 0
	.set _ZN7rocprim17ROCPRIM_400000_NS6detail17trampoline_kernelINS0_14default_configENS1_35adjacent_difference_config_selectorILb0EfEEZNS1_24adjacent_difference_implIS3_Lb0ELb0EPKfPfN6thrust23THRUST_200600_302600_NS4plusIfEEEE10hipError_tPvRmT2_T3_mT4_P12ihipStream_tbEUlT_E_NS1_11comp_targetILNS1_3genE2ELNS1_11target_archE906ELNS1_3gpuE6ELNS1_3repE0EEENS1_30default_config_static_selectorELNS0_4arch9wavefront6targetE1EEEvT1_.numbered_sgpr, 23
	.set _ZN7rocprim17ROCPRIM_400000_NS6detail17trampoline_kernelINS0_14default_configENS1_35adjacent_difference_config_selectorILb0EfEEZNS1_24adjacent_difference_implIS3_Lb0ELb0EPKfPfN6thrust23THRUST_200600_302600_NS4plusIfEEEE10hipError_tPvRmT2_T3_mT4_P12ihipStream_tbEUlT_E_NS1_11comp_targetILNS1_3genE2ELNS1_11target_archE906ELNS1_3gpuE6ELNS1_3repE0EEENS1_30default_config_static_selectorELNS0_4arch9wavefront6targetE1EEEvT1_.num_named_barrier, 0
	.set _ZN7rocprim17ROCPRIM_400000_NS6detail17trampoline_kernelINS0_14default_configENS1_35adjacent_difference_config_selectorILb0EfEEZNS1_24adjacent_difference_implIS3_Lb0ELb0EPKfPfN6thrust23THRUST_200600_302600_NS4plusIfEEEE10hipError_tPvRmT2_T3_mT4_P12ihipStream_tbEUlT_E_NS1_11comp_targetILNS1_3genE2ELNS1_11target_archE906ELNS1_3gpuE6ELNS1_3repE0EEENS1_30default_config_static_selectorELNS0_4arch9wavefront6targetE1EEEvT1_.private_seg_size, 0
	.set _ZN7rocprim17ROCPRIM_400000_NS6detail17trampoline_kernelINS0_14default_configENS1_35adjacent_difference_config_selectorILb0EfEEZNS1_24adjacent_difference_implIS3_Lb0ELb0EPKfPfN6thrust23THRUST_200600_302600_NS4plusIfEEEE10hipError_tPvRmT2_T3_mT4_P12ihipStream_tbEUlT_E_NS1_11comp_targetILNS1_3genE2ELNS1_11target_archE906ELNS1_3gpuE6ELNS1_3repE0EEENS1_30default_config_static_selectorELNS0_4arch9wavefront6targetE1EEEvT1_.uses_vcc, 1
	.set _ZN7rocprim17ROCPRIM_400000_NS6detail17trampoline_kernelINS0_14default_configENS1_35adjacent_difference_config_selectorILb0EfEEZNS1_24adjacent_difference_implIS3_Lb0ELb0EPKfPfN6thrust23THRUST_200600_302600_NS4plusIfEEEE10hipError_tPvRmT2_T3_mT4_P12ihipStream_tbEUlT_E_NS1_11comp_targetILNS1_3genE2ELNS1_11target_archE906ELNS1_3gpuE6ELNS1_3repE0EEENS1_30default_config_static_selectorELNS0_4arch9wavefront6targetE1EEEvT1_.uses_flat_scratch, 0
	.set _ZN7rocprim17ROCPRIM_400000_NS6detail17trampoline_kernelINS0_14default_configENS1_35adjacent_difference_config_selectorILb0EfEEZNS1_24adjacent_difference_implIS3_Lb0ELb0EPKfPfN6thrust23THRUST_200600_302600_NS4plusIfEEEE10hipError_tPvRmT2_T3_mT4_P12ihipStream_tbEUlT_E_NS1_11comp_targetILNS1_3genE2ELNS1_11target_archE906ELNS1_3gpuE6ELNS1_3repE0EEENS1_30default_config_static_selectorELNS0_4arch9wavefront6targetE1EEEvT1_.has_dyn_sized_stack, 0
	.set _ZN7rocprim17ROCPRIM_400000_NS6detail17trampoline_kernelINS0_14default_configENS1_35adjacent_difference_config_selectorILb0EfEEZNS1_24adjacent_difference_implIS3_Lb0ELb0EPKfPfN6thrust23THRUST_200600_302600_NS4plusIfEEEE10hipError_tPvRmT2_T3_mT4_P12ihipStream_tbEUlT_E_NS1_11comp_targetILNS1_3genE2ELNS1_11target_archE906ELNS1_3gpuE6ELNS1_3repE0EEENS1_30default_config_static_selectorELNS0_4arch9wavefront6targetE1EEEvT1_.has_recursion, 0
	.set _ZN7rocprim17ROCPRIM_400000_NS6detail17trampoline_kernelINS0_14default_configENS1_35adjacent_difference_config_selectorILb0EfEEZNS1_24adjacent_difference_implIS3_Lb0ELb0EPKfPfN6thrust23THRUST_200600_302600_NS4plusIfEEEE10hipError_tPvRmT2_T3_mT4_P12ihipStream_tbEUlT_E_NS1_11comp_targetILNS1_3genE2ELNS1_11target_archE906ELNS1_3gpuE6ELNS1_3repE0EEENS1_30default_config_static_selectorELNS0_4arch9wavefront6targetE1EEEvT1_.has_indirect_call, 0
	.section	.AMDGPU.csdata,"",@progbits
; Kernel info:
; codeLenInByte = 1808
; TotalNumSgprs: 27
; NumVgprs: 17
; ScratchSize: 0
; MemoryBound: 0
; FloatMode: 240
; IeeeMode: 1
; LDSByteSize: 20480 bytes/workgroup (compile time only)
; SGPRBlocks: 8
; VGPRBlocks: 7
; NumSGPRsForWavesPerEU: 65
; NumVGPRsForWavesPerEU: 29
; Occupancy: 8
; WaveLimiterHint : 1
; COMPUTE_PGM_RSRC2:SCRATCH_EN: 0
; COMPUTE_PGM_RSRC2:USER_SGPR: 6
; COMPUTE_PGM_RSRC2:TRAP_HANDLER: 0
; COMPUTE_PGM_RSRC2:TGID_X_EN: 1
; COMPUTE_PGM_RSRC2:TGID_Y_EN: 0
; COMPUTE_PGM_RSRC2:TGID_Z_EN: 0
; COMPUTE_PGM_RSRC2:TIDIG_COMP_CNT: 0
	.section	.text._ZN7rocprim17ROCPRIM_400000_NS6detail17trampoline_kernelINS0_14default_configENS1_35adjacent_difference_config_selectorILb0EfEEZNS1_24adjacent_difference_implIS3_Lb0ELb0EPKfPfN6thrust23THRUST_200600_302600_NS4plusIfEEEE10hipError_tPvRmT2_T3_mT4_P12ihipStream_tbEUlT_E_NS1_11comp_targetILNS1_3genE9ELNS1_11target_archE1100ELNS1_3gpuE3ELNS1_3repE0EEENS1_30default_config_static_selectorELNS0_4arch9wavefront6targetE1EEEvT1_,"axG",@progbits,_ZN7rocprim17ROCPRIM_400000_NS6detail17trampoline_kernelINS0_14default_configENS1_35adjacent_difference_config_selectorILb0EfEEZNS1_24adjacent_difference_implIS3_Lb0ELb0EPKfPfN6thrust23THRUST_200600_302600_NS4plusIfEEEE10hipError_tPvRmT2_T3_mT4_P12ihipStream_tbEUlT_E_NS1_11comp_targetILNS1_3genE9ELNS1_11target_archE1100ELNS1_3gpuE3ELNS1_3repE0EEENS1_30default_config_static_selectorELNS0_4arch9wavefront6targetE1EEEvT1_,comdat
	.protected	_ZN7rocprim17ROCPRIM_400000_NS6detail17trampoline_kernelINS0_14default_configENS1_35adjacent_difference_config_selectorILb0EfEEZNS1_24adjacent_difference_implIS3_Lb0ELb0EPKfPfN6thrust23THRUST_200600_302600_NS4plusIfEEEE10hipError_tPvRmT2_T3_mT4_P12ihipStream_tbEUlT_E_NS1_11comp_targetILNS1_3genE9ELNS1_11target_archE1100ELNS1_3gpuE3ELNS1_3repE0EEENS1_30default_config_static_selectorELNS0_4arch9wavefront6targetE1EEEvT1_ ; -- Begin function _ZN7rocprim17ROCPRIM_400000_NS6detail17trampoline_kernelINS0_14default_configENS1_35adjacent_difference_config_selectorILb0EfEEZNS1_24adjacent_difference_implIS3_Lb0ELb0EPKfPfN6thrust23THRUST_200600_302600_NS4plusIfEEEE10hipError_tPvRmT2_T3_mT4_P12ihipStream_tbEUlT_E_NS1_11comp_targetILNS1_3genE9ELNS1_11target_archE1100ELNS1_3gpuE3ELNS1_3repE0EEENS1_30default_config_static_selectorELNS0_4arch9wavefront6targetE1EEEvT1_
	.globl	_ZN7rocprim17ROCPRIM_400000_NS6detail17trampoline_kernelINS0_14default_configENS1_35adjacent_difference_config_selectorILb0EfEEZNS1_24adjacent_difference_implIS3_Lb0ELb0EPKfPfN6thrust23THRUST_200600_302600_NS4plusIfEEEE10hipError_tPvRmT2_T3_mT4_P12ihipStream_tbEUlT_E_NS1_11comp_targetILNS1_3genE9ELNS1_11target_archE1100ELNS1_3gpuE3ELNS1_3repE0EEENS1_30default_config_static_selectorELNS0_4arch9wavefront6targetE1EEEvT1_
	.p2align	8
	.type	_ZN7rocprim17ROCPRIM_400000_NS6detail17trampoline_kernelINS0_14default_configENS1_35adjacent_difference_config_selectorILb0EfEEZNS1_24adjacent_difference_implIS3_Lb0ELb0EPKfPfN6thrust23THRUST_200600_302600_NS4plusIfEEEE10hipError_tPvRmT2_T3_mT4_P12ihipStream_tbEUlT_E_NS1_11comp_targetILNS1_3genE9ELNS1_11target_archE1100ELNS1_3gpuE3ELNS1_3repE0EEENS1_30default_config_static_selectorELNS0_4arch9wavefront6targetE1EEEvT1_,@function
_ZN7rocprim17ROCPRIM_400000_NS6detail17trampoline_kernelINS0_14default_configENS1_35adjacent_difference_config_selectorILb0EfEEZNS1_24adjacent_difference_implIS3_Lb0ELb0EPKfPfN6thrust23THRUST_200600_302600_NS4plusIfEEEE10hipError_tPvRmT2_T3_mT4_P12ihipStream_tbEUlT_E_NS1_11comp_targetILNS1_3genE9ELNS1_11target_archE1100ELNS1_3gpuE3ELNS1_3repE0EEENS1_30default_config_static_selectorELNS0_4arch9wavefront6targetE1EEEvT1_: ; @_ZN7rocprim17ROCPRIM_400000_NS6detail17trampoline_kernelINS0_14default_configENS1_35adjacent_difference_config_selectorILb0EfEEZNS1_24adjacent_difference_implIS3_Lb0ELb0EPKfPfN6thrust23THRUST_200600_302600_NS4plusIfEEEE10hipError_tPvRmT2_T3_mT4_P12ihipStream_tbEUlT_E_NS1_11comp_targetILNS1_3genE9ELNS1_11target_archE1100ELNS1_3gpuE3ELNS1_3repE0EEENS1_30default_config_static_selectorELNS0_4arch9wavefront6targetE1EEEvT1_
; %bb.0:
	.section	.rodata,"a",@progbits
	.p2align	6, 0x0
	.amdhsa_kernel _ZN7rocprim17ROCPRIM_400000_NS6detail17trampoline_kernelINS0_14default_configENS1_35adjacent_difference_config_selectorILb0EfEEZNS1_24adjacent_difference_implIS3_Lb0ELb0EPKfPfN6thrust23THRUST_200600_302600_NS4plusIfEEEE10hipError_tPvRmT2_T3_mT4_P12ihipStream_tbEUlT_E_NS1_11comp_targetILNS1_3genE9ELNS1_11target_archE1100ELNS1_3gpuE3ELNS1_3repE0EEENS1_30default_config_static_selectorELNS0_4arch9wavefront6targetE1EEEvT1_
		.amdhsa_group_segment_fixed_size 0
		.amdhsa_private_segment_fixed_size 0
		.amdhsa_kernarg_size 56
		.amdhsa_user_sgpr_count 6
		.amdhsa_user_sgpr_private_segment_buffer 1
		.amdhsa_user_sgpr_dispatch_ptr 0
		.amdhsa_user_sgpr_queue_ptr 0
		.amdhsa_user_sgpr_kernarg_segment_ptr 1
		.amdhsa_user_sgpr_dispatch_id 0
		.amdhsa_user_sgpr_flat_scratch_init 0
		.amdhsa_user_sgpr_private_segment_size 0
		.amdhsa_uses_dynamic_stack 0
		.amdhsa_system_sgpr_private_segment_wavefront_offset 0
		.amdhsa_system_sgpr_workgroup_id_x 1
		.amdhsa_system_sgpr_workgroup_id_y 0
		.amdhsa_system_sgpr_workgroup_id_z 0
		.amdhsa_system_sgpr_workgroup_info 0
		.amdhsa_system_vgpr_workitem_id 0
		.amdhsa_next_free_vgpr 1
		.amdhsa_next_free_sgpr 0
		.amdhsa_reserve_vcc 0
		.amdhsa_reserve_flat_scratch 0
		.amdhsa_float_round_mode_32 0
		.amdhsa_float_round_mode_16_64 0
		.amdhsa_float_denorm_mode_32 3
		.amdhsa_float_denorm_mode_16_64 3
		.amdhsa_dx10_clamp 1
		.amdhsa_ieee_mode 1
		.amdhsa_fp16_overflow 0
		.amdhsa_exception_fp_ieee_invalid_op 0
		.amdhsa_exception_fp_denorm_src 0
		.amdhsa_exception_fp_ieee_div_zero 0
		.amdhsa_exception_fp_ieee_overflow 0
		.amdhsa_exception_fp_ieee_underflow 0
		.amdhsa_exception_fp_ieee_inexact 0
		.amdhsa_exception_int_div_zero 0
	.end_amdhsa_kernel
	.section	.text._ZN7rocprim17ROCPRIM_400000_NS6detail17trampoline_kernelINS0_14default_configENS1_35adjacent_difference_config_selectorILb0EfEEZNS1_24adjacent_difference_implIS3_Lb0ELb0EPKfPfN6thrust23THRUST_200600_302600_NS4plusIfEEEE10hipError_tPvRmT2_T3_mT4_P12ihipStream_tbEUlT_E_NS1_11comp_targetILNS1_3genE9ELNS1_11target_archE1100ELNS1_3gpuE3ELNS1_3repE0EEENS1_30default_config_static_selectorELNS0_4arch9wavefront6targetE1EEEvT1_,"axG",@progbits,_ZN7rocprim17ROCPRIM_400000_NS6detail17trampoline_kernelINS0_14default_configENS1_35adjacent_difference_config_selectorILb0EfEEZNS1_24adjacent_difference_implIS3_Lb0ELb0EPKfPfN6thrust23THRUST_200600_302600_NS4plusIfEEEE10hipError_tPvRmT2_T3_mT4_P12ihipStream_tbEUlT_E_NS1_11comp_targetILNS1_3genE9ELNS1_11target_archE1100ELNS1_3gpuE3ELNS1_3repE0EEENS1_30default_config_static_selectorELNS0_4arch9wavefront6targetE1EEEvT1_,comdat
.Lfunc_end604:
	.size	_ZN7rocprim17ROCPRIM_400000_NS6detail17trampoline_kernelINS0_14default_configENS1_35adjacent_difference_config_selectorILb0EfEEZNS1_24adjacent_difference_implIS3_Lb0ELb0EPKfPfN6thrust23THRUST_200600_302600_NS4plusIfEEEE10hipError_tPvRmT2_T3_mT4_P12ihipStream_tbEUlT_E_NS1_11comp_targetILNS1_3genE9ELNS1_11target_archE1100ELNS1_3gpuE3ELNS1_3repE0EEENS1_30default_config_static_selectorELNS0_4arch9wavefront6targetE1EEEvT1_, .Lfunc_end604-_ZN7rocprim17ROCPRIM_400000_NS6detail17trampoline_kernelINS0_14default_configENS1_35adjacent_difference_config_selectorILb0EfEEZNS1_24adjacent_difference_implIS3_Lb0ELb0EPKfPfN6thrust23THRUST_200600_302600_NS4plusIfEEEE10hipError_tPvRmT2_T3_mT4_P12ihipStream_tbEUlT_E_NS1_11comp_targetILNS1_3genE9ELNS1_11target_archE1100ELNS1_3gpuE3ELNS1_3repE0EEENS1_30default_config_static_selectorELNS0_4arch9wavefront6targetE1EEEvT1_
                                        ; -- End function
	.set _ZN7rocprim17ROCPRIM_400000_NS6detail17trampoline_kernelINS0_14default_configENS1_35adjacent_difference_config_selectorILb0EfEEZNS1_24adjacent_difference_implIS3_Lb0ELb0EPKfPfN6thrust23THRUST_200600_302600_NS4plusIfEEEE10hipError_tPvRmT2_T3_mT4_P12ihipStream_tbEUlT_E_NS1_11comp_targetILNS1_3genE9ELNS1_11target_archE1100ELNS1_3gpuE3ELNS1_3repE0EEENS1_30default_config_static_selectorELNS0_4arch9wavefront6targetE1EEEvT1_.num_vgpr, 0
	.set _ZN7rocprim17ROCPRIM_400000_NS6detail17trampoline_kernelINS0_14default_configENS1_35adjacent_difference_config_selectorILb0EfEEZNS1_24adjacent_difference_implIS3_Lb0ELb0EPKfPfN6thrust23THRUST_200600_302600_NS4plusIfEEEE10hipError_tPvRmT2_T3_mT4_P12ihipStream_tbEUlT_E_NS1_11comp_targetILNS1_3genE9ELNS1_11target_archE1100ELNS1_3gpuE3ELNS1_3repE0EEENS1_30default_config_static_selectorELNS0_4arch9wavefront6targetE1EEEvT1_.num_agpr, 0
	.set _ZN7rocprim17ROCPRIM_400000_NS6detail17trampoline_kernelINS0_14default_configENS1_35adjacent_difference_config_selectorILb0EfEEZNS1_24adjacent_difference_implIS3_Lb0ELb0EPKfPfN6thrust23THRUST_200600_302600_NS4plusIfEEEE10hipError_tPvRmT2_T3_mT4_P12ihipStream_tbEUlT_E_NS1_11comp_targetILNS1_3genE9ELNS1_11target_archE1100ELNS1_3gpuE3ELNS1_3repE0EEENS1_30default_config_static_selectorELNS0_4arch9wavefront6targetE1EEEvT1_.numbered_sgpr, 0
	.set _ZN7rocprim17ROCPRIM_400000_NS6detail17trampoline_kernelINS0_14default_configENS1_35adjacent_difference_config_selectorILb0EfEEZNS1_24adjacent_difference_implIS3_Lb0ELb0EPKfPfN6thrust23THRUST_200600_302600_NS4plusIfEEEE10hipError_tPvRmT2_T3_mT4_P12ihipStream_tbEUlT_E_NS1_11comp_targetILNS1_3genE9ELNS1_11target_archE1100ELNS1_3gpuE3ELNS1_3repE0EEENS1_30default_config_static_selectorELNS0_4arch9wavefront6targetE1EEEvT1_.num_named_barrier, 0
	.set _ZN7rocprim17ROCPRIM_400000_NS6detail17trampoline_kernelINS0_14default_configENS1_35adjacent_difference_config_selectorILb0EfEEZNS1_24adjacent_difference_implIS3_Lb0ELb0EPKfPfN6thrust23THRUST_200600_302600_NS4plusIfEEEE10hipError_tPvRmT2_T3_mT4_P12ihipStream_tbEUlT_E_NS1_11comp_targetILNS1_3genE9ELNS1_11target_archE1100ELNS1_3gpuE3ELNS1_3repE0EEENS1_30default_config_static_selectorELNS0_4arch9wavefront6targetE1EEEvT1_.private_seg_size, 0
	.set _ZN7rocprim17ROCPRIM_400000_NS6detail17trampoline_kernelINS0_14default_configENS1_35adjacent_difference_config_selectorILb0EfEEZNS1_24adjacent_difference_implIS3_Lb0ELb0EPKfPfN6thrust23THRUST_200600_302600_NS4plusIfEEEE10hipError_tPvRmT2_T3_mT4_P12ihipStream_tbEUlT_E_NS1_11comp_targetILNS1_3genE9ELNS1_11target_archE1100ELNS1_3gpuE3ELNS1_3repE0EEENS1_30default_config_static_selectorELNS0_4arch9wavefront6targetE1EEEvT1_.uses_vcc, 0
	.set _ZN7rocprim17ROCPRIM_400000_NS6detail17trampoline_kernelINS0_14default_configENS1_35adjacent_difference_config_selectorILb0EfEEZNS1_24adjacent_difference_implIS3_Lb0ELb0EPKfPfN6thrust23THRUST_200600_302600_NS4plusIfEEEE10hipError_tPvRmT2_T3_mT4_P12ihipStream_tbEUlT_E_NS1_11comp_targetILNS1_3genE9ELNS1_11target_archE1100ELNS1_3gpuE3ELNS1_3repE0EEENS1_30default_config_static_selectorELNS0_4arch9wavefront6targetE1EEEvT1_.uses_flat_scratch, 0
	.set _ZN7rocprim17ROCPRIM_400000_NS6detail17trampoline_kernelINS0_14default_configENS1_35adjacent_difference_config_selectorILb0EfEEZNS1_24adjacent_difference_implIS3_Lb0ELb0EPKfPfN6thrust23THRUST_200600_302600_NS4plusIfEEEE10hipError_tPvRmT2_T3_mT4_P12ihipStream_tbEUlT_E_NS1_11comp_targetILNS1_3genE9ELNS1_11target_archE1100ELNS1_3gpuE3ELNS1_3repE0EEENS1_30default_config_static_selectorELNS0_4arch9wavefront6targetE1EEEvT1_.has_dyn_sized_stack, 0
	.set _ZN7rocprim17ROCPRIM_400000_NS6detail17trampoline_kernelINS0_14default_configENS1_35adjacent_difference_config_selectorILb0EfEEZNS1_24adjacent_difference_implIS3_Lb0ELb0EPKfPfN6thrust23THRUST_200600_302600_NS4plusIfEEEE10hipError_tPvRmT2_T3_mT4_P12ihipStream_tbEUlT_E_NS1_11comp_targetILNS1_3genE9ELNS1_11target_archE1100ELNS1_3gpuE3ELNS1_3repE0EEENS1_30default_config_static_selectorELNS0_4arch9wavefront6targetE1EEEvT1_.has_recursion, 0
	.set _ZN7rocprim17ROCPRIM_400000_NS6detail17trampoline_kernelINS0_14default_configENS1_35adjacent_difference_config_selectorILb0EfEEZNS1_24adjacent_difference_implIS3_Lb0ELb0EPKfPfN6thrust23THRUST_200600_302600_NS4plusIfEEEE10hipError_tPvRmT2_T3_mT4_P12ihipStream_tbEUlT_E_NS1_11comp_targetILNS1_3genE9ELNS1_11target_archE1100ELNS1_3gpuE3ELNS1_3repE0EEENS1_30default_config_static_selectorELNS0_4arch9wavefront6targetE1EEEvT1_.has_indirect_call, 0
	.section	.AMDGPU.csdata,"",@progbits
; Kernel info:
; codeLenInByte = 0
; TotalNumSgprs: 4
; NumVgprs: 0
; ScratchSize: 0
; MemoryBound: 0
; FloatMode: 240
; IeeeMode: 1
; LDSByteSize: 0 bytes/workgroup (compile time only)
; SGPRBlocks: 0
; VGPRBlocks: 0
; NumSGPRsForWavesPerEU: 4
; NumVGPRsForWavesPerEU: 1
; Occupancy: 10
; WaveLimiterHint : 0
; COMPUTE_PGM_RSRC2:SCRATCH_EN: 0
; COMPUTE_PGM_RSRC2:USER_SGPR: 6
; COMPUTE_PGM_RSRC2:TRAP_HANDLER: 0
; COMPUTE_PGM_RSRC2:TGID_X_EN: 1
; COMPUTE_PGM_RSRC2:TGID_Y_EN: 0
; COMPUTE_PGM_RSRC2:TGID_Z_EN: 0
; COMPUTE_PGM_RSRC2:TIDIG_COMP_CNT: 0
	.section	.text._ZN7rocprim17ROCPRIM_400000_NS6detail17trampoline_kernelINS0_14default_configENS1_35adjacent_difference_config_selectorILb0EfEEZNS1_24adjacent_difference_implIS3_Lb0ELb0EPKfPfN6thrust23THRUST_200600_302600_NS4plusIfEEEE10hipError_tPvRmT2_T3_mT4_P12ihipStream_tbEUlT_E_NS1_11comp_targetILNS1_3genE8ELNS1_11target_archE1030ELNS1_3gpuE2ELNS1_3repE0EEENS1_30default_config_static_selectorELNS0_4arch9wavefront6targetE1EEEvT1_,"axG",@progbits,_ZN7rocprim17ROCPRIM_400000_NS6detail17trampoline_kernelINS0_14default_configENS1_35adjacent_difference_config_selectorILb0EfEEZNS1_24adjacent_difference_implIS3_Lb0ELb0EPKfPfN6thrust23THRUST_200600_302600_NS4plusIfEEEE10hipError_tPvRmT2_T3_mT4_P12ihipStream_tbEUlT_E_NS1_11comp_targetILNS1_3genE8ELNS1_11target_archE1030ELNS1_3gpuE2ELNS1_3repE0EEENS1_30default_config_static_selectorELNS0_4arch9wavefront6targetE1EEEvT1_,comdat
	.protected	_ZN7rocprim17ROCPRIM_400000_NS6detail17trampoline_kernelINS0_14default_configENS1_35adjacent_difference_config_selectorILb0EfEEZNS1_24adjacent_difference_implIS3_Lb0ELb0EPKfPfN6thrust23THRUST_200600_302600_NS4plusIfEEEE10hipError_tPvRmT2_T3_mT4_P12ihipStream_tbEUlT_E_NS1_11comp_targetILNS1_3genE8ELNS1_11target_archE1030ELNS1_3gpuE2ELNS1_3repE0EEENS1_30default_config_static_selectorELNS0_4arch9wavefront6targetE1EEEvT1_ ; -- Begin function _ZN7rocprim17ROCPRIM_400000_NS6detail17trampoline_kernelINS0_14default_configENS1_35adjacent_difference_config_selectorILb0EfEEZNS1_24adjacent_difference_implIS3_Lb0ELb0EPKfPfN6thrust23THRUST_200600_302600_NS4plusIfEEEE10hipError_tPvRmT2_T3_mT4_P12ihipStream_tbEUlT_E_NS1_11comp_targetILNS1_3genE8ELNS1_11target_archE1030ELNS1_3gpuE2ELNS1_3repE0EEENS1_30default_config_static_selectorELNS0_4arch9wavefront6targetE1EEEvT1_
	.globl	_ZN7rocprim17ROCPRIM_400000_NS6detail17trampoline_kernelINS0_14default_configENS1_35adjacent_difference_config_selectorILb0EfEEZNS1_24adjacent_difference_implIS3_Lb0ELb0EPKfPfN6thrust23THRUST_200600_302600_NS4plusIfEEEE10hipError_tPvRmT2_T3_mT4_P12ihipStream_tbEUlT_E_NS1_11comp_targetILNS1_3genE8ELNS1_11target_archE1030ELNS1_3gpuE2ELNS1_3repE0EEENS1_30default_config_static_selectorELNS0_4arch9wavefront6targetE1EEEvT1_
	.p2align	8
	.type	_ZN7rocprim17ROCPRIM_400000_NS6detail17trampoline_kernelINS0_14default_configENS1_35adjacent_difference_config_selectorILb0EfEEZNS1_24adjacent_difference_implIS3_Lb0ELb0EPKfPfN6thrust23THRUST_200600_302600_NS4plusIfEEEE10hipError_tPvRmT2_T3_mT4_P12ihipStream_tbEUlT_E_NS1_11comp_targetILNS1_3genE8ELNS1_11target_archE1030ELNS1_3gpuE2ELNS1_3repE0EEENS1_30default_config_static_selectorELNS0_4arch9wavefront6targetE1EEEvT1_,@function
_ZN7rocprim17ROCPRIM_400000_NS6detail17trampoline_kernelINS0_14default_configENS1_35adjacent_difference_config_selectorILb0EfEEZNS1_24adjacent_difference_implIS3_Lb0ELb0EPKfPfN6thrust23THRUST_200600_302600_NS4plusIfEEEE10hipError_tPvRmT2_T3_mT4_P12ihipStream_tbEUlT_E_NS1_11comp_targetILNS1_3genE8ELNS1_11target_archE1030ELNS1_3gpuE2ELNS1_3repE0EEENS1_30default_config_static_selectorELNS0_4arch9wavefront6targetE1EEEvT1_: ; @_ZN7rocprim17ROCPRIM_400000_NS6detail17trampoline_kernelINS0_14default_configENS1_35adjacent_difference_config_selectorILb0EfEEZNS1_24adjacent_difference_implIS3_Lb0ELb0EPKfPfN6thrust23THRUST_200600_302600_NS4plusIfEEEE10hipError_tPvRmT2_T3_mT4_P12ihipStream_tbEUlT_E_NS1_11comp_targetILNS1_3genE8ELNS1_11target_archE1030ELNS1_3gpuE2ELNS1_3repE0EEENS1_30default_config_static_selectorELNS0_4arch9wavefront6targetE1EEEvT1_
; %bb.0:
	.section	.rodata,"a",@progbits
	.p2align	6, 0x0
	.amdhsa_kernel _ZN7rocprim17ROCPRIM_400000_NS6detail17trampoline_kernelINS0_14default_configENS1_35adjacent_difference_config_selectorILb0EfEEZNS1_24adjacent_difference_implIS3_Lb0ELb0EPKfPfN6thrust23THRUST_200600_302600_NS4plusIfEEEE10hipError_tPvRmT2_T3_mT4_P12ihipStream_tbEUlT_E_NS1_11comp_targetILNS1_3genE8ELNS1_11target_archE1030ELNS1_3gpuE2ELNS1_3repE0EEENS1_30default_config_static_selectorELNS0_4arch9wavefront6targetE1EEEvT1_
		.amdhsa_group_segment_fixed_size 0
		.amdhsa_private_segment_fixed_size 0
		.amdhsa_kernarg_size 56
		.amdhsa_user_sgpr_count 6
		.amdhsa_user_sgpr_private_segment_buffer 1
		.amdhsa_user_sgpr_dispatch_ptr 0
		.amdhsa_user_sgpr_queue_ptr 0
		.amdhsa_user_sgpr_kernarg_segment_ptr 1
		.amdhsa_user_sgpr_dispatch_id 0
		.amdhsa_user_sgpr_flat_scratch_init 0
		.amdhsa_user_sgpr_private_segment_size 0
		.amdhsa_uses_dynamic_stack 0
		.amdhsa_system_sgpr_private_segment_wavefront_offset 0
		.amdhsa_system_sgpr_workgroup_id_x 1
		.amdhsa_system_sgpr_workgroup_id_y 0
		.amdhsa_system_sgpr_workgroup_id_z 0
		.amdhsa_system_sgpr_workgroup_info 0
		.amdhsa_system_vgpr_workitem_id 0
		.amdhsa_next_free_vgpr 1
		.amdhsa_next_free_sgpr 0
		.amdhsa_reserve_vcc 0
		.amdhsa_reserve_flat_scratch 0
		.amdhsa_float_round_mode_32 0
		.amdhsa_float_round_mode_16_64 0
		.amdhsa_float_denorm_mode_32 3
		.amdhsa_float_denorm_mode_16_64 3
		.amdhsa_dx10_clamp 1
		.amdhsa_ieee_mode 1
		.amdhsa_fp16_overflow 0
		.amdhsa_exception_fp_ieee_invalid_op 0
		.amdhsa_exception_fp_denorm_src 0
		.amdhsa_exception_fp_ieee_div_zero 0
		.amdhsa_exception_fp_ieee_overflow 0
		.amdhsa_exception_fp_ieee_underflow 0
		.amdhsa_exception_fp_ieee_inexact 0
		.amdhsa_exception_int_div_zero 0
	.end_amdhsa_kernel
	.section	.text._ZN7rocprim17ROCPRIM_400000_NS6detail17trampoline_kernelINS0_14default_configENS1_35adjacent_difference_config_selectorILb0EfEEZNS1_24adjacent_difference_implIS3_Lb0ELb0EPKfPfN6thrust23THRUST_200600_302600_NS4plusIfEEEE10hipError_tPvRmT2_T3_mT4_P12ihipStream_tbEUlT_E_NS1_11comp_targetILNS1_3genE8ELNS1_11target_archE1030ELNS1_3gpuE2ELNS1_3repE0EEENS1_30default_config_static_selectorELNS0_4arch9wavefront6targetE1EEEvT1_,"axG",@progbits,_ZN7rocprim17ROCPRIM_400000_NS6detail17trampoline_kernelINS0_14default_configENS1_35adjacent_difference_config_selectorILb0EfEEZNS1_24adjacent_difference_implIS3_Lb0ELb0EPKfPfN6thrust23THRUST_200600_302600_NS4plusIfEEEE10hipError_tPvRmT2_T3_mT4_P12ihipStream_tbEUlT_E_NS1_11comp_targetILNS1_3genE8ELNS1_11target_archE1030ELNS1_3gpuE2ELNS1_3repE0EEENS1_30default_config_static_selectorELNS0_4arch9wavefront6targetE1EEEvT1_,comdat
.Lfunc_end605:
	.size	_ZN7rocprim17ROCPRIM_400000_NS6detail17trampoline_kernelINS0_14default_configENS1_35adjacent_difference_config_selectorILb0EfEEZNS1_24adjacent_difference_implIS3_Lb0ELb0EPKfPfN6thrust23THRUST_200600_302600_NS4plusIfEEEE10hipError_tPvRmT2_T3_mT4_P12ihipStream_tbEUlT_E_NS1_11comp_targetILNS1_3genE8ELNS1_11target_archE1030ELNS1_3gpuE2ELNS1_3repE0EEENS1_30default_config_static_selectorELNS0_4arch9wavefront6targetE1EEEvT1_, .Lfunc_end605-_ZN7rocprim17ROCPRIM_400000_NS6detail17trampoline_kernelINS0_14default_configENS1_35adjacent_difference_config_selectorILb0EfEEZNS1_24adjacent_difference_implIS3_Lb0ELb0EPKfPfN6thrust23THRUST_200600_302600_NS4plusIfEEEE10hipError_tPvRmT2_T3_mT4_P12ihipStream_tbEUlT_E_NS1_11comp_targetILNS1_3genE8ELNS1_11target_archE1030ELNS1_3gpuE2ELNS1_3repE0EEENS1_30default_config_static_selectorELNS0_4arch9wavefront6targetE1EEEvT1_
                                        ; -- End function
	.set _ZN7rocprim17ROCPRIM_400000_NS6detail17trampoline_kernelINS0_14default_configENS1_35adjacent_difference_config_selectorILb0EfEEZNS1_24adjacent_difference_implIS3_Lb0ELb0EPKfPfN6thrust23THRUST_200600_302600_NS4plusIfEEEE10hipError_tPvRmT2_T3_mT4_P12ihipStream_tbEUlT_E_NS1_11comp_targetILNS1_3genE8ELNS1_11target_archE1030ELNS1_3gpuE2ELNS1_3repE0EEENS1_30default_config_static_selectorELNS0_4arch9wavefront6targetE1EEEvT1_.num_vgpr, 0
	.set _ZN7rocprim17ROCPRIM_400000_NS6detail17trampoline_kernelINS0_14default_configENS1_35adjacent_difference_config_selectorILb0EfEEZNS1_24adjacent_difference_implIS3_Lb0ELb0EPKfPfN6thrust23THRUST_200600_302600_NS4plusIfEEEE10hipError_tPvRmT2_T3_mT4_P12ihipStream_tbEUlT_E_NS1_11comp_targetILNS1_3genE8ELNS1_11target_archE1030ELNS1_3gpuE2ELNS1_3repE0EEENS1_30default_config_static_selectorELNS0_4arch9wavefront6targetE1EEEvT1_.num_agpr, 0
	.set _ZN7rocprim17ROCPRIM_400000_NS6detail17trampoline_kernelINS0_14default_configENS1_35adjacent_difference_config_selectorILb0EfEEZNS1_24adjacent_difference_implIS3_Lb0ELb0EPKfPfN6thrust23THRUST_200600_302600_NS4plusIfEEEE10hipError_tPvRmT2_T3_mT4_P12ihipStream_tbEUlT_E_NS1_11comp_targetILNS1_3genE8ELNS1_11target_archE1030ELNS1_3gpuE2ELNS1_3repE0EEENS1_30default_config_static_selectorELNS0_4arch9wavefront6targetE1EEEvT1_.numbered_sgpr, 0
	.set _ZN7rocprim17ROCPRIM_400000_NS6detail17trampoline_kernelINS0_14default_configENS1_35adjacent_difference_config_selectorILb0EfEEZNS1_24adjacent_difference_implIS3_Lb0ELb0EPKfPfN6thrust23THRUST_200600_302600_NS4plusIfEEEE10hipError_tPvRmT2_T3_mT4_P12ihipStream_tbEUlT_E_NS1_11comp_targetILNS1_3genE8ELNS1_11target_archE1030ELNS1_3gpuE2ELNS1_3repE0EEENS1_30default_config_static_selectorELNS0_4arch9wavefront6targetE1EEEvT1_.num_named_barrier, 0
	.set _ZN7rocprim17ROCPRIM_400000_NS6detail17trampoline_kernelINS0_14default_configENS1_35adjacent_difference_config_selectorILb0EfEEZNS1_24adjacent_difference_implIS3_Lb0ELb0EPKfPfN6thrust23THRUST_200600_302600_NS4plusIfEEEE10hipError_tPvRmT2_T3_mT4_P12ihipStream_tbEUlT_E_NS1_11comp_targetILNS1_3genE8ELNS1_11target_archE1030ELNS1_3gpuE2ELNS1_3repE0EEENS1_30default_config_static_selectorELNS0_4arch9wavefront6targetE1EEEvT1_.private_seg_size, 0
	.set _ZN7rocprim17ROCPRIM_400000_NS6detail17trampoline_kernelINS0_14default_configENS1_35adjacent_difference_config_selectorILb0EfEEZNS1_24adjacent_difference_implIS3_Lb0ELb0EPKfPfN6thrust23THRUST_200600_302600_NS4plusIfEEEE10hipError_tPvRmT2_T3_mT4_P12ihipStream_tbEUlT_E_NS1_11comp_targetILNS1_3genE8ELNS1_11target_archE1030ELNS1_3gpuE2ELNS1_3repE0EEENS1_30default_config_static_selectorELNS0_4arch9wavefront6targetE1EEEvT1_.uses_vcc, 0
	.set _ZN7rocprim17ROCPRIM_400000_NS6detail17trampoline_kernelINS0_14default_configENS1_35adjacent_difference_config_selectorILb0EfEEZNS1_24adjacent_difference_implIS3_Lb0ELb0EPKfPfN6thrust23THRUST_200600_302600_NS4plusIfEEEE10hipError_tPvRmT2_T3_mT4_P12ihipStream_tbEUlT_E_NS1_11comp_targetILNS1_3genE8ELNS1_11target_archE1030ELNS1_3gpuE2ELNS1_3repE0EEENS1_30default_config_static_selectorELNS0_4arch9wavefront6targetE1EEEvT1_.uses_flat_scratch, 0
	.set _ZN7rocprim17ROCPRIM_400000_NS6detail17trampoline_kernelINS0_14default_configENS1_35adjacent_difference_config_selectorILb0EfEEZNS1_24adjacent_difference_implIS3_Lb0ELb0EPKfPfN6thrust23THRUST_200600_302600_NS4plusIfEEEE10hipError_tPvRmT2_T3_mT4_P12ihipStream_tbEUlT_E_NS1_11comp_targetILNS1_3genE8ELNS1_11target_archE1030ELNS1_3gpuE2ELNS1_3repE0EEENS1_30default_config_static_selectorELNS0_4arch9wavefront6targetE1EEEvT1_.has_dyn_sized_stack, 0
	.set _ZN7rocprim17ROCPRIM_400000_NS6detail17trampoline_kernelINS0_14default_configENS1_35adjacent_difference_config_selectorILb0EfEEZNS1_24adjacent_difference_implIS3_Lb0ELb0EPKfPfN6thrust23THRUST_200600_302600_NS4plusIfEEEE10hipError_tPvRmT2_T3_mT4_P12ihipStream_tbEUlT_E_NS1_11comp_targetILNS1_3genE8ELNS1_11target_archE1030ELNS1_3gpuE2ELNS1_3repE0EEENS1_30default_config_static_selectorELNS0_4arch9wavefront6targetE1EEEvT1_.has_recursion, 0
	.set _ZN7rocprim17ROCPRIM_400000_NS6detail17trampoline_kernelINS0_14default_configENS1_35adjacent_difference_config_selectorILb0EfEEZNS1_24adjacent_difference_implIS3_Lb0ELb0EPKfPfN6thrust23THRUST_200600_302600_NS4plusIfEEEE10hipError_tPvRmT2_T3_mT4_P12ihipStream_tbEUlT_E_NS1_11comp_targetILNS1_3genE8ELNS1_11target_archE1030ELNS1_3gpuE2ELNS1_3repE0EEENS1_30default_config_static_selectorELNS0_4arch9wavefront6targetE1EEEvT1_.has_indirect_call, 0
	.section	.AMDGPU.csdata,"",@progbits
; Kernel info:
; codeLenInByte = 0
; TotalNumSgprs: 4
; NumVgprs: 0
; ScratchSize: 0
; MemoryBound: 0
; FloatMode: 240
; IeeeMode: 1
; LDSByteSize: 0 bytes/workgroup (compile time only)
; SGPRBlocks: 0
; VGPRBlocks: 0
; NumSGPRsForWavesPerEU: 4
; NumVGPRsForWavesPerEU: 1
; Occupancy: 10
; WaveLimiterHint : 0
; COMPUTE_PGM_RSRC2:SCRATCH_EN: 0
; COMPUTE_PGM_RSRC2:USER_SGPR: 6
; COMPUTE_PGM_RSRC2:TRAP_HANDLER: 0
; COMPUTE_PGM_RSRC2:TGID_X_EN: 1
; COMPUTE_PGM_RSRC2:TGID_Y_EN: 0
; COMPUTE_PGM_RSRC2:TGID_Z_EN: 0
; COMPUTE_PGM_RSRC2:TIDIG_COMP_CNT: 0
	.section	.text._ZN7rocprim17ROCPRIM_400000_NS6detail17trampoline_kernelINS0_14default_configENS1_25transform_config_selectorIfLb0EEEZNS1_14transform_implILb0ES3_S5_NS0_18transform_iteratorINS0_17counting_iteratorImlEEZNS1_24adjacent_difference_implIS3_Lb1ELb0EPKfPfN6thrust23THRUST_200600_302600_NS4plusIfEEEE10hipError_tPvRmT2_T3_mT4_P12ihipStream_tbEUlmE_fEESD_NS0_8identityIvEEEESI_SL_SM_mSN_SP_bEUlT_E_NS1_11comp_targetILNS1_3genE0ELNS1_11target_archE4294967295ELNS1_3gpuE0ELNS1_3repE0EEENS1_30default_config_static_selectorELNS0_4arch9wavefront6targetE1EEEvT1_,"axG",@progbits,_ZN7rocprim17ROCPRIM_400000_NS6detail17trampoline_kernelINS0_14default_configENS1_25transform_config_selectorIfLb0EEEZNS1_14transform_implILb0ES3_S5_NS0_18transform_iteratorINS0_17counting_iteratorImlEEZNS1_24adjacent_difference_implIS3_Lb1ELb0EPKfPfN6thrust23THRUST_200600_302600_NS4plusIfEEEE10hipError_tPvRmT2_T3_mT4_P12ihipStream_tbEUlmE_fEESD_NS0_8identityIvEEEESI_SL_SM_mSN_SP_bEUlT_E_NS1_11comp_targetILNS1_3genE0ELNS1_11target_archE4294967295ELNS1_3gpuE0ELNS1_3repE0EEENS1_30default_config_static_selectorELNS0_4arch9wavefront6targetE1EEEvT1_,comdat
	.protected	_ZN7rocprim17ROCPRIM_400000_NS6detail17trampoline_kernelINS0_14default_configENS1_25transform_config_selectorIfLb0EEEZNS1_14transform_implILb0ES3_S5_NS0_18transform_iteratorINS0_17counting_iteratorImlEEZNS1_24adjacent_difference_implIS3_Lb1ELb0EPKfPfN6thrust23THRUST_200600_302600_NS4plusIfEEEE10hipError_tPvRmT2_T3_mT4_P12ihipStream_tbEUlmE_fEESD_NS0_8identityIvEEEESI_SL_SM_mSN_SP_bEUlT_E_NS1_11comp_targetILNS1_3genE0ELNS1_11target_archE4294967295ELNS1_3gpuE0ELNS1_3repE0EEENS1_30default_config_static_selectorELNS0_4arch9wavefront6targetE1EEEvT1_ ; -- Begin function _ZN7rocprim17ROCPRIM_400000_NS6detail17trampoline_kernelINS0_14default_configENS1_25transform_config_selectorIfLb0EEEZNS1_14transform_implILb0ES3_S5_NS0_18transform_iteratorINS0_17counting_iteratorImlEEZNS1_24adjacent_difference_implIS3_Lb1ELb0EPKfPfN6thrust23THRUST_200600_302600_NS4plusIfEEEE10hipError_tPvRmT2_T3_mT4_P12ihipStream_tbEUlmE_fEESD_NS0_8identityIvEEEESI_SL_SM_mSN_SP_bEUlT_E_NS1_11comp_targetILNS1_3genE0ELNS1_11target_archE4294967295ELNS1_3gpuE0ELNS1_3repE0EEENS1_30default_config_static_selectorELNS0_4arch9wavefront6targetE1EEEvT1_
	.globl	_ZN7rocprim17ROCPRIM_400000_NS6detail17trampoline_kernelINS0_14default_configENS1_25transform_config_selectorIfLb0EEEZNS1_14transform_implILb0ES3_S5_NS0_18transform_iteratorINS0_17counting_iteratorImlEEZNS1_24adjacent_difference_implIS3_Lb1ELb0EPKfPfN6thrust23THRUST_200600_302600_NS4plusIfEEEE10hipError_tPvRmT2_T3_mT4_P12ihipStream_tbEUlmE_fEESD_NS0_8identityIvEEEESI_SL_SM_mSN_SP_bEUlT_E_NS1_11comp_targetILNS1_3genE0ELNS1_11target_archE4294967295ELNS1_3gpuE0ELNS1_3repE0EEENS1_30default_config_static_selectorELNS0_4arch9wavefront6targetE1EEEvT1_
	.p2align	8
	.type	_ZN7rocprim17ROCPRIM_400000_NS6detail17trampoline_kernelINS0_14default_configENS1_25transform_config_selectorIfLb0EEEZNS1_14transform_implILb0ES3_S5_NS0_18transform_iteratorINS0_17counting_iteratorImlEEZNS1_24adjacent_difference_implIS3_Lb1ELb0EPKfPfN6thrust23THRUST_200600_302600_NS4plusIfEEEE10hipError_tPvRmT2_T3_mT4_P12ihipStream_tbEUlmE_fEESD_NS0_8identityIvEEEESI_SL_SM_mSN_SP_bEUlT_E_NS1_11comp_targetILNS1_3genE0ELNS1_11target_archE4294967295ELNS1_3gpuE0ELNS1_3repE0EEENS1_30default_config_static_selectorELNS0_4arch9wavefront6targetE1EEEvT1_,@function
_ZN7rocprim17ROCPRIM_400000_NS6detail17trampoline_kernelINS0_14default_configENS1_25transform_config_selectorIfLb0EEEZNS1_14transform_implILb0ES3_S5_NS0_18transform_iteratorINS0_17counting_iteratorImlEEZNS1_24adjacent_difference_implIS3_Lb1ELb0EPKfPfN6thrust23THRUST_200600_302600_NS4plusIfEEEE10hipError_tPvRmT2_T3_mT4_P12ihipStream_tbEUlmE_fEESD_NS0_8identityIvEEEESI_SL_SM_mSN_SP_bEUlT_E_NS1_11comp_targetILNS1_3genE0ELNS1_11target_archE4294967295ELNS1_3gpuE0ELNS1_3repE0EEENS1_30default_config_static_selectorELNS0_4arch9wavefront6targetE1EEEvT1_: ; @_ZN7rocprim17ROCPRIM_400000_NS6detail17trampoline_kernelINS0_14default_configENS1_25transform_config_selectorIfLb0EEEZNS1_14transform_implILb0ES3_S5_NS0_18transform_iteratorINS0_17counting_iteratorImlEEZNS1_24adjacent_difference_implIS3_Lb1ELb0EPKfPfN6thrust23THRUST_200600_302600_NS4plusIfEEEE10hipError_tPvRmT2_T3_mT4_P12ihipStream_tbEUlmE_fEESD_NS0_8identityIvEEEESI_SL_SM_mSN_SP_bEUlT_E_NS1_11comp_targetILNS1_3genE0ELNS1_11target_archE4294967295ELNS1_3gpuE0ELNS1_3repE0EEENS1_30default_config_static_selectorELNS0_4arch9wavefront6targetE1EEEvT1_
; %bb.0:
	.section	.rodata,"a",@progbits
	.p2align	6, 0x0
	.amdhsa_kernel _ZN7rocprim17ROCPRIM_400000_NS6detail17trampoline_kernelINS0_14default_configENS1_25transform_config_selectorIfLb0EEEZNS1_14transform_implILb0ES3_S5_NS0_18transform_iteratorINS0_17counting_iteratorImlEEZNS1_24adjacent_difference_implIS3_Lb1ELb0EPKfPfN6thrust23THRUST_200600_302600_NS4plusIfEEEE10hipError_tPvRmT2_T3_mT4_P12ihipStream_tbEUlmE_fEESD_NS0_8identityIvEEEESI_SL_SM_mSN_SP_bEUlT_E_NS1_11comp_targetILNS1_3genE0ELNS1_11target_archE4294967295ELNS1_3gpuE0ELNS1_3repE0EEENS1_30default_config_static_selectorELNS0_4arch9wavefront6targetE1EEEvT1_
		.amdhsa_group_segment_fixed_size 0
		.amdhsa_private_segment_fixed_size 0
		.amdhsa_kernarg_size 56
		.amdhsa_user_sgpr_count 6
		.amdhsa_user_sgpr_private_segment_buffer 1
		.amdhsa_user_sgpr_dispatch_ptr 0
		.amdhsa_user_sgpr_queue_ptr 0
		.amdhsa_user_sgpr_kernarg_segment_ptr 1
		.amdhsa_user_sgpr_dispatch_id 0
		.amdhsa_user_sgpr_flat_scratch_init 0
		.amdhsa_user_sgpr_private_segment_size 0
		.amdhsa_uses_dynamic_stack 0
		.amdhsa_system_sgpr_private_segment_wavefront_offset 0
		.amdhsa_system_sgpr_workgroup_id_x 1
		.amdhsa_system_sgpr_workgroup_id_y 0
		.amdhsa_system_sgpr_workgroup_id_z 0
		.amdhsa_system_sgpr_workgroup_info 0
		.amdhsa_system_vgpr_workitem_id 0
		.amdhsa_next_free_vgpr 1
		.amdhsa_next_free_sgpr 0
		.amdhsa_reserve_vcc 0
		.amdhsa_reserve_flat_scratch 0
		.amdhsa_float_round_mode_32 0
		.amdhsa_float_round_mode_16_64 0
		.amdhsa_float_denorm_mode_32 3
		.amdhsa_float_denorm_mode_16_64 3
		.amdhsa_dx10_clamp 1
		.amdhsa_ieee_mode 1
		.amdhsa_fp16_overflow 0
		.amdhsa_exception_fp_ieee_invalid_op 0
		.amdhsa_exception_fp_denorm_src 0
		.amdhsa_exception_fp_ieee_div_zero 0
		.amdhsa_exception_fp_ieee_overflow 0
		.amdhsa_exception_fp_ieee_underflow 0
		.amdhsa_exception_fp_ieee_inexact 0
		.amdhsa_exception_int_div_zero 0
	.end_amdhsa_kernel
	.section	.text._ZN7rocprim17ROCPRIM_400000_NS6detail17trampoline_kernelINS0_14default_configENS1_25transform_config_selectorIfLb0EEEZNS1_14transform_implILb0ES3_S5_NS0_18transform_iteratorINS0_17counting_iteratorImlEEZNS1_24adjacent_difference_implIS3_Lb1ELb0EPKfPfN6thrust23THRUST_200600_302600_NS4plusIfEEEE10hipError_tPvRmT2_T3_mT4_P12ihipStream_tbEUlmE_fEESD_NS0_8identityIvEEEESI_SL_SM_mSN_SP_bEUlT_E_NS1_11comp_targetILNS1_3genE0ELNS1_11target_archE4294967295ELNS1_3gpuE0ELNS1_3repE0EEENS1_30default_config_static_selectorELNS0_4arch9wavefront6targetE1EEEvT1_,"axG",@progbits,_ZN7rocprim17ROCPRIM_400000_NS6detail17trampoline_kernelINS0_14default_configENS1_25transform_config_selectorIfLb0EEEZNS1_14transform_implILb0ES3_S5_NS0_18transform_iteratorINS0_17counting_iteratorImlEEZNS1_24adjacent_difference_implIS3_Lb1ELb0EPKfPfN6thrust23THRUST_200600_302600_NS4plusIfEEEE10hipError_tPvRmT2_T3_mT4_P12ihipStream_tbEUlmE_fEESD_NS0_8identityIvEEEESI_SL_SM_mSN_SP_bEUlT_E_NS1_11comp_targetILNS1_3genE0ELNS1_11target_archE4294967295ELNS1_3gpuE0ELNS1_3repE0EEENS1_30default_config_static_selectorELNS0_4arch9wavefront6targetE1EEEvT1_,comdat
.Lfunc_end606:
	.size	_ZN7rocprim17ROCPRIM_400000_NS6detail17trampoline_kernelINS0_14default_configENS1_25transform_config_selectorIfLb0EEEZNS1_14transform_implILb0ES3_S5_NS0_18transform_iteratorINS0_17counting_iteratorImlEEZNS1_24adjacent_difference_implIS3_Lb1ELb0EPKfPfN6thrust23THRUST_200600_302600_NS4plusIfEEEE10hipError_tPvRmT2_T3_mT4_P12ihipStream_tbEUlmE_fEESD_NS0_8identityIvEEEESI_SL_SM_mSN_SP_bEUlT_E_NS1_11comp_targetILNS1_3genE0ELNS1_11target_archE4294967295ELNS1_3gpuE0ELNS1_3repE0EEENS1_30default_config_static_selectorELNS0_4arch9wavefront6targetE1EEEvT1_, .Lfunc_end606-_ZN7rocprim17ROCPRIM_400000_NS6detail17trampoline_kernelINS0_14default_configENS1_25transform_config_selectorIfLb0EEEZNS1_14transform_implILb0ES3_S5_NS0_18transform_iteratorINS0_17counting_iteratorImlEEZNS1_24adjacent_difference_implIS3_Lb1ELb0EPKfPfN6thrust23THRUST_200600_302600_NS4plusIfEEEE10hipError_tPvRmT2_T3_mT4_P12ihipStream_tbEUlmE_fEESD_NS0_8identityIvEEEESI_SL_SM_mSN_SP_bEUlT_E_NS1_11comp_targetILNS1_3genE0ELNS1_11target_archE4294967295ELNS1_3gpuE0ELNS1_3repE0EEENS1_30default_config_static_selectorELNS0_4arch9wavefront6targetE1EEEvT1_
                                        ; -- End function
	.set _ZN7rocprim17ROCPRIM_400000_NS6detail17trampoline_kernelINS0_14default_configENS1_25transform_config_selectorIfLb0EEEZNS1_14transform_implILb0ES3_S5_NS0_18transform_iteratorINS0_17counting_iteratorImlEEZNS1_24adjacent_difference_implIS3_Lb1ELb0EPKfPfN6thrust23THRUST_200600_302600_NS4plusIfEEEE10hipError_tPvRmT2_T3_mT4_P12ihipStream_tbEUlmE_fEESD_NS0_8identityIvEEEESI_SL_SM_mSN_SP_bEUlT_E_NS1_11comp_targetILNS1_3genE0ELNS1_11target_archE4294967295ELNS1_3gpuE0ELNS1_3repE0EEENS1_30default_config_static_selectorELNS0_4arch9wavefront6targetE1EEEvT1_.num_vgpr, 0
	.set _ZN7rocprim17ROCPRIM_400000_NS6detail17trampoline_kernelINS0_14default_configENS1_25transform_config_selectorIfLb0EEEZNS1_14transform_implILb0ES3_S5_NS0_18transform_iteratorINS0_17counting_iteratorImlEEZNS1_24adjacent_difference_implIS3_Lb1ELb0EPKfPfN6thrust23THRUST_200600_302600_NS4plusIfEEEE10hipError_tPvRmT2_T3_mT4_P12ihipStream_tbEUlmE_fEESD_NS0_8identityIvEEEESI_SL_SM_mSN_SP_bEUlT_E_NS1_11comp_targetILNS1_3genE0ELNS1_11target_archE4294967295ELNS1_3gpuE0ELNS1_3repE0EEENS1_30default_config_static_selectorELNS0_4arch9wavefront6targetE1EEEvT1_.num_agpr, 0
	.set _ZN7rocprim17ROCPRIM_400000_NS6detail17trampoline_kernelINS0_14default_configENS1_25transform_config_selectorIfLb0EEEZNS1_14transform_implILb0ES3_S5_NS0_18transform_iteratorINS0_17counting_iteratorImlEEZNS1_24adjacent_difference_implIS3_Lb1ELb0EPKfPfN6thrust23THRUST_200600_302600_NS4plusIfEEEE10hipError_tPvRmT2_T3_mT4_P12ihipStream_tbEUlmE_fEESD_NS0_8identityIvEEEESI_SL_SM_mSN_SP_bEUlT_E_NS1_11comp_targetILNS1_3genE0ELNS1_11target_archE4294967295ELNS1_3gpuE0ELNS1_3repE0EEENS1_30default_config_static_selectorELNS0_4arch9wavefront6targetE1EEEvT1_.numbered_sgpr, 0
	.set _ZN7rocprim17ROCPRIM_400000_NS6detail17trampoline_kernelINS0_14default_configENS1_25transform_config_selectorIfLb0EEEZNS1_14transform_implILb0ES3_S5_NS0_18transform_iteratorINS0_17counting_iteratorImlEEZNS1_24adjacent_difference_implIS3_Lb1ELb0EPKfPfN6thrust23THRUST_200600_302600_NS4plusIfEEEE10hipError_tPvRmT2_T3_mT4_P12ihipStream_tbEUlmE_fEESD_NS0_8identityIvEEEESI_SL_SM_mSN_SP_bEUlT_E_NS1_11comp_targetILNS1_3genE0ELNS1_11target_archE4294967295ELNS1_3gpuE0ELNS1_3repE0EEENS1_30default_config_static_selectorELNS0_4arch9wavefront6targetE1EEEvT1_.num_named_barrier, 0
	.set _ZN7rocprim17ROCPRIM_400000_NS6detail17trampoline_kernelINS0_14default_configENS1_25transform_config_selectorIfLb0EEEZNS1_14transform_implILb0ES3_S5_NS0_18transform_iteratorINS0_17counting_iteratorImlEEZNS1_24adjacent_difference_implIS3_Lb1ELb0EPKfPfN6thrust23THRUST_200600_302600_NS4plusIfEEEE10hipError_tPvRmT2_T3_mT4_P12ihipStream_tbEUlmE_fEESD_NS0_8identityIvEEEESI_SL_SM_mSN_SP_bEUlT_E_NS1_11comp_targetILNS1_3genE0ELNS1_11target_archE4294967295ELNS1_3gpuE0ELNS1_3repE0EEENS1_30default_config_static_selectorELNS0_4arch9wavefront6targetE1EEEvT1_.private_seg_size, 0
	.set _ZN7rocprim17ROCPRIM_400000_NS6detail17trampoline_kernelINS0_14default_configENS1_25transform_config_selectorIfLb0EEEZNS1_14transform_implILb0ES3_S5_NS0_18transform_iteratorINS0_17counting_iteratorImlEEZNS1_24adjacent_difference_implIS3_Lb1ELb0EPKfPfN6thrust23THRUST_200600_302600_NS4plusIfEEEE10hipError_tPvRmT2_T3_mT4_P12ihipStream_tbEUlmE_fEESD_NS0_8identityIvEEEESI_SL_SM_mSN_SP_bEUlT_E_NS1_11comp_targetILNS1_3genE0ELNS1_11target_archE4294967295ELNS1_3gpuE0ELNS1_3repE0EEENS1_30default_config_static_selectorELNS0_4arch9wavefront6targetE1EEEvT1_.uses_vcc, 0
	.set _ZN7rocprim17ROCPRIM_400000_NS6detail17trampoline_kernelINS0_14default_configENS1_25transform_config_selectorIfLb0EEEZNS1_14transform_implILb0ES3_S5_NS0_18transform_iteratorINS0_17counting_iteratorImlEEZNS1_24adjacent_difference_implIS3_Lb1ELb0EPKfPfN6thrust23THRUST_200600_302600_NS4plusIfEEEE10hipError_tPvRmT2_T3_mT4_P12ihipStream_tbEUlmE_fEESD_NS0_8identityIvEEEESI_SL_SM_mSN_SP_bEUlT_E_NS1_11comp_targetILNS1_3genE0ELNS1_11target_archE4294967295ELNS1_3gpuE0ELNS1_3repE0EEENS1_30default_config_static_selectorELNS0_4arch9wavefront6targetE1EEEvT1_.uses_flat_scratch, 0
	.set _ZN7rocprim17ROCPRIM_400000_NS6detail17trampoline_kernelINS0_14default_configENS1_25transform_config_selectorIfLb0EEEZNS1_14transform_implILb0ES3_S5_NS0_18transform_iteratorINS0_17counting_iteratorImlEEZNS1_24adjacent_difference_implIS3_Lb1ELb0EPKfPfN6thrust23THRUST_200600_302600_NS4plusIfEEEE10hipError_tPvRmT2_T3_mT4_P12ihipStream_tbEUlmE_fEESD_NS0_8identityIvEEEESI_SL_SM_mSN_SP_bEUlT_E_NS1_11comp_targetILNS1_3genE0ELNS1_11target_archE4294967295ELNS1_3gpuE0ELNS1_3repE0EEENS1_30default_config_static_selectorELNS0_4arch9wavefront6targetE1EEEvT1_.has_dyn_sized_stack, 0
	.set _ZN7rocprim17ROCPRIM_400000_NS6detail17trampoline_kernelINS0_14default_configENS1_25transform_config_selectorIfLb0EEEZNS1_14transform_implILb0ES3_S5_NS0_18transform_iteratorINS0_17counting_iteratorImlEEZNS1_24adjacent_difference_implIS3_Lb1ELb0EPKfPfN6thrust23THRUST_200600_302600_NS4plusIfEEEE10hipError_tPvRmT2_T3_mT4_P12ihipStream_tbEUlmE_fEESD_NS0_8identityIvEEEESI_SL_SM_mSN_SP_bEUlT_E_NS1_11comp_targetILNS1_3genE0ELNS1_11target_archE4294967295ELNS1_3gpuE0ELNS1_3repE0EEENS1_30default_config_static_selectorELNS0_4arch9wavefront6targetE1EEEvT1_.has_recursion, 0
	.set _ZN7rocprim17ROCPRIM_400000_NS6detail17trampoline_kernelINS0_14default_configENS1_25transform_config_selectorIfLb0EEEZNS1_14transform_implILb0ES3_S5_NS0_18transform_iteratorINS0_17counting_iteratorImlEEZNS1_24adjacent_difference_implIS3_Lb1ELb0EPKfPfN6thrust23THRUST_200600_302600_NS4plusIfEEEE10hipError_tPvRmT2_T3_mT4_P12ihipStream_tbEUlmE_fEESD_NS0_8identityIvEEEESI_SL_SM_mSN_SP_bEUlT_E_NS1_11comp_targetILNS1_3genE0ELNS1_11target_archE4294967295ELNS1_3gpuE0ELNS1_3repE0EEENS1_30default_config_static_selectorELNS0_4arch9wavefront6targetE1EEEvT1_.has_indirect_call, 0
	.section	.AMDGPU.csdata,"",@progbits
; Kernel info:
; codeLenInByte = 0
; TotalNumSgprs: 4
; NumVgprs: 0
; ScratchSize: 0
; MemoryBound: 0
; FloatMode: 240
; IeeeMode: 1
; LDSByteSize: 0 bytes/workgroup (compile time only)
; SGPRBlocks: 0
; VGPRBlocks: 0
; NumSGPRsForWavesPerEU: 4
; NumVGPRsForWavesPerEU: 1
; Occupancy: 10
; WaveLimiterHint : 0
; COMPUTE_PGM_RSRC2:SCRATCH_EN: 0
; COMPUTE_PGM_RSRC2:USER_SGPR: 6
; COMPUTE_PGM_RSRC2:TRAP_HANDLER: 0
; COMPUTE_PGM_RSRC2:TGID_X_EN: 1
; COMPUTE_PGM_RSRC2:TGID_Y_EN: 0
; COMPUTE_PGM_RSRC2:TGID_Z_EN: 0
; COMPUTE_PGM_RSRC2:TIDIG_COMP_CNT: 0
	.section	.text._ZN7rocprim17ROCPRIM_400000_NS6detail17trampoline_kernelINS0_14default_configENS1_25transform_config_selectorIfLb0EEEZNS1_14transform_implILb0ES3_S5_NS0_18transform_iteratorINS0_17counting_iteratorImlEEZNS1_24adjacent_difference_implIS3_Lb1ELb0EPKfPfN6thrust23THRUST_200600_302600_NS4plusIfEEEE10hipError_tPvRmT2_T3_mT4_P12ihipStream_tbEUlmE_fEESD_NS0_8identityIvEEEESI_SL_SM_mSN_SP_bEUlT_E_NS1_11comp_targetILNS1_3genE5ELNS1_11target_archE942ELNS1_3gpuE9ELNS1_3repE0EEENS1_30default_config_static_selectorELNS0_4arch9wavefront6targetE1EEEvT1_,"axG",@progbits,_ZN7rocprim17ROCPRIM_400000_NS6detail17trampoline_kernelINS0_14default_configENS1_25transform_config_selectorIfLb0EEEZNS1_14transform_implILb0ES3_S5_NS0_18transform_iteratorINS0_17counting_iteratorImlEEZNS1_24adjacent_difference_implIS3_Lb1ELb0EPKfPfN6thrust23THRUST_200600_302600_NS4plusIfEEEE10hipError_tPvRmT2_T3_mT4_P12ihipStream_tbEUlmE_fEESD_NS0_8identityIvEEEESI_SL_SM_mSN_SP_bEUlT_E_NS1_11comp_targetILNS1_3genE5ELNS1_11target_archE942ELNS1_3gpuE9ELNS1_3repE0EEENS1_30default_config_static_selectorELNS0_4arch9wavefront6targetE1EEEvT1_,comdat
	.protected	_ZN7rocprim17ROCPRIM_400000_NS6detail17trampoline_kernelINS0_14default_configENS1_25transform_config_selectorIfLb0EEEZNS1_14transform_implILb0ES3_S5_NS0_18transform_iteratorINS0_17counting_iteratorImlEEZNS1_24adjacent_difference_implIS3_Lb1ELb0EPKfPfN6thrust23THRUST_200600_302600_NS4plusIfEEEE10hipError_tPvRmT2_T3_mT4_P12ihipStream_tbEUlmE_fEESD_NS0_8identityIvEEEESI_SL_SM_mSN_SP_bEUlT_E_NS1_11comp_targetILNS1_3genE5ELNS1_11target_archE942ELNS1_3gpuE9ELNS1_3repE0EEENS1_30default_config_static_selectorELNS0_4arch9wavefront6targetE1EEEvT1_ ; -- Begin function _ZN7rocprim17ROCPRIM_400000_NS6detail17trampoline_kernelINS0_14default_configENS1_25transform_config_selectorIfLb0EEEZNS1_14transform_implILb0ES3_S5_NS0_18transform_iteratorINS0_17counting_iteratorImlEEZNS1_24adjacent_difference_implIS3_Lb1ELb0EPKfPfN6thrust23THRUST_200600_302600_NS4plusIfEEEE10hipError_tPvRmT2_T3_mT4_P12ihipStream_tbEUlmE_fEESD_NS0_8identityIvEEEESI_SL_SM_mSN_SP_bEUlT_E_NS1_11comp_targetILNS1_3genE5ELNS1_11target_archE942ELNS1_3gpuE9ELNS1_3repE0EEENS1_30default_config_static_selectorELNS0_4arch9wavefront6targetE1EEEvT1_
	.globl	_ZN7rocprim17ROCPRIM_400000_NS6detail17trampoline_kernelINS0_14default_configENS1_25transform_config_selectorIfLb0EEEZNS1_14transform_implILb0ES3_S5_NS0_18transform_iteratorINS0_17counting_iteratorImlEEZNS1_24adjacent_difference_implIS3_Lb1ELb0EPKfPfN6thrust23THRUST_200600_302600_NS4plusIfEEEE10hipError_tPvRmT2_T3_mT4_P12ihipStream_tbEUlmE_fEESD_NS0_8identityIvEEEESI_SL_SM_mSN_SP_bEUlT_E_NS1_11comp_targetILNS1_3genE5ELNS1_11target_archE942ELNS1_3gpuE9ELNS1_3repE0EEENS1_30default_config_static_selectorELNS0_4arch9wavefront6targetE1EEEvT1_
	.p2align	8
	.type	_ZN7rocprim17ROCPRIM_400000_NS6detail17trampoline_kernelINS0_14default_configENS1_25transform_config_selectorIfLb0EEEZNS1_14transform_implILb0ES3_S5_NS0_18transform_iteratorINS0_17counting_iteratorImlEEZNS1_24adjacent_difference_implIS3_Lb1ELb0EPKfPfN6thrust23THRUST_200600_302600_NS4plusIfEEEE10hipError_tPvRmT2_T3_mT4_P12ihipStream_tbEUlmE_fEESD_NS0_8identityIvEEEESI_SL_SM_mSN_SP_bEUlT_E_NS1_11comp_targetILNS1_3genE5ELNS1_11target_archE942ELNS1_3gpuE9ELNS1_3repE0EEENS1_30default_config_static_selectorELNS0_4arch9wavefront6targetE1EEEvT1_,@function
_ZN7rocprim17ROCPRIM_400000_NS6detail17trampoline_kernelINS0_14default_configENS1_25transform_config_selectorIfLb0EEEZNS1_14transform_implILb0ES3_S5_NS0_18transform_iteratorINS0_17counting_iteratorImlEEZNS1_24adjacent_difference_implIS3_Lb1ELb0EPKfPfN6thrust23THRUST_200600_302600_NS4plusIfEEEE10hipError_tPvRmT2_T3_mT4_P12ihipStream_tbEUlmE_fEESD_NS0_8identityIvEEEESI_SL_SM_mSN_SP_bEUlT_E_NS1_11comp_targetILNS1_3genE5ELNS1_11target_archE942ELNS1_3gpuE9ELNS1_3repE0EEENS1_30default_config_static_selectorELNS0_4arch9wavefront6targetE1EEEvT1_: ; @_ZN7rocprim17ROCPRIM_400000_NS6detail17trampoline_kernelINS0_14default_configENS1_25transform_config_selectorIfLb0EEEZNS1_14transform_implILb0ES3_S5_NS0_18transform_iteratorINS0_17counting_iteratorImlEEZNS1_24adjacent_difference_implIS3_Lb1ELb0EPKfPfN6thrust23THRUST_200600_302600_NS4plusIfEEEE10hipError_tPvRmT2_T3_mT4_P12ihipStream_tbEUlmE_fEESD_NS0_8identityIvEEEESI_SL_SM_mSN_SP_bEUlT_E_NS1_11comp_targetILNS1_3genE5ELNS1_11target_archE942ELNS1_3gpuE9ELNS1_3repE0EEENS1_30default_config_static_selectorELNS0_4arch9wavefront6targetE1EEEvT1_
; %bb.0:
	.section	.rodata,"a",@progbits
	.p2align	6, 0x0
	.amdhsa_kernel _ZN7rocprim17ROCPRIM_400000_NS6detail17trampoline_kernelINS0_14default_configENS1_25transform_config_selectorIfLb0EEEZNS1_14transform_implILb0ES3_S5_NS0_18transform_iteratorINS0_17counting_iteratorImlEEZNS1_24adjacent_difference_implIS3_Lb1ELb0EPKfPfN6thrust23THRUST_200600_302600_NS4plusIfEEEE10hipError_tPvRmT2_T3_mT4_P12ihipStream_tbEUlmE_fEESD_NS0_8identityIvEEEESI_SL_SM_mSN_SP_bEUlT_E_NS1_11comp_targetILNS1_3genE5ELNS1_11target_archE942ELNS1_3gpuE9ELNS1_3repE0EEENS1_30default_config_static_selectorELNS0_4arch9wavefront6targetE1EEEvT1_
		.amdhsa_group_segment_fixed_size 0
		.amdhsa_private_segment_fixed_size 0
		.amdhsa_kernarg_size 56
		.amdhsa_user_sgpr_count 6
		.amdhsa_user_sgpr_private_segment_buffer 1
		.amdhsa_user_sgpr_dispatch_ptr 0
		.amdhsa_user_sgpr_queue_ptr 0
		.amdhsa_user_sgpr_kernarg_segment_ptr 1
		.amdhsa_user_sgpr_dispatch_id 0
		.amdhsa_user_sgpr_flat_scratch_init 0
		.amdhsa_user_sgpr_private_segment_size 0
		.amdhsa_uses_dynamic_stack 0
		.amdhsa_system_sgpr_private_segment_wavefront_offset 0
		.amdhsa_system_sgpr_workgroup_id_x 1
		.amdhsa_system_sgpr_workgroup_id_y 0
		.amdhsa_system_sgpr_workgroup_id_z 0
		.amdhsa_system_sgpr_workgroup_info 0
		.amdhsa_system_vgpr_workitem_id 0
		.amdhsa_next_free_vgpr 1
		.amdhsa_next_free_sgpr 0
		.amdhsa_reserve_vcc 0
		.amdhsa_reserve_flat_scratch 0
		.amdhsa_float_round_mode_32 0
		.amdhsa_float_round_mode_16_64 0
		.amdhsa_float_denorm_mode_32 3
		.amdhsa_float_denorm_mode_16_64 3
		.amdhsa_dx10_clamp 1
		.amdhsa_ieee_mode 1
		.amdhsa_fp16_overflow 0
		.amdhsa_exception_fp_ieee_invalid_op 0
		.amdhsa_exception_fp_denorm_src 0
		.amdhsa_exception_fp_ieee_div_zero 0
		.amdhsa_exception_fp_ieee_overflow 0
		.amdhsa_exception_fp_ieee_underflow 0
		.amdhsa_exception_fp_ieee_inexact 0
		.amdhsa_exception_int_div_zero 0
	.end_amdhsa_kernel
	.section	.text._ZN7rocprim17ROCPRIM_400000_NS6detail17trampoline_kernelINS0_14default_configENS1_25transform_config_selectorIfLb0EEEZNS1_14transform_implILb0ES3_S5_NS0_18transform_iteratorINS0_17counting_iteratorImlEEZNS1_24adjacent_difference_implIS3_Lb1ELb0EPKfPfN6thrust23THRUST_200600_302600_NS4plusIfEEEE10hipError_tPvRmT2_T3_mT4_P12ihipStream_tbEUlmE_fEESD_NS0_8identityIvEEEESI_SL_SM_mSN_SP_bEUlT_E_NS1_11comp_targetILNS1_3genE5ELNS1_11target_archE942ELNS1_3gpuE9ELNS1_3repE0EEENS1_30default_config_static_selectorELNS0_4arch9wavefront6targetE1EEEvT1_,"axG",@progbits,_ZN7rocprim17ROCPRIM_400000_NS6detail17trampoline_kernelINS0_14default_configENS1_25transform_config_selectorIfLb0EEEZNS1_14transform_implILb0ES3_S5_NS0_18transform_iteratorINS0_17counting_iteratorImlEEZNS1_24adjacent_difference_implIS3_Lb1ELb0EPKfPfN6thrust23THRUST_200600_302600_NS4plusIfEEEE10hipError_tPvRmT2_T3_mT4_P12ihipStream_tbEUlmE_fEESD_NS0_8identityIvEEEESI_SL_SM_mSN_SP_bEUlT_E_NS1_11comp_targetILNS1_3genE5ELNS1_11target_archE942ELNS1_3gpuE9ELNS1_3repE0EEENS1_30default_config_static_selectorELNS0_4arch9wavefront6targetE1EEEvT1_,comdat
.Lfunc_end607:
	.size	_ZN7rocprim17ROCPRIM_400000_NS6detail17trampoline_kernelINS0_14default_configENS1_25transform_config_selectorIfLb0EEEZNS1_14transform_implILb0ES3_S5_NS0_18transform_iteratorINS0_17counting_iteratorImlEEZNS1_24adjacent_difference_implIS3_Lb1ELb0EPKfPfN6thrust23THRUST_200600_302600_NS4plusIfEEEE10hipError_tPvRmT2_T3_mT4_P12ihipStream_tbEUlmE_fEESD_NS0_8identityIvEEEESI_SL_SM_mSN_SP_bEUlT_E_NS1_11comp_targetILNS1_3genE5ELNS1_11target_archE942ELNS1_3gpuE9ELNS1_3repE0EEENS1_30default_config_static_selectorELNS0_4arch9wavefront6targetE1EEEvT1_, .Lfunc_end607-_ZN7rocprim17ROCPRIM_400000_NS6detail17trampoline_kernelINS0_14default_configENS1_25transform_config_selectorIfLb0EEEZNS1_14transform_implILb0ES3_S5_NS0_18transform_iteratorINS0_17counting_iteratorImlEEZNS1_24adjacent_difference_implIS3_Lb1ELb0EPKfPfN6thrust23THRUST_200600_302600_NS4plusIfEEEE10hipError_tPvRmT2_T3_mT4_P12ihipStream_tbEUlmE_fEESD_NS0_8identityIvEEEESI_SL_SM_mSN_SP_bEUlT_E_NS1_11comp_targetILNS1_3genE5ELNS1_11target_archE942ELNS1_3gpuE9ELNS1_3repE0EEENS1_30default_config_static_selectorELNS0_4arch9wavefront6targetE1EEEvT1_
                                        ; -- End function
	.set _ZN7rocprim17ROCPRIM_400000_NS6detail17trampoline_kernelINS0_14default_configENS1_25transform_config_selectorIfLb0EEEZNS1_14transform_implILb0ES3_S5_NS0_18transform_iteratorINS0_17counting_iteratorImlEEZNS1_24adjacent_difference_implIS3_Lb1ELb0EPKfPfN6thrust23THRUST_200600_302600_NS4plusIfEEEE10hipError_tPvRmT2_T3_mT4_P12ihipStream_tbEUlmE_fEESD_NS0_8identityIvEEEESI_SL_SM_mSN_SP_bEUlT_E_NS1_11comp_targetILNS1_3genE5ELNS1_11target_archE942ELNS1_3gpuE9ELNS1_3repE0EEENS1_30default_config_static_selectorELNS0_4arch9wavefront6targetE1EEEvT1_.num_vgpr, 0
	.set _ZN7rocprim17ROCPRIM_400000_NS6detail17trampoline_kernelINS0_14default_configENS1_25transform_config_selectorIfLb0EEEZNS1_14transform_implILb0ES3_S5_NS0_18transform_iteratorINS0_17counting_iteratorImlEEZNS1_24adjacent_difference_implIS3_Lb1ELb0EPKfPfN6thrust23THRUST_200600_302600_NS4plusIfEEEE10hipError_tPvRmT2_T3_mT4_P12ihipStream_tbEUlmE_fEESD_NS0_8identityIvEEEESI_SL_SM_mSN_SP_bEUlT_E_NS1_11comp_targetILNS1_3genE5ELNS1_11target_archE942ELNS1_3gpuE9ELNS1_3repE0EEENS1_30default_config_static_selectorELNS0_4arch9wavefront6targetE1EEEvT1_.num_agpr, 0
	.set _ZN7rocprim17ROCPRIM_400000_NS6detail17trampoline_kernelINS0_14default_configENS1_25transform_config_selectorIfLb0EEEZNS1_14transform_implILb0ES3_S5_NS0_18transform_iteratorINS0_17counting_iteratorImlEEZNS1_24adjacent_difference_implIS3_Lb1ELb0EPKfPfN6thrust23THRUST_200600_302600_NS4plusIfEEEE10hipError_tPvRmT2_T3_mT4_P12ihipStream_tbEUlmE_fEESD_NS0_8identityIvEEEESI_SL_SM_mSN_SP_bEUlT_E_NS1_11comp_targetILNS1_3genE5ELNS1_11target_archE942ELNS1_3gpuE9ELNS1_3repE0EEENS1_30default_config_static_selectorELNS0_4arch9wavefront6targetE1EEEvT1_.numbered_sgpr, 0
	.set _ZN7rocprim17ROCPRIM_400000_NS6detail17trampoline_kernelINS0_14default_configENS1_25transform_config_selectorIfLb0EEEZNS1_14transform_implILb0ES3_S5_NS0_18transform_iteratorINS0_17counting_iteratorImlEEZNS1_24adjacent_difference_implIS3_Lb1ELb0EPKfPfN6thrust23THRUST_200600_302600_NS4plusIfEEEE10hipError_tPvRmT2_T3_mT4_P12ihipStream_tbEUlmE_fEESD_NS0_8identityIvEEEESI_SL_SM_mSN_SP_bEUlT_E_NS1_11comp_targetILNS1_3genE5ELNS1_11target_archE942ELNS1_3gpuE9ELNS1_3repE0EEENS1_30default_config_static_selectorELNS0_4arch9wavefront6targetE1EEEvT1_.num_named_barrier, 0
	.set _ZN7rocprim17ROCPRIM_400000_NS6detail17trampoline_kernelINS0_14default_configENS1_25transform_config_selectorIfLb0EEEZNS1_14transform_implILb0ES3_S5_NS0_18transform_iteratorINS0_17counting_iteratorImlEEZNS1_24adjacent_difference_implIS3_Lb1ELb0EPKfPfN6thrust23THRUST_200600_302600_NS4plusIfEEEE10hipError_tPvRmT2_T3_mT4_P12ihipStream_tbEUlmE_fEESD_NS0_8identityIvEEEESI_SL_SM_mSN_SP_bEUlT_E_NS1_11comp_targetILNS1_3genE5ELNS1_11target_archE942ELNS1_3gpuE9ELNS1_3repE0EEENS1_30default_config_static_selectorELNS0_4arch9wavefront6targetE1EEEvT1_.private_seg_size, 0
	.set _ZN7rocprim17ROCPRIM_400000_NS6detail17trampoline_kernelINS0_14default_configENS1_25transform_config_selectorIfLb0EEEZNS1_14transform_implILb0ES3_S5_NS0_18transform_iteratorINS0_17counting_iteratorImlEEZNS1_24adjacent_difference_implIS3_Lb1ELb0EPKfPfN6thrust23THRUST_200600_302600_NS4plusIfEEEE10hipError_tPvRmT2_T3_mT4_P12ihipStream_tbEUlmE_fEESD_NS0_8identityIvEEEESI_SL_SM_mSN_SP_bEUlT_E_NS1_11comp_targetILNS1_3genE5ELNS1_11target_archE942ELNS1_3gpuE9ELNS1_3repE0EEENS1_30default_config_static_selectorELNS0_4arch9wavefront6targetE1EEEvT1_.uses_vcc, 0
	.set _ZN7rocprim17ROCPRIM_400000_NS6detail17trampoline_kernelINS0_14default_configENS1_25transform_config_selectorIfLb0EEEZNS1_14transform_implILb0ES3_S5_NS0_18transform_iteratorINS0_17counting_iteratorImlEEZNS1_24adjacent_difference_implIS3_Lb1ELb0EPKfPfN6thrust23THRUST_200600_302600_NS4plusIfEEEE10hipError_tPvRmT2_T3_mT4_P12ihipStream_tbEUlmE_fEESD_NS0_8identityIvEEEESI_SL_SM_mSN_SP_bEUlT_E_NS1_11comp_targetILNS1_3genE5ELNS1_11target_archE942ELNS1_3gpuE9ELNS1_3repE0EEENS1_30default_config_static_selectorELNS0_4arch9wavefront6targetE1EEEvT1_.uses_flat_scratch, 0
	.set _ZN7rocprim17ROCPRIM_400000_NS6detail17trampoline_kernelINS0_14default_configENS1_25transform_config_selectorIfLb0EEEZNS1_14transform_implILb0ES3_S5_NS0_18transform_iteratorINS0_17counting_iteratorImlEEZNS1_24adjacent_difference_implIS3_Lb1ELb0EPKfPfN6thrust23THRUST_200600_302600_NS4plusIfEEEE10hipError_tPvRmT2_T3_mT4_P12ihipStream_tbEUlmE_fEESD_NS0_8identityIvEEEESI_SL_SM_mSN_SP_bEUlT_E_NS1_11comp_targetILNS1_3genE5ELNS1_11target_archE942ELNS1_3gpuE9ELNS1_3repE0EEENS1_30default_config_static_selectorELNS0_4arch9wavefront6targetE1EEEvT1_.has_dyn_sized_stack, 0
	.set _ZN7rocprim17ROCPRIM_400000_NS6detail17trampoline_kernelINS0_14default_configENS1_25transform_config_selectorIfLb0EEEZNS1_14transform_implILb0ES3_S5_NS0_18transform_iteratorINS0_17counting_iteratorImlEEZNS1_24adjacent_difference_implIS3_Lb1ELb0EPKfPfN6thrust23THRUST_200600_302600_NS4plusIfEEEE10hipError_tPvRmT2_T3_mT4_P12ihipStream_tbEUlmE_fEESD_NS0_8identityIvEEEESI_SL_SM_mSN_SP_bEUlT_E_NS1_11comp_targetILNS1_3genE5ELNS1_11target_archE942ELNS1_3gpuE9ELNS1_3repE0EEENS1_30default_config_static_selectorELNS0_4arch9wavefront6targetE1EEEvT1_.has_recursion, 0
	.set _ZN7rocprim17ROCPRIM_400000_NS6detail17trampoline_kernelINS0_14default_configENS1_25transform_config_selectorIfLb0EEEZNS1_14transform_implILb0ES3_S5_NS0_18transform_iteratorINS0_17counting_iteratorImlEEZNS1_24adjacent_difference_implIS3_Lb1ELb0EPKfPfN6thrust23THRUST_200600_302600_NS4plusIfEEEE10hipError_tPvRmT2_T3_mT4_P12ihipStream_tbEUlmE_fEESD_NS0_8identityIvEEEESI_SL_SM_mSN_SP_bEUlT_E_NS1_11comp_targetILNS1_3genE5ELNS1_11target_archE942ELNS1_3gpuE9ELNS1_3repE0EEENS1_30default_config_static_selectorELNS0_4arch9wavefront6targetE1EEEvT1_.has_indirect_call, 0
	.section	.AMDGPU.csdata,"",@progbits
; Kernel info:
; codeLenInByte = 0
; TotalNumSgprs: 4
; NumVgprs: 0
; ScratchSize: 0
; MemoryBound: 0
; FloatMode: 240
; IeeeMode: 1
; LDSByteSize: 0 bytes/workgroup (compile time only)
; SGPRBlocks: 0
; VGPRBlocks: 0
; NumSGPRsForWavesPerEU: 4
; NumVGPRsForWavesPerEU: 1
; Occupancy: 10
; WaveLimiterHint : 0
; COMPUTE_PGM_RSRC2:SCRATCH_EN: 0
; COMPUTE_PGM_RSRC2:USER_SGPR: 6
; COMPUTE_PGM_RSRC2:TRAP_HANDLER: 0
; COMPUTE_PGM_RSRC2:TGID_X_EN: 1
; COMPUTE_PGM_RSRC2:TGID_Y_EN: 0
; COMPUTE_PGM_RSRC2:TGID_Z_EN: 0
; COMPUTE_PGM_RSRC2:TIDIG_COMP_CNT: 0
	.section	.text._ZN7rocprim17ROCPRIM_400000_NS6detail17trampoline_kernelINS0_14default_configENS1_25transform_config_selectorIfLb0EEEZNS1_14transform_implILb0ES3_S5_NS0_18transform_iteratorINS0_17counting_iteratorImlEEZNS1_24adjacent_difference_implIS3_Lb1ELb0EPKfPfN6thrust23THRUST_200600_302600_NS4plusIfEEEE10hipError_tPvRmT2_T3_mT4_P12ihipStream_tbEUlmE_fEESD_NS0_8identityIvEEEESI_SL_SM_mSN_SP_bEUlT_E_NS1_11comp_targetILNS1_3genE4ELNS1_11target_archE910ELNS1_3gpuE8ELNS1_3repE0EEENS1_30default_config_static_selectorELNS0_4arch9wavefront6targetE1EEEvT1_,"axG",@progbits,_ZN7rocprim17ROCPRIM_400000_NS6detail17trampoline_kernelINS0_14default_configENS1_25transform_config_selectorIfLb0EEEZNS1_14transform_implILb0ES3_S5_NS0_18transform_iteratorINS0_17counting_iteratorImlEEZNS1_24adjacent_difference_implIS3_Lb1ELb0EPKfPfN6thrust23THRUST_200600_302600_NS4plusIfEEEE10hipError_tPvRmT2_T3_mT4_P12ihipStream_tbEUlmE_fEESD_NS0_8identityIvEEEESI_SL_SM_mSN_SP_bEUlT_E_NS1_11comp_targetILNS1_3genE4ELNS1_11target_archE910ELNS1_3gpuE8ELNS1_3repE0EEENS1_30default_config_static_selectorELNS0_4arch9wavefront6targetE1EEEvT1_,comdat
	.protected	_ZN7rocprim17ROCPRIM_400000_NS6detail17trampoline_kernelINS0_14default_configENS1_25transform_config_selectorIfLb0EEEZNS1_14transform_implILb0ES3_S5_NS0_18transform_iteratorINS0_17counting_iteratorImlEEZNS1_24adjacent_difference_implIS3_Lb1ELb0EPKfPfN6thrust23THRUST_200600_302600_NS4plusIfEEEE10hipError_tPvRmT2_T3_mT4_P12ihipStream_tbEUlmE_fEESD_NS0_8identityIvEEEESI_SL_SM_mSN_SP_bEUlT_E_NS1_11comp_targetILNS1_3genE4ELNS1_11target_archE910ELNS1_3gpuE8ELNS1_3repE0EEENS1_30default_config_static_selectorELNS0_4arch9wavefront6targetE1EEEvT1_ ; -- Begin function _ZN7rocprim17ROCPRIM_400000_NS6detail17trampoline_kernelINS0_14default_configENS1_25transform_config_selectorIfLb0EEEZNS1_14transform_implILb0ES3_S5_NS0_18transform_iteratorINS0_17counting_iteratorImlEEZNS1_24adjacent_difference_implIS3_Lb1ELb0EPKfPfN6thrust23THRUST_200600_302600_NS4plusIfEEEE10hipError_tPvRmT2_T3_mT4_P12ihipStream_tbEUlmE_fEESD_NS0_8identityIvEEEESI_SL_SM_mSN_SP_bEUlT_E_NS1_11comp_targetILNS1_3genE4ELNS1_11target_archE910ELNS1_3gpuE8ELNS1_3repE0EEENS1_30default_config_static_selectorELNS0_4arch9wavefront6targetE1EEEvT1_
	.globl	_ZN7rocprim17ROCPRIM_400000_NS6detail17trampoline_kernelINS0_14default_configENS1_25transform_config_selectorIfLb0EEEZNS1_14transform_implILb0ES3_S5_NS0_18transform_iteratorINS0_17counting_iteratorImlEEZNS1_24adjacent_difference_implIS3_Lb1ELb0EPKfPfN6thrust23THRUST_200600_302600_NS4plusIfEEEE10hipError_tPvRmT2_T3_mT4_P12ihipStream_tbEUlmE_fEESD_NS0_8identityIvEEEESI_SL_SM_mSN_SP_bEUlT_E_NS1_11comp_targetILNS1_3genE4ELNS1_11target_archE910ELNS1_3gpuE8ELNS1_3repE0EEENS1_30default_config_static_selectorELNS0_4arch9wavefront6targetE1EEEvT1_
	.p2align	8
	.type	_ZN7rocprim17ROCPRIM_400000_NS6detail17trampoline_kernelINS0_14default_configENS1_25transform_config_selectorIfLb0EEEZNS1_14transform_implILb0ES3_S5_NS0_18transform_iteratorINS0_17counting_iteratorImlEEZNS1_24adjacent_difference_implIS3_Lb1ELb0EPKfPfN6thrust23THRUST_200600_302600_NS4plusIfEEEE10hipError_tPvRmT2_T3_mT4_P12ihipStream_tbEUlmE_fEESD_NS0_8identityIvEEEESI_SL_SM_mSN_SP_bEUlT_E_NS1_11comp_targetILNS1_3genE4ELNS1_11target_archE910ELNS1_3gpuE8ELNS1_3repE0EEENS1_30default_config_static_selectorELNS0_4arch9wavefront6targetE1EEEvT1_,@function
_ZN7rocprim17ROCPRIM_400000_NS6detail17trampoline_kernelINS0_14default_configENS1_25transform_config_selectorIfLb0EEEZNS1_14transform_implILb0ES3_S5_NS0_18transform_iteratorINS0_17counting_iteratorImlEEZNS1_24adjacent_difference_implIS3_Lb1ELb0EPKfPfN6thrust23THRUST_200600_302600_NS4plusIfEEEE10hipError_tPvRmT2_T3_mT4_P12ihipStream_tbEUlmE_fEESD_NS0_8identityIvEEEESI_SL_SM_mSN_SP_bEUlT_E_NS1_11comp_targetILNS1_3genE4ELNS1_11target_archE910ELNS1_3gpuE8ELNS1_3repE0EEENS1_30default_config_static_selectorELNS0_4arch9wavefront6targetE1EEEvT1_: ; @_ZN7rocprim17ROCPRIM_400000_NS6detail17trampoline_kernelINS0_14default_configENS1_25transform_config_selectorIfLb0EEEZNS1_14transform_implILb0ES3_S5_NS0_18transform_iteratorINS0_17counting_iteratorImlEEZNS1_24adjacent_difference_implIS3_Lb1ELb0EPKfPfN6thrust23THRUST_200600_302600_NS4plusIfEEEE10hipError_tPvRmT2_T3_mT4_P12ihipStream_tbEUlmE_fEESD_NS0_8identityIvEEEESI_SL_SM_mSN_SP_bEUlT_E_NS1_11comp_targetILNS1_3genE4ELNS1_11target_archE910ELNS1_3gpuE8ELNS1_3repE0EEENS1_30default_config_static_selectorELNS0_4arch9wavefront6targetE1EEEvT1_
; %bb.0:
	.section	.rodata,"a",@progbits
	.p2align	6, 0x0
	.amdhsa_kernel _ZN7rocprim17ROCPRIM_400000_NS6detail17trampoline_kernelINS0_14default_configENS1_25transform_config_selectorIfLb0EEEZNS1_14transform_implILb0ES3_S5_NS0_18transform_iteratorINS0_17counting_iteratorImlEEZNS1_24adjacent_difference_implIS3_Lb1ELb0EPKfPfN6thrust23THRUST_200600_302600_NS4plusIfEEEE10hipError_tPvRmT2_T3_mT4_P12ihipStream_tbEUlmE_fEESD_NS0_8identityIvEEEESI_SL_SM_mSN_SP_bEUlT_E_NS1_11comp_targetILNS1_3genE4ELNS1_11target_archE910ELNS1_3gpuE8ELNS1_3repE0EEENS1_30default_config_static_selectorELNS0_4arch9wavefront6targetE1EEEvT1_
		.amdhsa_group_segment_fixed_size 0
		.amdhsa_private_segment_fixed_size 0
		.amdhsa_kernarg_size 56
		.amdhsa_user_sgpr_count 6
		.amdhsa_user_sgpr_private_segment_buffer 1
		.amdhsa_user_sgpr_dispatch_ptr 0
		.amdhsa_user_sgpr_queue_ptr 0
		.amdhsa_user_sgpr_kernarg_segment_ptr 1
		.amdhsa_user_sgpr_dispatch_id 0
		.amdhsa_user_sgpr_flat_scratch_init 0
		.amdhsa_user_sgpr_private_segment_size 0
		.amdhsa_uses_dynamic_stack 0
		.amdhsa_system_sgpr_private_segment_wavefront_offset 0
		.amdhsa_system_sgpr_workgroup_id_x 1
		.amdhsa_system_sgpr_workgroup_id_y 0
		.amdhsa_system_sgpr_workgroup_id_z 0
		.amdhsa_system_sgpr_workgroup_info 0
		.amdhsa_system_vgpr_workitem_id 0
		.amdhsa_next_free_vgpr 1
		.amdhsa_next_free_sgpr 0
		.amdhsa_reserve_vcc 0
		.amdhsa_reserve_flat_scratch 0
		.amdhsa_float_round_mode_32 0
		.amdhsa_float_round_mode_16_64 0
		.amdhsa_float_denorm_mode_32 3
		.amdhsa_float_denorm_mode_16_64 3
		.amdhsa_dx10_clamp 1
		.amdhsa_ieee_mode 1
		.amdhsa_fp16_overflow 0
		.amdhsa_exception_fp_ieee_invalid_op 0
		.amdhsa_exception_fp_denorm_src 0
		.amdhsa_exception_fp_ieee_div_zero 0
		.amdhsa_exception_fp_ieee_overflow 0
		.amdhsa_exception_fp_ieee_underflow 0
		.amdhsa_exception_fp_ieee_inexact 0
		.amdhsa_exception_int_div_zero 0
	.end_amdhsa_kernel
	.section	.text._ZN7rocprim17ROCPRIM_400000_NS6detail17trampoline_kernelINS0_14default_configENS1_25transform_config_selectorIfLb0EEEZNS1_14transform_implILb0ES3_S5_NS0_18transform_iteratorINS0_17counting_iteratorImlEEZNS1_24adjacent_difference_implIS3_Lb1ELb0EPKfPfN6thrust23THRUST_200600_302600_NS4plusIfEEEE10hipError_tPvRmT2_T3_mT4_P12ihipStream_tbEUlmE_fEESD_NS0_8identityIvEEEESI_SL_SM_mSN_SP_bEUlT_E_NS1_11comp_targetILNS1_3genE4ELNS1_11target_archE910ELNS1_3gpuE8ELNS1_3repE0EEENS1_30default_config_static_selectorELNS0_4arch9wavefront6targetE1EEEvT1_,"axG",@progbits,_ZN7rocprim17ROCPRIM_400000_NS6detail17trampoline_kernelINS0_14default_configENS1_25transform_config_selectorIfLb0EEEZNS1_14transform_implILb0ES3_S5_NS0_18transform_iteratorINS0_17counting_iteratorImlEEZNS1_24adjacent_difference_implIS3_Lb1ELb0EPKfPfN6thrust23THRUST_200600_302600_NS4plusIfEEEE10hipError_tPvRmT2_T3_mT4_P12ihipStream_tbEUlmE_fEESD_NS0_8identityIvEEEESI_SL_SM_mSN_SP_bEUlT_E_NS1_11comp_targetILNS1_3genE4ELNS1_11target_archE910ELNS1_3gpuE8ELNS1_3repE0EEENS1_30default_config_static_selectorELNS0_4arch9wavefront6targetE1EEEvT1_,comdat
.Lfunc_end608:
	.size	_ZN7rocprim17ROCPRIM_400000_NS6detail17trampoline_kernelINS0_14default_configENS1_25transform_config_selectorIfLb0EEEZNS1_14transform_implILb0ES3_S5_NS0_18transform_iteratorINS0_17counting_iteratorImlEEZNS1_24adjacent_difference_implIS3_Lb1ELb0EPKfPfN6thrust23THRUST_200600_302600_NS4plusIfEEEE10hipError_tPvRmT2_T3_mT4_P12ihipStream_tbEUlmE_fEESD_NS0_8identityIvEEEESI_SL_SM_mSN_SP_bEUlT_E_NS1_11comp_targetILNS1_3genE4ELNS1_11target_archE910ELNS1_3gpuE8ELNS1_3repE0EEENS1_30default_config_static_selectorELNS0_4arch9wavefront6targetE1EEEvT1_, .Lfunc_end608-_ZN7rocprim17ROCPRIM_400000_NS6detail17trampoline_kernelINS0_14default_configENS1_25transform_config_selectorIfLb0EEEZNS1_14transform_implILb0ES3_S5_NS0_18transform_iteratorINS0_17counting_iteratorImlEEZNS1_24adjacent_difference_implIS3_Lb1ELb0EPKfPfN6thrust23THRUST_200600_302600_NS4plusIfEEEE10hipError_tPvRmT2_T3_mT4_P12ihipStream_tbEUlmE_fEESD_NS0_8identityIvEEEESI_SL_SM_mSN_SP_bEUlT_E_NS1_11comp_targetILNS1_3genE4ELNS1_11target_archE910ELNS1_3gpuE8ELNS1_3repE0EEENS1_30default_config_static_selectorELNS0_4arch9wavefront6targetE1EEEvT1_
                                        ; -- End function
	.set _ZN7rocprim17ROCPRIM_400000_NS6detail17trampoline_kernelINS0_14default_configENS1_25transform_config_selectorIfLb0EEEZNS1_14transform_implILb0ES3_S5_NS0_18transform_iteratorINS0_17counting_iteratorImlEEZNS1_24adjacent_difference_implIS3_Lb1ELb0EPKfPfN6thrust23THRUST_200600_302600_NS4plusIfEEEE10hipError_tPvRmT2_T3_mT4_P12ihipStream_tbEUlmE_fEESD_NS0_8identityIvEEEESI_SL_SM_mSN_SP_bEUlT_E_NS1_11comp_targetILNS1_3genE4ELNS1_11target_archE910ELNS1_3gpuE8ELNS1_3repE0EEENS1_30default_config_static_selectorELNS0_4arch9wavefront6targetE1EEEvT1_.num_vgpr, 0
	.set _ZN7rocprim17ROCPRIM_400000_NS6detail17trampoline_kernelINS0_14default_configENS1_25transform_config_selectorIfLb0EEEZNS1_14transform_implILb0ES3_S5_NS0_18transform_iteratorINS0_17counting_iteratorImlEEZNS1_24adjacent_difference_implIS3_Lb1ELb0EPKfPfN6thrust23THRUST_200600_302600_NS4plusIfEEEE10hipError_tPvRmT2_T3_mT4_P12ihipStream_tbEUlmE_fEESD_NS0_8identityIvEEEESI_SL_SM_mSN_SP_bEUlT_E_NS1_11comp_targetILNS1_3genE4ELNS1_11target_archE910ELNS1_3gpuE8ELNS1_3repE0EEENS1_30default_config_static_selectorELNS0_4arch9wavefront6targetE1EEEvT1_.num_agpr, 0
	.set _ZN7rocprim17ROCPRIM_400000_NS6detail17trampoline_kernelINS0_14default_configENS1_25transform_config_selectorIfLb0EEEZNS1_14transform_implILb0ES3_S5_NS0_18transform_iteratorINS0_17counting_iteratorImlEEZNS1_24adjacent_difference_implIS3_Lb1ELb0EPKfPfN6thrust23THRUST_200600_302600_NS4plusIfEEEE10hipError_tPvRmT2_T3_mT4_P12ihipStream_tbEUlmE_fEESD_NS0_8identityIvEEEESI_SL_SM_mSN_SP_bEUlT_E_NS1_11comp_targetILNS1_3genE4ELNS1_11target_archE910ELNS1_3gpuE8ELNS1_3repE0EEENS1_30default_config_static_selectorELNS0_4arch9wavefront6targetE1EEEvT1_.numbered_sgpr, 0
	.set _ZN7rocprim17ROCPRIM_400000_NS6detail17trampoline_kernelINS0_14default_configENS1_25transform_config_selectorIfLb0EEEZNS1_14transform_implILb0ES3_S5_NS0_18transform_iteratorINS0_17counting_iteratorImlEEZNS1_24adjacent_difference_implIS3_Lb1ELb0EPKfPfN6thrust23THRUST_200600_302600_NS4plusIfEEEE10hipError_tPvRmT2_T3_mT4_P12ihipStream_tbEUlmE_fEESD_NS0_8identityIvEEEESI_SL_SM_mSN_SP_bEUlT_E_NS1_11comp_targetILNS1_3genE4ELNS1_11target_archE910ELNS1_3gpuE8ELNS1_3repE0EEENS1_30default_config_static_selectorELNS0_4arch9wavefront6targetE1EEEvT1_.num_named_barrier, 0
	.set _ZN7rocprim17ROCPRIM_400000_NS6detail17trampoline_kernelINS0_14default_configENS1_25transform_config_selectorIfLb0EEEZNS1_14transform_implILb0ES3_S5_NS0_18transform_iteratorINS0_17counting_iteratorImlEEZNS1_24adjacent_difference_implIS3_Lb1ELb0EPKfPfN6thrust23THRUST_200600_302600_NS4plusIfEEEE10hipError_tPvRmT2_T3_mT4_P12ihipStream_tbEUlmE_fEESD_NS0_8identityIvEEEESI_SL_SM_mSN_SP_bEUlT_E_NS1_11comp_targetILNS1_3genE4ELNS1_11target_archE910ELNS1_3gpuE8ELNS1_3repE0EEENS1_30default_config_static_selectorELNS0_4arch9wavefront6targetE1EEEvT1_.private_seg_size, 0
	.set _ZN7rocprim17ROCPRIM_400000_NS6detail17trampoline_kernelINS0_14default_configENS1_25transform_config_selectorIfLb0EEEZNS1_14transform_implILb0ES3_S5_NS0_18transform_iteratorINS0_17counting_iteratorImlEEZNS1_24adjacent_difference_implIS3_Lb1ELb0EPKfPfN6thrust23THRUST_200600_302600_NS4plusIfEEEE10hipError_tPvRmT2_T3_mT4_P12ihipStream_tbEUlmE_fEESD_NS0_8identityIvEEEESI_SL_SM_mSN_SP_bEUlT_E_NS1_11comp_targetILNS1_3genE4ELNS1_11target_archE910ELNS1_3gpuE8ELNS1_3repE0EEENS1_30default_config_static_selectorELNS0_4arch9wavefront6targetE1EEEvT1_.uses_vcc, 0
	.set _ZN7rocprim17ROCPRIM_400000_NS6detail17trampoline_kernelINS0_14default_configENS1_25transform_config_selectorIfLb0EEEZNS1_14transform_implILb0ES3_S5_NS0_18transform_iteratorINS0_17counting_iteratorImlEEZNS1_24adjacent_difference_implIS3_Lb1ELb0EPKfPfN6thrust23THRUST_200600_302600_NS4plusIfEEEE10hipError_tPvRmT2_T3_mT4_P12ihipStream_tbEUlmE_fEESD_NS0_8identityIvEEEESI_SL_SM_mSN_SP_bEUlT_E_NS1_11comp_targetILNS1_3genE4ELNS1_11target_archE910ELNS1_3gpuE8ELNS1_3repE0EEENS1_30default_config_static_selectorELNS0_4arch9wavefront6targetE1EEEvT1_.uses_flat_scratch, 0
	.set _ZN7rocprim17ROCPRIM_400000_NS6detail17trampoline_kernelINS0_14default_configENS1_25transform_config_selectorIfLb0EEEZNS1_14transform_implILb0ES3_S5_NS0_18transform_iteratorINS0_17counting_iteratorImlEEZNS1_24adjacent_difference_implIS3_Lb1ELb0EPKfPfN6thrust23THRUST_200600_302600_NS4plusIfEEEE10hipError_tPvRmT2_T3_mT4_P12ihipStream_tbEUlmE_fEESD_NS0_8identityIvEEEESI_SL_SM_mSN_SP_bEUlT_E_NS1_11comp_targetILNS1_3genE4ELNS1_11target_archE910ELNS1_3gpuE8ELNS1_3repE0EEENS1_30default_config_static_selectorELNS0_4arch9wavefront6targetE1EEEvT1_.has_dyn_sized_stack, 0
	.set _ZN7rocprim17ROCPRIM_400000_NS6detail17trampoline_kernelINS0_14default_configENS1_25transform_config_selectorIfLb0EEEZNS1_14transform_implILb0ES3_S5_NS0_18transform_iteratorINS0_17counting_iteratorImlEEZNS1_24adjacent_difference_implIS3_Lb1ELb0EPKfPfN6thrust23THRUST_200600_302600_NS4plusIfEEEE10hipError_tPvRmT2_T3_mT4_P12ihipStream_tbEUlmE_fEESD_NS0_8identityIvEEEESI_SL_SM_mSN_SP_bEUlT_E_NS1_11comp_targetILNS1_3genE4ELNS1_11target_archE910ELNS1_3gpuE8ELNS1_3repE0EEENS1_30default_config_static_selectorELNS0_4arch9wavefront6targetE1EEEvT1_.has_recursion, 0
	.set _ZN7rocprim17ROCPRIM_400000_NS6detail17trampoline_kernelINS0_14default_configENS1_25transform_config_selectorIfLb0EEEZNS1_14transform_implILb0ES3_S5_NS0_18transform_iteratorINS0_17counting_iteratorImlEEZNS1_24adjacent_difference_implIS3_Lb1ELb0EPKfPfN6thrust23THRUST_200600_302600_NS4plusIfEEEE10hipError_tPvRmT2_T3_mT4_P12ihipStream_tbEUlmE_fEESD_NS0_8identityIvEEEESI_SL_SM_mSN_SP_bEUlT_E_NS1_11comp_targetILNS1_3genE4ELNS1_11target_archE910ELNS1_3gpuE8ELNS1_3repE0EEENS1_30default_config_static_selectorELNS0_4arch9wavefront6targetE1EEEvT1_.has_indirect_call, 0
	.section	.AMDGPU.csdata,"",@progbits
; Kernel info:
; codeLenInByte = 0
; TotalNumSgprs: 4
; NumVgprs: 0
; ScratchSize: 0
; MemoryBound: 0
; FloatMode: 240
; IeeeMode: 1
; LDSByteSize: 0 bytes/workgroup (compile time only)
; SGPRBlocks: 0
; VGPRBlocks: 0
; NumSGPRsForWavesPerEU: 4
; NumVGPRsForWavesPerEU: 1
; Occupancy: 10
; WaveLimiterHint : 0
; COMPUTE_PGM_RSRC2:SCRATCH_EN: 0
; COMPUTE_PGM_RSRC2:USER_SGPR: 6
; COMPUTE_PGM_RSRC2:TRAP_HANDLER: 0
; COMPUTE_PGM_RSRC2:TGID_X_EN: 1
; COMPUTE_PGM_RSRC2:TGID_Y_EN: 0
; COMPUTE_PGM_RSRC2:TGID_Z_EN: 0
; COMPUTE_PGM_RSRC2:TIDIG_COMP_CNT: 0
	.section	.text._ZN7rocprim17ROCPRIM_400000_NS6detail17trampoline_kernelINS0_14default_configENS1_25transform_config_selectorIfLb0EEEZNS1_14transform_implILb0ES3_S5_NS0_18transform_iteratorINS0_17counting_iteratorImlEEZNS1_24adjacent_difference_implIS3_Lb1ELb0EPKfPfN6thrust23THRUST_200600_302600_NS4plusIfEEEE10hipError_tPvRmT2_T3_mT4_P12ihipStream_tbEUlmE_fEESD_NS0_8identityIvEEEESI_SL_SM_mSN_SP_bEUlT_E_NS1_11comp_targetILNS1_3genE3ELNS1_11target_archE908ELNS1_3gpuE7ELNS1_3repE0EEENS1_30default_config_static_selectorELNS0_4arch9wavefront6targetE1EEEvT1_,"axG",@progbits,_ZN7rocprim17ROCPRIM_400000_NS6detail17trampoline_kernelINS0_14default_configENS1_25transform_config_selectorIfLb0EEEZNS1_14transform_implILb0ES3_S5_NS0_18transform_iteratorINS0_17counting_iteratorImlEEZNS1_24adjacent_difference_implIS3_Lb1ELb0EPKfPfN6thrust23THRUST_200600_302600_NS4plusIfEEEE10hipError_tPvRmT2_T3_mT4_P12ihipStream_tbEUlmE_fEESD_NS0_8identityIvEEEESI_SL_SM_mSN_SP_bEUlT_E_NS1_11comp_targetILNS1_3genE3ELNS1_11target_archE908ELNS1_3gpuE7ELNS1_3repE0EEENS1_30default_config_static_selectorELNS0_4arch9wavefront6targetE1EEEvT1_,comdat
	.protected	_ZN7rocprim17ROCPRIM_400000_NS6detail17trampoline_kernelINS0_14default_configENS1_25transform_config_selectorIfLb0EEEZNS1_14transform_implILb0ES3_S5_NS0_18transform_iteratorINS0_17counting_iteratorImlEEZNS1_24adjacent_difference_implIS3_Lb1ELb0EPKfPfN6thrust23THRUST_200600_302600_NS4plusIfEEEE10hipError_tPvRmT2_T3_mT4_P12ihipStream_tbEUlmE_fEESD_NS0_8identityIvEEEESI_SL_SM_mSN_SP_bEUlT_E_NS1_11comp_targetILNS1_3genE3ELNS1_11target_archE908ELNS1_3gpuE7ELNS1_3repE0EEENS1_30default_config_static_selectorELNS0_4arch9wavefront6targetE1EEEvT1_ ; -- Begin function _ZN7rocprim17ROCPRIM_400000_NS6detail17trampoline_kernelINS0_14default_configENS1_25transform_config_selectorIfLb0EEEZNS1_14transform_implILb0ES3_S5_NS0_18transform_iteratorINS0_17counting_iteratorImlEEZNS1_24adjacent_difference_implIS3_Lb1ELb0EPKfPfN6thrust23THRUST_200600_302600_NS4plusIfEEEE10hipError_tPvRmT2_T3_mT4_P12ihipStream_tbEUlmE_fEESD_NS0_8identityIvEEEESI_SL_SM_mSN_SP_bEUlT_E_NS1_11comp_targetILNS1_3genE3ELNS1_11target_archE908ELNS1_3gpuE7ELNS1_3repE0EEENS1_30default_config_static_selectorELNS0_4arch9wavefront6targetE1EEEvT1_
	.globl	_ZN7rocprim17ROCPRIM_400000_NS6detail17trampoline_kernelINS0_14default_configENS1_25transform_config_selectorIfLb0EEEZNS1_14transform_implILb0ES3_S5_NS0_18transform_iteratorINS0_17counting_iteratorImlEEZNS1_24adjacent_difference_implIS3_Lb1ELb0EPKfPfN6thrust23THRUST_200600_302600_NS4plusIfEEEE10hipError_tPvRmT2_T3_mT4_P12ihipStream_tbEUlmE_fEESD_NS0_8identityIvEEEESI_SL_SM_mSN_SP_bEUlT_E_NS1_11comp_targetILNS1_3genE3ELNS1_11target_archE908ELNS1_3gpuE7ELNS1_3repE0EEENS1_30default_config_static_selectorELNS0_4arch9wavefront6targetE1EEEvT1_
	.p2align	8
	.type	_ZN7rocprim17ROCPRIM_400000_NS6detail17trampoline_kernelINS0_14default_configENS1_25transform_config_selectorIfLb0EEEZNS1_14transform_implILb0ES3_S5_NS0_18transform_iteratorINS0_17counting_iteratorImlEEZNS1_24adjacent_difference_implIS3_Lb1ELb0EPKfPfN6thrust23THRUST_200600_302600_NS4plusIfEEEE10hipError_tPvRmT2_T3_mT4_P12ihipStream_tbEUlmE_fEESD_NS0_8identityIvEEEESI_SL_SM_mSN_SP_bEUlT_E_NS1_11comp_targetILNS1_3genE3ELNS1_11target_archE908ELNS1_3gpuE7ELNS1_3repE0EEENS1_30default_config_static_selectorELNS0_4arch9wavefront6targetE1EEEvT1_,@function
_ZN7rocprim17ROCPRIM_400000_NS6detail17trampoline_kernelINS0_14default_configENS1_25transform_config_selectorIfLb0EEEZNS1_14transform_implILb0ES3_S5_NS0_18transform_iteratorINS0_17counting_iteratorImlEEZNS1_24adjacent_difference_implIS3_Lb1ELb0EPKfPfN6thrust23THRUST_200600_302600_NS4plusIfEEEE10hipError_tPvRmT2_T3_mT4_P12ihipStream_tbEUlmE_fEESD_NS0_8identityIvEEEESI_SL_SM_mSN_SP_bEUlT_E_NS1_11comp_targetILNS1_3genE3ELNS1_11target_archE908ELNS1_3gpuE7ELNS1_3repE0EEENS1_30default_config_static_selectorELNS0_4arch9wavefront6targetE1EEEvT1_: ; @_ZN7rocprim17ROCPRIM_400000_NS6detail17trampoline_kernelINS0_14default_configENS1_25transform_config_selectorIfLb0EEEZNS1_14transform_implILb0ES3_S5_NS0_18transform_iteratorINS0_17counting_iteratorImlEEZNS1_24adjacent_difference_implIS3_Lb1ELb0EPKfPfN6thrust23THRUST_200600_302600_NS4plusIfEEEE10hipError_tPvRmT2_T3_mT4_P12ihipStream_tbEUlmE_fEESD_NS0_8identityIvEEEESI_SL_SM_mSN_SP_bEUlT_E_NS1_11comp_targetILNS1_3genE3ELNS1_11target_archE908ELNS1_3gpuE7ELNS1_3repE0EEENS1_30default_config_static_selectorELNS0_4arch9wavefront6targetE1EEEvT1_
; %bb.0:
	.section	.rodata,"a",@progbits
	.p2align	6, 0x0
	.amdhsa_kernel _ZN7rocprim17ROCPRIM_400000_NS6detail17trampoline_kernelINS0_14default_configENS1_25transform_config_selectorIfLb0EEEZNS1_14transform_implILb0ES3_S5_NS0_18transform_iteratorINS0_17counting_iteratorImlEEZNS1_24adjacent_difference_implIS3_Lb1ELb0EPKfPfN6thrust23THRUST_200600_302600_NS4plusIfEEEE10hipError_tPvRmT2_T3_mT4_P12ihipStream_tbEUlmE_fEESD_NS0_8identityIvEEEESI_SL_SM_mSN_SP_bEUlT_E_NS1_11comp_targetILNS1_3genE3ELNS1_11target_archE908ELNS1_3gpuE7ELNS1_3repE0EEENS1_30default_config_static_selectorELNS0_4arch9wavefront6targetE1EEEvT1_
		.amdhsa_group_segment_fixed_size 0
		.amdhsa_private_segment_fixed_size 0
		.amdhsa_kernarg_size 56
		.amdhsa_user_sgpr_count 6
		.amdhsa_user_sgpr_private_segment_buffer 1
		.amdhsa_user_sgpr_dispatch_ptr 0
		.amdhsa_user_sgpr_queue_ptr 0
		.amdhsa_user_sgpr_kernarg_segment_ptr 1
		.amdhsa_user_sgpr_dispatch_id 0
		.amdhsa_user_sgpr_flat_scratch_init 0
		.amdhsa_user_sgpr_private_segment_size 0
		.amdhsa_uses_dynamic_stack 0
		.amdhsa_system_sgpr_private_segment_wavefront_offset 0
		.amdhsa_system_sgpr_workgroup_id_x 1
		.amdhsa_system_sgpr_workgroup_id_y 0
		.amdhsa_system_sgpr_workgroup_id_z 0
		.amdhsa_system_sgpr_workgroup_info 0
		.amdhsa_system_vgpr_workitem_id 0
		.amdhsa_next_free_vgpr 1
		.amdhsa_next_free_sgpr 0
		.amdhsa_reserve_vcc 0
		.amdhsa_reserve_flat_scratch 0
		.amdhsa_float_round_mode_32 0
		.amdhsa_float_round_mode_16_64 0
		.amdhsa_float_denorm_mode_32 3
		.amdhsa_float_denorm_mode_16_64 3
		.amdhsa_dx10_clamp 1
		.amdhsa_ieee_mode 1
		.amdhsa_fp16_overflow 0
		.amdhsa_exception_fp_ieee_invalid_op 0
		.amdhsa_exception_fp_denorm_src 0
		.amdhsa_exception_fp_ieee_div_zero 0
		.amdhsa_exception_fp_ieee_overflow 0
		.amdhsa_exception_fp_ieee_underflow 0
		.amdhsa_exception_fp_ieee_inexact 0
		.amdhsa_exception_int_div_zero 0
	.end_amdhsa_kernel
	.section	.text._ZN7rocprim17ROCPRIM_400000_NS6detail17trampoline_kernelINS0_14default_configENS1_25transform_config_selectorIfLb0EEEZNS1_14transform_implILb0ES3_S5_NS0_18transform_iteratorINS0_17counting_iteratorImlEEZNS1_24adjacent_difference_implIS3_Lb1ELb0EPKfPfN6thrust23THRUST_200600_302600_NS4plusIfEEEE10hipError_tPvRmT2_T3_mT4_P12ihipStream_tbEUlmE_fEESD_NS0_8identityIvEEEESI_SL_SM_mSN_SP_bEUlT_E_NS1_11comp_targetILNS1_3genE3ELNS1_11target_archE908ELNS1_3gpuE7ELNS1_3repE0EEENS1_30default_config_static_selectorELNS0_4arch9wavefront6targetE1EEEvT1_,"axG",@progbits,_ZN7rocprim17ROCPRIM_400000_NS6detail17trampoline_kernelINS0_14default_configENS1_25transform_config_selectorIfLb0EEEZNS1_14transform_implILb0ES3_S5_NS0_18transform_iteratorINS0_17counting_iteratorImlEEZNS1_24adjacent_difference_implIS3_Lb1ELb0EPKfPfN6thrust23THRUST_200600_302600_NS4plusIfEEEE10hipError_tPvRmT2_T3_mT4_P12ihipStream_tbEUlmE_fEESD_NS0_8identityIvEEEESI_SL_SM_mSN_SP_bEUlT_E_NS1_11comp_targetILNS1_3genE3ELNS1_11target_archE908ELNS1_3gpuE7ELNS1_3repE0EEENS1_30default_config_static_selectorELNS0_4arch9wavefront6targetE1EEEvT1_,comdat
.Lfunc_end609:
	.size	_ZN7rocprim17ROCPRIM_400000_NS6detail17trampoline_kernelINS0_14default_configENS1_25transform_config_selectorIfLb0EEEZNS1_14transform_implILb0ES3_S5_NS0_18transform_iteratorINS0_17counting_iteratorImlEEZNS1_24adjacent_difference_implIS3_Lb1ELb0EPKfPfN6thrust23THRUST_200600_302600_NS4plusIfEEEE10hipError_tPvRmT2_T3_mT4_P12ihipStream_tbEUlmE_fEESD_NS0_8identityIvEEEESI_SL_SM_mSN_SP_bEUlT_E_NS1_11comp_targetILNS1_3genE3ELNS1_11target_archE908ELNS1_3gpuE7ELNS1_3repE0EEENS1_30default_config_static_selectorELNS0_4arch9wavefront6targetE1EEEvT1_, .Lfunc_end609-_ZN7rocprim17ROCPRIM_400000_NS6detail17trampoline_kernelINS0_14default_configENS1_25transform_config_selectorIfLb0EEEZNS1_14transform_implILb0ES3_S5_NS0_18transform_iteratorINS0_17counting_iteratorImlEEZNS1_24adjacent_difference_implIS3_Lb1ELb0EPKfPfN6thrust23THRUST_200600_302600_NS4plusIfEEEE10hipError_tPvRmT2_T3_mT4_P12ihipStream_tbEUlmE_fEESD_NS0_8identityIvEEEESI_SL_SM_mSN_SP_bEUlT_E_NS1_11comp_targetILNS1_3genE3ELNS1_11target_archE908ELNS1_3gpuE7ELNS1_3repE0EEENS1_30default_config_static_selectorELNS0_4arch9wavefront6targetE1EEEvT1_
                                        ; -- End function
	.set _ZN7rocprim17ROCPRIM_400000_NS6detail17trampoline_kernelINS0_14default_configENS1_25transform_config_selectorIfLb0EEEZNS1_14transform_implILb0ES3_S5_NS0_18transform_iteratorINS0_17counting_iteratorImlEEZNS1_24adjacent_difference_implIS3_Lb1ELb0EPKfPfN6thrust23THRUST_200600_302600_NS4plusIfEEEE10hipError_tPvRmT2_T3_mT4_P12ihipStream_tbEUlmE_fEESD_NS0_8identityIvEEEESI_SL_SM_mSN_SP_bEUlT_E_NS1_11comp_targetILNS1_3genE3ELNS1_11target_archE908ELNS1_3gpuE7ELNS1_3repE0EEENS1_30default_config_static_selectorELNS0_4arch9wavefront6targetE1EEEvT1_.num_vgpr, 0
	.set _ZN7rocprim17ROCPRIM_400000_NS6detail17trampoline_kernelINS0_14default_configENS1_25transform_config_selectorIfLb0EEEZNS1_14transform_implILb0ES3_S5_NS0_18transform_iteratorINS0_17counting_iteratorImlEEZNS1_24adjacent_difference_implIS3_Lb1ELb0EPKfPfN6thrust23THRUST_200600_302600_NS4plusIfEEEE10hipError_tPvRmT2_T3_mT4_P12ihipStream_tbEUlmE_fEESD_NS0_8identityIvEEEESI_SL_SM_mSN_SP_bEUlT_E_NS1_11comp_targetILNS1_3genE3ELNS1_11target_archE908ELNS1_3gpuE7ELNS1_3repE0EEENS1_30default_config_static_selectorELNS0_4arch9wavefront6targetE1EEEvT1_.num_agpr, 0
	.set _ZN7rocprim17ROCPRIM_400000_NS6detail17trampoline_kernelINS0_14default_configENS1_25transform_config_selectorIfLb0EEEZNS1_14transform_implILb0ES3_S5_NS0_18transform_iteratorINS0_17counting_iteratorImlEEZNS1_24adjacent_difference_implIS3_Lb1ELb0EPKfPfN6thrust23THRUST_200600_302600_NS4plusIfEEEE10hipError_tPvRmT2_T3_mT4_P12ihipStream_tbEUlmE_fEESD_NS0_8identityIvEEEESI_SL_SM_mSN_SP_bEUlT_E_NS1_11comp_targetILNS1_3genE3ELNS1_11target_archE908ELNS1_3gpuE7ELNS1_3repE0EEENS1_30default_config_static_selectorELNS0_4arch9wavefront6targetE1EEEvT1_.numbered_sgpr, 0
	.set _ZN7rocprim17ROCPRIM_400000_NS6detail17trampoline_kernelINS0_14default_configENS1_25transform_config_selectorIfLb0EEEZNS1_14transform_implILb0ES3_S5_NS0_18transform_iteratorINS0_17counting_iteratorImlEEZNS1_24adjacent_difference_implIS3_Lb1ELb0EPKfPfN6thrust23THRUST_200600_302600_NS4plusIfEEEE10hipError_tPvRmT2_T3_mT4_P12ihipStream_tbEUlmE_fEESD_NS0_8identityIvEEEESI_SL_SM_mSN_SP_bEUlT_E_NS1_11comp_targetILNS1_3genE3ELNS1_11target_archE908ELNS1_3gpuE7ELNS1_3repE0EEENS1_30default_config_static_selectorELNS0_4arch9wavefront6targetE1EEEvT1_.num_named_barrier, 0
	.set _ZN7rocprim17ROCPRIM_400000_NS6detail17trampoline_kernelINS0_14default_configENS1_25transform_config_selectorIfLb0EEEZNS1_14transform_implILb0ES3_S5_NS0_18transform_iteratorINS0_17counting_iteratorImlEEZNS1_24adjacent_difference_implIS3_Lb1ELb0EPKfPfN6thrust23THRUST_200600_302600_NS4plusIfEEEE10hipError_tPvRmT2_T3_mT4_P12ihipStream_tbEUlmE_fEESD_NS0_8identityIvEEEESI_SL_SM_mSN_SP_bEUlT_E_NS1_11comp_targetILNS1_3genE3ELNS1_11target_archE908ELNS1_3gpuE7ELNS1_3repE0EEENS1_30default_config_static_selectorELNS0_4arch9wavefront6targetE1EEEvT1_.private_seg_size, 0
	.set _ZN7rocprim17ROCPRIM_400000_NS6detail17trampoline_kernelINS0_14default_configENS1_25transform_config_selectorIfLb0EEEZNS1_14transform_implILb0ES3_S5_NS0_18transform_iteratorINS0_17counting_iteratorImlEEZNS1_24adjacent_difference_implIS3_Lb1ELb0EPKfPfN6thrust23THRUST_200600_302600_NS4plusIfEEEE10hipError_tPvRmT2_T3_mT4_P12ihipStream_tbEUlmE_fEESD_NS0_8identityIvEEEESI_SL_SM_mSN_SP_bEUlT_E_NS1_11comp_targetILNS1_3genE3ELNS1_11target_archE908ELNS1_3gpuE7ELNS1_3repE0EEENS1_30default_config_static_selectorELNS0_4arch9wavefront6targetE1EEEvT1_.uses_vcc, 0
	.set _ZN7rocprim17ROCPRIM_400000_NS6detail17trampoline_kernelINS0_14default_configENS1_25transform_config_selectorIfLb0EEEZNS1_14transform_implILb0ES3_S5_NS0_18transform_iteratorINS0_17counting_iteratorImlEEZNS1_24adjacent_difference_implIS3_Lb1ELb0EPKfPfN6thrust23THRUST_200600_302600_NS4plusIfEEEE10hipError_tPvRmT2_T3_mT4_P12ihipStream_tbEUlmE_fEESD_NS0_8identityIvEEEESI_SL_SM_mSN_SP_bEUlT_E_NS1_11comp_targetILNS1_3genE3ELNS1_11target_archE908ELNS1_3gpuE7ELNS1_3repE0EEENS1_30default_config_static_selectorELNS0_4arch9wavefront6targetE1EEEvT1_.uses_flat_scratch, 0
	.set _ZN7rocprim17ROCPRIM_400000_NS6detail17trampoline_kernelINS0_14default_configENS1_25transform_config_selectorIfLb0EEEZNS1_14transform_implILb0ES3_S5_NS0_18transform_iteratorINS0_17counting_iteratorImlEEZNS1_24adjacent_difference_implIS3_Lb1ELb0EPKfPfN6thrust23THRUST_200600_302600_NS4plusIfEEEE10hipError_tPvRmT2_T3_mT4_P12ihipStream_tbEUlmE_fEESD_NS0_8identityIvEEEESI_SL_SM_mSN_SP_bEUlT_E_NS1_11comp_targetILNS1_3genE3ELNS1_11target_archE908ELNS1_3gpuE7ELNS1_3repE0EEENS1_30default_config_static_selectorELNS0_4arch9wavefront6targetE1EEEvT1_.has_dyn_sized_stack, 0
	.set _ZN7rocprim17ROCPRIM_400000_NS6detail17trampoline_kernelINS0_14default_configENS1_25transform_config_selectorIfLb0EEEZNS1_14transform_implILb0ES3_S5_NS0_18transform_iteratorINS0_17counting_iteratorImlEEZNS1_24adjacent_difference_implIS3_Lb1ELb0EPKfPfN6thrust23THRUST_200600_302600_NS4plusIfEEEE10hipError_tPvRmT2_T3_mT4_P12ihipStream_tbEUlmE_fEESD_NS0_8identityIvEEEESI_SL_SM_mSN_SP_bEUlT_E_NS1_11comp_targetILNS1_3genE3ELNS1_11target_archE908ELNS1_3gpuE7ELNS1_3repE0EEENS1_30default_config_static_selectorELNS0_4arch9wavefront6targetE1EEEvT1_.has_recursion, 0
	.set _ZN7rocprim17ROCPRIM_400000_NS6detail17trampoline_kernelINS0_14default_configENS1_25transform_config_selectorIfLb0EEEZNS1_14transform_implILb0ES3_S5_NS0_18transform_iteratorINS0_17counting_iteratorImlEEZNS1_24adjacent_difference_implIS3_Lb1ELb0EPKfPfN6thrust23THRUST_200600_302600_NS4plusIfEEEE10hipError_tPvRmT2_T3_mT4_P12ihipStream_tbEUlmE_fEESD_NS0_8identityIvEEEESI_SL_SM_mSN_SP_bEUlT_E_NS1_11comp_targetILNS1_3genE3ELNS1_11target_archE908ELNS1_3gpuE7ELNS1_3repE0EEENS1_30default_config_static_selectorELNS0_4arch9wavefront6targetE1EEEvT1_.has_indirect_call, 0
	.section	.AMDGPU.csdata,"",@progbits
; Kernel info:
; codeLenInByte = 0
; TotalNumSgprs: 4
; NumVgprs: 0
; ScratchSize: 0
; MemoryBound: 0
; FloatMode: 240
; IeeeMode: 1
; LDSByteSize: 0 bytes/workgroup (compile time only)
; SGPRBlocks: 0
; VGPRBlocks: 0
; NumSGPRsForWavesPerEU: 4
; NumVGPRsForWavesPerEU: 1
; Occupancy: 10
; WaveLimiterHint : 0
; COMPUTE_PGM_RSRC2:SCRATCH_EN: 0
; COMPUTE_PGM_RSRC2:USER_SGPR: 6
; COMPUTE_PGM_RSRC2:TRAP_HANDLER: 0
; COMPUTE_PGM_RSRC2:TGID_X_EN: 1
; COMPUTE_PGM_RSRC2:TGID_Y_EN: 0
; COMPUTE_PGM_RSRC2:TGID_Z_EN: 0
; COMPUTE_PGM_RSRC2:TIDIG_COMP_CNT: 0
	.section	.text._ZN7rocprim17ROCPRIM_400000_NS6detail17trampoline_kernelINS0_14default_configENS1_25transform_config_selectorIfLb0EEEZNS1_14transform_implILb0ES3_S5_NS0_18transform_iteratorINS0_17counting_iteratorImlEEZNS1_24adjacent_difference_implIS3_Lb1ELb0EPKfPfN6thrust23THRUST_200600_302600_NS4plusIfEEEE10hipError_tPvRmT2_T3_mT4_P12ihipStream_tbEUlmE_fEESD_NS0_8identityIvEEEESI_SL_SM_mSN_SP_bEUlT_E_NS1_11comp_targetILNS1_3genE2ELNS1_11target_archE906ELNS1_3gpuE6ELNS1_3repE0EEENS1_30default_config_static_selectorELNS0_4arch9wavefront6targetE1EEEvT1_,"axG",@progbits,_ZN7rocprim17ROCPRIM_400000_NS6detail17trampoline_kernelINS0_14default_configENS1_25transform_config_selectorIfLb0EEEZNS1_14transform_implILb0ES3_S5_NS0_18transform_iteratorINS0_17counting_iteratorImlEEZNS1_24adjacent_difference_implIS3_Lb1ELb0EPKfPfN6thrust23THRUST_200600_302600_NS4plusIfEEEE10hipError_tPvRmT2_T3_mT4_P12ihipStream_tbEUlmE_fEESD_NS0_8identityIvEEEESI_SL_SM_mSN_SP_bEUlT_E_NS1_11comp_targetILNS1_3genE2ELNS1_11target_archE906ELNS1_3gpuE6ELNS1_3repE0EEENS1_30default_config_static_selectorELNS0_4arch9wavefront6targetE1EEEvT1_,comdat
	.protected	_ZN7rocprim17ROCPRIM_400000_NS6detail17trampoline_kernelINS0_14default_configENS1_25transform_config_selectorIfLb0EEEZNS1_14transform_implILb0ES3_S5_NS0_18transform_iteratorINS0_17counting_iteratorImlEEZNS1_24adjacent_difference_implIS3_Lb1ELb0EPKfPfN6thrust23THRUST_200600_302600_NS4plusIfEEEE10hipError_tPvRmT2_T3_mT4_P12ihipStream_tbEUlmE_fEESD_NS0_8identityIvEEEESI_SL_SM_mSN_SP_bEUlT_E_NS1_11comp_targetILNS1_3genE2ELNS1_11target_archE906ELNS1_3gpuE6ELNS1_3repE0EEENS1_30default_config_static_selectorELNS0_4arch9wavefront6targetE1EEEvT1_ ; -- Begin function _ZN7rocprim17ROCPRIM_400000_NS6detail17trampoline_kernelINS0_14default_configENS1_25transform_config_selectorIfLb0EEEZNS1_14transform_implILb0ES3_S5_NS0_18transform_iteratorINS0_17counting_iteratorImlEEZNS1_24adjacent_difference_implIS3_Lb1ELb0EPKfPfN6thrust23THRUST_200600_302600_NS4plusIfEEEE10hipError_tPvRmT2_T3_mT4_P12ihipStream_tbEUlmE_fEESD_NS0_8identityIvEEEESI_SL_SM_mSN_SP_bEUlT_E_NS1_11comp_targetILNS1_3genE2ELNS1_11target_archE906ELNS1_3gpuE6ELNS1_3repE0EEENS1_30default_config_static_selectorELNS0_4arch9wavefront6targetE1EEEvT1_
	.globl	_ZN7rocprim17ROCPRIM_400000_NS6detail17trampoline_kernelINS0_14default_configENS1_25transform_config_selectorIfLb0EEEZNS1_14transform_implILb0ES3_S5_NS0_18transform_iteratorINS0_17counting_iteratorImlEEZNS1_24adjacent_difference_implIS3_Lb1ELb0EPKfPfN6thrust23THRUST_200600_302600_NS4plusIfEEEE10hipError_tPvRmT2_T3_mT4_P12ihipStream_tbEUlmE_fEESD_NS0_8identityIvEEEESI_SL_SM_mSN_SP_bEUlT_E_NS1_11comp_targetILNS1_3genE2ELNS1_11target_archE906ELNS1_3gpuE6ELNS1_3repE0EEENS1_30default_config_static_selectorELNS0_4arch9wavefront6targetE1EEEvT1_
	.p2align	8
	.type	_ZN7rocprim17ROCPRIM_400000_NS6detail17trampoline_kernelINS0_14default_configENS1_25transform_config_selectorIfLb0EEEZNS1_14transform_implILb0ES3_S5_NS0_18transform_iteratorINS0_17counting_iteratorImlEEZNS1_24adjacent_difference_implIS3_Lb1ELb0EPKfPfN6thrust23THRUST_200600_302600_NS4plusIfEEEE10hipError_tPvRmT2_T3_mT4_P12ihipStream_tbEUlmE_fEESD_NS0_8identityIvEEEESI_SL_SM_mSN_SP_bEUlT_E_NS1_11comp_targetILNS1_3genE2ELNS1_11target_archE906ELNS1_3gpuE6ELNS1_3repE0EEENS1_30default_config_static_selectorELNS0_4arch9wavefront6targetE1EEEvT1_,@function
_ZN7rocprim17ROCPRIM_400000_NS6detail17trampoline_kernelINS0_14default_configENS1_25transform_config_selectorIfLb0EEEZNS1_14transform_implILb0ES3_S5_NS0_18transform_iteratorINS0_17counting_iteratorImlEEZNS1_24adjacent_difference_implIS3_Lb1ELb0EPKfPfN6thrust23THRUST_200600_302600_NS4plusIfEEEE10hipError_tPvRmT2_T3_mT4_P12ihipStream_tbEUlmE_fEESD_NS0_8identityIvEEEESI_SL_SM_mSN_SP_bEUlT_E_NS1_11comp_targetILNS1_3genE2ELNS1_11target_archE906ELNS1_3gpuE6ELNS1_3repE0EEENS1_30default_config_static_selectorELNS0_4arch9wavefront6targetE1EEEvT1_: ; @_ZN7rocprim17ROCPRIM_400000_NS6detail17trampoline_kernelINS0_14default_configENS1_25transform_config_selectorIfLb0EEEZNS1_14transform_implILb0ES3_S5_NS0_18transform_iteratorINS0_17counting_iteratorImlEEZNS1_24adjacent_difference_implIS3_Lb1ELb0EPKfPfN6thrust23THRUST_200600_302600_NS4plusIfEEEE10hipError_tPvRmT2_T3_mT4_P12ihipStream_tbEUlmE_fEESD_NS0_8identityIvEEEESI_SL_SM_mSN_SP_bEUlT_E_NS1_11comp_targetILNS1_3genE2ELNS1_11target_archE906ELNS1_3gpuE6ELNS1_3repE0EEENS1_30default_config_static_selectorELNS0_4arch9wavefront6targetE1EEEvT1_
; %bb.0:
	s_load_dwordx4 s[0:3], s[4:5], 0x18
	s_load_dwordx2 s[14:15], s[4:5], 0x28
	s_load_dwordx4 s[8:11], s[4:5], 0x0
	s_load_dword s12, s[4:5], 0x10
	s_waitcnt lgkmcnt(0)
	s_load_dword s3, s[4:5], 0x38
                                        ; kill: killed $sgpr4_sgpr5
	s_lshl_b64 s[4:5], s[0:1], 2
	s_add_u32 s14, s14, s4
	s_addc_u32 s15, s15, s5
	s_lshl_b32 s4, s6, 11
	s_waitcnt lgkmcnt(0)
	s_add_i32 s3, s3, -1
	s_add_u32 s7, s8, s4
	s_addc_u32 s8, s9, 0
	s_add_u32 s16, s7, s0
	s_addc_u32 s17, s8, s1
	s_mov_b32 s5, 0
	s_cmp_lg_u32 s6, s3
	v_lshlrev_b32_e32 v5, 2, v0
	s_cbranch_scc0 .LBB610_2
; %bb.1:
	v_mov_b32_e32 v1, s17
	v_add_co_u32_e32 v2, vcc, s16, v0
	v_addc_co_u32_e32 v3, vcc, 0, v1, vcc
	v_mad_u64_u32 v[1:2], s[0:1], v2, s12, 0
	s_mov_b32 s13, s5
	s_lshl_b64 s[6:7], s[4:5], 2
	v_mad_u64_u32 v[2:3], s[0:1], v3, s12, v[2:3]
	v_mov_b32_e32 v3, s11
	s_lshl_b64 s[0:1], s[12:13], 12
	v_lshlrev_b64 v[1:2], 2, v[1:2]
	s_add_u32 s6, s14, s6
	v_add_co_u32_e32 v1, vcc, s10, v1
	v_addc_co_u32_e32 v2, vcc, v3, v2, vcc
	global_load_dword v6, v[1:2], off
	v_mov_b32_e32 v3, s1
	v_add_co_u32_e32 v1, vcc, s0, v1
	v_addc_co_u32_e32 v2, vcc, v2, v3, vcc
	global_load_dword v1, v[1:2], off
	s_addc_u32 s7, s15, s7
	v_mov_b32_e32 v2, s7
	v_add_co_u32_e32 v3, vcc, s6, v5
	v_addc_co_u32_e32 v4, vcc, 0, v2, vcc
	s_waitcnt vmcnt(1)
	global_store_dword v5, v6, s[6:7]
	s_mov_b64 s[6:7], -1
	s_cbranch_execz .LBB610_3
	s_branch .LBB610_12
.LBB610_2:
	s_mov_b64 s[6:7], 0
                                        ; implicit-def: $vgpr1
                                        ; implicit-def: $vgpr3_vgpr4
.LBB610_3:
	s_sub_i32 s8, s2, s4
	s_waitcnt vmcnt(1)
	v_mov_b32_e32 v1, 0
	v_cmp_gt_u32_e32 vcc, s8, v0
	v_mov_b32_e32 v2, v1
	s_and_saveexec_b64 s[2:3], vcc
	s_cbranch_execz .LBB610_5
; %bb.4:
	v_mov_b32_e32 v2, s17
	v_add_co_u32_e64 v3, s[0:1], s16, v0
	v_addc_co_u32_e64 v4, s[0:1], 0, v2, s[0:1]
	v_mad_u64_u32 v[2:3], s[0:1], v3, s12, 0
	v_mad_u64_u32 v[3:4], s[0:1], v4, s12, v[3:4]
	v_mov_b32_e32 v4, s11
	v_lshlrev_b64 v[2:3], 2, v[2:3]
	v_add_co_u32_e64 v2, s[0:1], s10, v2
	v_addc_co_u32_e64 v3, s[0:1], v4, v3, s[0:1]
	global_load_dword v2, v[2:3], off
	v_mov_b32_e32 v3, v1
	s_waitcnt vmcnt(0)
	v_mov_b32_e32 v1, v2
	v_mov_b32_e32 v2, v3
.LBB610_5:
	s_or_b64 exec, exec, s[2:3]
	v_or_b32_e32 v0, 0x400, v0
	v_cmp_gt_u32_e64 s[0:1], s8, v0
	s_and_saveexec_b64 s[8:9], s[0:1]
	s_cbranch_execz .LBB610_7
; %bb.6:
	v_mov_b32_e32 v2, s17
	v_add_co_u32_e64 v0, s[2:3], s16, v0
	v_addc_co_u32_e64 v4, s[2:3], 0, v2, s[2:3]
	v_mad_u64_u32 v[2:3], s[2:3], v0, s12, 0
	v_mov_b32_e32 v0, v3
	v_mad_u64_u32 v[3:4], s[2:3], v4, s12, v[0:1]
	v_mov_b32_e32 v0, s11
	v_lshlrev_b64 v[2:3], 2, v[2:3]
	v_add_co_u32_e64 v2, s[2:3], s10, v2
	v_addc_co_u32_e64 v3, s[2:3], v0, v3, s[2:3]
	global_load_dword v2, v[2:3], off
.LBB610_7:
	s_or_b64 exec, exec, s[8:9]
	s_lshl_b64 s[2:3], s[4:5], 2
	s_add_u32 s2, s14, s2
	s_addc_u32 s3, s15, s3
	v_cndmask_b32_e32 v0, 0, v1, vcc
	v_mov_b32_e32 v1, s3
	v_add_co_u32_e64 v3, s[2:3], s2, v5
	v_addc_co_u32_e64 v4, s[2:3], 0, v1, s[2:3]
	s_and_saveexec_b64 s[2:3], vcc
	s_cbranch_execz .LBB610_9
; %bb.8:
	global_store_dword v[3:4], v0, off
.LBB610_9:
	s_or_b64 exec, exec, s[2:3]
                                        ; implicit-def: $vgpr1
	s_and_saveexec_b64 s[2:3], s[0:1]
	s_cbranch_execz .LBB610_11
; %bb.10:
	s_waitcnt vmcnt(0)
	v_cndmask_b32_e64 v1, 0, v2, s[0:1]
	s_or_b64 s[6:7], s[6:7], exec
.LBB610_11:
	s_or_b64 exec, exec, s[2:3]
.LBB610_12:
	s_and_saveexec_b64 s[0:1], s[6:7]
	s_cbranch_execnz .LBB610_14
; %bb.13:
	s_endpgm
.LBB610_14:
	s_waitcnt vmcnt(0)
	v_add_co_u32_e32 v2, vcc, 0x1000, v3
	v_addc_co_u32_e32 v3, vcc, 0, v4, vcc
	global_store_dword v[2:3], v1, off
	s_endpgm
	.section	.rodata,"a",@progbits
	.p2align	6, 0x0
	.amdhsa_kernel _ZN7rocprim17ROCPRIM_400000_NS6detail17trampoline_kernelINS0_14default_configENS1_25transform_config_selectorIfLb0EEEZNS1_14transform_implILb0ES3_S5_NS0_18transform_iteratorINS0_17counting_iteratorImlEEZNS1_24adjacent_difference_implIS3_Lb1ELb0EPKfPfN6thrust23THRUST_200600_302600_NS4plusIfEEEE10hipError_tPvRmT2_T3_mT4_P12ihipStream_tbEUlmE_fEESD_NS0_8identityIvEEEESI_SL_SM_mSN_SP_bEUlT_E_NS1_11comp_targetILNS1_3genE2ELNS1_11target_archE906ELNS1_3gpuE6ELNS1_3repE0EEENS1_30default_config_static_selectorELNS0_4arch9wavefront6targetE1EEEvT1_
		.amdhsa_group_segment_fixed_size 0
		.amdhsa_private_segment_fixed_size 0
		.amdhsa_kernarg_size 312
		.amdhsa_user_sgpr_count 6
		.amdhsa_user_sgpr_private_segment_buffer 1
		.amdhsa_user_sgpr_dispatch_ptr 0
		.amdhsa_user_sgpr_queue_ptr 0
		.amdhsa_user_sgpr_kernarg_segment_ptr 1
		.amdhsa_user_sgpr_dispatch_id 0
		.amdhsa_user_sgpr_flat_scratch_init 0
		.amdhsa_user_sgpr_private_segment_size 0
		.amdhsa_uses_dynamic_stack 0
		.amdhsa_system_sgpr_private_segment_wavefront_offset 0
		.amdhsa_system_sgpr_workgroup_id_x 1
		.amdhsa_system_sgpr_workgroup_id_y 0
		.amdhsa_system_sgpr_workgroup_id_z 0
		.amdhsa_system_sgpr_workgroup_info 0
		.amdhsa_system_vgpr_workitem_id 0
		.amdhsa_next_free_vgpr 7
		.amdhsa_next_free_sgpr 18
		.amdhsa_reserve_vcc 1
		.amdhsa_reserve_flat_scratch 0
		.amdhsa_float_round_mode_32 0
		.amdhsa_float_round_mode_16_64 0
		.amdhsa_float_denorm_mode_32 3
		.amdhsa_float_denorm_mode_16_64 3
		.amdhsa_dx10_clamp 1
		.amdhsa_ieee_mode 1
		.amdhsa_fp16_overflow 0
		.amdhsa_exception_fp_ieee_invalid_op 0
		.amdhsa_exception_fp_denorm_src 0
		.amdhsa_exception_fp_ieee_div_zero 0
		.amdhsa_exception_fp_ieee_overflow 0
		.amdhsa_exception_fp_ieee_underflow 0
		.amdhsa_exception_fp_ieee_inexact 0
		.amdhsa_exception_int_div_zero 0
	.end_amdhsa_kernel
	.section	.text._ZN7rocprim17ROCPRIM_400000_NS6detail17trampoline_kernelINS0_14default_configENS1_25transform_config_selectorIfLb0EEEZNS1_14transform_implILb0ES3_S5_NS0_18transform_iteratorINS0_17counting_iteratorImlEEZNS1_24adjacent_difference_implIS3_Lb1ELb0EPKfPfN6thrust23THRUST_200600_302600_NS4plusIfEEEE10hipError_tPvRmT2_T3_mT4_P12ihipStream_tbEUlmE_fEESD_NS0_8identityIvEEEESI_SL_SM_mSN_SP_bEUlT_E_NS1_11comp_targetILNS1_3genE2ELNS1_11target_archE906ELNS1_3gpuE6ELNS1_3repE0EEENS1_30default_config_static_selectorELNS0_4arch9wavefront6targetE1EEEvT1_,"axG",@progbits,_ZN7rocprim17ROCPRIM_400000_NS6detail17trampoline_kernelINS0_14default_configENS1_25transform_config_selectorIfLb0EEEZNS1_14transform_implILb0ES3_S5_NS0_18transform_iteratorINS0_17counting_iteratorImlEEZNS1_24adjacent_difference_implIS3_Lb1ELb0EPKfPfN6thrust23THRUST_200600_302600_NS4plusIfEEEE10hipError_tPvRmT2_T3_mT4_P12ihipStream_tbEUlmE_fEESD_NS0_8identityIvEEEESI_SL_SM_mSN_SP_bEUlT_E_NS1_11comp_targetILNS1_3genE2ELNS1_11target_archE906ELNS1_3gpuE6ELNS1_3repE0EEENS1_30default_config_static_selectorELNS0_4arch9wavefront6targetE1EEEvT1_,comdat
.Lfunc_end610:
	.size	_ZN7rocprim17ROCPRIM_400000_NS6detail17trampoline_kernelINS0_14default_configENS1_25transform_config_selectorIfLb0EEEZNS1_14transform_implILb0ES3_S5_NS0_18transform_iteratorINS0_17counting_iteratorImlEEZNS1_24adjacent_difference_implIS3_Lb1ELb0EPKfPfN6thrust23THRUST_200600_302600_NS4plusIfEEEE10hipError_tPvRmT2_T3_mT4_P12ihipStream_tbEUlmE_fEESD_NS0_8identityIvEEEESI_SL_SM_mSN_SP_bEUlT_E_NS1_11comp_targetILNS1_3genE2ELNS1_11target_archE906ELNS1_3gpuE6ELNS1_3repE0EEENS1_30default_config_static_selectorELNS0_4arch9wavefront6targetE1EEEvT1_, .Lfunc_end610-_ZN7rocprim17ROCPRIM_400000_NS6detail17trampoline_kernelINS0_14default_configENS1_25transform_config_selectorIfLb0EEEZNS1_14transform_implILb0ES3_S5_NS0_18transform_iteratorINS0_17counting_iteratorImlEEZNS1_24adjacent_difference_implIS3_Lb1ELb0EPKfPfN6thrust23THRUST_200600_302600_NS4plusIfEEEE10hipError_tPvRmT2_T3_mT4_P12ihipStream_tbEUlmE_fEESD_NS0_8identityIvEEEESI_SL_SM_mSN_SP_bEUlT_E_NS1_11comp_targetILNS1_3genE2ELNS1_11target_archE906ELNS1_3gpuE6ELNS1_3repE0EEENS1_30default_config_static_selectorELNS0_4arch9wavefront6targetE1EEEvT1_
                                        ; -- End function
	.set _ZN7rocprim17ROCPRIM_400000_NS6detail17trampoline_kernelINS0_14default_configENS1_25transform_config_selectorIfLb0EEEZNS1_14transform_implILb0ES3_S5_NS0_18transform_iteratorINS0_17counting_iteratorImlEEZNS1_24adjacent_difference_implIS3_Lb1ELb0EPKfPfN6thrust23THRUST_200600_302600_NS4plusIfEEEE10hipError_tPvRmT2_T3_mT4_P12ihipStream_tbEUlmE_fEESD_NS0_8identityIvEEEESI_SL_SM_mSN_SP_bEUlT_E_NS1_11comp_targetILNS1_3genE2ELNS1_11target_archE906ELNS1_3gpuE6ELNS1_3repE0EEENS1_30default_config_static_selectorELNS0_4arch9wavefront6targetE1EEEvT1_.num_vgpr, 7
	.set _ZN7rocprim17ROCPRIM_400000_NS6detail17trampoline_kernelINS0_14default_configENS1_25transform_config_selectorIfLb0EEEZNS1_14transform_implILb0ES3_S5_NS0_18transform_iteratorINS0_17counting_iteratorImlEEZNS1_24adjacent_difference_implIS3_Lb1ELb0EPKfPfN6thrust23THRUST_200600_302600_NS4plusIfEEEE10hipError_tPvRmT2_T3_mT4_P12ihipStream_tbEUlmE_fEESD_NS0_8identityIvEEEESI_SL_SM_mSN_SP_bEUlT_E_NS1_11comp_targetILNS1_3genE2ELNS1_11target_archE906ELNS1_3gpuE6ELNS1_3repE0EEENS1_30default_config_static_selectorELNS0_4arch9wavefront6targetE1EEEvT1_.num_agpr, 0
	.set _ZN7rocprim17ROCPRIM_400000_NS6detail17trampoline_kernelINS0_14default_configENS1_25transform_config_selectorIfLb0EEEZNS1_14transform_implILb0ES3_S5_NS0_18transform_iteratorINS0_17counting_iteratorImlEEZNS1_24adjacent_difference_implIS3_Lb1ELb0EPKfPfN6thrust23THRUST_200600_302600_NS4plusIfEEEE10hipError_tPvRmT2_T3_mT4_P12ihipStream_tbEUlmE_fEESD_NS0_8identityIvEEEESI_SL_SM_mSN_SP_bEUlT_E_NS1_11comp_targetILNS1_3genE2ELNS1_11target_archE906ELNS1_3gpuE6ELNS1_3repE0EEENS1_30default_config_static_selectorELNS0_4arch9wavefront6targetE1EEEvT1_.numbered_sgpr, 18
	.set _ZN7rocprim17ROCPRIM_400000_NS6detail17trampoline_kernelINS0_14default_configENS1_25transform_config_selectorIfLb0EEEZNS1_14transform_implILb0ES3_S5_NS0_18transform_iteratorINS0_17counting_iteratorImlEEZNS1_24adjacent_difference_implIS3_Lb1ELb0EPKfPfN6thrust23THRUST_200600_302600_NS4plusIfEEEE10hipError_tPvRmT2_T3_mT4_P12ihipStream_tbEUlmE_fEESD_NS0_8identityIvEEEESI_SL_SM_mSN_SP_bEUlT_E_NS1_11comp_targetILNS1_3genE2ELNS1_11target_archE906ELNS1_3gpuE6ELNS1_3repE0EEENS1_30default_config_static_selectorELNS0_4arch9wavefront6targetE1EEEvT1_.num_named_barrier, 0
	.set _ZN7rocprim17ROCPRIM_400000_NS6detail17trampoline_kernelINS0_14default_configENS1_25transform_config_selectorIfLb0EEEZNS1_14transform_implILb0ES3_S5_NS0_18transform_iteratorINS0_17counting_iteratorImlEEZNS1_24adjacent_difference_implIS3_Lb1ELb0EPKfPfN6thrust23THRUST_200600_302600_NS4plusIfEEEE10hipError_tPvRmT2_T3_mT4_P12ihipStream_tbEUlmE_fEESD_NS0_8identityIvEEEESI_SL_SM_mSN_SP_bEUlT_E_NS1_11comp_targetILNS1_3genE2ELNS1_11target_archE906ELNS1_3gpuE6ELNS1_3repE0EEENS1_30default_config_static_selectorELNS0_4arch9wavefront6targetE1EEEvT1_.private_seg_size, 0
	.set _ZN7rocprim17ROCPRIM_400000_NS6detail17trampoline_kernelINS0_14default_configENS1_25transform_config_selectorIfLb0EEEZNS1_14transform_implILb0ES3_S5_NS0_18transform_iteratorINS0_17counting_iteratorImlEEZNS1_24adjacent_difference_implIS3_Lb1ELb0EPKfPfN6thrust23THRUST_200600_302600_NS4plusIfEEEE10hipError_tPvRmT2_T3_mT4_P12ihipStream_tbEUlmE_fEESD_NS0_8identityIvEEEESI_SL_SM_mSN_SP_bEUlT_E_NS1_11comp_targetILNS1_3genE2ELNS1_11target_archE906ELNS1_3gpuE6ELNS1_3repE0EEENS1_30default_config_static_selectorELNS0_4arch9wavefront6targetE1EEEvT1_.uses_vcc, 1
	.set _ZN7rocprim17ROCPRIM_400000_NS6detail17trampoline_kernelINS0_14default_configENS1_25transform_config_selectorIfLb0EEEZNS1_14transform_implILb0ES3_S5_NS0_18transform_iteratorINS0_17counting_iteratorImlEEZNS1_24adjacent_difference_implIS3_Lb1ELb0EPKfPfN6thrust23THRUST_200600_302600_NS4plusIfEEEE10hipError_tPvRmT2_T3_mT4_P12ihipStream_tbEUlmE_fEESD_NS0_8identityIvEEEESI_SL_SM_mSN_SP_bEUlT_E_NS1_11comp_targetILNS1_3genE2ELNS1_11target_archE906ELNS1_3gpuE6ELNS1_3repE0EEENS1_30default_config_static_selectorELNS0_4arch9wavefront6targetE1EEEvT1_.uses_flat_scratch, 0
	.set _ZN7rocprim17ROCPRIM_400000_NS6detail17trampoline_kernelINS0_14default_configENS1_25transform_config_selectorIfLb0EEEZNS1_14transform_implILb0ES3_S5_NS0_18transform_iteratorINS0_17counting_iteratorImlEEZNS1_24adjacent_difference_implIS3_Lb1ELb0EPKfPfN6thrust23THRUST_200600_302600_NS4plusIfEEEE10hipError_tPvRmT2_T3_mT4_P12ihipStream_tbEUlmE_fEESD_NS0_8identityIvEEEESI_SL_SM_mSN_SP_bEUlT_E_NS1_11comp_targetILNS1_3genE2ELNS1_11target_archE906ELNS1_3gpuE6ELNS1_3repE0EEENS1_30default_config_static_selectorELNS0_4arch9wavefront6targetE1EEEvT1_.has_dyn_sized_stack, 0
	.set _ZN7rocprim17ROCPRIM_400000_NS6detail17trampoline_kernelINS0_14default_configENS1_25transform_config_selectorIfLb0EEEZNS1_14transform_implILb0ES3_S5_NS0_18transform_iteratorINS0_17counting_iteratorImlEEZNS1_24adjacent_difference_implIS3_Lb1ELb0EPKfPfN6thrust23THRUST_200600_302600_NS4plusIfEEEE10hipError_tPvRmT2_T3_mT4_P12ihipStream_tbEUlmE_fEESD_NS0_8identityIvEEEESI_SL_SM_mSN_SP_bEUlT_E_NS1_11comp_targetILNS1_3genE2ELNS1_11target_archE906ELNS1_3gpuE6ELNS1_3repE0EEENS1_30default_config_static_selectorELNS0_4arch9wavefront6targetE1EEEvT1_.has_recursion, 0
	.set _ZN7rocprim17ROCPRIM_400000_NS6detail17trampoline_kernelINS0_14default_configENS1_25transform_config_selectorIfLb0EEEZNS1_14transform_implILb0ES3_S5_NS0_18transform_iteratorINS0_17counting_iteratorImlEEZNS1_24adjacent_difference_implIS3_Lb1ELb0EPKfPfN6thrust23THRUST_200600_302600_NS4plusIfEEEE10hipError_tPvRmT2_T3_mT4_P12ihipStream_tbEUlmE_fEESD_NS0_8identityIvEEEESI_SL_SM_mSN_SP_bEUlT_E_NS1_11comp_targetILNS1_3genE2ELNS1_11target_archE906ELNS1_3gpuE6ELNS1_3repE0EEENS1_30default_config_static_selectorELNS0_4arch9wavefront6targetE1EEEvT1_.has_indirect_call, 0
	.section	.AMDGPU.csdata,"",@progbits
; Kernel info:
; codeLenInByte = 584
; TotalNumSgprs: 22
; NumVgprs: 7
; ScratchSize: 0
; MemoryBound: 0
; FloatMode: 240
; IeeeMode: 1
; LDSByteSize: 0 bytes/workgroup (compile time only)
; SGPRBlocks: 2
; VGPRBlocks: 1
; NumSGPRsForWavesPerEU: 22
; NumVGPRsForWavesPerEU: 7
; Occupancy: 10
; WaveLimiterHint : 0
; COMPUTE_PGM_RSRC2:SCRATCH_EN: 0
; COMPUTE_PGM_RSRC2:USER_SGPR: 6
; COMPUTE_PGM_RSRC2:TRAP_HANDLER: 0
; COMPUTE_PGM_RSRC2:TGID_X_EN: 1
; COMPUTE_PGM_RSRC2:TGID_Y_EN: 0
; COMPUTE_PGM_RSRC2:TGID_Z_EN: 0
; COMPUTE_PGM_RSRC2:TIDIG_COMP_CNT: 0
	.section	.text._ZN7rocprim17ROCPRIM_400000_NS6detail17trampoline_kernelINS0_14default_configENS1_25transform_config_selectorIfLb0EEEZNS1_14transform_implILb0ES3_S5_NS0_18transform_iteratorINS0_17counting_iteratorImlEEZNS1_24adjacent_difference_implIS3_Lb1ELb0EPKfPfN6thrust23THRUST_200600_302600_NS4plusIfEEEE10hipError_tPvRmT2_T3_mT4_P12ihipStream_tbEUlmE_fEESD_NS0_8identityIvEEEESI_SL_SM_mSN_SP_bEUlT_E_NS1_11comp_targetILNS1_3genE10ELNS1_11target_archE1201ELNS1_3gpuE5ELNS1_3repE0EEENS1_30default_config_static_selectorELNS0_4arch9wavefront6targetE1EEEvT1_,"axG",@progbits,_ZN7rocprim17ROCPRIM_400000_NS6detail17trampoline_kernelINS0_14default_configENS1_25transform_config_selectorIfLb0EEEZNS1_14transform_implILb0ES3_S5_NS0_18transform_iteratorINS0_17counting_iteratorImlEEZNS1_24adjacent_difference_implIS3_Lb1ELb0EPKfPfN6thrust23THRUST_200600_302600_NS4plusIfEEEE10hipError_tPvRmT2_T3_mT4_P12ihipStream_tbEUlmE_fEESD_NS0_8identityIvEEEESI_SL_SM_mSN_SP_bEUlT_E_NS1_11comp_targetILNS1_3genE10ELNS1_11target_archE1201ELNS1_3gpuE5ELNS1_3repE0EEENS1_30default_config_static_selectorELNS0_4arch9wavefront6targetE1EEEvT1_,comdat
	.protected	_ZN7rocprim17ROCPRIM_400000_NS6detail17trampoline_kernelINS0_14default_configENS1_25transform_config_selectorIfLb0EEEZNS1_14transform_implILb0ES3_S5_NS0_18transform_iteratorINS0_17counting_iteratorImlEEZNS1_24adjacent_difference_implIS3_Lb1ELb0EPKfPfN6thrust23THRUST_200600_302600_NS4plusIfEEEE10hipError_tPvRmT2_T3_mT4_P12ihipStream_tbEUlmE_fEESD_NS0_8identityIvEEEESI_SL_SM_mSN_SP_bEUlT_E_NS1_11comp_targetILNS1_3genE10ELNS1_11target_archE1201ELNS1_3gpuE5ELNS1_3repE0EEENS1_30default_config_static_selectorELNS0_4arch9wavefront6targetE1EEEvT1_ ; -- Begin function _ZN7rocprim17ROCPRIM_400000_NS6detail17trampoline_kernelINS0_14default_configENS1_25transform_config_selectorIfLb0EEEZNS1_14transform_implILb0ES3_S5_NS0_18transform_iteratorINS0_17counting_iteratorImlEEZNS1_24adjacent_difference_implIS3_Lb1ELb0EPKfPfN6thrust23THRUST_200600_302600_NS4plusIfEEEE10hipError_tPvRmT2_T3_mT4_P12ihipStream_tbEUlmE_fEESD_NS0_8identityIvEEEESI_SL_SM_mSN_SP_bEUlT_E_NS1_11comp_targetILNS1_3genE10ELNS1_11target_archE1201ELNS1_3gpuE5ELNS1_3repE0EEENS1_30default_config_static_selectorELNS0_4arch9wavefront6targetE1EEEvT1_
	.globl	_ZN7rocprim17ROCPRIM_400000_NS6detail17trampoline_kernelINS0_14default_configENS1_25transform_config_selectorIfLb0EEEZNS1_14transform_implILb0ES3_S5_NS0_18transform_iteratorINS0_17counting_iteratorImlEEZNS1_24adjacent_difference_implIS3_Lb1ELb0EPKfPfN6thrust23THRUST_200600_302600_NS4plusIfEEEE10hipError_tPvRmT2_T3_mT4_P12ihipStream_tbEUlmE_fEESD_NS0_8identityIvEEEESI_SL_SM_mSN_SP_bEUlT_E_NS1_11comp_targetILNS1_3genE10ELNS1_11target_archE1201ELNS1_3gpuE5ELNS1_3repE0EEENS1_30default_config_static_selectorELNS0_4arch9wavefront6targetE1EEEvT1_
	.p2align	8
	.type	_ZN7rocprim17ROCPRIM_400000_NS6detail17trampoline_kernelINS0_14default_configENS1_25transform_config_selectorIfLb0EEEZNS1_14transform_implILb0ES3_S5_NS0_18transform_iteratorINS0_17counting_iteratorImlEEZNS1_24adjacent_difference_implIS3_Lb1ELb0EPKfPfN6thrust23THRUST_200600_302600_NS4plusIfEEEE10hipError_tPvRmT2_T3_mT4_P12ihipStream_tbEUlmE_fEESD_NS0_8identityIvEEEESI_SL_SM_mSN_SP_bEUlT_E_NS1_11comp_targetILNS1_3genE10ELNS1_11target_archE1201ELNS1_3gpuE5ELNS1_3repE0EEENS1_30default_config_static_selectorELNS0_4arch9wavefront6targetE1EEEvT1_,@function
_ZN7rocprim17ROCPRIM_400000_NS6detail17trampoline_kernelINS0_14default_configENS1_25transform_config_selectorIfLb0EEEZNS1_14transform_implILb0ES3_S5_NS0_18transform_iteratorINS0_17counting_iteratorImlEEZNS1_24adjacent_difference_implIS3_Lb1ELb0EPKfPfN6thrust23THRUST_200600_302600_NS4plusIfEEEE10hipError_tPvRmT2_T3_mT4_P12ihipStream_tbEUlmE_fEESD_NS0_8identityIvEEEESI_SL_SM_mSN_SP_bEUlT_E_NS1_11comp_targetILNS1_3genE10ELNS1_11target_archE1201ELNS1_3gpuE5ELNS1_3repE0EEENS1_30default_config_static_selectorELNS0_4arch9wavefront6targetE1EEEvT1_: ; @_ZN7rocprim17ROCPRIM_400000_NS6detail17trampoline_kernelINS0_14default_configENS1_25transform_config_selectorIfLb0EEEZNS1_14transform_implILb0ES3_S5_NS0_18transform_iteratorINS0_17counting_iteratorImlEEZNS1_24adjacent_difference_implIS3_Lb1ELb0EPKfPfN6thrust23THRUST_200600_302600_NS4plusIfEEEE10hipError_tPvRmT2_T3_mT4_P12ihipStream_tbEUlmE_fEESD_NS0_8identityIvEEEESI_SL_SM_mSN_SP_bEUlT_E_NS1_11comp_targetILNS1_3genE10ELNS1_11target_archE1201ELNS1_3gpuE5ELNS1_3repE0EEENS1_30default_config_static_selectorELNS0_4arch9wavefront6targetE1EEEvT1_
; %bb.0:
	.section	.rodata,"a",@progbits
	.p2align	6, 0x0
	.amdhsa_kernel _ZN7rocprim17ROCPRIM_400000_NS6detail17trampoline_kernelINS0_14default_configENS1_25transform_config_selectorIfLb0EEEZNS1_14transform_implILb0ES3_S5_NS0_18transform_iteratorINS0_17counting_iteratorImlEEZNS1_24adjacent_difference_implIS3_Lb1ELb0EPKfPfN6thrust23THRUST_200600_302600_NS4plusIfEEEE10hipError_tPvRmT2_T3_mT4_P12ihipStream_tbEUlmE_fEESD_NS0_8identityIvEEEESI_SL_SM_mSN_SP_bEUlT_E_NS1_11comp_targetILNS1_3genE10ELNS1_11target_archE1201ELNS1_3gpuE5ELNS1_3repE0EEENS1_30default_config_static_selectorELNS0_4arch9wavefront6targetE1EEEvT1_
		.amdhsa_group_segment_fixed_size 0
		.amdhsa_private_segment_fixed_size 0
		.amdhsa_kernarg_size 56
		.amdhsa_user_sgpr_count 6
		.amdhsa_user_sgpr_private_segment_buffer 1
		.amdhsa_user_sgpr_dispatch_ptr 0
		.amdhsa_user_sgpr_queue_ptr 0
		.amdhsa_user_sgpr_kernarg_segment_ptr 1
		.amdhsa_user_sgpr_dispatch_id 0
		.amdhsa_user_sgpr_flat_scratch_init 0
		.amdhsa_user_sgpr_private_segment_size 0
		.amdhsa_uses_dynamic_stack 0
		.amdhsa_system_sgpr_private_segment_wavefront_offset 0
		.amdhsa_system_sgpr_workgroup_id_x 1
		.amdhsa_system_sgpr_workgroup_id_y 0
		.amdhsa_system_sgpr_workgroup_id_z 0
		.amdhsa_system_sgpr_workgroup_info 0
		.amdhsa_system_vgpr_workitem_id 0
		.amdhsa_next_free_vgpr 1
		.amdhsa_next_free_sgpr 0
		.amdhsa_reserve_vcc 0
		.amdhsa_reserve_flat_scratch 0
		.amdhsa_float_round_mode_32 0
		.amdhsa_float_round_mode_16_64 0
		.amdhsa_float_denorm_mode_32 3
		.amdhsa_float_denorm_mode_16_64 3
		.amdhsa_dx10_clamp 1
		.amdhsa_ieee_mode 1
		.amdhsa_fp16_overflow 0
		.amdhsa_exception_fp_ieee_invalid_op 0
		.amdhsa_exception_fp_denorm_src 0
		.amdhsa_exception_fp_ieee_div_zero 0
		.amdhsa_exception_fp_ieee_overflow 0
		.amdhsa_exception_fp_ieee_underflow 0
		.amdhsa_exception_fp_ieee_inexact 0
		.amdhsa_exception_int_div_zero 0
	.end_amdhsa_kernel
	.section	.text._ZN7rocprim17ROCPRIM_400000_NS6detail17trampoline_kernelINS0_14default_configENS1_25transform_config_selectorIfLb0EEEZNS1_14transform_implILb0ES3_S5_NS0_18transform_iteratorINS0_17counting_iteratorImlEEZNS1_24adjacent_difference_implIS3_Lb1ELb0EPKfPfN6thrust23THRUST_200600_302600_NS4plusIfEEEE10hipError_tPvRmT2_T3_mT4_P12ihipStream_tbEUlmE_fEESD_NS0_8identityIvEEEESI_SL_SM_mSN_SP_bEUlT_E_NS1_11comp_targetILNS1_3genE10ELNS1_11target_archE1201ELNS1_3gpuE5ELNS1_3repE0EEENS1_30default_config_static_selectorELNS0_4arch9wavefront6targetE1EEEvT1_,"axG",@progbits,_ZN7rocprim17ROCPRIM_400000_NS6detail17trampoline_kernelINS0_14default_configENS1_25transform_config_selectorIfLb0EEEZNS1_14transform_implILb0ES3_S5_NS0_18transform_iteratorINS0_17counting_iteratorImlEEZNS1_24adjacent_difference_implIS3_Lb1ELb0EPKfPfN6thrust23THRUST_200600_302600_NS4plusIfEEEE10hipError_tPvRmT2_T3_mT4_P12ihipStream_tbEUlmE_fEESD_NS0_8identityIvEEEESI_SL_SM_mSN_SP_bEUlT_E_NS1_11comp_targetILNS1_3genE10ELNS1_11target_archE1201ELNS1_3gpuE5ELNS1_3repE0EEENS1_30default_config_static_selectorELNS0_4arch9wavefront6targetE1EEEvT1_,comdat
.Lfunc_end611:
	.size	_ZN7rocprim17ROCPRIM_400000_NS6detail17trampoline_kernelINS0_14default_configENS1_25transform_config_selectorIfLb0EEEZNS1_14transform_implILb0ES3_S5_NS0_18transform_iteratorINS0_17counting_iteratorImlEEZNS1_24adjacent_difference_implIS3_Lb1ELb0EPKfPfN6thrust23THRUST_200600_302600_NS4plusIfEEEE10hipError_tPvRmT2_T3_mT4_P12ihipStream_tbEUlmE_fEESD_NS0_8identityIvEEEESI_SL_SM_mSN_SP_bEUlT_E_NS1_11comp_targetILNS1_3genE10ELNS1_11target_archE1201ELNS1_3gpuE5ELNS1_3repE0EEENS1_30default_config_static_selectorELNS0_4arch9wavefront6targetE1EEEvT1_, .Lfunc_end611-_ZN7rocprim17ROCPRIM_400000_NS6detail17trampoline_kernelINS0_14default_configENS1_25transform_config_selectorIfLb0EEEZNS1_14transform_implILb0ES3_S5_NS0_18transform_iteratorINS0_17counting_iteratorImlEEZNS1_24adjacent_difference_implIS3_Lb1ELb0EPKfPfN6thrust23THRUST_200600_302600_NS4plusIfEEEE10hipError_tPvRmT2_T3_mT4_P12ihipStream_tbEUlmE_fEESD_NS0_8identityIvEEEESI_SL_SM_mSN_SP_bEUlT_E_NS1_11comp_targetILNS1_3genE10ELNS1_11target_archE1201ELNS1_3gpuE5ELNS1_3repE0EEENS1_30default_config_static_selectorELNS0_4arch9wavefront6targetE1EEEvT1_
                                        ; -- End function
	.set _ZN7rocprim17ROCPRIM_400000_NS6detail17trampoline_kernelINS0_14default_configENS1_25transform_config_selectorIfLb0EEEZNS1_14transform_implILb0ES3_S5_NS0_18transform_iteratorINS0_17counting_iteratorImlEEZNS1_24adjacent_difference_implIS3_Lb1ELb0EPKfPfN6thrust23THRUST_200600_302600_NS4plusIfEEEE10hipError_tPvRmT2_T3_mT4_P12ihipStream_tbEUlmE_fEESD_NS0_8identityIvEEEESI_SL_SM_mSN_SP_bEUlT_E_NS1_11comp_targetILNS1_3genE10ELNS1_11target_archE1201ELNS1_3gpuE5ELNS1_3repE0EEENS1_30default_config_static_selectorELNS0_4arch9wavefront6targetE1EEEvT1_.num_vgpr, 0
	.set _ZN7rocprim17ROCPRIM_400000_NS6detail17trampoline_kernelINS0_14default_configENS1_25transform_config_selectorIfLb0EEEZNS1_14transform_implILb0ES3_S5_NS0_18transform_iteratorINS0_17counting_iteratorImlEEZNS1_24adjacent_difference_implIS3_Lb1ELb0EPKfPfN6thrust23THRUST_200600_302600_NS4plusIfEEEE10hipError_tPvRmT2_T3_mT4_P12ihipStream_tbEUlmE_fEESD_NS0_8identityIvEEEESI_SL_SM_mSN_SP_bEUlT_E_NS1_11comp_targetILNS1_3genE10ELNS1_11target_archE1201ELNS1_3gpuE5ELNS1_3repE0EEENS1_30default_config_static_selectorELNS0_4arch9wavefront6targetE1EEEvT1_.num_agpr, 0
	.set _ZN7rocprim17ROCPRIM_400000_NS6detail17trampoline_kernelINS0_14default_configENS1_25transform_config_selectorIfLb0EEEZNS1_14transform_implILb0ES3_S5_NS0_18transform_iteratorINS0_17counting_iteratorImlEEZNS1_24adjacent_difference_implIS3_Lb1ELb0EPKfPfN6thrust23THRUST_200600_302600_NS4plusIfEEEE10hipError_tPvRmT2_T3_mT4_P12ihipStream_tbEUlmE_fEESD_NS0_8identityIvEEEESI_SL_SM_mSN_SP_bEUlT_E_NS1_11comp_targetILNS1_3genE10ELNS1_11target_archE1201ELNS1_3gpuE5ELNS1_3repE0EEENS1_30default_config_static_selectorELNS0_4arch9wavefront6targetE1EEEvT1_.numbered_sgpr, 0
	.set _ZN7rocprim17ROCPRIM_400000_NS6detail17trampoline_kernelINS0_14default_configENS1_25transform_config_selectorIfLb0EEEZNS1_14transform_implILb0ES3_S5_NS0_18transform_iteratorINS0_17counting_iteratorImlEEZNS1_24adjacent_difference_implIS3_Lb1ELb0EPKfPfN6thrust23THRUST_200600_302600_NS4plusIfEEEE10hipError_tPvRmT2_T3_mT4_P12ihipStream_tbEUlmE_fEESD_NS0_8identityIvEEEESI_SL_SM_mSN_SP_bEUlT_E_NS1_11comp_targetILNS1_3genE10ELNS1_11target_archE1201ELNS1_3gpuE5ELNS1_3repE0EEENS1_30default_config_static_selectorELNS0_4arch9wavefront6targetE1EEEvT1_.num_named_barrier, 0
	.set _ZN7rocprim17ROCPRIM_400000_NS6detail17trampoline_kernelINS0_14default_configENS1_25transform_config_selectorIfLb0EEEZNS1_14transform_implILb0ES3_S5_NS0_18transform_iteratorINS0_17counting_iteratorImlEEZNS1_24adjacent_difference_implIS3_Lb1ELb0EPKfPfN6thrust23THRUST_200600_302600_NS4plusIfEEEE10hipError_tPvRmT2_T3_mT4_P12ihipStream_tbEUlmE_fEESD_NS0_8identityIvEEEESI_SL_SM_mSN_SP_bEUlT_E_NS1_11comp_targetILNS1_3genE10ELNS1_11target_archE1201ELNS1_3gpuE5ELNS1_3repE0EEENS1_30default_config_static_selectorELNS0_4arch9wavefront6targetE1EEEvT1_.private_seg_size, 0
	.set _ZN7rocprim17ROCPRIM_400000_NS6detail17trampoline_kernelINS0_14default_configENS1_25transform_config_selectorIfLb0EEEZNS1_14transform_implILb0ES3_S5_NS0_18transform_iteratorINS0_17counting_iteratorImlEEZNS1_24adjacent_difference_implIS3_Lb1ELb0EPKfPfN6thrust23THRUST_200600_302600_NS4plusIfEEEE10hipError_tPvRmT2_T3_mT4_P12ihipStream_tbEUlmE_fEESD_NS0_8identityIvEEEESI_SL_SM_mSN_SP_bEUlT_E_NS1_11comp_targetILNS1_3genE10ELNS1_11target_archE1201ELNS1_3gpuE5ELNS1_3repE0EEENS1_30default_config_static_selectorELNS0_4arch9wavefront6targetE1EEEvT1_.uses_vcc, 0
	.set _ZN7rocprim17ROCPRIM_400000_NS6detail17trampoline_kernelINS0_14default_configENS1_25transform_config_selectorIfLb0EEEZNS1_14transform_implILb0ES3_S5_NS0_18transform_iteratorINS0_17counting_iteratorImlEEZNS1_24adjacent_difference_implIS3_Lb1ELb0EPKfPfN6thrust23THRUST_200600_302600_NS4plusIfEEEE10hipError_tPvRmT2_T3_mT4_P12ihipStream_tbEUlmE_fEESD_NS0_8identityIvEEEESI_SL_SM_mSN_SP_bEUlT_E_NS1_11comp_targetILNS1_3genE10ELNS1_11target_archE1201ELNS1_3gpuE5ELNS1_3repE0EEENS1_30default_config_static_selectorELNS0_4arch9wavefront6targetE1EEEvT1_.uses_flat_scratch, 0
	.set _ZN7rocprim17ROCPRIM_400000_NS6detail17trampoline_kernelINS0_14default_configENS1_25transform_config_selectorIfLb0EEEZNS1_14transform_implILb0ES3_S5_NS0_18transform_iteratorINS0_17counting_iteratorImlEEZNS1_24adjacent_difference_implIS3_Lb1ELb0EPKfPfN6thrust23THRUST_200600_302600_NS4plusIfEEEE10hipError_tPvRmT2_T3_mT4_P12ihipStream_tbEUlmE_fEESD_NS0_8identityIvEEEESI_SL_SM_mSN_SP_bEUlT_E_NS1_11comp_targetILNS1_3genE10ELNS1_11target_archE1201ELNS1_3gpuE5ELNS1_3repE0EEENS1_30default_config_static_selectorELNS0_4arch9wavefront6targetE1EEEvT1_.has_dyn_sized_stack, 0
	.set _ZN7rocprim17ROCPRIM_400000_NS6detail17trampoline_kernelINS0_14default_configENS1_25transform_config_selectorIfLb0EEEZNS1_14transform_implILb0ES3_S5_NS0_18transform_iteratorINS0_17counting_iteratorImlEEZNS1_24adjacent_difference_implIS3_Lb1ELb0EPKfPfN6thrust23THRUST_200600_302600_NS4plusIfEEEE10hipError_tPvRmT2_T3_mT4_P12ihipStream_tbEUlmE_fEESD_NS0_8identityIvEEEESI_SL_SM_mSN_SP_bEUlT_E_NS1_11comp_targetILNS1_3genE10ELNS1_11target_archE1201ELNS1_3gpuE5ELNS1_3repE0EEENS1_30default_config_static_selectorELNS0_4arch9wavefront6targetE1EEEvT1_.has_recursion, 0
	.set _ZN7rocprim17ROCPRIM_400000_NS6detail17trampoline_kernelINS0_14default_configENS1_25transform_config_selectorIfLb0EEEZNS1_14transform_implILb0ES3_S5_NS0_18transform_iteratorINS0_17counting_iteratorImlEEZNS1_24adjacent_difference_implIS3_Lb1ELb0EPKfPfN6thrust23THRUST_200600_302600_NS4plusIfEEEE10hipError_tPvRmT2_T3_mT4_P12ihipStream_tbEUlmE_fEESD_NS0_8identityIvEEEESI_SL_SM_mSN_SP_bEUlT_E_NS1_11comp_targetILNS1_3genE10ELNS1_11target_archE1201ELNS1_3gpuE5ELNS1_3repE0EEENS1_30default_config_static_selectorELNS0_4arch9wavefront6targetE1EEEvT1_.has_indirect_call, 0
	.section	.AMDGPU.csdata,"",@progbits
; Kernel info:
; codeLenInByte = 0
; TotalNumSgprs: 4
; NumVgprs: 0
; ScratchSize: 0
; MemoryBound: 0
; FloatMode: 240
; IeeeMode: 1
; LDSByteSize: 0 bytes/workgroup (compile time only)
; SGPRBlocks: 0
; VGPRBlocks: 0
; NumSGPRsForWavesPerEU: 4
; NumVGPRsForWavesPerEU: 1
; Occupancy: 10
; WaveLimiterHint : 0
; COMPUTE_PGM_RSRC2:SCRATCH_EN: 0
; COMPUTE_PGM_RSRC2:USER_SGPR: 6
; COMPUTE_PGM_RSRC2:TRAP_HANDLER: 0
; COMPUTE_PGM_RSRC2:TGID_X_EN: 1
; COMPUTE_PGM_RSRC2:TGID_Y_EN: 0
; COMPUTE_PGM_RSRC2:TGID_Z_EN: 0
; COMPUTE_PGM_RSRC2:TIDIG_COMP_CNT: 0
	.section	.text._ZN7rocprim17ROCPRIM_400000_NS6detail17trampoline_kernelINS0_14default_configENS1_25transform_config_selectorIfLb0EEEZNS1_14transform_implILb0ES3_S5_NS0_18transform_iteratorINS0_17counting_iteratorImlEEZNS1_24adjacent_difference_implIS3_Lb1ELb0EPKfPfN6thrust23THRUST_200600_302600_NS4plusIfEEEE10hipError_tPvRmT2_T3_mT4_P12ihipStream_tbEUlmE_fEESD_NS0_8identityIvEEEESI_SL_SM_mSN_SP_bEUlT_E_NS1_11comp_targetILNS1_3genE10ELNS1_11target_archE1200ELNS1_3gpuE4ELNS1_3repE0EEENS1_30default_config_static_selectorELNS0_4arch9wavefront6targetE1EEEvT1_,"axG",@progbits,_ZN7rocprim17ROCPRIM_400000_NS6detail17trampoline_kernelINS0_14default_configENS1_25transform_config_selectorIfLb0EEEZNS1_14transform_implILb0ES3_S5_NS0_18transform_iteratorINS0_17counting_iteratorImlEEZNS1_24adjacent_difference_implIS3_Lb1ELb0EPKfPfN6thrust23THRUST_200600_302600_NS4plusIfEEEE10hipError_tPvRmT2_T3_mT4_P12ihipStream_tbEUlmE_fEESD_NS0_8identityIvEEEESI_SL_SM_mSN_SP_bEUlT_E_NS1_11comp_targetILNS1_3genE10ELNS1_11target_archE1200ELNS1_3gpuE4ELNS1_3repE0EEENS1_30default_config_static_selectorELNS0_4arch9wavefront6targetE1EEEvT1_,comdat
	.protected	_ZN7rocprim17ROCPRIM_400000_NS6detail17trampoline_kernelINS0_14default_configENS1_25transform_config_selectorIfLb0EEEZNS1_14transform_implILb0ES3_S5_NS0_18transform_iteratorINS0_17counting_iteratorImlEEZNS1_24adjacent_difference_implIS3_Lb1ELb0EPKfPfN6thrust23THRUST_200600_302600_NS4plusIfEEEE10hipError_tPvRmT2_T3_mT4_P12ihipStream_tbEUlmE_fEESD_NS0_8identityIvEEEESI_SL_SM_mSN_SP_bEUlT_E_NS1_11comp_targetILNS1_3genE10ELNS1_11target_archE1200ELNS1_3gpuE4ELNS1_3repE0EEENS1_30default_config_static_selectorELNS0_4arch9wavefront6targetE1EEEvT1_ ; -- Begin function _ZN7rocprim17ROCPRIM_400000_NS6detail17trampoline_kernelINS0_14default_configENS1_25transform_config_selectorIfLb0EEEZNS1_14transform_implILb0ES3_S5_NS0_18transform_iteratorINS0_17counting_iteratorImlEEZNS1_24adjacent_difference_implIS3_Lb1ELb0EPKfPfN6thrust23THRUST_200600_302600_NS4plusIfEEEE10hipError_tPvRmT2_T3_mT4_P12ihipStream_tbEUlmE_fEESD_NS0_8identityIvEEEESI_SL_SM_mSN_SP_bEUlT_E_NS1_11comp_targetILNS1_3genE10ELNS1_11target_archE1200ELNS1_3gpuE4ELNS1_3repE0EEENS1_30default_config_static_selectorELNS0_4arch9wavefront6targetE1EEEvT1_
	.globl	_ZN7rocprim17ROCPRIM_400000_NS6detail17trampoline_kernelINS0_14default_configENS1_25transform_config_selectorIfLb0EEEZNS1_14transform_implILb0ES3_S5_NS0_18transform_iteratorINS0_17counting_iteratorImlEEZNS1_24adjacent_difference_implIS3_Lb1ELb0EPKfPfN6thrust23THRUST_200600_302600_NS4plusIfEEEE10hipError_tPvRmT2_T3_mT4_P12ihipStream_tbEUlmE_fEESD_NS0_8identityIvEEEESI_SL_SM_mSN_SP_bEUlT_E_NS1_11comp_targetILNS1_3genE10ELNS1_11target_archE1200ELNS1_3gpuE4ELNS1_3repE0EEENS1_30default_config_static_selectorELNS0_4arch9wavefront6targetE1EEEvT1_
	.p2align	8
	.type	_ZN7rocprim17ROCPRIM_400000_NS6detail17trampoline_kernelINS0_14default_configENS1_25transform_config_selectorIfLb0EEEZNS1_14transform_implILb0ES3_S5_NS0_18transform_iteratorINS0_17counting_iteratorImlEEZNS1_24adjacent_difference_implIS3_Lb1ELb0EPKfPfN6thrust23THRUST_200600_302600_NS4plusIfEEEE10hipError_tPvRmT2_T3_mT4_P12ihipStream_tbEUlmE_fEESD_NS0_8identityIvEEEESI_SL_SM_mSN_SP_bEUlT_E_NS1_11comp_targetILNS1_3genE10ELNS1_11target_archE1200ELNS1_3gpuE4ELNS1_3repE0EEENS1_30default_config_static_selectorELNS0_4arch9wavefront6targetE1EEEvT1_,@function
_ZN7rocprim17ROCPRIM_400000_NS6detail17trampoline_kernelINS0_14default_configENS1_25transform_config_selectorIfLb0EEEZNS1_14transform_implILb0ES3_S5_NS0_18transform_iteratorINS0_17counting_iteratorImlEEZNS1_24adjacent_difference_implIS3_Lb1ELb0EPKfPfN6thrust23THRUST_200600_302600_NS4plusIfEEEE10hipError_tPvRmT2_T3_mT4_P12ihipStream_tbEUlmE_fEESD_NS0_8identityIvEEEESI_SL_SM_mSN_SP_bEUlT_E_NS1_11comp_targetILNS1_3genE10ELNS1_11target_archE1200ELNS1_3gpuE4ELNS1_3repE0EEENS1_30default_config_static_selectorELNS0_4arch9wavefront6targetE1EEEvT1_: ; @_ZN7rocprim17ROCPRIM_400000_NS6detail17trampoline_kernelINS0_14default_configENS1_25transform_config_selectorIfLb0EEEZNS1_14transform_implILb0ES3_S5_NS0_18transform_iteratorINS0_17counting_iteratorImlEEZNS1_24adjacent_difference_implIS3_Lb1ELb0EPKfPfN6thrust23THRUST_200600_302600_NS4plusIfEEEE10hipError_tPvRmT2_T3_mT4_P12ihipStream_tbEUlmE_fEESD_NS0_8identityIvEEEESI_SL_SM_mSN_SP_bEUlT_E_NS1_11comp_targetILNS1_3genE10ELNS1_11target_archE1200ELNS1_3gpuE4ELNS1_3repE0EEENS1_30default_config_static_selectorELNS0_4arch9wavefront6targetE1EEEvT1_
; %bb.0:
	.section	.rodata,"a",@progbits
	.p2align	6, 0x0
	.amdhsa_kernel _ZN7rocprim17ROCPRIM_400000_NS6detail17trampoline_kernelINS0_14default_configENS1_25transform_config_selectorIfLb0EEEZNS1_14transform_implILb0ES3_S5_NS0_18transform_iteratorINS0_17counting_iteratorImlEEZNS1_24adjacent_difference_implIS3_Lb1ELb0EPKfPfN6thrust23THRUST_200600_302600_NS4plusIfEEEE10hipError_tPvRmT2_T3_mT4_P12ihipStream_tbEUlmE_fEESD_NS0_8identityIvEEEESI_SL_SM_mSN_SP_bEUlT_E_NS1_11comp_targetILNS1_3genE10ELNS1_11target_archE1200ELNS1_3gpuE4ELNS1_3repE0EEENS1_30default_config_static_selectorELNS0_4arch9wavefront6targetE1EEEvT1_
		.amdhsa_group_segment_fixed_size 0
		.amdhsa_private_segment_fixed_size 0
		.amdhsa_kernarg_size 56
		.amdhsa_user_sgpr_count 6
		.amdhsa_user_sgpr_private_segment_buffer 1
		.amdhsa_user_sgpr_dispatch_ptr 0
		.amdhsa_user_sgpr_queue_ptr 0
		.amdhsa_user_sgpr_kernarg_segment_ptr 1
		.amdhsa_user_sgpr_dispatch_id 0
		.amdhsa_user_sgpr_flat_scratch_init 0
		.amdhsa_user_sgpr_private_segment_size 0
		.amdhsa_uses_dynamic_stack 0
		.amdhsa_system_sgpr_private_segment_wavefront_offset 0
		.amdhsa_system_sgpr_workgroup_id_x 1
		.amdhsa_system_sgpr_workgroup_id_y 0
		.amdhsa_system_sgpr_workgroup_id_z 0
		.amdhsa_system_sgpr_workgroup_info 0
		.amdhsa_system_vgpr_workitem_id 0
		.amdhsa_next_free_vgpr 1
		.amdhsa_next_free_sgpr 0
		.amdhsa_reserve_vcc 0
		.amdhsa_reserve_flat_scratch 0
		.amdhsa_float_round_mode_32 0
		.amdhsa_float_round_mode_16_64 0
		.amdhsa_float_denorm_mode_32 3
		.amdhsa_float_denorm_mode_16_64 3
		.amdhsa_dx10_clamp 1
		.amdhsa_ieee_mode 1
		.amdhsa_fp16_overflow 0
		.amdhsa_exception_fp_ieee_invalid_op 0
		.amdhsa_exception_fp_denorm_src 0
		.amdhsa_exception_fp_ieee_div_zero 0
		.amdhsa_exception_fp_ieee_overflow 0
		.amdhsa_exception_fp_ieee_underflow 0
		.amdhsa_exception_fp_ieee_inexact 0
		.amdhsa_exception_int_div_zero 0
	.end_amdhsa_kernel
	.section	.text._ZN7rocprim17ROCPRIM_400000_NS6detail17trampoline_kernelINS0_14default_configENS1_25transform_config_selectorIfLb0EEEZNS1_14transform_implILb0ES3_S5_NS0_18transform_iteratorINS0_17counting_iteratorImlEEZNS1_24adjacent_difference_implIS3_Lb1ELb0EPKfPfN6thrust23THRUST_200600_302600_NS4plusIfEEEE10hipError_tPvRmT2_T3_mT4_P12ihipStream_tbEUlmE_fEESD_NS0_8identityIvEEEESI_SL_SM_mSN_SP_bEUlT_E_NS1_11comp_targetILNS1_3genE10ELNS1_11target_archE1200ELNS1_3gpuE4ELNS1_3repE0EEENS1_30default_config_static_selectorELNS0_4arch9wavefront6targetE1EEEvT1_,"axG",@progbits,_ZN7rocprim17ROCPRIM_400000_NS6detail17trampoline_kernelINS0_14default_configENS1_25transform_config_selectorIfLb0EEEZNS1_14transform_implILb0ES3_S5_NS0_18transform_iteratorINS0_17counting_iteratorImlEEZNS1_24adjacent_difference_implIS3_Lb1ELb0EPKfPfN6thrust23THRUST_200600_302600_NS4plusIfEEEE10hipError_tPvRmT2_T3_mT4_P12ihipStream_tbEUlmE_fEESD_NS0_8identityIvEEEESI_SL_SM_mSN_SP_bEUlT_E_NS1_11comp_targetILNS1_3genE10ELNS1_11target_archE1200ELNS1_3gpuE4ELNS1_3repE0EEENS1_30default_config_static_selectorELNS0_4arch9wavefront6targetE1EEEvT1_,comdat
.Lfunc_end612:
	.size	_ZN7rocprim17ROCPRIM_400000_NS6detail17trampoline_kernelINS0_14default_configENS1_25transform_config_selectorIfLb0EEEZNS1_14transform_implILb0ES3_S5_NS0_18transform_iteratorINS0_17counting_iteratorImlEEZNS1_24adjacent_difference_implIS3_Lb1ELb0EPKfPfN6thrust23THRUST_200600_302600_NS4plusIfEEEE10hipError_tPvRmT2_T3_mT4_P12ihipStream_tbEUlmE_fEESD_NS0_8identityIvEEEESI_SL_SM_mSN_SP_bEUlT_E_NS1_11comp_targetILNS1_3genE10ELNS1_11target_archE1200ELNS1_3gpuE4ELNS1_3repE0EEENS1_30default_config_static_selectorELNS0_4arch9wavefront6targetE1EEEvT1_, .Lfunc_end612-_ZN7rocprim17ROCPRIM_400000_NS6detail17trampoline_kernelINS0_14default_configENS1_25transform_config_selectorIfLb0EEEZNS1_14transform_implILb0ES3_S5_NS0_18transform_iteratorINS0_17counting_iteratorImlEEZNS1_24adjacent_difference_implIS3_Lb1ELb0EPKfPfN6thrust23THRUST_200600_302600_NS4plusIfEEEE10hipError_tPvRmT2_T3_mT4_P12ihipStream_tbEUlmE_fEESD_NS0_8identityIvEEEESI_SL_SM_mSN_SP_bEUlT_E_NS1_11comp_targetILNS1_3genE10ELNS1_11target_archE1200ELNS1_3gpuE4ELNS1_3repE0EEENS1_30default_config_static_selectorELNS0_4arch9wavefront6targetE1EEEvT1_
                                        ; -- End function
	.set _ZN7rocprim17ROCPRIM_400000_NS6detail17trampoline_kernelINS0_14default_configENS1_25transform_config_selectorIfLb0EEEZNS1_14transform_implILb0ES3_S5_NS0_18transform_iteratorINS0_17counting_iteratorImlEEZNS1_24adjacent_difference_implIS3_Lb1ELb0EPKfPfN6thrust23THRUST_200600_302600_NS4plusIfEEEE10hipError_tPvRmT2_T3_mT4_P12ihipStream_tbEUlmE_fEESD_NS0_8identityIvEEEESI_SL_SM_mSN_SP_bEUlT_E_NS1_11comp_targetILNS1_3genE10ELNS1_11target_archE1200ELNS1_3gpuE4ELNS1_3repE0EEENS1_30default_config_static_selectorELNS0_4arch9wavefront6targetE1EEEvT1_.num_vgpr, 0
	.set _ZN7rocprim17ROCPRIM_400000_NS6detail17trampoline_kernelINS0_14default_configENS1_25transform_config_selectorIfLb0EEEZNS1_14transform_implILb0ES3_S5_NS0_18transform_iteratorINS0_17counting_iteratorImlEEZNS1_24adjacent_difference_implIS3_Lb1ELb0EPKfPfN6thrust23THRUST_200600_302600_NS4plusIfEEEE10hipError_tPvRmT2_T3_mT4_P12ihipStream_tbEUlmE_fEESD_NS0_8identityIvEEEESI_SL_SM_mSN_SP_bEUlT_E_NS1_11comp_targetILNS1_3genE10ELNS1_11target_archE1200ELNS1_3gpuE4ELNS1_3repE0EEENS1_30default_config_static_selectorELNS0_4arch9wavefront6targetE1EEEvT1_.num_agpr, 0
	.set _ZN7rocprim17ROCPRIM_400000_NS6detail17trampoline_kernelINS0_14default_configENS1_25transform_config_selectorIfLb0EEEZNS1_14transform_implILb0ES3_S5_NS0_18transform_iteratorINS0_17counting_iteratorImlEEZNS1_24adjacent_difference_implIS3_Lb1ELb0EPKfPfN6thrust23THRUST_200600_302600_NS4plusIfEEEE10hipError_tPvRmT2_T3_mT4_P12ihipStream_tbEUlmE_fEESD_NS0_8identityIvEEEESI_SL_SM_mSN_SP_bEUlT_E_NS1_11comp_targetILNS1_3genE10ELNS1_11target_archE1200ELNS1_3gpuE4ELNS1_3repE0EEENS1_30default_config_static_selectorELNS0_4arch9wavefront6targetE1EEEvT1_.numbered_sgpr, 0
	.set _ZN7rocprim17ROCPRIM_400000_NS6detail17trampoline_kernelINS0_14default_configENS1_25transform_config_selectorIfLb0EEEZNS1_14transform_implILb0ES3_S5_NS0_18transform_iteratorINS0_17counting_iteratorImlEEZNS1_24adjacent_difference_implIS3_Lb1ELb0EPKfPfN6thrust23THRUST_200600_302600_NS4plusIfEEEE10hipError_tPvRmT2_T3_mT4_P12ihipStream_tbEUlmE_fEESD_NS0_8identityIvEEEESI_SL_SM_mSN_SP_bEUlT_E_NS1_11comp_targetILNS1_3genE10ELNS1_11target_archE1200ELNS1_3gpuE4ELNS1_3repE0EEENS1_30default_config_static_selectorELNS0_4arch9wavefront6targetE1EEEvT1_.num_named_barrier, 0
	.set _ZN7rocprim17ROCPRIM_400000_NS6detail17trampoline_kernelINS0_14default_configENS1_25transform_config_selectorIfLb0EEEZNS1_14transform_implILb0ES3_S5_NS0_18transform_iteratorINS0_17counting_iteratorImlEEZNS1_24adjacent_difference_implIS3_Lb1ELb0EPKfPfN6thrust23THRUST_200600_302600_NS4plusIfEEEE10hipError_tPvRmT2_T3_mT4_P12ihipStream_tbEUlmE_fEESD_NS0_8identityIvEEEESI_SL_SM_mSN_SP_bEUlT_E_NS1_11comp_targetILNS1_3genE10ELNS1_11target_archE1200ELNS1_3gpuE4ELNS1_3repE0EEENS1_30default_config_static_selectorELNS0_4arch9wavefront6targetE1EEEvT1_.private_seg_size, 0
	.set _ZN7rocprim17ROCPRIM_400000_NS6detail17trampoline_kernelINS0_14default_configENS1_25transform_config_selectorIfLb0EEEZNS1_14transform_implILb0ES3_S5_NS0_18transform_iteratorINS0_17counting_iteratorImlEEZNS1_24adjacent_difference_implIS3_Lb1ELb0EPKfPfN6thrust23THRUST_200600_302600_NS4plusIfEEEE10hipError_tPvRmT2_T3_mT4_P12ihipStream_tbEUlmE_fEESD_NS0_8identityIvEEEESI_SL_SM_mSN_SP_bEUlT_E_NS1_11comp_targetILNS1_3genE10ELNS1_11target_archE1200ELNS1_3gpuE4ELNS1_3repE0EEENS1_30default_config_static_selectorELNS0_4arch9wavefront6targetE1EEEvT1_.uses_vcc, 0
	.set _ZN7rocprim17ROCPRIM_400000_NS6detail17trampoline_kernelINS0_14default_configENS1_25transform_config_selectorIfLb0EEEZNS1_14transform_implILb0ES3_S5_NS0_18transform_iteratorINS0_17counting_iteratorImlEEZNS1_24adjacent_difference_implIS3_Lb1ELb0EPKfPfN6thrust23THRUST_200600_302600_NS4plusIfEEEE10hipError_tPvRmT2_T3_mT4_P12ihipStream_tbEUlmE_fEESD_NS0_8identityIvEEEESI_SL_SM_mSN_SP_bEUlT_E_NS1_11comp_targetILNS1_3genE10ELNS1_11target_archE1200ELNS1_3gpuE4ELNS1_3repE0EEENS1_30default_config_static_selectorELNS0_4arch9wavefront6targetE1EEEvT1_.uses_flat_scratch, 0
	.set _ZN7rocprim17ROCPRIM_400000_NS6detail17trampoline_kernelINS0_14default_configENS1_25transform_config_selectorIfLb0EEEZNS1_14transform_implILb0ES3_S5_NS0_18transform_iteratorINS0_17counting_iteratorImlEEZNS1_24adjacent_difference_implIS3_Lb1ELb0EPKfPfN6thrust23THRUST_200600_302600_NS4plusIfEEEE10hipError_tPvRmT2_T3_mT4_P12ihipStream_tbEUlmE_fEESD_NS0_8identityIvEEEESI_SL_SM_mSN_SP_bEUlT_E_NS1_11comp_targetILNS1_3genE10ELNS1_11target_archE1200ELNS1_3gpuE4ELNS1_3repE0EEENS1_30default_config_static_selectorELNS0_4arch9wavefront6targetE1EEEvT1_.has_dyn_sized_stack, 0
	.set _ZN7rocprim17ROCPRIM_400000_NS6detail17trampoline_kernelINS0_14default_configENS1_25transform_config_selectorIfLb0EEEZNS1_14transform_implILb0ES3_S5_NS0_18transform_iteratorINS0_17counting_iteratorImlEEZNS1_24adjacent_difference_implIS3_Lb1ELb0EPKfPfN6thrust23THRUST_200600_302600_NS4plusIfEEEE10hipError_tPvRmT2_T3_mT4_P12ihipStream_tbEUlmE_fEESD_NS0_8identityIvEEEESI_SL_SM_mSN_SP_bEUlT_E_NS1_11comp_targetILNS1_3genE10ELNS1_11target_archE1200ELNS1_3gpuE4ELNS1_3repE0EEENS1_30default_config_static_selectorELNS0_4arch9wavefront6targetE1EEEvT1_.has_recursion, 0
	.set _ZN7rocprim17ROCPRIM_400000_NS6detail17trampoline_kernelINS0_14default_configENS1_25transform_config_selectorIfLb0EEEZNS1_14transform_implILb0ES3_S5_NS0_18transform_iteratorINS0_17counting_iteratorImlEEZNS1_24adjacent_difference_implIS3_Lb1ELb0EPKfPfN6thrust23THRUST_200600_302600_NS4plusIfEEEE10hipError_tPvRmT2_T3_mT4_P12ihipStream_tbEUlmE_fEESD_NS0_8identityIvEEEESI_SL_SM_mSN_SP_bEUlT_E_NS1_11comp_targetILNS1_3genE10ELNS1_11target_archE1200ELNS1_3gpuE4ELNS1_3repE0EEENS1_30default_config_static_selectorELNS0_4arch9wavefront6targetE1EEEvT1_.has_indirect_call, 0
	.section	.AMDGPU.csdata,"",@progbits
; Kernel info:
; codeLenInByte = 0
; TotalNumSgprs: 4
; NumVgprs: 0
; ScratchSize: 0
; MemoryBound: 0
; FloatMode: 240
; IeeeMode: 1
; LDSByteSize: 0 bytes/workgroup (compile time only)
; SGPRBlocks: 0
; VGPRBlocks: 0
; NumSGPRsForWavesPerEU: 4
; NumVGPRsForWavesPerEU: 1
; Occupancy: 10
; WaveLimiterHint : 0
; COMPUTE_PGM_RSRC2:SCRATCH_EN: 0
; COMPUTE_PGM_RSRC2:USER_SGPR: 6
; COMPUTE_PGM_RSRC2:TRAP_HANDLER: 0
; COMPUTE_PGM_RSRC2:TGID_X_EN: 1
; COMPUTE_PGM_RSRC2:TGID_Y_EN: 0
; COMPUTE_PGM_RSRC2:TGID_Z_EN: 0
; COMPUTE_PGM_RSRC2:TIDIG_COMP_CNT: 0
	.section	.text._ZN7rocprim17ROCPRIM_400000_NS6detail17trampoline_kernelINS0_14default_configENS1_25transform_config_selectorIfLb0EEEZNS1_14transform_implILb0ES3_S5_NS0_18transform_iteratorINS0_17counting_iteratorImlEEZNS1_24adjacent_difference_implIS3_Lb1ELb0EPKfPfN6thrust23THRUST_200600_302600_NS4plusIfEEEE10hipError_tPvRmT2_T3_mT4_P12ihipStream_tbEUlmE_fEESD_NS0_8identityIvEEEESI_SL_SM_mSN_SP_bEUlT_E_NS1_11comp_targetILNS1_3genE9ELNS1_11target_archE1100ELNS1_3gpuE3ELNS1_3repE0EEENS1_30default_config_static_selectorELNS0_4arch9wavefront6targetE1EEEvT1_,"axG",@progbits,_ZN7rocprim17ROCPRIM_400000_NS6detail17trampoline_kernelINS0_14default_configENS1_25transform_config_selectorIfLb0EEEZNS1_14transform_implILb0ES3_S5_NS0_18transform_iteratorINS0_17counting_iteratorImlEEZNS1_24adjacent_difference_implIS3_Lb1ELb0EPKfPfN6thrust23THRUST_200600_302600_NS4plusIfEEEE10hipError_tPvRmT2_T3_mT4_P12ihipStream_tbEUlmE_fEESD_NS0_8identityIvEEEESI_SL_SM_mSN_SP_bEUlT_E_NS1_11comp_targetILNS1_3genE9ELNS1_11target_archE1100ELNS1_3gpuE3ELNS1_3repE0EEENS1_30default_config_static_selectorELNS0_4arch9wavefront6targetE1EEEvT1_,comdat
	.protected	_ZN7rocprim17ROCPRIM_400000_NS6detail17trampoline_kernelINS0_14default_configENS1_25transform_config_selectorIfLb0EEEZNS1_14transform_implILb0ES3_S5_NS0_18transform_iteratorINS0_17counting_iteratorImlEEZNS1_24adjacent_difference_implIS3_Lb1ELb0EPKfPfN6thrust23THRUST_200600_302600_NS4plusIfEEEE10hipError_tPvRmT2_T3_mT4_P12ihipStream_tbEUlmE_fEESD_NS0_8identityIvEEEESI_SL_SM_mSN_SP_bEUlT_E_NS1_11comp_targetILNS1_3genE9ELNS1_11target_archE1100ELNS1_3gpuE3ELNS1_3repE0EEENS1_30default_config_static_selectorELNS0_4arch9wavefront6targetE1EEEvT1_ ; -- Begin function _ZN7rocprim17ROCPRIM_400000_NS6detail17trampoline_kernelINS0_14default_configENS1_25transform_config_selectorIfLb0EEEZNS1_14transform_implILb0ES3_S5_NS0_18transform_iteratorINS0_17counting_iteratorImlEEZNS1_24adjacent_difference_implIS3_Lb1ELb0EPKfPfN6thrust23THRUST_200600_302600_NS4plusIfEEEE10hipError_tPvRmT2_T3_mT4_P12ihipStream_tbEUlmE_fEESD_NS0_8identityIvEEEESI_SL_SM_mSN_SP_bEUlT_E_NS1_11comp_targetILNS1_3genE9ELNS1_11target_archE1100ELNS1_3gpuE3ELNS1_3repE0EEENS1_30default_config_static_selectorELNS0_4arch9wavefront6targetE1EEEvT1_
	.globl	_ZN7rocprim17ROCPRIM_400000_NS6detail17trampoline_kernelINS0_14default_configENS1_25transform_config_selectorIfLb0EEEZNS1_14transform_implILb0ES3_S5_NS0_18transform_iteratorINS0_17counting_iteratorImlEEZNS1_24adjacent_difference_implIS3_Lb1ELb0EPKfPfN6thrust23THRUST_200600_302600_NS4plusIfEEEE10hipError_tPvRmT2_T3_mT4_P12ihipStream_tbEUlmE_fEESD_NS0_8identityIvEEEESI_SL_SM_mSN_SP_bEUlT_E_NS1_11comp_targetILNS1_3genE9ELNS1_11target_archE1100ELNS1_3gpuE3ELNS1_3repE0EEENS1_30default_config_static_selectorELNS0_4arch9wavefront6targetE1EEEvT1_
	.p2align	8
	.type	_ZN7rocprim17ROCPRIM_400000_NS6detail17trampoline_kernelINS0_14default_configENS1_25transform_config_selectorIfLb0EEEZNS1_14transform_implILb0ES3_S5_NS0_18transform_iteratorINS0_17counting_iteratorImlEEZNS1_24adjacent_difference_implIS3_Lb1ELb0EPKfPfN6thrust23THRUST_200600_302600_NS4plusIfEEEE10hipError_tPvRmT2_T3_mT4_P12ihipStream_tbEUlmE_fEESD_NS0_8identityIvEEEESI_SL_SM_mSN_SP_bEUlT_E_NS1_11comp_targetILNS1_3genE9ELNS1_11target_archE1100ELNS1_3gpuE3ELNS1_3repE0EEENS1_30default_config_static_selectorELNS0_4arch9wavefront6targetE1EEEvT1_,@function
_ZN7rocprim17ROCPRIM_400000_NS6detail17trampoline_kernelINS0_14default_configENS1_25transform_config_selectorIfLb0EEEZNS1_14transform_implILb0ES3_S5_NS0_18transform_iteratorINS0_17counting_iteratorImlEEZNS1_24adjacent_difference_implIS3_Lb1ELb0EPKfPfN6thrust23THRUST_200600_302600_NS4plusIfEEEE10hipError_tPvRmT2_T3_mT4_P12ihipStream_tbEUlmE_fEESD_NS0_8identityIvEEEESI_SL_SM_mSN_SP_bEUlT_E_NS1_11comp_targetILNS1_3genE9ELNS1_11target_archE1100ELNS1_3gpuE3ELNS1_3repE0EEENS1_30default_config_static_selectorELNS0_4arch9wavefront6targetE1EEEvT1_: ; @_ZN7rocprim17ROCPRIM_400000_NS6detail17trampoline_kernelINS0_14default_configENS1_25transform_config_selectorIfLb0EEEZNS1_14transform_implILb0ES3_S5_NS0_18transform_iteratorINS0_17counting_iteratorImlEEZNS1_24adjacent_difference_implIS3_Lb1ELb0EPKfPfN6thrust23THRUST_200600_302600_NS4plusIfEEEE10hipError_tPvRmT2_T3_mT4_P12ihipStream_tbEUlmE_fEESD_NS0_8identityIvEEEESI_SL_SM_mSN_SP_bEUlT_E_NS1_11comp_targetILNS1_3genE9ELNS1_11target_archE1100ELNS1_3gpuE3ELNS1_3repE0EEENS1_30default_config_static_selectorELNS0_4arch9wavefront6targetE1EEEvT1_
; %bb.0:
	.section	.rodata,"a",@progbits
	.p2align	6, 0x0
	.amdhsa_kernel _ZN7rocprim17ROCPRIM_400000_NS6detail17trampoline_kernelINS0_14default_configENS1_25transform_config_selectorIfLb0EEEZNS1_14transform_implILb0ES3_S5_NS0_18transform_iteratorINS0_17counting_iteratorImlEEZNS1_24adjacent_difference_implIS3_Lb1ELb0EPKfPfN6thrust23THRUST_200600_302600_NS4plusIfEEEE10hipError_tPvRmT2_T3_mT4_P12ihipStream_tbEUlmE_fEESD_NS0_8identityIvEEEESI_SL_SM_mSN_SP_bEUlT_E_NS1_11comp_targetILNS1_3genE9ELNS1_11target_archE1100ELNS1_3gpuE3ELNS1_3repE0EEENS1_30default_config_static_selectorELNS0_4arch9wavefront6targetE1EEEvT1_
		.amdhsa_group_segment_fixed_size 0
		.amdhsa_private_segment_fixed_size 0
		.amdhsa_kernarg_size 56
		.amdhsa_user_sgpr_count 6
		.amdhsa_user_sgpr_private_segment_buffer 1
		.amdhsa_user_sgpr_dispatch_ptr 0
		.amdhsa_user_sgpr_queue_ptr 0
		.amdhsa_user_sgpr_kernarg_segment_ptr 1
		.amdhsa_user_sgpr_dispatch_id 0
		.amdhsa_user_sgpr_flat_scratch_init 0
		.amdhsa_user_sgpr_private_segment_size 0
		.amdhsa_uses_dynamic_stack 0
		.amdhsa_system_sgpr_private_segment_wavefront_offset 0
		.amdhsa_system_sgpr_workgroup_id_x 1
		.amdhsa_system_sgpr_workgroup_id_y 0
		.amdhsa_system_sgpr_workgroup_id_z 0
		.amdhsa_system_sgpr_workgroup_info 0
		.amdhsa_system_vgpr_workitem_id 0
		.amdhsa_next_free_vgpr 1
		.amdhsa_next_free_sgpr 0
		.amdhsa_reserve_vcc 0
		.amdhsa_reserve_flat_scratch 0
		.amdhsa_float_round_mode_32 0
		.amdhsa_float_round_mode_16_64 0
		.amdhsa_float_denorm_mode_32 3
		.amdhsa_float_denorm_mode_16_64 3
		.amdhsa_dx10_clamp 1
		.amdhsa_ieee_mode 1
		.amdhsa_fp16_overflow 0
		.amdhsa_exception_fp_ieee_invalid_op 0
		.amdhsa_exception_fp_denorm_src 0
		.amdhsa_exception_fp_ieee_div_zero 0
		.amdhsa_exception_fp_ieee_overflow 0
		.amdhsa_exception_fp_ieee_underflow 0
		.amdhsa_exception_fp_ieee_inexact 0
		.amdhsa_exception_int_div_zero 0
	.end_amdhsa_kernel
	.section	.text._ZN7rocprim17ROCPRIM_400000_NS6detail17trampoline_kernelINS0_14default_configENS1_25transform_config_selectorIfLb0EEEZNS1_14transform_implILb0ES3_S5_NS0_18transform_iteratorINS0_17counting_iteratorImlEEZNS1_24adjacent_difference_implIS3_Lb1ELb0EPKfPfN6thrust23THRUST_200600_302600_NS4plusIfEEEE10hipError_tPvRmT2_T3_mT4_P12ihipStream_tbEUlmE_fEESD_NS0_8identityIvEEEESI_SL_SM_mSN_SP_bEUlT_E_NS1_11comp_targetILNS1_3genE9ELNS1_11target_archE1100ELNS1_3gpuE3ELNS1_3repE0EEENS1_30default_config_static_selectorELNS0_4arch9wavefront6targetE1EEEvT1_,"axG",@progbits,_ZN7rocprim17ROCPRIM_400000_NS6detail17trampoline_kernelINS0_14default_configENS1_25transform_config_selectorIfLb0EEEZNS1_14transform_implILb0ES3_S5_NS0_18transform_iteratorINS0_17counting_iteratorImlEEZNS1_24adjacent_difference_implIS3_Lb1ELb0EPKfPfN6thrust23THRUST_200600_302600_NS4plusIfEEEE10hipError_tPvRmT2_T3_mT4_P12ihipStream_tbEUlmE_fEESD_NS0_8identityIvEEEESI_SL_SM_mSN_SP_bEUlT_E_NS1_11comp_targetILNS1_3genE9ELNS1_11target_archE1100ELNS1_3gpuE3ELNS1_3repE0EEENS1_30default_config_static_selectorELNS0_4arch9wavefront6targetE1EEEvT1_,comdat
.Lfunc_end613:
	.size	_ZN7rocprim17ROCPRIM_400000_NS6detail17trampoline_kernelINS0_14default_configENS1_25transform_config_selectorIfLb0EEEZNS1_14transform_implILb0ES3_S5_NS0_18transform_iteratorINS0_17counting_iteratorImlEEZNS1_24adjacent_difference_implIS3_Lb1ELb0EPKfPfN6thrust23THRUST_200600_302600_NS4plusIfEEEE10hipError_tPvRmT2_T3_mT4_P12ihipStream_tbEUlmE_fEESD_NS0_8identityIvEEEESI_SL_SM_mSN_SP_bEUlT_E_NS1_11comp_targetILNS1_3genE9ELNS1_11target_archE1100ELNS1_3gpuE3ELNS1_3repE0EEENS1_30default_config_static_selectorELNS0_4arch9wavefront6targetE1EEEvT1_, .Lfunc_end613-_ZN7rocprim17ROCPRIM_400000_NS6detail17trampoline_kernelINS0_14default_configENS1_25transform_config_selectorIfLb0EEEZNS1_14transform_implILb0ES3_S5_NS0_18transform_iteratorINS0_17counting_iteratorImlEEZNS1_24adjacent_difference_implIS3_Lb1ELb0EPKfPfN6thrust23THRUST_200600_302600_NS4plusIfEEEE10hipError_tPvRmT2_T3_mT4_P12ihipStream_tbEUlmE_fEESD_NS0_8identityIvEEEESI_SL_SM_mSN_SP_bEUlT_E_NS1_11comp_targetILNS1_3genE9ELNS1_11target_archE1100ELNS1_3gpuE3ELNS1_3repE0EEENS1_30default_config_static_selectorELNS0_4arch9wavefront6targetE1EEEvT1_
                                        ; -- End function
	.set _ZN7rocprim17ROCPRIM_400000_NS6detail17trampoline_kernelINS0_14default_configENS1_25transform_config_selectorIfLb0EEEZNS1_14transform_implILb0ES3_S5_NS0_18transform_iteratorINS0_17counting_iteratorImlEEZNS1_24adjacent_difference_implIS3_Lb1ELb0EPKfPfN6thrust23THRUST_200600_302600_NS4plusIfEEEE10hipError_tPvRmT2_T3_mT4_P12ihipStream_tbEUlmE_fEESD_NS0_8identityIvEEEESI_SL_SM_mSN_SP_bEUlT_E_NS1_11comp_targetILNS1_3genE9ELNS1_11target_archE1100ELNS1_3gpuE3ELNS1_3repE0EEENS1_30default_config_static_selectorELNS0_4arch9wavefront6targetE1EEEvT1_.num_vgpr, 0
	.set _ZN7rocprim17ROCPRIM_400000_NS6detail17trampoline_kernelINS0_14default_configENS1_25transform_config_selectorIfLb0EEEZNS1_14transform_implILb0ES3_S5_NS0_18transform_iteratorINS0_17counting_iteratorImlEEZNS1_24adjacent_difference_implIS3_Lb1ELb0EPKfPfN6thrust23THRUST_200600_302600_NS4plusIfEEEE10hipError_tPvRmT2_T3_mT4_P12ihipStream_tbEUlmE_fEESD_NS0_8identityIvEEEESI_SL_SM_mSN_SP_bEUlT_E_NS1_11comp_targetILNS1_3genE9ELNS1_11target_archE1100ELNS1_3gpuE3ELNS1_3repE0EEENS1_30default_config_static_selectorELNS0_4arch9wavefront6targetE1EEEvT1_.num_agpr, 0
	.set _ZN7rocprim17ROCPRIM_400000_NS6detail17trampoline_kernelINS0_14default_configENS1_25transform_config_selectorIfLb0EEEZNS1_14transform_implILb0ES3_S5_NS0_18transform_iteratorINS0_17counting_iteratorImlEEZNS1_24adjacent_difference_implIS3_Lb1ELb0EPKfPfN6thrust23THRUST_200600_302600_NS4plusIfEEEE10hipError_tPvRmT2_T3_mT4_P12ihipStream_tbEUlmE_fEESD_NS0_8identityIvEEEESI_SL_SM_mSN_SP_bEUlT_E_NS1_11comp_targetILNS1_3genE9ELNS1_11target_archE1100ELNS1_3gpuE3ELNS1_3repE0EEENS1_30default_config_static_selectorELNS0_4arch9wavefront6targetE1EEEvT1_.numbered_sgpr, 0
	.set _ZN7rocprim17ROCPRIM_400000_NS6detail17trampoline_kernelINS0_14default_configENS1_25transform_config_selectorIfLb0EEEZNS1_14transform_implILb0ES3_S5_NS0_18transform_iteratorINS0_17counting_iteratorImlEEZNS1_24adjacent_difference_implIS3_Lb1ELb0EPKfPfN6thrust23THRUST_200600_302600_NS4plusIfEEEE10hipError_tPvRmT2_T3_mT4_P12ihipStream_tbEUlmE_fEESD_NS0_8identityIvEEEESI_SL_SM_mSN_SP_bEUlT_E_NS1_11comp_targetILNS1_3genE9ELNS1_11target_archE1100ELNS1_3gpuE3ELNS1_3repE0EEENS1_30default_config_static_selectorELNS0_4arch9wavefront6targetE1EEEvT1_.num_named_barrier, 0
	.set _ZN7rocprim17ROCPRIM_400000_NS6detail17trampoline_kernelINS0_14default_configENS1_25transform_config_selectorIfLb0EEEZNS1_14transform_implILb0ES3_S5_NS0_18transform_iteratorINS0_17counting_iteratorImlEEZNS1_24adjacent_difference_implIS3_Lb1ELb0EPKfPfN6thrust23THRUST_200600_302600_NS4plusIfEEEE10hipError_tPvRmT2_T3_mT4_P12ihipStream_tbEUlmE_fEESD_NS0_8identityIvEEEESI_SL_SM_mSN_SP_bEUlT_E_NS1_11comp_targetILNS1_3genE9ELNS1_11target_archE1100ELNS1_3gpuE3ELNS1_3repE0EEENS1_30default_config_static_selectorELNS0_4arch9wavefront6targetE1EEEvT1_.private_seg_size, 0
	.set _ZN7rocprim17ROCPRIM_400000_NS6detail17trampoline_kernelINS0_14default_configENS1_25transform_config_selectorIfLb0EEEZNS1_14transform_implILb0ES3_S5_NS0_18transform_iteratorINS0_17counting_iteratorImlEEZNS1_24adjacent_difference_implIS3_Lb1ELb0EPKfPfN6thrust23THRUST_200600_302600_NS4plusIfEEEE10hipError_tPvRmT2_T3_mT4_P12ihipStream_tbEUlmE_fEESD_NS0_8identityIvEEEESI_SL_SM_mSN_SP_bEUlT_E_NS1_11comp_targetILNS1_3genE9ELNS1_11target_archE1100ELNS1_3gpuE3ELNS1_3repE0EEENS1_30default_config_static_selectorELNS0_4arch9wavefront6targetE1EEEvT1_.uses_vcc, 0
	.set _ZN7rocprim17ROCPRIM_400000_NS6detail17trampoline_kernelINS0_14default_configENS1_25transform_config_selectorIfLb0EEEZNS1_14transform_implILb0ES3_S5_NS0_18transform_iteratorINS0_17counting_iteratorImlEEZNS1_24adjacent_difference_implIS3_Lb1ELb0EPKfPfN6thrust23THRUST_200600_302600_NS4plusIfEEEE10hipError_tPvRmT2_T3_mT4_P12ihipStream_tbEUlmE_fEESD_NS0_8identityIvEEEESI_SL_SM_mSN_SP_bEUlT_E_NS1_11comp_targetILNS1_3genE9ELNS1_11target_archE1100ELNS1_3gpuE3ELNS1_3repE0EEENS1_30default_config_static_selectorELNS0_4arch9wavefront6targetE1EEEvT1_.uses_flat_scratch, 0
	.set _ZN7rocprim17ROCPRIM_400000_NS6detail17trampoline_kernelINS0_14default_configENS1_25transform_config_selectorIfLb0EEEZNS1_14transform_implILb0ES3_S5_NS0_18transform_iteratorINS0_17counting_iteratorImlEEZNS1_24adjacent_difference_implIS3_Lb1ELb0EPKfPfN6thrust23THRUST_200600_302600_NS4plusIfEEEE10hipError_tPvRmT2_T3_mT4_P12ihipStream_tbEUlmE_fEESD_NS0_8identityIvEEEESI_SL_SM_mSN_SP_bEUlT_E_NS1_11comp_targetILNS1_3genE9ELNS1_11target_archE1100ELNS1_3gpuE3ELNS1_3repE0EEENS1_30default_config_static_selectorELNS0_4arch9wavefront6targetE1EEEvT1_.has_dyn_sized_stack, 0
	.set _ZN7rocprim17ROCPRIM_400000_NS6detail17trampoline_kernelINS0_14default_configENS1_25transform_config_selectorIfLb0EEEZNS1_14transform_implILb0ES3_S5_NS0_18transform_iteratorINS0_17counting_iteratorImlEEZNS1_24adjacent_difference_implIS3_Lb1ELb0EPKfPfN6thrust23THRUST_200600_302600_NS4plusIfEEEE10hipError_tPvRmT2_T3_mT4_P12ihipStream_tbEUlmE_fEESD_NS0_8identityIvEEEESI_SL_SM_mSN_SP_bEUlT_E_NS1_11comp_targetILNS1_3genE9ELNS1_11target_archE1100ELNS1_3gpuE3ELNS1_3repE0EEENS1_30default_config_static_selectorELNS0_4arch9wavefront6targetE1EEEvT1_.has_recursion, 0
	.set _ZN7rocprim17ROCPRIM_400000_NS6detail17trampoline_kernelINS0_14default_configENS1_25transform_config_selectorIfLb0EEEZNS1_14transform_implILb0ES3_S5_NS0_18transform_iteratorINS0_17counting_iteratorImlEEZNS1_24adjacent_difference_implIS3_Lb1ELb0EPKfPfN6thrust23THRUST_200600_302600_NS4plusIfEEEE10hipError_tPvRmT2_T3_mT4_P12ihipStream_tbEUlmE_fEESD_NS0_8identityIvEEEESI_SL_SM_mSN_SP_bEUlT_E_NS1_11comp_targetILNS1_3genE9ELNS1_11target_archE1100ELNS1_3gpuE3ELNS1_3repE0EEENS1_30default_config_static_selectorELNS0_4arch9wavefront6targetE1EEEvT1_.has_indirect_call, 0
	.section	.AMDGPU.csdata,"",@progbits
; Kernel info:
; codeLenInByte = 0
; TotalNumSgprs: 4
; NumVgprs: 0
; ScratchSize: 0
; MemoryBound: 0
; FloatMode: 240
; IeeeMode: 1
; LDSByteSize: 0 bytes/workgroup (compile time only)
; SGPRBlocks: 0
; VGPRBlocks: 0
; NumSGPRsForWavesPerEU: 4
; NumVGPRsForWavesPerEU: 1
; Occupancy: 10
; WaveLimiterHint : 0
; COMPUTE_PGM_RSRC2:SCRATCH_EN: 0
; COMPUTE_PGM_RSRC2:USER_SGPR: 6
; COMPUTE_PGM_RSRC2:TRAP_HANDLER: 0
; COMPUTE_PGM_RSRC2:TGID_X_EN: 1
; COMPUTE_PGM_RSRC2:TGID_Y_EN: 0
; COMPUTE_PGM_RSRC2:TGID_Z_EN: 0
; COMPUTE_PGM_RSRC2:TIDIG_COMP_CNT: 0
	.section	.text._ZN7rocprim17ROCPRIM_400000_NS6detail17trampoline_kernelINS0_14default_configENS1_25transform_config_selectorIfLb0EEEZNS1_14transform_implILb0ES3_S5_NS0_18transform_iteratorINS0_17counting_iteratorImlEEZNS1_24adjacent_difference_implIS3_Lb1ELb0EPKfPfN6thrust23THRUST_200600_302600_NS4plusIfEEEE10hipError_tPvRmT2_T3_mT4_P12ihipStream_tbEUlmE_fEESD_NS0_8identityIvEEEESI_SL_SM_mSN_SP_bEUlT_E_NS1_11comp_targetILNS1_3genE8ELNS1_11target_archE1030ELNS1_3gpuE2ELNS1_3repE0EEENS1_30default_config_static_selectorELNS0_4arch9wavefront6targetE1EEEvT1_,"axG",@progbits,_ZN7rocprim17ROCPRIM_400000_NS6detail17trampoline_kernelINS0_14default_configENS1_25transform_config_selectorIfLb0EEEZNS1_14transform_implILb0ES3_S5_NS0_18transform_iteratorINS0_17counting_iteratorImlEEZNS1_24adjacent_difference_implIS3_Lb1ELb0EPKfPfN6thrust23THRUST_200600_302600_NS4plusIfEEEE10hipError_tPvRmT2_T3_mT4_P12ihipStream_tbEUlmE_fEESD_NS0_8identityIvEEEESI_SL_SM_mSN_SP_bEUlT_E_NS1_11comp_targetILNS1_3genE8ELNS1_11target_archE1030ELNS1_3gpuE2ELNS1_3repE0EEENS1_30default_config_static_selectorELNS0_4arch9wavefront6targetE1EEEvT1_,comdat
	.protected	_ZN7rocprim17ROCPRIM_400000_NS6detail17trampoline_kernelINS0_14default_configENS1_25transform_config_selectorIfLb0EEEZNS1_14transform_implILb0ES3_S5_NS0_18transform_iteratorINS0_17counting_iteratorImlEEZNS1_24adjacent_difference_implIS3_Lb1ELb0EPKfPfN6thrust23THRUST_200600_302600_NS4plusIfEEEE10hipError_tPvRmT2_T3_mT4_P12ihipStream_tbEUlmE_fEESD_NS0_8identityIvEEEESI_SL_SM_mSN_SP_bEUlT_E_NS1_11comp_targetILNS1_3genE8ELNS1_11target_archE1030ELNS1_3gpuE2ELNS1_3repE0EEENS1_30default_config_static_selectorELNS0_4arch9wavefront6targetE1EEEvT1_ ; -- Begin function _ZN7rocprim17ROCPRIM_400000_NS6detail17trampoline_kernelINS0_14default_configENS1_25transform_config_selectorIfLb0EEEZNS1_14transform_implILb0ES3_S5_NS0_18transform_iteratorINS0_17counting_iteratorImlEEZNS1_24adjacent_difference_implIS3_Lb1ELb0EPKfPfN6thrust23THRUST_200600_302600_NS4plusIfEEEE10hipError_tPvRmT2_T3_mT4_P12ihipStream_tbEUlmE_fEESD_NS0_8identityIvEEEESI_SL_SM_mSN_SP_bEUlT_E_NS1_11comp_targetILNS1_3genE8ELNS1_11target_archE1030ELNS1_3gpuE2ELNS1_3repE0EEENS1_30default_config_static_selectorELNS0_4arch9wavefront6targetE1EEEvT1_
	.globl	_ZN7rocprim17ROCPRIM_400000_NS6detail17trampoline_kernelINS0_14default_configENS1_25transform_config_selectorIfLb0EEEZNS1_14transform_implILb0ES3_S5_NS0_18transform_iteratorINS0_17counting_iteratorImlEEZNS1_24adjacent_difference_implIS3_Lb1ELb0EPKfPfN6thrust23THRUST_200600_302600_NS4plusIfEEEE10hipError_tPvRmT2_T3_mT4_P12ihipStream_tbEUlmE_fEESD_NS0_8identityIvEEEESI_SL_SM_mSN_SP_bEUlT_E_NS1_11comp_targetILNS1_3genE8ELNS1_11target_archE1030ELNS1_3gpuE2ELNS1_3repE0EEENS1_30default_config_static_selectorELNS0_4arch9wavefront6targetE1EEEvT1_
	.p2align	8
	.type	_ZN7rocprim17ROCPRIM_400000_NS6detail17trampoline_kernelINS0_14default_configENS1_25transform_config_selectorIfLb0EEEZNS1_14transform_implILb0ES3_S5_NS0_18transform_iteratorINS0_17counting_iteratorImlEEZNS1_24adjacent_difference_implIS3_Lb1ELb0EPKfPfN6thrust23THRUST_200600_302600_NS4plusIfEEEE10hipError_tPvRmT2_T3_mT4_P12ihipStream_tbEUlmE_fEESD_NS0_8identityIvEEEESI_SL_SM_mSN_SP_bEUlT_E_NS1_11comp_targetILNS1_3genE8ELNS1_11target_archE1030ELNS1_3gpuE2ELNS1_3repE0EEENS1_30default_config_static_selectorELNS0_4arch9wavefront6targetE1EEEvT1_,@function
_ZN7rocprim17ROCPRIM_400000_NS6detail17trampoline_kernelINS0_14default_configENS1_25transform_config_selectorIfLb0EEEZNS1_14transform_implILb0ES3_S5_NS0_18transform_iteratorINS0_17counting_iteratorImlEEZNS1_24adjacent_difference_implIS3_Lb1ELb0EPKfPfN6thrust23THRUST_200600_302600_NS4plusIfEEEE10hipError_tPvRmT2_T3_mT4_P12ihipStream_tbEUlmE_fEESD_NS0_8identityIvEEEESI_SL_SM_mSN_SP_bEUlT_E_NS1_11comp_targetILNS1_3genE8ELNS1_11target_archE1030ELNS1_3gpuE2ELNS1_3repE0EEENS1_30default_config_static_selectorELNS0_4arch9wavefront6targetE1EEEvT1_: ; @_ZN7rocprim17ROCPRIM_400000_NS6detail17trampoline_kernelINS0_14default_configENS1_25transform_config_selectorIfLb0EEEZNS1_14transform_implILb0ES3_S5_NS0_18transform_iteratorINS0_17counting_iteratorImlEEZNS1_24adjacent_difference_implIS3_Lb1ELb0EPKfPfN6thrust23THRUST_200600_302600_NS4plusIfEEEE10hipError_tPvRmT2_T3_mT4_P12ihipStream_tbEUlmE_fEESD_NS0_8identityIvEEEESI_SL_SM_mSN_SP_bEUlT_E_NS1_11comp_targetILNS1_3genE8ELNS1_11target_archE1030ELNS1_3gpuE2ELNS1_3repE0EEENS1_30default_config_static_selectorELNS0_4arch9wavefront6targetE1EEEvT1_
; %bb.0:
	.section	.rodata,"a",@progbits
	.p2align	6, 0x0
	.amdhsa_kernel _ZN7rocprim17ROCPRIM_400000_NS6detail17trampoline_kernelINS0_14default_configENS1_25transform_config_selectorIfLb0EEEZNS1_14transform_implILb0ES3_S5_NS0_18transform_iteratorINS0_17counting_iteratorImlEEZNS1_24adjacent_difference_implIS3_Lb1ELb0EPKfPfN6thrust23THRUST_200600_302600_NS4plusIfEEEE10hipError_tPvRmT2_T3_mT4_P12ihipStream_tbEUlmE_fEESD_NS0_8identityIvEEEESI_SL_SM_mSN_SP_bEUlT_E_NS1_11comp_targetILNS1_3genE8ELNS1_11target_archE1030ELNS1_3gpuE2ELNS1_3repE0EEENS1_30default_config_static_selectorELNS0_4arch9wavefront6targetE1EEEvT1_
		.amdhsa_group_segment_fixed_size 0
		.amdhsa_private_segment_fixed_size 0
		.amdhsa_kernarg_size 56
		.amdhsa_user_sgpr_count 6
		.amdhsa_user_sgpr_private_segment_buffer 1
		.amdhsa_user_sgpr_dispatch_ptr 0
		.amdhsa_user_sgpr_queue_ptr 0
		.amdhsa_user_sgpr_kernarg_segment_ptr 1
		.amdhsa_user_sgpr_dispatch_id 0
		.amdhsa_user_sgpr_flat_scratch_init 0
		.amdhsa_user_sgpr_private_segment_size 0
		.amdhsa_uses_dynamic_stack 0
		.amdhsa_system_sgpr_private_segment_wavefront_offset 0
		.amdhsa_system_sgpr_workgroup_id_x 1
		.amdhsa_system_sgpr_workgroup_id_y 0
		.amdhsa_system_sgpr_workgroup_id_z 0
		.amdhsa_system_sgpr_workgroup_info 0
		.amdhsa_system_vgpr_workitem_id 0
		.amdhsa_next_free_vgpr 1
		.amdhsa_next_free_sgpr 0
		.amdhsa_reserve_vcc 0
		.amdhsa_reserve_flat_scratch 0
		.amdhsa_float_round_mode_32 0
		.amdhsa_float_round_mode_16_64 0
		.amdhsa_float_denorm_mode_32 3
		.amdhsa_float_denorm_mode_16_64 3
		.amdhsa_dx10_clamp 1
		.amdhsa_ieee_mode 1
		.amdhsa_fp16_overflow 0
		.amdhsa_exception_fp_ieee_invalid_op 0
		.amdhsa_exception_fp_denorm_src 0
		.amdhsa_exception_fp_ieee_div_zero 0
		.amdhsa_exception_fp_ieee_overflow 0
		.amdhsa_exception_fp_ieee_underflow 0
		.amdhsa_exception_fp_ieee_inexact 0
		.amdhsa_exception_int_div_zero 0
	.end_amdhsa_kernel
	.section	.text._ZN7rocprim17ROCPRIM_400000_NS6detail17trampoline_kernelINS0_14default_configENS1_25transform_config_selectorIfLb0EEEZNS1_14transform_implILb0ES3_S5_NS0_18transform_iteratorINS0_17counting_iteratorImlEEZNS1_24adjacent_difference_implIS3_Lb1ELb0EPKfPfN6thrust23THRUST_200600_302600_NS4plusIfEEEE10hipError_tPvRmT2_T3_mT4_P12ihipStream_tbEUlmE_fEESD_NS0_8identityIvEEEESI_SL_SM_mSN_SP_bEUlT_E_NS1_11comp_targetILNS1_3genE8ELNS1_11target_archE1030ELNS1_3gpuE2ELNS1_3repE0EEENS1_30default_config_static_selectorELNS0_4arch9wavefront6targetE1EEEvT1_,"axG",@progbits,_ZN7rocprim17ROCPRIM_400000_NS6detail17trampoline_kernelINS0_14default_configENS1_25transform_config_selectorIfLb0EEEZNS1_14transform_implILb0ES3_S5_NS0_18transform_iteratorINS0_17counting_iteratorImlEEZNS1_24adjacent_difference_implIS3_Lb1ELb0EPKfPfN6thrust23THRUST_200600_302600_NS4plusIfEEEE10hipError_tPvRmT2_T3_mT4_P12ihipStream_tbEUlmE_fEESD_NS0_8identityIvEEEESI_SL_SM_mSN_SP_bEUlT_E_NS1_11comp_targetILNS1_3genE8ELNS1_11target_archE1030ELNS1_3gpuE2ELNS1_3repE0EEENS1_30default_config_static_selectorELNS0_4arch9wavefront6targetE1EEEvT1_,comdat
.Lfunc_end614:
	.size	_ZN7rocprim17ROCPRIM_400000_NS6detail17trampoline_kernelINS0_14default_configENS1_25transform_config_selectorIfLb0EEEZNS1_14transform_implILb0ES3_S5_NS0_18transform_iteratorINS0_17counting_iteratorImlEEZNS1_24adjacent_difference_implIS3_Lb1ELb0EPKfPfN6thrust23THRUST_200600_302600_NS4plusIfEEEE10hipError_tPvRmT2_T3_mT4_P12ihipStream_tbEUlmE_fEESD_NS0_8identityIvEEEESI_SL_SM_mSN_SP_bEUlT_E_NS1_11comp_targetILNS1_3genE8ELNS1_11target_archE1030ELNS1_3gpuE2ELNS1_3repE0EEENS1_30default_config_static_selectorELNS0_4arch9wavefront6targetE1EEEvT1_, .Lfunc_end614-_ZN7rocprim17ROCPRIM_400000_NS6detail17trampoline_kernelINS0_14default_configENS1_25transform_config_selectorIfLb0EEEZNS1_14transform_implILb0ES3_S5_NS0_18transform_iteratorINS0_17counting_iteratorImlEEZNS1_24adjacent_difference_implIS3_Lb1ELb0EPKfPfN6thrust23THRUST_200600_302600_NS4plusIfEEEE10hipError_tPvRmT2_T3_mT4_P12ihipStream_tbEUlmE_fEESD_NS0_8identityIvEEEESI_SL_SM_mSN_SP_bEUlT_E_NS1_11comp_targetILNS1_3genE8ELNS1_11target_archE1030ELNS1_3gpuE2ELNS1_3repE0EEENS1_30default_config_static_selectorELNS0_4arch9wavefront6targetE1EEEvT1_
                                        ; -- End function
	.set _ZN7rocprim17ROCPRIM_400000_NS6detail17trampoline_kernelINS0_14default_configENS1_25transform_config_selectorIfLb0EEEZNS1_14transform_implILb0ES3_S5_NS0_18transform_iteratorINS0_17counting_iteratorImlEEZNS1_24adjacent_difference_implIS3_Lb1ELb0EPKfPfN6thrust23THRUST_200600_302600_NS4plusIfEEEE10hipError_tPvRmT2_T3_mT4_P12ihipStream_tbEUlmE_fEESD_NS0_8identityIvEEEESI_SL_SM_mSN_SP_bEUlT_E_NS1_11comp_targetILNS1_3genE8ELNS1_11target_archE1030ELNS1_3gpuE2ELNS1_3repE0EEENS1_30default_config_static_selectorELNS0_4arch9wavefront6targetE1EEEvT1_.num_vgpr, 0
	.set _ZN7rocprim17ROCPRIM_400000_NS6detail17trampoline_kernelINS0_14default_configENS1_25transform_config_selectorIfLb0EEEZNS1_14transform_implILb0ES3_S5_NS0_18transform_iteratorINS0_17counting_iteratorImlEEZNS1_24adjacent_difference_implIS3_Lb1ELb0EPKfPfN6thrust23THRUST_200600_302600_NS4plusIfEEEE10hipError_tPvRmT2_T3_mT4_P12ihipStream_tbEUlmE_fEESD_NS0_8identityIvEEEESI_SL_SM_mSN_SP_bEUlT_E_NS1_11comp_targetILNS1_3genE8ELNS1_11target_archE1030ELNS1_3gpuE2ELNS1_3repE0EEENS1_30default_config_static_selectorELNS0_4arch9wavefront6targetE1EEEvT1_.num_agpr, 0
	.set _ZN7rocprim17ROCPRIM_400000_NS6detail17trampoline_kernelINS0_14default_configENS1_25transform_config_selectorIfLb0EEEZNS1_14transform_implILb0ES3_S5_NS0_18transform_iteratorINS0_17counting_iteratorImlEEZNS1_24adjacent_difference_implIS3_Lb1ELb0EPKfPfN6thrust23THRUST_200600_302600_NS4plusIfEEEE10hipError_tPvRmT2_T3_mT4_P12ihipStream_tbEUlmE_fEESD_NS0_8identityIvEEEESI_SL_SM_mSN_SP_bEUlT_E_NS1_11comp_targetILNS1_3genE8ELNS1_11target_archE1030ELNS1_3gpuE2ELNS1_3repE0EEENS1_30default_config_static_selectorELNS0_4arch9wavefront6targetE1EEEvT1_.numbered_sgpr, 0
	.set _ZN7rocprim17ROCPRIM_400000_NS6detail17trampoline_kernelINS0_14default_configENS1_25transform_config_selectorIfLb0EEEZNS1_14transform_implILb0ES3_S5_NS0_18transform_iteratorINS0_17counting_iteratorImlEEZNS1_24adjacent_difference_implIS3_Lb1ELb0EPKfPfN6thrust23THRUST_200600_302600_NS4plusIfEEEE10hipError_tPvRmT2_T3_mT4_P12ihipStream_tbEUlmE_fEESD_NS0_8identityIvEEEESI_SL_SM_mSN_SP_bEUlT_E_NS1_11comp_targetILNS1_3genE8ELNS1_11target_archE1030ELNS1_3gpuE2ELNS1_3repE0EEENS1_30default_config_static_selectorELNS0_4arch9wavefront6targetE1EEEvT1_.num_named_barrier, 0
	.set _ZN7rocprim17ROCPRIM_400000_NS6detail17trampoline_kernelINS0_14default_configENS1_25transform_config_selectorIfLb0EEEZNS1_14transform_implILb0ES3_S5_NS0_18transform_iteratorINS0_17counting_iteratorImlEEZNS1_24adjacent_difference_implIS3_Lb1ELb0EPKfPfN6thrust23THRUST_200600_302600_NS4plusIfEEEE10hipError_tPvRmT2_T3_mT4_P12ihipStream_tbEUlmE_fEESD_NS0_8identityIvEEEESI_SL_SM_mSN_SP_bEUlT_E_NS1_11comp_targetILNS1_3genE8ELNS1_11target_archE1030ELNS1_3gpuE2ELNS1_3repE0EEENS1_30default_config_static_selectorELNS0_4arch9wavefront6targetE1EEEvT1_.private_seg_size, 0
	.set _ZN7rocprim17ROCPRIM_400000_NS6detail17trampoline_kernelINS0_14default_configENS1_25transform_config_selectorIfLb0EEEZNS1_14transform_implILb0ES3_S5_NS0_18transform_iteratorINS0_17counting_iteratorImlEEZNS1_24adjacent_difference_implIS3_Lb1ELb0EPKfPfN6thrust23THRUST_200600_302600_NS4plusIfEEEE10hipError_tPvRmT2_T3_mT4_P12ihipStream_tbEUlmE_fEESD_NS0_8identityIvEEEESI_SL_SM_mSN_SP_bEUlT_E_NS1_11comp_targetILNS1_3genE8ELNS1_11target_archE1030ELNS1_3gpuE2ELNS1_3repE0EEENS1_30default_config_static_selectorELNS0_4arch9wavefront6targetE1EEEvT1_.uses_vcc, 0
	.set _ZN7rocprim17ROCPRIM_400000_NS6detail17trampoline_kernelINS0_14default_configENS1_25transform_config_selectorIfLb0EEEZNS1_14transform_implILb0ES3_S5_NS0_18transform_iteratorINS0_17counting_iteratorImlEEZNS1_24adjacent_difference_implIS3_Lb1ELb0EPKfPfN6thrust23THRUST_200600_302600_NS4plusIfEEEE10hipError_tPvRmT2_T3_mT4_P12ihipStream_tbEUlmE_fEESD_NS0_8identityIvEEEESI_SL_SM_mSN_SP_bEUlT_E_NS1_11comp_targetILNS1_3genE8ELNS1_11target_archE1030ELNS1_3gpuE2ELNS1_3repE0EEENS1_30default_config_static_selectorELNS0_4arch9wavefront6targetE1EEEvT1_.uses_flat_scratch, 0
	.set _ZN7rocprim17ROCPRIM_400000_NS6detail17trampoline_kernelINS0_14default_configENS1_25transform_config_selectorIfLb0EEEZNS1_14transform_implILb0ES3_S5_NS0_18transform_iteratorINS0_17counting_iteratorImlEEZNS1_24adjacent_difference_implIS3_Lb1ELb0EPKfPfN6thrust23THRUST_200600_302600_NS4plusIfEEEE10hipError_tPvRmT2_T3_mT4_P12ihipStream_tbEUlmE_fEESD_NS0_8identityIvEEEESI_SL_SM_mSN_SP_bEUlT_E_NS1_11comp_targetILNS1_3genE8ELNS1_11target_archE1030ELNS1_3gpuE2ELNS1_3repE0EEENS1_30default_config_static_selectorELNS0_4arch9wavefront6targetE1EEEvT1_.has_dyn_sized_stack, 0
	.set _ZN7rocprim17ROCPRIM_400000_NS6detail17trampoline_kernelINS0_14default_configENS1_25transform_config_selectorIfLb0EEEZNS1_14transform_implILb0ES3_S5_NS0_18transform_iteratorINS0_17counting_iteratorImlEEZNS1_24adjacent_difference_implIS3_Lb1ELb0EPKfPfN6thrust23THRUST_200600_302600_NS4plusIfEEEE10hipError_tPvRmT2_T3_mT4_P12ihipStream_tbEUlmE_fEESD_NS0_8identityIvEEEESI_SL_SM_mSN_SP_bEUlT_E_NS1_11comp_targetILNS1_3genE8ELNS1_11target_archE1030ELNS1_3gpuE2ELNS1_3repE0EEENS1_30default_config_static_selectorELNS0_4arch9wavefront6targetE1EEEvT1_.has_recursion, 0
	.set _ZN7rocprim17ROCPRIM_400000_NS6detail17trampoline_kernelINS0_14default_configENS1_25transform_config_selectorIfLb0EEEZNS1_14transform_implILb0ES3_S5_NS0_18transform_iteratorINS0_17counting_iteratorImlEEZNS1_24adjacent_difference_implIS3_Lb1ELb0EPKfPfN6thrust23THRUST_200600_302600_NS4plusIfEEEE10hipError_tPvRmT2_T3_mT4_P12ihipStream_tbEUlmE_fEESD_NS0_8identityIvEEEESI_SL_SM_mSN_SP_bEUlT_E_NS1_11comp_targetILNS1_3genE8ELNS1_11target_archE1030ELNS1_3gpuE2ELNS1_3repE0EEENS1_30default_config_static_selectorELNS0_4arch9wavefront6targetE1EEEvT1_.has_indirect_call, 0
	.section	.AMDGPU.csdata,"",@progbits
; Kernel info:
; codeLenInByte = 0
; TotalNumSgprs: 4
; NumVgprs: 0
; ScratchSize: 0
; MemoryBound: 0
; FloatMode: 240
; IeeeMode: 1
; LDSByteSize: 0 bytes/workgroup (compile time only)
; SGPRBlocks: 0
; VGPRBlocks: 0
; NumSGPRsForWavesPerEU: 4
; NumVGPRsForWavesPerEU: 1
; Occupancy: 10
; WaveLimiterHint : 0
; COMPUTE_PGM_RSRC2:SCRATCH_EN: 0
; COMPUTE_PGM_RSRC2:USER_SGPR: 6
; COMPUTE_PGM_RSRC2:TRAP_HANDLER: 0
; COMPUTE_PGM_RSRC2:TGID_X_EN: 1
; COMPUTE_PGM_RSRC2:TGID_Y_EN: 0
; COMPUTE_PGM_RSRC2:TGID_Z_EN: 0
; COMPUTE_PGM_RSRC2:TIDIG_COMP_CNT: 0
	.section	.text._ZN7rocprim17ROCPRIM_400000_NS6detail17trampoline_kernelINS0_14default_configENS1_35adjacent_difference_config_selectorILb1EfEEZNS1_24adjacent_difference_implIS3_Lb1ELb0EPKfPfN6thrust23THRUST_200600_302600_NS4plusIfEEEE10hipError_tPvRmT2_T3_mT4_P12ihipStream_tbEUlT_E_NS1_11comp_targetILNS1_3genE0ELNS1_11target_archE4294967295ELNS1_3gpuE0ELNS1_3repE0EEENS1_30default_config_static_selectorELNS0_4arch9wavefront6targetE1EEEvT1_,"axG",@progbits,_ZN7rocprim17ROCPRIM_400000_NS6detail17trampoline_kernelINS0_14default_configENS1_35adjacent_difference_config_selectorILb1EfEEZNS1_24adjacent_difference_implIS3_Lb1ELb0EPKfPfN6thrust23THRUST_200600_302600_NS4plusIfEEEE10hipError_tPvRmT2_T3_mT4_P12ihipStream_tbEUlT_E_NS1_11comp_targetILNS1_3genE0ELNS1_11target_archE4294967295ELNS1_3gpuE0ELNS1_3repE0EEENS1_30default_config_static_selectorELNS0_4arch9wavefront6targetE1EEEvT1_,comdat
	.protected	_ZN7rocprim17ROCPRIM_400000_NS6detail17trampoline_kernelINS0_14default_configENS1_35adjacent_difference_config_selectorILb1EfEEZNS1_24adjacent_difference_implIS3_Lb1ELb0EPKfPfN6thrust23THRUST_200600_302600_NS4plusIfEEEE10hipError_tPvRmT2_T3_mT4_P12ihipStream_tbEUlT_E_NS1_11comp_targetILNS1_3genE0ELNS1_11target_archE4294967295ELNS1_3gpuE0ELNS1_3repE0EEENS1_30default_config_static_selectorELNS0_4arch9wavefront6targetE1EEEvT1_ ; -- Begin function _ZN7rocprim17ROCPRIM_400000_NS6detail17trampoline_kernelINS0_14default_configENS1_35adjacent_difference_config_selectorILb1EfEEZNS1_24adjacent_difference_implIS3_Lb1ELb0EPKfPfN6thrust23THRUST_200600_302600_NS4plusIfEEEE10hipError_tPvRmT2_T3_mT4_P12ihipStream_tbEUlT_E_NS1_11comp_targetILNS1_3genE0ELNS1_11target_archE4294967295ELNS1_3gpuE0ELNS1_3repE0EEENS1_30default_config_static_selectorELNS0_4arch9wavefront6targetE1EEEvT1_
	.globl	_ZN7rocprim17ROCPRIM_400000_NS6detail17trampoline_kernelINS0_14default_configENS1_35adjacent_difference_config_selectorILb1EfEEZNS1_24adjacent_difference_implIS3_Lb1ELb0EPKfPfN6thrust23THRUST_200600_302600_NS4plusIfEEEE10hipError_tPvRmT2_T3_mT4_P12ihipStream_tbEUlT_E_NS1_11comp_targetILNS1_3genE0ELNS1_11target_archE4294967295ELNS1_3gpuE0ELNS1_3repE0EEENS1_30default_config_static_selectorELNS0_4arch9wavefront6targetE1EEEvT1_
	.p2align	8
	.type	_ZN7rocprim17ROCPRIM_400000_NS6detail17trampoline_kernelINS0_14default_configENS1_35adjacent_difference_config_selectorILb1EfEEZNS1_24adjacent_difference_implIS3_Lb1ELb0EPKfPfN6thrust23THRUST_200600_302600_NS4plusIfEEEE10hipError_tPvRmT2_T3_mT4_P12ihipStream_tbEUlT_E_NS1_11comp_targetILNS1_3genE0ELNS1_11target_archE4294967295ELNS1_3gpuE0ELNS1_3repE0EEENS1_30default_config_static_selectorELNS0_4arch9wavefront6targetE1EEEvT1_,@function
_ZN7rocprim17ROCPRIM_400000_NS6detail17trampoline_kernelINS0_14default_configENS1_35adjacent_difference_config_selectorILb1EfEEZNS1_24adjacent_difference_implIS3_Lb1ELb0EPKfPfN6thrust23THRUST_200600_302600_NS4plusIfEEEE10hipError_tPvRmT2_T3_mT4_P12ihipStream_tbEUlT_E_NS1_11comp_targetILNS1_3genE0ELNS1_11target_archE4294967295ELNS1_3gpuE0ELNS1_3repE0EEENS1_30default_config_static_selectorELNS0_4arch9wavefront6targetE1EEEvT1_: ; @_ZN7rocprim17ROCPRIM_400000_NS6detail17trampoline_kernelINS0_14default_configENS1_35adjacent_difference_config_selectorILb1EfEEZNS1_24adjacent_difference_implIS3_Lb1ELb0EPKfPfN6thrust23THRUST_200600_302600_NS4plusIfEEEE10hipError_tPvRmT2_T3_mT4_P12ihipStream_tbEUlT_E_NS1_11comp_targetILNS1_3genE0ELNS1_11target_archE4294967295ELNS1_3gpuE0ELNS1_3repE0EEENS1_30default_config_static_selectorELNS0_4arch9wavefront6targetE1EEEvT1_
; %bb.0:
	.section	.rodata,"a",@progbits
	.p2align	6, 0x0
	.amdhsa_kernel _ZN7rocprim17ROCPRIM_400000_NS6detail17trampoline_kernelINS0_14default_configENS1_35adjacent_difference_config_selectorILb1EfEEZNS1_24adjacent_difference_implIS3_Lb1ELb0EPKfPfN6thrust23THRUST_200600_302600_NS4plusIfEEEE10hipError_tPvRmT2_T3_mT4_P12ihipStream_tbEUlT_E_NS1_11comp_targetILNS1_3genE0ELNS1_11target_archE4294967295ELNS1_3gpuE0ELNS1_3repE0EEENS1_30default_config_static_selectorELNS0_4arch9wavefront6targetE1EEEvT1_
		.amdhsa_group_segment_fixed_size 0
		.amdhsa_private_segment_fixed_size 0
		.amdhsa_kernarg_size 56
		.amdhsa_user_sgpr_count 6
		.amdhsa_user_sgpr_private_segment_buffer 1
		.amdhsa_user_sgpr_dispatch_ptr 0
		.amdhsa_user_sgpr_queue_ptr 0
		.amdhsa_user_sgpr_kernarg_segment_ptr 1
		.amdhsa_user_sgpr_dispatch_id 0
		.amdhsa_user_sgpr_flat_scratch_init 0
		.amdhsa_user_sgpr_private_segment_size 0
		.amdhsa_uses_dynamic_stack 0
		.amdhsa_system_sgpr_private_segment_wavefront_offset 0
		.amdhsa_system_sgpr_workgroup_id_x 1
		.amdhsa_system_sgpr_workgroup_id_y 0
		.amdhsa_system_sgpr_workgroup_id_z 0
		.amdhsa_system_sgpr_workgroup_info 0
		.amdhsa_system_vgpr_workitem_id 0
		.amdhsa_next_free_vgpr 1
		.amdhsa_next_free_sgpr 0
		.amdhsa_reserve_vcc 0
		.amdhsa_reserve_flat_scratch 0
		.amdhsa_float_round_mode_32 0
		.amdhsa_float_round_mode_16_64 0
		.amdhsa_float_denorm_mode_32 3
		.amdhsa_float_denorm_mode_16_64 3
		.amdhsa_dx10_clamp 1
		.amdhsa_ieee_mode 1
		.amdhsa_fp16_overflow 0
		.amdhsa_exception_fp_ieee_invalid_op 0
		.amdhsa_exception_fp_denorm_src 0
		.amdhsa_exception_fp_ieee_div_zero 0
		.amdhsa_exception_fp_ieee_overflow 0
		.amdhsa_exception_fp_ieee_underflow 0
		.amdhsa_exception_fp_ieee_inexact 0
		.amdhsa_exception_int_div_zero 0
	.end_amdhsa_kernel
	.section	.text._ZN7rocprim17ROCPRIM_400000_NS6detail17trampoline_kernelINS0_14default_configENS1_35adjacent_difference_config_selectorILb1EfEEZNS1_24adjacent_difference_implIS3_Lb1ELb0EPKfPfN6thrust23THRUST_200600_302600_NS4plusIfEEEE10hipError_tPvRmT2_T3_mT4_P12ihipStream_tbEUlT_E_NS1_11comp_targetILNS1_3genE0ELNS1_11target_archE4294967295ELNS1_3gpuE0ELNS1_3repE0EEENS1_30default_config_static_selectorELNS0_4arch9wavefront6targetE1EEEvT1_,"axG",@progbits,_ZN7rocprim17ROCPRIM_400000_NS6detail17trampoline_kernelINS0_14default_configENS1_35adjacent_difference_config_selectorILb1EfEEZNS1_24adjacent_difference_implIS3_Lb1ELb0EPKfPfN6thrust23THRUST_200600_302600_NS4plusIfEEEE10hipError_tPvRmT2_T3_mT4_P12ihipStream_tbEUlT_E_NS1_11comp_targetILNS1_3genE0ELNS1_11target_archE4294967295ELNS1_3gpuE0ELNS1_3repE0EEENS1_30default_config_static_selectorELNS0_4arch9wavefront6targetE1EEEvT1_,comdat
.Lfunc_end615:
	.size	_ZN7rocprim17ROCPRIM_400000_NS6detail17trampoline_kernelINS0_14default_configENS1_35adjacent_difference_config_selectorILb1EfEEZNS1_24adjacent_difference_implIS3_Lb1ELb0EPKfPfN6thrust23THRUST_200600_302600_NS4plusIfEEEE10hipError_tPvRmT2_T3_mT4_P12ihipStream_tbEUlT_E_NS1_11comp_targetILNS1_3genE0ELNS1_11target_archE4294967295ELNS1_3gpuE0ELNS1_3repE0EEENS1_30default_config_static_selectorELNS0_4arch9wavefront6targetE1EEEvT1_, .Lfunc_end615-_ZN7rocprim17ROCPRIM_400000_NS6detail17trampoline_kernelINS0_14default_configENS1_35adjacent_difference_config_selectorILb1EfEEZNS1_24adjacent_difference_implIS3_Lb1ELb0EPKfPfN6thrust23THRUST_200600_302600_NS4plusIfEEEE10hipError_tPvRmT2_T3_mT4_P12ihipStream_tbEUlT_E_NS1_11comp_targetILNS1_3genE0ELNS1_11target_archE4294967295ELNS1_3gpuE0ELNS1_3repE0EEENS1_30default_config_static_selectorELNS0_4arch9wavefront6targetE1EEEvT1_
                                        ; -- End function
	.set _ZN7rocprim17ROCPRIM_400000_NS6detail17trampoline_kernelINS0_14default_configENS1_35adjacent_difference_config_selectorILb1EfEEZNS1_24adjacent_difference_implIS3_Lb1ELb0EPKfPfN6thrust23THRUST_200600_302600_NS4plusIfEEEE10hipError_tPvRmT2_T3_mT4_P12ihipStream_tbEUlT_E_NS1_11comp_targetILNS1_3genE0ELNS1_11target_archE4294967295ELNS1_3gpuE0ELNS1_3repE0EEENS1_30default_config_static_selectorELNS0_4arch9wavefront6targetE1EEEvT1_.num_vgpr, 0
	.set _ZN7rocprim17ROCPRIM_400000_NS6detail17trampoline_kernelINS0_14default_configENS1_35adjacent_difference_config_selectorILb1EfEEZNS1_24adjacent_difference_implIS3_Lb1ELb0EPKfPfN6thrust23THRUST_200600_302600_NS4plusIfEEEE10hipError_tPvRmT2_T3_mT4_P12ihipStream_tbEUlT_E_NS1_11comp_targetILNS1_3genE0ELNS1_11target_archE4294967295ELNS1_3gpuE0ELNS1_3repE0EEENS1_30default_config_static_selectorELNS0_4arch9wavefront6targetE1EEEvT1_.num_agpr, 0
	.set _ZN7rocprim17ROCPRIM_400000_NS6detail17trampoline_kernelINS0_14default_configENS1_35adjacent_difference_config_selectorILb1EfEEZNS1_24adjacent_difference_implIS3_Lb1ELb0EPKfPfN6thrust23THRUST_200600_302600_NS4plusIfEEEE10hipError_tPvRmT2_T3_mT4_P12ihipStream_tbEUlT_E_NS1_11comp_targetILNS1_3genE0ELNS1_11target_archE4294967295ELNS1_3gpuE0ELNS1_3repE0EEENS1_30default_config_static_selectorELNS0_4arch9wavefront6targetE1EEEvT1_.numbered_sgpr, 0
	.set _ZN7rocprim17ROCPRIM_400000_NS6detail17trampoline_kernelINS0_14default_configENS1_35adjacent_difference_config_selectorILb1EfEEZNS1_24adjacent_difference_implIS3_Lb1ELb0EPKfPfN6thrust23THRUST_200600_302600_NS4plusIfEEEE10hipError_tPvRmT2_T3_mT4_P12ihipStream_tbEUlT_E_NS1_11comp_targetILNS1_3genE0ELNS1_11target_archE4294967295ELNS1_3gpuE0ELNS1_3repE0EEENS1_30default_config_static_selectorELNS0_4arch9wavefront6targetE1EEEvT1_.num_named_barrier, 0
	.set _ZN7rocprim17ROCPRIM_400000_NS6detail17trampoline_kernelINS0_14default_configENS1_35adjacent_difference_config_selectorILb1EfEEZNS1_24adjacent_difference_implIS3_Lb1ELb0EPKfPfN6thrust23THRUST_200600_302600_NS4plusIfEEEE10hipError_tPvRmT2_T3_mT4_P12ihipStream_tbEUlT_E_NS1_11comp_targetILNS1_3genE0ELNS1_11target_archE4294967295ELNS1_3gpuE0ELNS1_3repE0EEENS1_30default_config_static_selectorELNS0_4arch9wavefront6targetE1EEEvT1_.private_seg_size, 0
	.set _ZN7rocprim17ROCPRIM_400000_NS6detail17trampoline_kernelINS0_14default_configENS1_35adjacent_difference_config_selectorILb1EfEEZNS1_24adjacent_difference_implIS3_Lb1ELb0EPKfPfN6thrust23THRUST_200600_302600_NS4plusIfEEEE10hipError_tPvRmT2_T3_mT4_P12ihipStream_tbEUlT_E_NS1_11comp_targetILNS1_3genE0ELNS1_11target_archE4294967295ELNS1_3gpuE0ELNS1_3repE0EEENS1_30default_config_static_selectorELNS0_4arch9wavefront6targetE1EEEvT1_.uses_vcc, 0
	.set _ZN7rocprim17ROCPRIM_400000_NS6detail17trampoline_kernelINS0_14default_configENS1_35adjacent_difference_config_selectorILb1EfEEZNS1_24adjacent_difference_implIS3_Lb1ELb0EPKfPfN6thrust23THRUST_200600_302600_NS4plusIfEEEE10hipError_tPvRmT2_T3_mT4_P12ihipStream_tbEUlT_E_NS1_11comp_targetILNS1_3genE0ELNS1_11target_archE4294967295ELNS1_3gpuE0ELNS1_3repE0EEENS1_30default_config_static_selectorELNS0_4arch9wavefront6targetE1EEEvT1_.uses_flat_scratch, 0
	.set _ZN7rocprim17ROCPRIM_400000_NS6detail17trampoline_kernelINS0_14default_configENS1_35adjacent_difference_config_selectorILb1EfEEZNS1_24adjacent_difference_implIS3_Lb1ELb0EPKfPfN6thrust23THRUST_200600_302600_NS4plusIfEEEE10hipError_tPvRmT2_T3_mT4_P12ihipStream_tbEUlT_E_NS1_11comp_targetILNS1_3genE0ELNS1_11target_archE4294967295ELNS1_3gpuE0ELNS1_3repE0EEENS1_30default_config_static_selectorELNS0_4arch9wavefront6targetE1EEEvT1_.has_dyn_sized_stack, 0
	.set _ZN7rocprim17ROCPRIM_400000_NS6detail17trampoline_kernelINS0_14default_configENS1_35adjacent_difference_config_selectorILb1EfEEZNS1_24adjacent_difference_implIS3_Lb1ELb0EPKfPfN6thrust23THRUST_200600_302600_NS4plusIfEEEE10hipError_tPvRmT2_T3_mT4_P12ihipStream_tbEUlT_E_NS1_11comp_targetILNS1_3genE0ELNS1_11target_archE4294967295ELNS1_3gpuE0ELNS1_3repE0EEENS1_30default_config_static_selectorELNS0_4arch9wavefront6targetE1EEEvT1_.has_recursion, 0
	.set _ZN7rocprim17ROCPRIM_400000_NS6detail17trampoline_kernelINS0_14default_configENS1_35adjacent_difference_config_selectorILb1EfEEZNS1_24adjacent_difference_implIS3_Lb1ELb0EPKfPfN6thrust23THRUST_200600_302600_NS4plusIfEEEE10hipError_tPvRmT2_T3_mT4_P12ihipStream_tbEUlT_E_NS1_11comp_targetILNS1_3genE0ELNS1_11target_archE4294967295ELNS1_3gpuE0ELNS1_3repE0EEENS1_30default_config_static_selectorELNS0_4arch9wavefront6targetE1EEEvT1_.has_indirect_call, 0
	.section	.AMDGPU.csdata,"",@progbits
; Kernel info:
; codeLenInByte = 0
; TotalNumSgprs: 4
; NumVgprs: 0
; ScratchSize: 0
; MemoryBound: 0
; FloatMode: 240
; IeeeMode: 1
; LDSByteSize: 0 bytes/workgroup (compile time only)
; SGPRBlocks: 0
; VGPRBlocks: 0
; NumSGPRsForWavesPerEU: 4
; NumVGPRsForWavesPerEU: 1
; Occupancy: 10
; WaveLimiterHint : 0
; COMPUTE_PGM_RSRC2:SCRATCH_EN: 0
; COMPUTE_PGM_RSRC2:USER_SGPR: 6
; COMPUTE_PGM_RSRC2:TRAP_HANDLER: 0
; COMPUTE_PGM_RSRC2:TGID_X_EN: 1
; COMPUTE_PGM_RSRC2:TGID_Y_EN: 0
; COMPUTE_PGM_RSRC2:TGID_Z_EN: 0
; COMPUTE_PGM_RSRC2:TIDIG_COMP_CNT: 0
	.section	.text._ZN7rocprim17ROCPRIM_400000_NS6detail17trampoline_kernelINS0_14default_configENS1_35adjacent_difference_config_selectorILb1EfEEZNS1_24adjacent_difference_implIS3_Lb1ELb0EPKfPfN6thrust23THRUST_200600_302600_NS4plusIfEEEE10hipError_tPvRmT2_T3_mT4_P12ihipStream_tbEUlT_E_NS1_11comp_targetILNS1_3genE10ELNS1_11target_archE1201ELNS1_3gpuE5ELNS1_3repE0EEENS1_30default_config_static_selectorELNS0_4arch9wavefront6targetE1EEEvT1_,"axG",@progbits,_ZN7rocprim17ROCPRIM_400000_NS6detail17trampoline_kernelINS0_14default_configENS1_35adjacent_difference_config_selectorILb1EfEEZNS1_24adjacent_difference_implIS3_Lb1ELb0EPKfPfN6thrust23THRUST_200600_302600_NS4plusIfEEEE10hipError_tPvRmT2_T3_mT4_P12ihipStream_tbEUlT_E_NS1_11comp_targetILNS1_3genE10ELNS1_11target_archE1201ELNS1_3gpuE5ELNS1_3repE0EEENS1_30default_config_static_selectorELNS0_4arch9wavefront6targetE1EEEvT1_,comdat
	.protected	_ZN7rocprim17ROCPRIM_400000_NS6detail17trampoline_kernelINS0_14default_configENS1_35adjacent_difference_config_selectorILb1EfEEZNS1_24adjacent_difference_implIS3_Lb1ELb0EPKfPfN6thrust23THRUST_200600_302600_NS4plusIfEEEE10hipError_tPvRmT2_T3_mT4_P12ihipStream_tbEUlT_E_NS1_11comp_targetILNS1_3genE10ELNS1_11target_archE1201ELNS1_3gpuE5ELNS1_3repE0EEENS1_30default_config_static_selectorELNS0_4arch9wavefront6targetE1EEEvT1_ ; -- Begin function _ZN7rocprim17ROCPRIM_400000_NS6detail17trampoline_kernelINS0_14default_configENS1_35adjacent_difference_config_selectorILb1EfEEZNS1_24adjacent_difference_implIS3_Lb1ELb0EPKfPfN6thrust23THRUST_200600_302600_NS4plusIfEEEE10hipError_tPvRmT2_T3_mT4_P12ihipStream_tbEUlT_E_NS1_11comp_targetILNS1_3genE10ELNS1_11target_archE1201ELNS1_3gpuE5ELNS1_3repE0EEENS1_30default_config_static_selectorELNS0_4arch9wavefront6targetE1EEEvT1_
	.globl	_ZN7rocprim17ROCPRIM_400000_NS6detail17trampoline_kernelINS0_14default_configENS1_35adjacent_difference_config_selectorILb1EfEEZNS1_24adjacent_difference_implIS3_Lb1ELb0EPKfPfN6thrust23THRUST_200600_302600_NS4plusIfEEEE10hipError_tPvRmT2_T3_mT4_P12ihipStream_tbEUlT_E_NS1_11comp_targetILNS1_3genE10ELNS1_11target_archE1201ELNS1_3gpuE5ELNS1_3repE0EEENS1_30default_config_static_selectorELNS0_4arch9wavefront6targetE1EEEvT1_
	.p2align	8
	.type	_ZN7rocprim17ROCPRIM_400000_NS6detail17trampoline_kernelINS0_14default_configENS1_35adjacent_difference_config_selectorILb1EfEEZNS1_24adjacent_difference_implIS3_Lb1ELb0EPKfPfN6thrust23THRUST_200600_302600_NS4plusIfEEEE10hipError_tPvRmT2_T3_mT4_P12ihipStream_tbEUlT_E_NS1_11comp_targetILNS1_3genE10ELNS1_11target_archE1201ELNS1_3gpuE5ELNS1_3repE0EEENS1_30default_config_static_selectorELNS0_4arch9wavefront6targetE1EEEvT1_,@function
_ZN7rocprim17ROCPRIM_400000_NS6detail17trampoline_kernelINS0_14default_configENS1_35adjacent_difference_config_selectorILb1EfEEZNS1_24adjacent_difference_implIS3_Lb1ELb0EPKfPfN6thrust23THRUST_200600_302600_NS4plusIfEEEE10hipError_tPvRmT2_T3_mT4_P12ihipStream_tbEUlT_E_NS1_11comp_targetILNS1_3genE10ELNS1_11target_archE1201ELNS1_3gpuE5ELNS1_3repE0EEENS1_30default_config_static_selectorELNS0_4arch9wavefront6targetE1EEEvT1_: ; @_ZN7rocprim17ROCPRIM_400000_NS6detail17trampoline_kernelINS0_14default_configENS1_35adjacent_difference_config_selectorILb1EfEEZNS1_24adjacent_difference_implIS3_Lb1ELb0EPKfPfN6thrust23THRUST_200600_302600_NS4plusIfEEEE10hipError_tPvRmT2_T3_mT4_P12ihipStream_tbEUlT_E_NS1_11comp_targetILNS1_3genE10ELNS1_11target_archE1201ELNS1_3gpuE5ELNS1_3repE0EEENS1_30default_config_static_selectorELNS0_4arch9wavefront6targetE1EEEvT1_
; %bb.0:
	.section	.rodata,"a",@progbits
	.p2align	6, 0x0
	.amdhsa_kernel _ZN7rocprim17ROCPRIM_400000_NS6detail17trampoline_kernelINS0_14default_configENS1_35adjacent_difference_config_selectorILb1EfEEZNS1_24adjacent_difference_implIS3_Lb1ELb0EPKfPfN6thrust23THRUST_200600_302600_NS4plusIfEEEE10hipError_tPvRmT2_T3_mT4_P12ihipStream_tbEUlT_E_NS1_11comp_targetILNS1_3genE10ELNS1_11target_archE1201ELNS1_3gpuE5ELNS1_3repE0EEENS1_30default_config_static_selectorELNS0_4arch9wavefront6targetE1EEEvT1_
		.amdhsa_group_segment_fixed_size 0
		.amdhsa_private_segment_fixed_size 0
		.amdhsa_kernarg_size 56
		.amdhsa_user_sgpr_count 6
		.amdhsa_user_sgpr_private_segment_buffer 1
		.amdhsa_user_sgpr_dispatch_ptr 0
		.amdhsa_user_sgpr_queue_ptr 0
		.amdhsa_user_sgpr_kernarg_segment_ptr 1
		.amdhsa_user_sgpr_dispatch_id 0
		.amdhsa_user_sgpr_flat_scratch_init 0
		.amdhsa_user_sgpr_private_segment_size 0
		.amdhsa_uses_dynamic_stack 0
		.amdhsa_system_sgpr_private_segment_wavefront_offset 0
		.amdhsa_system_sgpr_workgroup_id_x 1
		.amdhsa_system_sgpr_workgroup_id_y 0
		.amdhsa_system_sgpr_workgroup_id_z 0
		.amdhsa_system_sgpr_workgroup_info 0
		.amdhsa_system_vgpr_workitem_id 0
		.amdhsa_next_free_vgpr 1
		.amdhsa_next_free_sgpr 0
		.amdhsa_reserve_vcc 0
		.amdhsa_reserve_flat_scratch 0
		.amdhsa_float_round_mode_32 0
		.amdhsa_float_round_mode_16_64 0
		.amdhsa_float_denorm_mode_32 3
		.amdhsa_float_denorm_mode_16_64 3
		.amdhsa_dx10_clamp 1
		.amdhsa_ieee_mode 1
		.amdhsa_fp16_overflow 0
		.amdhsa_exception_fp_ieee_invalid_op 0
		.amdhsa_exception_fp_denorm_src 0
		.amdhsa_exception_fp_ieee_div_zero 0
		.amdhsa_exception_fp_ieee_overflow 0
		.amdhsa_exception_fp_ieee_underflow 0
		.amdhsa_exception_fp_ieee_inexact 0
		.amdhsa_exception_int_div_zero 0
	.end_amdhsa_kernel
	.section	.text._ZN7rocprim17ROCPRIM_400000_NS6detail17trampoline_kernelINS0_14default_configENS1_35adjacent_difference_config_selectorILb1EfEEZNS1_24adjacent_difference_implIS3_Lb1ELb0EPKfPfN6thrust23THRUST_200600_302600_NS4plusIfEEEE10hipError_tPvRmT2_T3_mT4_P12ihipStream_tbEUlT_E_NS1_11comp_targetILNS1_3genE10ELNS1_11target_archE1201ELNS1_3gpuE5ELNS1_3repE0EEENS1_30default_config_static_selectorELNS0_4arch9wavefront6targetE1EEEvT1_,"axG",@progbits,_ZN7rocprim17ROCPRIM_400000_NS6detail17trampoline_kernelINS0_14default_configENS1_35adjacent_difference_config_selectorILb1EfEEZNS1_24adjacent_difference_implIS3_Lb1ELb0EPKfPfN6thrust23THRUST_200600_302600_NS4plusIfEEEE10hipError_tPvRmT2_T3_mT4_P12ihipStream_tbEUlT_E_NS1_11comp_targetILNS1_3genE10ELNS1_11target_archE1201ELNS1_3gpuE5ELNS1_3repE0EEENS1_30default_config_static_selectorELNS0_4arch9wavefront6targetE1EEEvT1_,comdat
.Lfunc_end616:
	.size	_ZN7rocprim17ROCPRIM_400000_NS6detail17trampoline_kernelINS0_14default_configENS1_35adjacent_difference_config_selectorILb1EfEEZNS1_24adjacent_difference_implIS3_Lb1ELb0EPKfPfN6thrust23THRUST_200600_302600_NS4plusIfEEEE10hipError_tPvRmT2_T3_mT4_P12ihipStream_tbEUlT_E_NS1_11comp_targetILNS1_3genE10ELNS1_11target_archE1201ELNS1_3gpuE5ELNS1_3repE0EEENS1_30default_config_static_selectorELNS0_4arch9wavefront6targetE1EEEvT1_, .Lfunc_end616-_ZN7rocprim17ROCPRIM_400000_NS6detail17trampoline_kernelINS0_14default_configENS1_35adjacent_difference_config_selectorILb1EfEEZNS1_24adjacent_difference_implIS3_Lb1ELb0EPKfPfN6thrust23THRUST_200600_302600_NS4plusIfEEEE10hipError_tPvRmT2_T3_mT4_P12ihipStream_tbEUlT_E_NS1_11comp_targetILNS1_3genE10ELNS1_11target_archE1201ELNS1_3gpuE5ELNS1_3repE0EEENS1_30default_config_static_selectorELNS0_4arch9wavefront6targetE1EEEvT1_
                                        ; -- End function
	.set _ZN7rocprim17ROCPRIM_400000_NS6detail17trampoline_kernelINS0_14default_configENS1_35adjacent_difference_config_selectorILb1EfEEZNS1_24adjacent_difference_implIS3_Lb1ELb0EPKfPfN6thrust23THRUST_200600_302600_NS4plusIfEEEE10hipError_tPvRmT2_T3_mT4_P12ihipStream_tbEUlT_E_NS1_11comp_targetILNS1_3genE10ELNS1_11target_archE1201ELNS1_3gpuE5ELNS1_3repE0EEENS1_30default_config_static_selectorELNS0_4arch9wavefront6targetE1EEEvT1_.num_vgpr, 0
	.set _ZN7rocprim17ROCPRIM_400000_NS6detail17trampoline_kernelINS0_14default_configENS1_35adjacent_difference_config_selectorILb1EfEEZNS1_24adjacent_difference_implIS3_Lb1ELb0EPKfPfN6thrust23THRUST_200600_302600_NS4plusIfEEEE10hipError_tPvRmT2_T3_mT4_P12ihipStream_tbEUlT_E_NS1_11comp_targetILNS1_3genE10ELNS1_11target_archE1201ELNS1_3gpuE5ELNS1_3repE0EEENS1_30default_config_static_selectorELNS0_4arch9wavefront6targetE1EEEvT1_.num_agpr, 0
	.set _ZN7rocprim17ROCPRIM_400000_NS6detail17trampoline_kernelINS0_14default_configENS1_35adjacent_difference_config_selectorILb1EfEEZNS1_24adjacent_difference_implIS3_Lb1ELb0EPKfPfN6thrust23THRUST_200600_302600_NS4plusIfEEEE10hipError_tPvRmT2_T3_mT4_P12ihipStream_tbEUlT_E_NS1_11comp_targetILNS1_3genE10ELNS1_11target_archE1201ELNS1_3gpuE5ELNS1_3repE0EEENS1_30default_config_static_selectorELNS0_4arch9wavefront6targetE1EEEvT1_.numbered_sgpr, 0
	.set _ZN7rocprim17ROCPRIM_400000_NS6detail17trampoline_kernelINS0_14default_configENS1_35adjacent_difference_config_selectorILb1EfEEZNS1_24adjacent_difference_implIS3_Lb1ELb0EPKfPfN6thrust23THRUST_200600_302600_NS4plusIfEEEE10hipError_tPvRmT2_T3_mT4_P12ihipStream_tbEUlT_E_NS1_11comp_targetILNS1_3genE10ELNS1_11target_archE1201ELNS1_3gpuE5ELNS1_3repE0EEENS1_30default_config_static_selectorELNS0_4arch9wavefront6targetE1EEEvT1_.num_named_barrier, 0
	.set _ZN7rocprim17ROCPRIM_400000_NS6detail17trampoline_kernelINS0_14default_configENS1_35adjacent_difference_config_selectorILb1EfEEZNS1_24adjacent_difference_implIS3_Lb1ELb0EPKfPfN6thrust23THRUST_200600_302600_NS4plusIfEEEE10hipError_tPvRmT2_T3_mT4_P12ihipStream_tbEUlT_E_NS1_11comp_targetILNS1_3genE10ELNS1_11target_archE1201ELNS1_3gpuE5ELNS1_3repE0EEENS1_30default_config_static_selectorELNS0_4arch9wavefront6targetE1EEEvT1_.private_seg_size, 0
	.set _ZN7rocprim17ROCPRIM_400000_NS6detail17trampoline_kernelINS0_14default_configENS1_35adjacent_difference_config_selectorILb1EfEEZNS1_24adjacent_difference_implIS3_Lb1ELb0EPKfPfN6thrust23THRUST_200600_302600_NS4plusIfEEEE10hipError_tPvRmT2_T3_mT4_P12ihipStream_tbEUlT_E_NS1_11comp_targetILNS1_3genE10ELNS1_11target_archE1201ELNS1_3gpuE5ELNS1_3repE0EEENS1_30default_config_static_selectorELNS0_4arch9wavefront6targetE1EEEvT1_.uses_vcc, 0
	.set _ZN7rocprim17ROCPRIM_400000_NS6detail17trampoline_kernelINS0_14default_configENS1_35adjacent_difference_config_selectorILb1EfEEZNS1_24adjacent_difference_implIS3_Lb1ELb0EPKfPfN6thrust23THRUST_200600_302600_NS4plusIfEEEE10hipError_tPvRmT2_T3_mT4_P12ihipStream_tbEUlT_E_NS1_11comp_targetILNS1_3genE10ELNS1_11target_archE1201ELNS1_3gpuE5ELNS1_3repE0EEENS1_30default_config_static_selectorELNS0_4arch9wavefront6targetE1EEEvT1_.uses_flat_scratch, 0
	.set _ZN7rocprim17ROCPRIM_400000_NS6detail17trampoline_kernelINS0_14default_configENS1_35adjacent_difference_config_selectorILb1EfEEZNS1_24adjacent_difference_implIS3_Lb1ELb0EPKfPfN6thrust23THRUST_200600_302600_NS4plusIfEEEE10hipError_tPvRmT2_T3_mT4_P12ihipStream_tbEUlT_E_NS1_11comp_targetILNS1_3genE10ELNS1_11target_archE1201ELNS1_3gpuE5ELNS1_3repE0EEENS1_30default_config_static_selectorELNS0_4arch9wavefront6targetE1EEEvT1_.has_dyn_sized_stack, 0
	.set _ZN7rocprim17ROCPRIM_400000_NS6detail17trampoline_kernelINS0_14default_configENS1_35adjacent_difference_config_selectorILb1EfEEZNS1_24adjacent_difference_implIS3_Lb1ELb0EPKfPfN6thrust23THRUST_200600_302600_NS4plusIfEEEE10hipError_tPvRmT2_T3_mT4_P12ihipStream_tbEUlT_E_NS1_11comp_targetILNS1_3genE10ELNS1_11target_archE1201ELNS1_3gpuE5ELNS1_3repE0EEENS1_30default_config_static_selectorELNS0_4arch9wavefront6targetE1EEEvT1_.has_recursion, 0
	.set _ZN7rocprim17ROCPRIM_400000_NS6detail17trampoline_kernelINS0_14default_configENS1_35adjacent_difference_config_selectorILb1EfEEZNS1_24adjacent_difference_implIS3_Lb1ELb0EPKfPfN6thrust23THRUST_200600_302600_NS4plusIfEEEE10hipError_tPvRmT2_T3_mT4_P12ihipStream_tbEUlT_E_NS1_11comp_targetILNS1_3genE10ELNS1_11target_archE1201ELNS1_3gpuE5ELNS1_3repE0EEENS1_30default_config_static_selectorELNS0_4arch9wavefront6targetE1EEEvT1_.has_indirect_call, 0
	.section	.AMDGPU.csdata,"",@progbits
; Kernel info:
; codeLenInByte = 0
; TotalNumSgprs: 4
; NumVgprs: 0
; ScratchSize: 0
; MemoryBound: 0
; FloatMode: 240
; IeeeMode: 1
; LDSByteSize: 0 bytes/workgroup (compile time only)
; SGPRBlocks: 0
; VGPRBlocks: 0
; NumSGPRsForWavesPerEU: 4
; NumVGPRsForWavesPerEU: 1
; Occupancy: 10
; WaveLimiterHint : 0
; COMPUTE_PGM_RSRC2:SCRATCH_EN: 0
; COMPUTE_PGM_RSRC2:USER_SGPR: 6
; COMPUTE_PGM_RSRC2:TRAP_HANDLER: 0
; COMPUTE_PGM_RSRC2:TGID_X_EN: 1
; COMPUTE_PGM_RSRC2:TGID_Y_EN: 0
; COMPUTE_PGM_RSRC2:TGID_Z_EN: 0
; COMPUTE_PGM_RSRC2:TIDIG_COMP_CNT: 0
	.section	.text._ZN7rocprim17ROCPRIM_400000_NS6detail17trampoline_kernelINS0_14default_configENS1_35adjacent_difference_config_selectorILb1EfEEZNS1_24adjacent_difference_implIS3_Lb1ELb0EPKfPfN6thrust23THRUST_200600_302600_NS4plusIfEEEE10hipError_tPvRmT2_T3_mT4_P12ihipStream_tbEUlT_E_NS1_11comp_targetILNS1_3genE5ELNS1_11target_archE942ELNS1_3gpuE9ELNS1_3repE0EEENS1_30default_config_static_selectorELNS0_4arch9wavefront6targetE1EEEvT1_,"axG",@progbits,_ZN7rocprim17ROCPRIM_400000_NS6detail17trampoline_kernelINS0_14default_configENS1_35adjacent_difference_config_selectorILb1EfEEZNS1_24adjacent_difference_implIS3_Lb1ELb0EPKfPfN6thrust23THRUST_200600_302600_NS4plusIfEEEE10hipError_tPvRmT2_T3_mT4_P12ihipStream_tbEUlT_E_NS1_11comp_targetILNS1_3genE5ELNS1_11target_archE942ELNS1_3gpuE9ELNS1_3repE0EEENS1_30default_config_static_selectorELNS0_4arch9wavefront6targetE1EEEvT1_,comdat
	.protected	_ZN7rocprim17ROCPRIM_400000_NS6detail17trampoline_kernelINS0_14default_configENS1_35adjacent_difference_config_selectorILb1EfEEZNS1_24adjacent_difference_implIS3_Lb1ELb0EPKfPfN6thrust23THRUST_200600_302600_NS4plusIfEEEE10hipError_tPvRmT2_T3_mT4_P12ihipStream_tbEUlT_E_NS1_11comp_targetILNS1_3genE5ELNS1_11target_archE942ELNS1_3gpuE9ELNS1_3repE0EEENS1_30default_config_static_selectorELNS0_4arch9wavefront6targetE1EEEvT1_ ; -- Begin function _ZN7rocprim17ROCPRIM_400000_NS6detail17trampoline_kernelINS0_14default_configENS1_35adjacent_difference_config_selectorILb1EfEEZNS1_24adjacent_difference_implIS3_Lb1ELb0EPKfPfN6thrust23THRUST_200600_302600_NS4plusIfEEEE10hipError_tPvRmT2_T3_mT4_P12ihipStream_tbEUlT_E_NS1_11comp_targetILNS1_3genE5ELNS1_11target_archE942ELNS1_3gpuE9ELNS1_3repE0EEENS1_30default_config_static_selectorELNS0_4arch9wavefront6targetE1EEEvT1_
	.globl	_ZN7rocprim17ROCPRIM_400000_NS6detail17trampoline_kernelINS0_14default_configENS1_35adjacent_difference_config_selectorILb1EfEEZNS1_24adjacent_difference_implIS3_Lb1ELb0EPKfPfN6thrust23THRUST_200600_302600_NS4plusIfEEEE10hipError_tPvRmT2_T3_mT4_P12ihipStream_tbEUlT_E_NS1_11comp_targetILNS1_3genE5ELNS1_11target_archE942ELNS1_3gpuE9ELNS1_3repE0EEENS1_30default_config_static_selectorELNS0_4arch9wavefront6targetE1EEEvT1_
	.p2align	8
	.type	_ZN7rocprim17ROCPRIM_400000_NS6detail17trampoline_kernelINS0_14default_configENS1_35adjacent_difference_config_selectorILb1EfEEZNS1_24adjacent_difference_implIS3_Lb1ELb0EPKfPfN6thrust23THRUST_200600_302600_NS4plusIfEEEE10hipError_tPvRmT2_T3_mT4_P12ihipStream_tbEUlT_E_NS1_11comp_targetILNS1_3genE5ELNS1_11target_archE942ELNS1_3gpuE9ELNS1_3repE0EEENS1_30default_config_static_selectorELNS0_4arch9wavefront6targetE1EEEvT1_,@function
_ZN7rocprim17ROCPRIM_400000_NS6detail17trampoline_kernelINS0_14default_configENS1_35adjacent_difference_config_selectorILb1EfEEZNS1_24adjacent_difference_implIS3_Lb1ELb0EPKfPfN6thrust23THRUST_200600_302600_NS4plusIfEEEE10hipError_tPvRmT2_T3_mT4_P12ihipStream_tbEUlT_E_NS1_11comp_targetILNS1_3genE5ELNS1_11target_archE942ELNS1_3gpuE9ELNS1_3repE0EEENS1_30default_config_static_selectorELNS0_4arch9wavefront6targetE1EEEvT1_: ; @_ZN7rocprim17ROCPRIM_400000_NS6detail17trampoline_kernelINS0_14default_configENS1_35adjacent_difference_config_selectorILb1EfEEZNS1_24adjacent_difference_implIS3_Lb1ELb0EPKfPfN6thrust23THRUST_200600_302600_NS4plusIfEEEE10hipError_tPvRmT2_T3_mT4_P12ihipStream_tbEUlT_E_NS1_11comp_targetILNS1_3genE5ELNS1_11target_archE942ELNS1_3gpuE9ELNS1_3repE0EEENS1_30default_config_static_selectorELNS0_4arch9wavefront6targetE1EEEvT1_
; %bb.0:
	.section	.rodata,"a",@progbits
	.p2align	6, 0x0
	.amdhsa_kernel _ZN7rocprim17ROCPRIM_400000_NS6detail17trampoline_kernelINS0_14default_configENS1_35adjacent_difference_config_selectorILb1EfEEZNS1_24adjacent_difference_implIS3_Lb1ELb0EPKfPfN6thrust23THRUST_200600_302600_NS4plusIfEEEE10hipError_tPvRmT2_T3_mT4_P12ihipStream_tbEUlT_E_NS1_11comp_targetILNS1_3genE5ELNS1_11target_archE942ELNS1_3gpuE9ELNS1_3repE0EEENS1_30default_config_static_selectorELNS0_4arch9wavefront6targetE1EEEvT1_
		.amdhsa_group_segment_fixed_size 0
		.amdhsa_private_segment_fixed_size 0
		.amdhsa_kernarg_size 56
		.amdhsa_user_sgpr_count 6
		.amdhsa_user_sgpr_private_segment_buffer 1
		.amdhsa_user_sgpr_dispatch_ptr 0
		.amdhsa_user_sgpr_queue_ptr 0
		.amdhsa_user_sgpr_kernarg_segment_ptr 1
		.amdhsa_user_sgpr_dispatch_id 0
		.amdhsa_user_sgpr_flat_scratch_init 0
		.amdhsa_user_sgpr_private_segment_size 0
		.amdhsa_uses_dynamic_stack 0
		.amdhsa_system_sgpr_private_segment_wavefront_offset 0
		.amdhsa_system_sgpr_workgroup_id_x 1
		.amdhsa_system_sgpr_workgroup_id_y 0
		.amdhsa_system_sgpr_workgroup_id_z 0
		.amdhsa_system_sgpr_workgroup_info 0
		.amdhsa_system_vgpr_workitem_id 0
		.amdhsa_next_free_vgpr 1
		.amdhsa_next_free_sgpr 0
		.amdhsa_reserve_vcc 0
		.amdhsa_reserve_flat_scratch 0
		.amdhsa_float_round_mode_32 0
		.amdhsa_float_round_mode_16_64 0
		.amdhsa_float_denorm_mode_32 3
		.amdhsa_float_denorm_mode_16_64 3
		.amdhsa_dx10_clamp 1
		.amdhsa_ieee_mode 1
		.amdhsa_fp16_overflow 0
		.amdhsa_exception_fp_ieee_invalid_op 0
		.amdhsa_exception_fp_denorm_src 0
		.amdhsa_exception_fp_ieee_div_zero 0
		.amdhsa_exception_fp_ieee_overflow 0
		.amdhsa_exception_fp_ieee_underflow 0
		.amdhsa_exception_fp_ieee_inexact 0
		.amdhsa_exception_int_div_zero 0
	.end_amdhsa_kernel
	.section	.text._ZN7rocprim17ROCPRIM_400000_NS6detail17trampoline_kernelINS0_14default_configENS1_35adjacent_difference_config_selectorILb1EfEEZNS1_24adjacent_difference_implIS3_Lb1ELb0EPKfPfN6thrust23THRUST_200600_302600_NS4plusIfEEEE10hipError_tPvRmT2_T3_mT4_P12ihipStream_tbEUlT_E_NS1_11comp_targetILNS1_3genE5ELNS1_11target_archE942ELNS1_3gpuE9ELNS1_3repE0EEENS1_30default_config_static_selectorELNS0_4arch9wavefront6targetE1EEEvT1_,"axG",@progbits,_ZN7rocprim17ROCPRIM_400000_NS6detail17trampoline_kernelINS0_14default_configENS1_35adjacent_difference_config_selectorILb1EfEEZNS1_24adjacent_difference_implIS3_Lb1ELb0EPKfPfN6thrust23THRUST_200600_302600_NS4plusIfEEEE10hipError_tPvRmT2_T3_mT4_P12ihipStream_tbEUlT_E_NS1_11comp_targetILNS1_3genE5ELNS1_11target_archE942ELNS1_3gpuE9ELNS1_3repE0EEENS1_30default_config_static_selectorELNS0_4arch9wavefront6targetE1EEEvT1_,comdat
.Lfunc_end617:
	.size	_ZN7rocprim17ROCPRIM_400000_NS6detail17trampoline_kernelINS0_14default_configENS1_35adjacent_difference_config_selectorILb1EfEEZNS1_24adjacent_difference_implIS3_Lb1ELb0EPKfPfN6thrust23THRUST_200600_302600_NS4plusIfEEEE10hipError_tPvRmT2_T3_mT4_P12ihipStream_tbEUlT_E_NS1_11comp_targetILNS1_3genE5ELNS1_11target_archE942ELNS1_3gpuE9ELNS1_3repE0EEENS1_30default_config_static_selectorELNS0_4arch9wavefront6targetE1EEEvT1_, .Lfunc_end617-_ZN7rocprim17ROCPRIM_400000_NS6detail17trampoline_kernelINS0_14default_configENS1_35adjacent_difference_config_selectorILb1EfEEZNS1_24adjacent_difference_implIS3_Lb1ELb0EPKfPfN6thrust23THRUST_200600_302600_NS4plusIfEEEE10hipError_tPvRmT2_T3_mT4_P12ihipStream_tbEUlT_E_NS1_11comp_targetILNS1_3genE5ELNS1_11target_archE942ELNS1_3gpuE9ELNS1_3repE0EEENS1_30default_config_static_selectorELNS0_4arch9wavefront6targetE1EEEvT1_
                                        ; -- End function
	.set _ZN7rocprim17ROCPRIM_400000_NS6detail17trampoline_kernelINS0_14default_configENS1_35adjacent_difference_config_selectorILb1EfEEZNS1_24adjacent_difference_implIS3_Lb1ELb0EPKfPfN6thrust23THRUST_200600_302600_NS4plusIfEEEE10hipError_tPvRmT2_T3_mT4_P12ihipStream_tbEUlT_E_NS1_11comp_targetILNS1_3genE5ELNS1_11target_archE942ELNS1_3gpuE9ELNS1_3repE0EEENS1_30default_config_static_selectorELNS0_4arch9wavefront6targetE1EEEvT1_.num_vgpr, 0
	.set _ZN7rocprim17ROCPRIM_400000_NS6detail17trampoline_kernelINS0_14default_configENS1_35adjacent_difference_config_selectorILb1EfEEZNS1_24adjacent_difference_implIS3_Lb1ELb0EPKfPfN6thrust23THRUST_200600_302600_NS4plusIfEEEE10hipError_tPvRmT2_T3_mT4_P12ihipStream_tbEUlT_E_NS1_11comp_targetILNS1_3genE5ELNS1_11target_archE942ELNS1_3gpuE9ELNS1_3repE0EEENS1_30default_config_static_selectorELNS0_4arch9wavefront6targetE1EEEvT1_.num_agpr, 0
	.set _ZN7rocprim17ROCPRIM_400000_NS6detail17trampoline_kernelINS0_14default_configENS1_35adjacent_difference_config_selectorILb1EfEEZNS1_24adjacent_difference_implIS3_Lb1ELb0EPKfPfN6thrust23THRUST_200600_302600_NS4plusIfEEEE10hipError_tPvRmT2_T3_mT4_P12ihipStream_tbEUlT_E_NS1_11comp_targetILNS1_3genE5ELNS1_11target_archE942ELNS1_3gpuE9ELNS1_3repE0EEENS1_30default_config_static_selectorELNS0_4arch9wavefront6targetE1EEEvT1_.numbered_sgpr, 0
	.set _ZN7rocprim17ROCPRIM_400000_NS6detail17trampoline_kernelINS0_14default_configENS1_35adjacent_difference_config_selectorILb1EfEEZNS1_24adjacent_difference_implIS3_Lb1ELb0EPKfPfN6thrust23THRUST_200600_302600_NS4plusIfEEEE10hipError_tPvRmT2_T3_mT4_P12ihipStream_tbEUlT_E_NS1_11comp_targetILNS1_3genE5ELNS1_11target_archE942ELNS1_3gpuE9ELNS1_3repE0EEENS1_30default_config_static_selectorELNS0_4arch9wavefront6targetE1EEEvT1_.num_named_barrier, 0
	.set _ZN7rocprim17ROCPRIM_400000_NS6detail17trampoline_kernelINS0_14default_configENS1_35adjacent_difference_config_selectorILb1EfEEZNS1_24adjacent_difference_implIS3_Lb1ELb0EPKfPfN6thrust23THRUST_200600_302600_NS4plusIfEEEE10hipError_tPvRmT2_T3_mT4_P12ihipStream_tbEUlT_E_NS1_11comp_targetILNS1_3genE5ELNS1_11target_archE942ELNS1_3gpuE9ELNS1_3repE0EEENS1_30default_config_static_selectorELNS0_4arch9wavefront6targetE1EEEvT1_.private_seg_size, 0
	.set _ZN7rocprim17ROCPRIM_400000_NS6detail17trampoline_kernelINS0_14default_configENS1_35adjacent_difference_config_selectorILb1EfEEZNS1_24adjacent_difference_implIS3_Lb1ELb0EPKfPfN6thrust23THRUST_200600_302600_NS4plusIfEEEE10hipError_tPvRmT2_T3_mT4_P12ihipStream_tbEUlT_E_NS1_11comp_targetILNS1_3genE5ELNS1_11target_archE942ELNS1_3gpuE9ELNS1_3repE0EEENS1_30default_config_static_selectorELNS0_4arch9wavefront6targetE1EEEvT1_.uses_vcc, 0
	.set _ZN7rocprim17ROCPRIM_400000_NS6detail17trampoline_kernelINS0_14default_configENS1_35adjacent_difference_config_selectorILb1EfEEZNS1_24adjacent_difference_implIS3_Lb1ELb0EPKfPfN6thrust23THRUST_200600_302600_NS4plusIfEEEE10hipError_tPvRmT2_T3_mT4_P12ihipStream_tbEUlT_E_NS1_11comp_targetILNS1_3genE5ELNS1_11target_archE942ELNS1_3gpuE9ELNS1_3repE0EEENS1_30default_config_static_selectorELNS0_4arch9wavefront6targetE1EEEvT1_.uses_flat_scratch, 0
	.set _ZN7rocprim17ROCPRIM_400000_NS6detail17trampoline_kernelINS0_14default_configENS1_35adjacent_difference_config_selectorILb1EfEEZNS1_24adjacent_difference_implIS3_Lb1ELb0EPKfPfN6thrust23THRUST_200600_302600_NS4plusIfEEEE10hipError_tPvRmT2_T3_mT4_P12ihipStream_tbEUlT_E_NS1_11comp_targetILNS1_3genE5ELNS1_11target_archE942ELNS1_3gpuE9ELNS1_3repE0EEENS1_30default_config_static_selectorELNS0_4arch9wavefront6targetE1EEEvT1_.has_dyn_sized_stack, 0
	.set _ZN7rocprim17ROCPRIM_400000_NS6detail17trampoline_kernelINS0_14default_configENS1_35adjacent_difference_config_selectorILb1EfEEZNS1_24adjacent_difference_implIS3_Lb1ELb0EPKfPfN6thrust23THRUST_200600_302600_NS4plusIfEEEE10hipError_tPvRmT2_T3_mT4_P12ihipStream_tbEUlT_E_NS1_11comp_targetILNS1_3genE5ELNS1_11target_archE942ELNS1_3gpuE9ELNS1_3repE0EEENS1_30default_config_static_selectorELNS0_4arch9wavefront6targetE1EEEvT1_.has_recursion, 0
	.set _ZN7rocprim17ROCPRIM_400000_NS6detail17trampoline_kernelINS0_14default_configENS1_35adjacent_difference_config_selectorILb1EfEEZNS1_24adjacent_difference_implIS3_Lb1ELb0EPKfPfN6thrust23THRUST_200600_302600_NS4plusIfEEEE10hipError_tPvRmT2_T3_mT4_P12ihipStream_tbEUlT_E_NS1_11comp_targetILNS1_3genE5ELNS1_11target_archE942ELNS1_3gpuE9ELNS1_3repE0EEENS1_30default_config_static_selectorELNS0_4arch9wavefront6targetE1EEEvT1_.has_indirect_call, 0
	.section	.AMDGPU.csdata,"",@progbits
; Kernel info:
; codeLenInByte = 0
; TotalNumSgprs: 4
; NumVgprs: 0
; ScratchSize: 0
; MemoryBound: 0
; FloatMode: 240
; IeeeMode: 1
; LDSByteSize: 0 bytes/workgroup (compile time only)
; SGPRBlocks: 0
; VGPRBlocks: 0
; NumSGPRsForWavesPerEU: 4
; NumVGPRsForWavesPerEU: 1
; Occupancy: 10
; WaveLimiterHint : 0
; COMPUTE_PGM_RSRC2:SCRATCH_EN: 0
; COMPUTE_PGM_RSRC2:USER_SGPR: 6
; COMPUTE_PGM_RSRC2:TRAP_HANDLER: 0
; COMPUTE_PGM_RSRC2:TGID_X_EN: 1
; COMPUTE_PGM_RSRC2:TGID_Y_EN: 0
; COMPUTE_PGM_RSRC2:TGID_Z_EN: 0
; COMPUTE_PGM_RSRC2:TIDIG_COMP_CNT: 0
	.section	.text._ZN7rocprim17ROCPRIM_400000_NS6detail17trampoline_kernelINS0_14default_configENS1_35adjacent_difference_config_selectorILb1EfEEZNS1_24adjacent_difference_implIS3_Lb1ELb0EPKfPfN6thrust23THRUST_200600_302600_NS4plusIfEEEE10hipError_tPvRmT2_T3_mT4_P12ihipStream_tbEUlT_E_NS1_11comp_targetILNS1_3genE4ELNS1_11target_archE910ELNS1_3gpuE8ELNS1_3repE0EEENS1_30default_config_static_selectorELNS0_4arch9wavefront6targetE1EEEvT1_,"axG",@progbits,_ZN7rocprim17ROCPRIM_400000_NS6detail17trampoline_kernelINS0_14default_configENS1_35adjacent_difference_config_selectorILb1EfEEZNS1_24adjacent_difference_implIS3_Lb1ELb0EPKfPfN6thrust23THRUST_200600_302600_NS4plusIfEEEE10hipError_tPvRmT2_T3_mT4_P12ihipStream_tbEUlT_E_NS1_11comp_targetILNS1_3genE4ELNS1_11target_archE910ELNS1_3gpuE8ELNS1_3repE0EEENS1_30default_config_static_selectorELNS0_4arch9wavefront6targetE1EEEvT1_,comdat
	.protected	_ZN7rocprim17ROCPRIM_400000_NS6detail17trampoline_kernelINS0_14default_configENS1_35adjacent_difference_config_selectorILb1EfEEZNS1_24adjacent_difference_implIS3_Lb1ELb0EPKfPfN6thrust23THRUST_200600_302600_NS4plusIfEEEE10hipError_tPvRmT2_T3_mT4_P12ihipStream_tbEUlT_E_NS1_11comp_targetILNS1_3genE4ELNS1_11target_archE910ELNS1_3gpuE8ELNS1_3repE0EEENS1_30default_config_static_selectorELNS0_4arch9wavefront6targetE1EEEvT1_ ; -- Begin function _ZN7rocprim17ROCPRIM_400000_NS6detail17trampoline_kernelINS0_14default_configENS1_35adjacent_difference_config_selectorILb1EfEEZNS1_24adjacent_difference_implIS3_Lb1ELb0EPKfPfN6thrust23THRUST_200600_302600_NS4plusIfEEEE10hipError_tPvRmT2_T3_mT4_P12ihipStream_tbEUlT_E_NS1_11comp_targetILNS1_3genE4ELNS1_11target_archE910ELNS1_3gpuE8ELNS1_3repE0EEENS1_30default_config_static_selectorELNS0_4arch9wavefront6targetE1EEEvT1_
	.globl	_ZN7rocprim17ROCPRIM_400000_NS6detail17trampoline_kernelINS0_14default_configENS1_35adjacent_difference_config_selectorILb1EfEEZNS1_24adjacent_difference_implIS3_Lb1ELb0EPKfPfN6thrust23THRUST_200600_302600_NS4plusIfEEEE10hipError_tPvRmT2_T3_mT4_P12ihipStream_tbEUlT_E_NS1_11comp_targetILNS1_3genE4ELNS1_11target_archE910ELNS1_3gpuE8ELNS1_3repE0EEENS1_30default_config_static_selectorELNS0_4arch9wavefront6targetE1EEEvT1_
	.p2align	8
	.type	_ZN7rocprim17ROCPRIM_400000_NS6detail17trampoline_kernelINS0_14default_configENS1_35adjacent_difference_config_selectorILb1EfEEZNS1_24adjacent_difference_implIS3_Lb1ELb0EPKfPfN6thrust23THRUST_200600_302600_NS4plusIfEEEE10hipError_tPvRmT2_T3_mT4_P12ihipStream_tbEUlT_E_NS1_11comp_targetILNS1_3genE4ELNS1_11target_archE910ELNS1_3gpuE8ELNS1_3repE0EEENS1_30default_config_static_selectorELNS0_4arch9wavefront6targetE1EEEvT1_,@function
_ZN7rocprim17ROCPRIM_400000_NS6detail17trampoline_kernelINS0_14default_configENS1_35adjacent_difference_config_selectorILb1EfEEZNS1_24adjacent_difference_implIS3_Lb1ELb0EPKfPfN6thrust23THRUST_200600_302600_NS4plusIfEEEE10hipError_tPvRmT2_T3_mT4_P12ihipStream_tbEUlT_E_NS1_11comp_targetILNS1_3genE4ELNS1_11target_archE910ELNS1_3gpuE8ELNS1_3repE0EEENS1_30default_config_static_selectorELNS0_4arch9wavefront6targetE1EEEvT1_: ; @_ZN7rocprim17ROCPRIM_400000_NS6detail17trampoline_kernelINS0_14default_configENS1_35adjacent_difference_config_selectorILb1EfEEZNS1_24adjacent_difference_implIS3_Lb1ELb0EPKfPfN6thrust23THRUST_200600_302600_NS4plusIfEEEE10hipError_tPvRmT2_T3_mT4_P12ihipStream_tbEUlT_E_NS1_11comp_targetILNS1_3genE4ELNS1_11target_archE910ELNS1_3gpuE8ELNS1_3repE0EEENS1_30default_config_static_selectorELNS0_4arch9wavefront6targetE1EEEvT1_
; %bb.0:
	.section	.rodata,"a",@progbits
	.p2align	6, 0x0
	.amdhsa_kernel _ZN7rocprim17ROCPRIM_400000_NS6detail17trampoline_kernelINS0_14default_configENS1_35adjacent_difference_config_selectorILb1EfEEZNS1_24adjacent_difference_implIS3_Lb1ELb0EPKfPfN6thrust23THRUST_200600_302600_NS4plusIfEEEE10hipError_tPvRmT2_T3_mT4_P12ihipStream_tbEUlT_E_NS1_11comp_targetILNS1_3genE4ELNS1_11target_archE910ELNS1_3gpuE8ELNS1_3repE0EEENS1_30default_config_static_selectorELNS0_4arch9wavefront6targetE1EEEvT1_
		.amdhsa_group_segment_fixed_size 0
		.amdhsa_private_segment_fixed_size 0
		.amdhsa_kernarg_size 56
		.amdhsa_user_sgpr_count 6
		.amdhsa_user_sgpr_private_segment_buffer 1
		.amdhsa_user_sgpr_dispatch_ptr 0
		.amdhsa_user_sgpr_queue_ptr 0
		.amdhsa_user_sgpr_kernarg_segment_ptr 1
		.amdhsa_user_sgpr_dispatch_id 0
		.amdhsa_user_sgpr_flat_scratch_init 0
		.amdhsa_user_sgpr_private_segment_size 0
		.amdhsa_uses_dynamic_stack 0
		.amdhsa_system_sgpr_private_segment_wavefront_offset 0
		.amdhsa_system_sgpr_workgroup_id_x 1
		.amdhsa_system_sgpr_workgroup_id_y 0
		.amdhsa_system_sgpr_workgroup_id_z 0
		.amdhsa_system_sgpr_workgroup_info 0
		.amdhsa_system_vgpr_workitem_id 0
		.amdhsa_next_free_vgpr 1
		.amdhsa_next_free_sgpr 0
		.amdhsa_reserve_vcc 0
		.amdhsa_reserve_flat_scratch 0
		.amdhsa_float_round_mode_32 0
		.amdhsa_float_round_mode_16_64 0
		.amdhsa_float_denorm_mode_32 3
		.amdhsa_float_denorm_mode_16_64 3
		.amdhsa_dx10_clamp 1
		.amdhsa_ieee_mode 1
		.amdhsa_fp16_overflow 0
		.amdhsa_exception_fp_ieee_invalid_op 0
		.amdhsa_exception_fp_denorm_src 0
		.amdhsa_exception_fp_ieee_div_zero 0
		.amdhsa_exception_fp_ieee_overflow 0
		.amdhsa_exception_fp_ieee_underflow 0
		.amdhsa_exception_fp_ieee_inexact 0
		.amdhsa_exception_int_div_zero 0
	.end_amdhsa_kernel
	.section	.text._ZN7rocprim17ROCPRIM_400000_NS6detail17trampoline_kernelINS0_14default_configENS1_35adjacent_difference_config_selectorILb1EfEEZNS1_24adjacent_difference_implIS3_Lb1ELb0EPKfPfN6thrust23THRUST_200600_302600_NS4plusIfEEEE10hipError_tPvRmT2_T3_mT4_P12ihipStream_tbEUlT_E_NS1_11comp_targetILNS1_3genE4ELNS1_11target_archE910ELNS1_3gpuE8ELNS1_3repE0EEENS1_30default_config_static_selectorELNS0_4arch9wavefront6targetE1EEEvT1_,"axG",@progbits,_ZN7rocprim17ROCPRIM_400000_NS6detail17trampoline_kernelINS0_14default_configENS1_35adjacent_difference_config_selectorILb1EfEEZNS1_24adjacent_difference_implIS3_Lb1ELb0EPKfPfN6thrust23THRUST_200600_302600_NS4plusIfEEEE10hipError_tPvRmT2_T3_mT4_P12ihipStream_tbEUlT_E_NS1_11comp_targetILNS1_3genE4ELNS1_11target_archE910ELNS1_3gpuE8ELNS1_3repE0EEENS1_30default_config_static_selectorELNS0_4arch9wavefront6targetE1EEEvT1_,comdat
.Lfunc_end618:
	.size	_ZN7rocprim17ROCPRIM_400000_NS6detail17trampoline_kernelINS0_14default_configENS1_35adjacent_difference_config_selectorILb1EfEEZNS1_24adjacent_difference_implIS3_Lb1ELb0EPKfPfN6thrust23THRUST_200600_302600_NS4plusIfEEEE10hipError_tPvRmT2_T3_mT4_P12ihipStream_tbEUlT_E_NS1_11comp_targetILNS1_3genE4ELNS1_11target_archE910ELNS1_3gpuE8ELNS1_3repE0EEENS1_30default_config_static_selectorELNS0_4arch9wavefront6targetE1EEEvT1_, .Lfunc_end618-_ZN7rocprim17ROCPRIM_400000_NS6detail17trampoline_kernelINS0_14default_configENS1_35adjacent_difference_config_selectorILb1EfEEZNS1_24adjacent_difference_implIS3_Lb1ELb0EPKfPfN6thrust23THRUST_200600_302600_NS4plusIfEEEE10hipError_tPvRmT2_T3_mT4_P12ihipStream_tbEUlT_E_NS1_11comp_targetILNS1_3genE4ELNS1_11target_archE910ELNS1_3gpuE8ELNS1_3repE0EEENS1_30default_config_static_selectorELNS0_4arch9wavefront6targetE1EEEvT1_
                                        ; -- End function
	.set _ZN7rocprim17ROCPRIM_400000_NS6detail17trampoline_kernelINS0_14default_configENS1_35adjacent_difference_config_selectorILb1EfEEZNS1_24adjacent_difference_implIS3_Lb1ELb0EPKfPfN6thrust23THRUST_200600_302600_NS4plusIfEEEE10hipError_tPvRmT2_T3_mT4_P12ihipStream_tbEUlT_E_NS1_11comp_targetILNS1_3genE4ELNS1_11target_archE910ELNS1_3gpuE8ELNS1_3repE0EEENS1_30default_config_static_selectorELNS0_4arch9wavefront6targetE1EEEvT1_.num_vgpr, 0
	.set _ZN7rocprim17ROCPRIM_400000_NS6detail17trampoline_kernelINS0_14default_configENS1_35adjacent_difference_config_selectorILb1EfEEZNS1_24adjacent_difference_implIS3_Lb1ELb0EPKfPfN6thrust23THRUST_200600_302600_NS4plusIfEEEE10hipError_tPvRmT2_T3_mT4_P12ihipStream_tbEUlT_E_NS1_11comp_targetILNS1_3genE4ELNS1_11target_archE910ELNS1_3gpuE8ELNS1_3repE0EEENS1_30default_config_static_selectorELNS0_4arch9wavefront6targetE1EEEvT1_.num_agpr, 0
	.set _ZN7rocprim17ROCPRIM_400000_NS6detail17trampoline_kernelINS0_14default_configENS1_35adjacent_difference_config_selectorILb1EfEEZNS1_24adjacent_difference_implIS3_Lb1ELb0EPKfPfN6thrust23THRUST_200600_302600_NS4plusIfEEEE10hipError_tPvRmT2_T3_mT4_P12ihipStream_tbEUlT_E_NS1_11comp_targetILNS1_3genE4ELNS1_11target_archE910ELNS1_3gpuE8ELNS1_3repE0EEENS1_30default_config_static_selectorELNS0_4arch9wavefront6targetE1EEEvT1_.numbered_sgpr, 0
	.set _ZN7rocprim17ROCPRIM_400000_NS6detail17trampoline_kernelINS0_14default_configENS1_35adjacent_difference_config_selectorILb1EfEEZNS1_24adjacent_difference_implIS3_Lb1ELb0EPKfPfN6thrust23THRUST_200600_302600_NS4plusIfEEEE10hipError_tPvRmT2_T3_mT4_P12ihipStream_tbEUlT_E_NS1_11comp_targetILNS1_3genE4ELNS1_11target_archE910ELNS1_3gpuE8ELNS1_3repE0EEENS1_30default_config_static_selectorELNS0_4arch9wavefront6targetE1EEEvT1_.num_named_barrier, 0
	.set _ZN7rocprim17ROCPRIM_400000_NS6detail17trampoline_kernelINS0_14default_configENS1_35adjacent_difference_config_selectorILb1EfEEZNS1_24adjacent_difference_implIS3_Lb1ELb0EPKfPfN6thrust23THRUST_200600_302600_NS4plusIfEEEE10hipError_tPvRmT2_T3_mT4_P12ihipStream_tbEUlT_E_NS1_11comp_targetILNS1_3genE4ELNS1_11target_archE910ELNS1_3gpuE8ELNS1_3repE0EEENS1_30default_config_static_selectorELNS0_4arch9wavefront6targetE1EEEvT1_.private_seg_size, 0
	.set _ZN7rocprim17ROCPRIM_400000_NS6detail17trampoline_kernelINS0_14default_configENS1_35adjacent_difference_config_selectorILb1EfEEZNS1_24adjacent_difference_implIS3_Lb1ELb0EPKfPfN6thrust23THRUST_200600_302600_NS4plusIfEEEE10hipError_tPvRmT2_T3_mT4_P12ihipStream_tbEUlT_E_NS1_11comp_targetILNS1_3genE4ELNS1_11target_archE910ELNS1_3gpuE8ELNS1_3repE0EEENS1_30default_config_static_selectorELNS0_4arch9wavefront6targetE1EEEvT1_.uses_vcc, 0
	.set _ZN7rocprim17ROCPRIM_400000_NS6detail17trampoline_kernelINS0_14default_configENS1_35adjacent_difference_config_selectorILb1EfEEZNS1_24adjacent_difference_implIS3_Lb1ELb0EPKfPfN6thrust23THRUST_200600_302600_NS4plusIfEEEE10hipError_tPvRmT2_T3_mT4_P12ihipStream_tbEUlT_E_NS1_11comp_targetILNS1_3genE4ELNS1_11target_archE910ELNS1_3gpuE8ELNS1_3repE0EEENS1_30default_config_static_selectorELNS0_4arch9wavefront6targetE1EEEvT1_.uses_flat_scratch, 0
	.set _ZN7rocprim17ROCPRIM_400000_NS6detail17trampoline_kernelINS0_14default_configENS1_35adjacent_difference_config_selectorILb1EfEEZNS1_24adjacent_difference_implIS3_Lb1ELb0EPKfPfN6thrust23THRUST_200600_302600_NS4plusIfEEEE10hipError_tPvRmT2_T3_mT4_P12ihipStream_tbEUlT_E_NS1_11comp_targetILNS1_3genE4ELNS1_11target_archE910ELNS1_3gpuE8ELNS1_3repE0EEENS1_30default_config_static_selectorELNS0_4arch9wavefront6targetE1EEEvT1_.has_dyn_sized_stack, 0
	.set _ZN7rocprim17ROCPRIM_400000_NS6detail17trampoline_kernelINS0_14default_configENS1_35adjacent_difference_config_selectorILb1EfEEZNS1_24adjacent_difference_implIS3_Lb1ELb0EPKfPfN6thrust23THRUST_200600_302600_NS4plusIfEEEE10hipError_tPvRmT2_T3_mT4_P12ihipStream_tbEUlT_E_NS1_11comp_targetILNS1_3genE4ELNS1_11target_archE910ELNS1_3gpuE8ELNS1_3repE0EEENS1_30default_config_static_selectorELNS0_4arch9wavefront6targetE1EEEvT1_.has_recursion, 0
	.set _ZN7rocprim17ROCPRIM_400000_NS6detail17trampoline_kernelINS0_14default_configENS1_35adjacent_difference_config_selectorILb1EfEEZNS1_24adjacent_difference_implIS3_Lb1ELb0EPKfPfN6thrust23THRUST_200600_302600_NS4plusIfEEEE10hipError_tPvRmT2_T3_mT4_P12ihipStream_tbEUlT_E_NS1_11comp_targetILNS1_3genE4ELNS1_11target_archE910ELNS1_3gpuE8ELNS1_3repE0EEENS1_30default_config_static_selectorELNS0_4arch9wavefront6targetE1EEEvT1_.has_indirect_call, 0
	.section	.AMDGPU.csdata,"",@progbits
; Kernel info:
; codeLenInByte = 0
; TotalNumSgprs: 4
; NumVgprs: 0
; ScratchSize: 0
; MemoryBound: 0
; FloatMode: 240
; IeeeMode: 1
; LDSByteSize: 0 bytes/workgroup (compile time only)
; SGPRBlocks: 0
; VGPRBlocks: 0
; NumSGPRsForWavesPerEU: 4
; NumVGPRsForWavesPerEU: 1
; Occupancy: 10
; WaveLimiterHint : 0
; COMPUTE_PGM_RSRC2:SCRATCH_EN: 0
; COMPUTE_PGM_RSRC2:USER_SGPR: 6
; COMPUTE_PGM_RSRC2:TRAP_HANDLER: 0
; COMPUTE_PGM_RSRC2:TGID_X_EN: 1
; COMPUTE_PGM_RSRC2:TGID_Y_EN: 0
; COMPUTE_PGM_RSRC2:TGID_Z_EN: 0
; COMPUTE_PGM_RSRC2:TIDIG_COMP_CNT: 0
	.section	.text._ZN7rocprim17ROCPRIM_400000_NS6detail17trampoline_kernelINS0_14default_configENS1_35adjacent_difference_config_selectorILb1EfEEZNS1_24adjacent_difference_implIS3_Lb1ELb0EPKfPfN6thrust23THRUST_200600_302600_NS4plusIfEEEE10hipError_tPvRmT2_T3_mT4_P12ihipStream_tbEUlT_E_NS1_11comp_targetILNS1_3genE3ELNS1_11target_archE908ELNS1_3gpuE7ELNS1_3repE0EEENS1_30default_config_static_selectorELNS0_4arch9wavefront6targetE1EEEvT1_,"axG",@progbits,_ZN7rocprim17ROCPRIM_400000_NS6detail17trampoline_kernelINS0_14default_configENS1_35adjacent_difference_config_selectorILb1EfEEZNS1_24adjacent_difference_implIS3_Lb1ELb0EPKfPfN6thrust23THRUST_200600_302600_NS4plusIfEEEE10hipError_tPvRmT2_T3_mT4_P12ihipStream_tbEUlT_E_NS1_11comp_targetILNS1_3genE3ELNS1_11target_archE908ELNS1_3gpuE7ELNS1_3repE0EEENS1_30default_config_static_selectorELNS0_4arch9wavefront6targetE1EEEvT1_,comdat
	.protected	_ZN7rocprim17ROCPRIM_400000_NS6detail17trampoline_kernelINS0_14default_configENS1_35adjacent_difference_config_selectorILb1EfEEZNS1_24adjacent_difference_implIS3_Lb1ELb0EPKfPfN6thrust23THRUST_200600_302600_NS4plusIfEEEE10hipError_tPvRmT2_T3_mT4_P12ihipStream_tbEUlT_E_NS1_11comp_targetILNS1_3genE3ELNS1_11target_archE908ELNS1_3gpuE7ELNS1_3repE0EEENS1_30default_config_static_selectorELNS0_4arch9wavefront6targetE1EEEvT1_ ; -- Begin function _ZN7rocprim17ROCPRIM_400000_NS6detail17trampoline_kernelINS0_14default_configENS1_35adjacent_difference_config_selectorILb1EfEEZNS1_24adjacent_difference_implIS3_Lb1ELb0EPKfPfN6thrust23THRUST_200600_302600_NS4plusIfEEEE10hipError_tPvRmT2_T3_mT4_P12ihipStream_tbEUlT_E_NS1_11comp_targetILNS1_3genE3ELNS1_11target_archE908ELNS1_3gpuE7ELNS1_3repE0EEENS1_30default_config_static_selectorELNS0_4arch9wavefront6targetE1EEEvT1_
	.globl	_ZN7rocprim17ROCPRIM_400000_NS6detail17trampoline_kernelINS0_14default_configENS1_35adjacent_difference_config_selectorILb1EfEEZNS1_24adjacent_difference_implIS3_Lb1ELb0EPKfPfN6thrust23THRUST_200600_302600_NS4plusIfEEEE10hipError_tPvRmT2_T3_mT4_P12ihipStream_tbEUlT_E_NS1_11comp_targetILNS1_3genE3ELNS1_11target_archE908ELNS1_3gpuE7ELNS1_3repE0EEENS1_30default_config_static_selectorELNS0_4arch9wavefront6targetE1EEEvT1_
	.p2align	8
	.type	_ZN7rocprim17ROCPRIM_400000_NS6detail17trampoline_kernelINS0_14default_configENS1_35adjacent_difference_config_selectorILb1EfEEZNS1_24adjacent_difference_implIS3_Lb1ELb0EPKfPfN6thrust23THRUST_200600_302600_NS4plusIfEEEE10hipError_tPvRmT2_T3_mT4_P12ihipStream_tbEUlT_E_NS1_11comp_targetILNS1_3genE3ELNS1_11target_archE908ELNS1_3gpuE7ELNS1_3repE0EEENS1_30default_config_static_selectorELNS0_4arch9wavefront6targetE1EEEvT1_,@function
_ZN7rocprim17ROCPRIM_400000_NS6detail17trampoline_kernelINS0_14default_configENS1_35adjacent_difference_config_selectorILb1EfEEZNS1_24adjacent_difference_implIS3_Lb1ELb0EPKfPfN6thrust23THRUST_200600_302600_NS4plusIfEEEE10hipError_tPvRmT2_T3_mT4_P12ihipStream_tbEUlT_E_NS1_11comp_targetILNS1_3genE3ELNS1_11target_archE908ELNS1_3gpuE7ELNS1_3repE0EEENS1_30default_config_static_selectorELNS0_4arch9wavefront6targetE1EEEvT1_: ; @_ZN7rocprim17ROCPRIM_400000_NS6detail17trampoline_kernelINS0_14default_configENS1_35adjacent_difference_config_selectorILb1EfEEZNS1_24adjacent_difference_implIS3_Lb1ELb0EPKfPfN6thrust23THRUST_200600_302600_NS4plusIfEEEE10hipError_tPvRmT2_T3_mT4_P12ihipStream_tbEUlT_E_NS1_11comp_targetILNS1_3genE3ELNS1_11target_archE908ELNS1_3gpuE7ELNS1_3repE0EEENS1_30default_config_static_selectorELNS0_4arch9wavefront6targetE1EEEvT1_
; %bb.0:
	.section	.rodata,"a",@progbits
	.p2align	6, 0x0
	.amdhsa_kernel _ZN7rocprim17ROCPRIM_400000_NS6detail17trampoline_kernelINS0_14default_configENS1_35adjacent_difference_config_selectorILb1EfEEZNS1_24adjacent_difference_implIS3_Lb1ELb0EPKfPfN6thrust23THRUST_200600_302600_NS4plusIfEEEE10hipError_tPvRmT2_T3_mT4_P12ihipStream_tbEUlT_E_NS1_11comp_targetILNS1_3genE3ELNS1_11target_archE908ELNS1_3gpuE7ELNS1_3repE0EEENS1_30default_config_static_selectorELNS0_4arch9wavefront6targetE1EEEvT1_
		.amdhsa_group_segment_fixed_size 0
		.amdhsa_private_segment_fixed_size 0
		.amdhsa_kernarg_size 56
		.amdhsa_user_sgpr_count 6
		.amdhsa_user_sgpr_private_segment_buffer 1
		.amdhsa_user_sgpr_dispatch_ptr 0
		.amdhsa_user_sgpr_queue_ptr 0
		.amdhsa_user_sgpr_kernarg_segment_ptr 1
		.amdhsa_user_sgpr_dispatch_id 0
		.amdhsa_user_sgpr_flat_scratch_init 0
		.amdhsa_user_sgpr_private_segment_size 0
		.amdhsa_uses_dynamic_stack 0
		.amdhsa_system_sgpr_private_segment_wavefront_offset 0
		.amdhsa_system_sgpr_workgroup_id_x 1
		.amdhsa_system_sgpr_workgroup_id_y 0
		.amdhsa_system_sgpr_workgroup_id_z 0
		.amdhsa_system_sgpr_workgroup_info 0
		.amdhsa_system_vgpr_workitem_id 0
		.amdhsa_next_free_vgpr 1
		.amdhsa_next_free_sgpr 0
		.amdhsa_reserve_vcc 0
		.amdhsa_reserve_flat_scratch 0
		.amdhsa_float_round_mode_32 0
		.amdhsa_float_round_mode_16_64 0
		.amdhsa_float_denorm_mode_32 3
		.amdhsa_float_denorm_mode_16_64 3
		.amdhsa_dx10_clamp 1
		.amdhsa_ieee_mode 1
		.amdhsa_fp16_overflow 0
		.amdhsa_exception_fp_ieee_invalid_op 0
		.amdhsa_exception_fp_denorm_src 0
		.amdhsa_exception_fp_ieee_div_zero 0
		.amdhsa_exception_fp_ieee_overflow 0
		.amdhsa_exception_fp_ieee_underflow 0
		.amdhsa_exception_fp_ieee_inexact 0
		.amdhsa_exception_int_div_zero 0
	.end_amdhsa_kernel
	.section	.text._ZN7rocprim17ROCPRIM_400000_NS6detail17trampoline_kernelINS0_14default_configENS1_35adjacent_difference_config_selectorILb1EfEEZNS1_24adjacent_difference_implIS3_Lb1ELb0EPKfPfN6thrust23THRUST_200600_302600_NS4plusIfEEEE10hipError_tPvRmT2_T3_mT4_P12ihipStream_tbEUlT_E_NS1_11comp_targetILNS1_3genE3ELNS1_11target_archE908ELNS1_3gpuE7ELNS1_3repE0EEENS1_30default_config_static_selectorELNS0_4arch9wavefront6targetE1EEEvT1_,"axG",@progbits,_ZN7rocprim17ROCPRIM_400000_NS6detail17trampoline_kernelINS0_14default_configENS1_35adjacent_difference_config_selectorILb1EfEEZNS1_24adjacent_difference_implIS3_Lb1ELb0EPKfPfN6thrust23THRUST_200600_302600_NS4plusIfEEEE10hipError_tPvRmT2_T3_mT4_P12ihipStream_tbEUlT_E_NS1_11comp_targetILNS1_3genE3ELNS1_11target_archE908ELNS1_3gpuE7ELNS1_3repE0EEENS1_30default_config_static_selectorELNS0_4arch9wavefront6targetE1EEEvT1_,comdat
.Lfunc_end619:
	.size	_ZN7rocprim17ROCPRIM_400000_NS6detail17trampoline_kernelINS0_14default_configENS1_35adjacent_difference_config_selectorILb1EfEEZNS1_24adjacent_difference_implIS3_Lb1ELb0EPKfPfN6thrust23THRUST_200600_302600_NS4plusIfEEEE10hipError_tPvRmT2_T3_mT4_P12ihipStream_tbEUlT_E_NS1_11comp_targetILNS1_3genE3ELNS1_11target_archE908ELNS1_3gpuE7ELNS1_3repE0EEENS1_30default_config_static_selectorELNS0_4arch9wavefront6targetE1EEEvT1_, .Lfunc_end619-_ZN7rocprim17ROCPRIM_400000_NS6detail17trampoline_kernelINS0_14default_configENS1_35adjacent_difference_config_selectorILb1EfEEZNS1_24adjacent_difference_implIS3_Lb1ELb0EPKfPfN6thrust23THRUST_200600_302600_NS4plusIfEEEE10hipError_tPvRmT2_T3_mT4_P12ihipStream_tbEUlT_E_NS1_11comp_targetILNS1_3genE3ELNS1_11target_archE908ELNS1_3gpuE7ELNS1_3repE0EEENS1_30default_config_static_selectorELNS0_4arch9wavefront6targetE1EEEvT1_
                                        ; -- End function
	.set _ZN7rocprim17ROCPRIM_400000_NS6detail17trampoline_kernelINS0_14default_configENS1_35adjacent_difference_config_selectorILb1EfEEZNS1_24adjacent_difference_implIS3_Lb1ELb0EPKfPfN6thrust23THRUST_200600_302600_NS4plusIfEEEE10hipError_tPvRmT2_T3_mT4_P12ihipStream_tbEUlT_E_NS1_11comp_targetILNS1_3genE3ELNS1_11target_archE908ELNS1_3gpuE7ELNS1_3repE0EEENS1_30default_config_static_selectorELNS0_4arch9wavefront6targetE1EEEvT1_.num_vgpr, 0
	.set _ZN7rocprim17ROCPRIM_400000_NS6detail17trampoline_kernelINS0_14default_configENS1_35adjacent_difference_config_selectorILb1EfEEZNS1_24adjacent_difference_implIS3_Lb1ELb0EPKfPfN6thrust23THRUST_200600_302600_NS4plusIfEEEE10hipError_tPvRmT2_T3_mT4_P12ihipStream_tbEUlT_E_NS1_11comp_targetILNS1_3genE3ELNS1_11target_archE908ELNS1_3gpuE7ELNS1_3repE0EEENS1_30default_config_static_selectorELNS0_4arch9wavefront6targetE1EEEvT1_.num_agpr, 0
	.set _ZN7rocprim17ROCPRIM_400000_NS6detail17trampoline_kernelINS0_14default_configENS1_35adjacent_difference_config_selectorILb1EfEEZNS1_24adjacent_difference_implIS3_Lb1ELb0EPKfPfN6thrust23THRUST_200600_302600_NS4plusIfEEEE10hipError_tPvRmT2_T3_mT4_P12ihipStream_tbEUlT_E_NS1_11comp_targetILNS1_3genE3ELNS1_11target_archE908ELNS1_3gpuE7ELNS1_3repE0EEENS1_30default_config_static_selectorELNS0_4arch9wavefront6targetE1EEEvT1_.numbered_sgpr, 0
	.set _ZN7rocprim17ROCPRIM_400000_NS6detail17trampoline_kernelINS0_14default_configENS1_35adjacent_difference_config_selectorILb1EfEEZNS1_24adjacent_difference_implIS3_Lb1ELb0EPKfPfN6thrust23THRUST_200600_302600_NS4plusIfEEEE10hipError_tPvRmT2_T3_mT4_P12ihipStream_tbEUlT_E_NS1_11comp_targetILNS1_3genE3ELNS1_11target_archE908ELNS1_3gpuE7ELNS1_3repE0EEENS1_30default_config_static_selectorELNS0_4arch9wavefront6targetE1EEEvT1_.num_named_barrier, 0
	.set _ZN7rocprim17ROCPRIM_400000_NS6detail17trampoline_kernelINS0_14default_configENS1_35adjacent_difference_config_selectorILb1EfEEZNS1_24adjacent_difference_implIS3_Lb1ELb0EPKfPfN6thrust23THRUST_200600_302600_NS4plusIfEEEE10hipError_tPvRmT2_T3_mT4_P12ihipStream_tbEUlT_E_NS1_11comp_targetILNS1_3genE3ELNS1_11target_archE908ELNS1_3gpuE7ELNS1_3repE0EEENS1_30default_config_static_selectorELNS0_4arch9wavefront6targetE1EEEvT1_.private_seg_size, 0
	.set _ZN7rocprim17ROCPRIM_400000_NS6detail17trampoline_kernelINS0_14default_configENS1_35adjacent_difference_config_selectorILb1EfEEZNS1_24adjacent_difference_implIS3_Lb1ELb0EPKfPfN6thrust23THRUST_200600_302600_NS4plusIfEEEE10hipError_tPvRmT2_T3_mT4_P12ihipStream_tbEUlT_E_NS1_11comp_targetILNS1_3genE3ELNS1_11target_archE908ELNS1_3gpuE7ELNS1_3repE0EEENS1_30default_config_static_selectorELNS0_4arch9wavefront6targetE1EEEvT1_.uses_vcc, 0
	.set _ZN7rocprim17ROCPRIM_400000_NS6detail17trampoline_kernelINS0_14default_configENS1_35adjacent_difference_config_selectorILb1EfEEZNS1_24adjacent_difference_implIS3_Lb1ELb0EPKfPfN6thrust23THRUST_200600_302600_NS4plusIfEEEE10hipError_tPvRmT2_T3_mT4_P12ihipStream_tbEUlT_E_NS1_11comp_targetILNS1_3genE3ELNS1_11target_archE908ELNS1_3gpuE7ELNS1_3repE0EEENS1_30default_config_static_selectorELNS0_4arch9wavefront6targetE1EEEvT1_.uses_flat_scratch, 0
	.set _ZN7rocprim17ROCPRIM_400000_NS6detail17trampoline_kernelINS0_14default_configENS1_35adjacent_difference_config_selectorILb1EfEEZNS1_24adjacent_difference_implIS3_Lb1ELb0EPKfPfN6thrust23THRUST_200600_302600_NS4plusIfEEEE10hipError_tPvRmT2_T3_mT4_P12ihipStream_tbEUlT_E_NS1_11comp_targetILNS1_3genE3ELNS1_11target_archE908ELNS1_3gpuE7ELNS1_3repE0EEENS1_30default_config_static_selectorELNS0_4arch9wavefront6targetE1EEEvT1_.has_dyn_sized_stack, 0
	.set _ZN7rocprim17ROCPRIM_400000_NS6detail17trampoline_kernelINS0_14default_configENS1_35adjacent_difference_config_selectorILb1EfEEZNS1_24adjacent_difference_implIS3_Lb1ELb0EPKfPfN6thrust23THRUST_200600_302600_NS4plusIfEEEE10hipError_tPvRmT2_T3_mT4_P12ihipStream_tbEUlT_E_NS1_11comp_targetILNS1_3genE3ELNS1_11target_archE908ELNS1_3gpuE7ELNS1_3repE0EEENS1_30default_config_static_selectorELNS0_4arch9wavefront6targetE1EEEvT1_.has_recursion, 0
	.set _ZN7rocprim17ROCPRIM_400000_NS6detail17trampoline_kernelINS0_14default_configENS1_35adjacent_difference_config_selectorILb1EfEEZNS1_24adjacent_difference_implIS3_Lb1ELb0EPKfPfN6thrust23THRUST_200600_302600_NS4plusIfEEEE10hipError_tPvRmT2_T3_mT4_P12ihipStream_tbEUlT_E_NS1_11comp_targetILNS1_3genE3ELNS1_11target_archE908ELNS1_3gpuE7ELNS1_3repE0EEENS1_30default_config_static_selectorELNS0_4arch9wavefront6targetE1EEEvT1_.has_indirect_call, 0
	.section	.AMDGPU.csdata,"",@progbits
; Kernel info:
; codeLenInByte = 0
; TotalNumSgprs: 4
; NumVgprs: 0
; ScratchSize: 0
; MemoryBound: 0
; FloatMode: 240
; IeeeMode: 1
; LDSByteSize: 0 bytes/workgroup (compile time only)
; SGPRBlocks: 0
; VGPRBlocks: 0
; NumSGPRsForWavesPerEU: 4
; NumVGPRsForWavesPerEU: 1
; Occupancy: 10
; WaveLimiterHint : 0
; COMPUTE_PGM_RSRC2:SCRATCH_EN: 0
; COMPUTE_PGM_RSRC2:USER_SGPR: 6
; COMPUTE_PGM_RSRC2:TRAP_HANDLER: 0
; COMPUTE_PGM_RSRC2:TGID_X_EN: 1
; COMPUTE_PGM_RSRC2:TGID_Y_EN: 0
; COMPUTE_PGM_RSRC2:TGID_Z_EN: 0
; COMPUTE_PGM_RSRC2:TIDIG_COMP_CNT: 0
	.section	.text._ZN7rocprim17ROCPRIM_400000_NS6detail17trampoline_kernelINS0_14default_configENS1_35adjacent_difference_config_selectorILb1EfEEZNS1_24adjacent_difference_implIS3_Lb1ELb0EPKfPfN6thrust23THRUST_200600_302600_NS4plusIfEEEE10hipError_tPvRmT2_T3_mT4_P12ihipStream_tbEUlT_E_NS1_11comp_targetILNS1_3genE2ELNS1_11target_archE906ELNS1_3gpuE6ELNS1_3repE0EEENS1_30default_config_static_selectorELNS0_4arch9wavefront6targetE1EEEvT1_,"axG",@progbits,_ZN7rocprim17ROCPRIM_400000_NS6detail17trampoline_kernelINS0_14default_configENS1_35adjacent_difference_config_selectorILb1EfEEZNS1_24adjacent_difference_implIS3_Lb1ELb0EPKfPfN6thrust23THRUST_200600_302600_NS4plusIfEEEE10hipError_tPvRmT2_T3_mT4_P12ihipStream_tbEUlT_E_NS1_11comp_targetILNS1_3genE2ELNS1_11target_archE906ELNS1_3gpuE6ELNS1_3repE0EEENS1_30default_config_static_selectorELNS0_4arch9wavefront6targetE1EEEvT1_,comdat
	.protected	_ZN7rocprim17ROCPRIM_400000_NS6detail17trampoline_kernelINS0_14default_configENS1_35adjacent_difference_config_selectorILb1EfEEZNS1_24adjacent_difference_implIS3_Lb1ELb0EPKfPfN6thrust23THRUST_200600_302600_NS4plusIfEEEE10hipError_tPvRmT2_T3_mT4_P12ihipStream_tbEUlT_E_NS1_11comp_targetILNS1_3genE2ELNS1_11target_archE906ELNS1_3gpuE6ELNS1_3repE0EEENS1_30default_config_static_selectorELNS0_4arch9wavefront6targetE1EEEvT1_ ; -- Begin function _ZN7rocprim17ROCPRIM_400000_NS6detail17trampoline_kernelINS0_14default_configENS1_35adjacent_difference_config_selectorILb1EfEEZNS1_24adjacent_difference_implIS3_Lb1ELb0EPKfPfN6thrust23THRUST_200600_302600_NS4plusIfEEEE10hipError_tPvRmT2_T3_mT4_P12ihipStream_tbEUlT_E_NS1_11comp_targetILNS1_3genE2ELNS1_11target_archE906ELNS1_3gpuE6ELNS1_3repE0EEENS1_30default_config_static_selectorELNS0_4arch9wavefront6targetE1EEEvT1_
	.globl	_ZN7rocprim17ROCPRIM_400000_NS6detail17trampoline_kernelINS0_14default_configENS1_35adjacent_difference_config_selectorILb1EfEEZNS1_24adjacent_difference_implIS3_Lb1ELb0EPKfPfN6thrust23THRUST_200600_302600_NS4plusIfEEEE10hipError_tPvRmT2_T3_mT4_P12ihipStream_tbEUlT_E_NS1_11comp_targetILNS1_3genE2ELNS1_11target_archE906ELNS1_3gpuE6ELNS1_3repE0EEENS1_30default_config_static_selectorELNS0_4arch9wavefront6targetE1EEEvT1_
	.p2align	8
	.type	_ZN7rocprim17ROCPRIM_400000_NS6detail17trampoline_kernelINS0_14default_configENS1_35adjacent_difference_config_selectorILb1EfEEZNS1_24adjacent_difference_implIS3_Lb1ELb0EPKfPfN6thrust23THRUST_200600_302600_NS4plusIfEEEE10hipError_tPvRmT2_T3_mT4_P12ihipStream_tbEUlT_E_NS1_11comp_targetILNS1_3genE2ELNS1_11target_archE906ELNS1_3gpuE6ELNS1_3repE0EEENS1_30default_config_static_selectorELNS0_4arch9wavefront6targetE1EEEvT1_,@function
_ZN7rocprim17ROCPRIM_400000_NS6detail17trampoline_kernelINS0_14default_configENS1_35adjacent_difference_config_selectorILb1EfEEZNS1_24adjacent_difference_implIS3_Lb1ELb0EPKfPfN6thrust23THRUST_200600_302600_NS4plusIfEEEE10hipError_tPvRmT2_T3_mT4_P12ihipStream_tbEUlT_E_NS1_11comp_targetILNS1_3genE2ELNS1_11target_archE906ELNS1_3gpuE6ELNS1_3repE0EEENS1_30default_config_static_selectorELNS0_4arch9wavefront6targetE1EEEvT1_: ; @_ZN7rocprim17ROCPRIM_400000_NS6detail17trampoline_kernelINS0_14default_configENS1_35adjacent_difference_config_selectorILb1EfEEZNS1_24adjacent_difference_implIS3_Lb1ELb0EPKfPfN6thrust23THRUST_200600_302600_NS4plusIfEEEE10hipError_tPvRmT2_T3_mT4_P12ihipStream_tbEUlT_E_NS1_11comp_targetILNS1_3genE2ELNS1_11target_archE906ELNS1_3gpuE6ELNS1_3repE0EEENS1_30default_config_static_selectorELNS0_4arch9wavefront6targetE1EEEvT1_
; %bb.0:
	s_load_dwordx8 s[20:27], s[4:5], 0x0
	s_load_dwordx4 s[8:11], s[4:5], 0x28
	s_mul_i32 s28, s6, 0xb00
	s_mov_b32 s7, 0
	s_mov_b64 s[14:15], -1
	s_waitcnt lgkmcnt(0)
	s_lshl_b64 s[30:31], s[22:23], 2
	s_add_u32 s18, s20, s30
	s_addc_u32 s19, s21, s31
	s_mul_i32 s3, s27, 0xba2e8ba3
	s_mul_hi_u32 s4, s26, 0xba2e8ba3
	s_mul_hi_u32 s2, s27, 0xba2e8ba3
	s_add_u32 s3, s3, s4
	s_mul_i32 s1, s26, 0x2e8ba2e8
	s_addc_u32 s2, s2, 0
	s_mul_hi_u32 s0, s26, 0x2e8ba2e8
	s_add_u32 s1, s1, s3
	s_addc_u32 s0, s0, 0
	s_add_u32 s0, s2, s0
	s_addc_u32 s1, 0, 0
	s_mul_i32 s3, s27, 0x2e8ba2e8
	s_mul_hi_u32 s2, s27, 0x2e8ba2e8
	s_add_u32 s0, s3, s0
	s_addc_u32 s1, s2, s1
	s_lshr_b64 s[2:3], s[0:1], 9
	s_lshr_b32 s0, s1, 9
	s_mulk_i32 s0, 0xb00
	s_mul_hi_u32 s1, s2, 0xb00
	s_add_i32 s1, s1, s0
	s_mul_i32 s0, s2, 0xb00
	s_sub_u32 s0, s26, s0
	s_subb_u32 s1, s27, s1
	s_cmp_lg_u64 s[0:1], 0
	s_cselect_b64 s[0:1], -1, 0
	v_cndmask_b32_e64 v1, 0, 1, s[0:1]
	v_readfirstlane_b32 s0, v1
	s_add_u32 s2, s2, s0
	s_addc_u32 s3, s3, 0
	s_add_u32 s4, s10, s6
	s_addc_u32 s5, s11, 0
	s_add_u32 s12, s2, -1
	s_addc_u32 s13, s3, -1
	v_mov_b32_e32 v1, s12
	v_mov_b32_e32 v2, s13
	v_cmp_ge_u64_e64 s[0:1], s[4:5], v[1:2]
	s_mul_i32 s27, s12, 0xfffff500
	s_and_b64 vcc, exec, s[0:1]
	s_cbranch_vccz .LBB620_24
; %bb.1:
	s_mov_b32 s29, s7
	s_add_i32 s20, s27, s26
	s_lshl_b64 s[14:15], s[28:29], 2
	s_add_u32 s14, s18, s14
	v_mov_b32_e32 v1, 0
	s_addc_u32 s15, s19, s15
	v_cmp_gt_u32_e32 vcc, s20, v0
	v_mov_b32_e32 v2, v1
	v_mov_b32_e32 v3, v1
	;; [unrolled: 1-line block ×10, first 2 shown]
	s_and_saveexec_b64 s[16:17], vcc
	s_cbranch_execz .LBB620_3
; %bb.2:
	v_lshlrev_b32_e32 v2, 2, v0
	global_load_dword v2, v2, s[14:15]
	v_mov_b32_e32 v3, v1
	v_mov_b32_e32 v4, v1
	;; [unrolled: 1-line block ×10, first 2 shown]
	s_waitcnt vmcnt(0)
	v_mov_b32_e32 v1, v2
	v_mov_b32_e32 v2, v3
	v_mov_b32_e32 v3, v4
	v_mov_b32_e32 v4, v5
	v_mov_b32_e32 v5, v6
	v_mov_b32_e32 v6, v7
	v_mov_b32_e32 v7, v8
	v_mov_b32_e32 v8, v9
	v_mov_b32_e32 v9, v10
	v_mov_b32_e32 v10, v11
	v_mov_b32_e32 v11, v12
.LBB620_3:
	s_or_b64 exec, exec, s[16:17]
	v_or_b32_e32 v12, 0x100, v0
	v_cmp_gt_u32_e32 vcc, s20, v12
	s_and_saveexec_b64 s[16:17], vcc
	s_cbranch_execz .LBB620_5
; %bb.4:
	v_lshlrev_b32_e32 v2, 2, v0
	global_load_dword v2, v2, s[14:15] offset:1024
.LBB620_5:
	s_or_b64 exec, exec, s[16:17]
	v_or_b32_e32 v12, 0x200, v0
	v_cmp_gt_u32_e32 vcc, s20, v12
	s_and_saveexec_b64 s[16:17], vcc
	s_cbranch_execz .LBB620_7
; %bb.6:
	v_lshlrev_b32_e32 v3, 2, v0
	global_load_dword v3, v3, s[14:15] offset:2048
.LBB620_7:
	;; [unrolled: 9-line block ×3, first 2 shown]
	s_or_b64 exec, exec, s[16:17]
	v_or_b32_e32 v12, 0x400, v0
	v_cmp_gt_u32_e32 vcc, s20, v12
	s_and_saveexec_b64 s[16:17], vcc
	s_cbranch_execz .LBB620_11
; %bb.10:
	v_lshlrev_b32_e32 v5, 2, v12
	global_load_dword v5, v5, s[14:15]
.LBB620_11:
	s_or_b64 exec, exec, s[16:17]
	v_or_b32_e32 v12, 0x500, v0
	v_cmp_gt_u32_e32 vcc, s20, v12
	s_and_saveexec_b64 s[16:17], vcc
	s_cbranch_execz .LBB620_13
; %bb.12:
	v_lshlrev_b32_e32 v6, 2, v12
	global_load_dword v6, v6, s[14:15]
.LBB620_13:
	;; [unrolled: 9-line block ×7, first 2 shown]
	s_or_b64 exec, exec, s[16:17]
	v_lshlrev_b32_e32 v12, 2, v0
	s_mov_b64 s[14:15], 0
	s_waitcnt vmcnt(0)
	ds_write2st64_b32 v12, v1, v2 offset1:4
	ds_write2st64_b32 v12, v3, v4 offset0:8 offset1:12
	ds_write2st64_b32 v12, v5, v6 offset0:16 offset1:20
	;; [unrolled: 1-line block ×4, first 2 shown]
	ds_write_b32 v12, v11 offset:10240
	s_waitcnt lgkmcnt(0)
	s_barrier
.LBB620_24:
	s_and_b64 vcc, exec, s[14:15]
	v_lshlrev_b32_e32 v13, 2, v0
	s_cbranch_vccz .LBB620_26
; %bb.25:
	s_mov_b32 s29, 0
	s_lshl_b64 s[14:15], s[28:29], 2
	s_add_u32 s14, s18, s14
	s_addc_u32 s15, s19, s15
	v_mov_b32_e32 v1, s15
	v_add_co_u32_e32 v3, vcc, s14, v13
	v_addc_co_u32_e32 v4, vcc, 0, v1, vcc
	v_add_co_u32_e32 v1, vcc, 0x1000, v3
	v_addc_co_u32_e32 v2, vcc, 0, v4, vcc
	v_add_co_u32_e32 v3, vcc, 0x2000, v3
	global_load_dword v5, v13, s[14:15] offset:1024
	global_load_dword v6, v13, s[14:15] offset:2048
	;; [unrolled: 1-line block ×3, first 2 shown]
	v_addc_co_u32_e32 v4, vcc, 0, v4, vcc
	global_load_dword v8, v13, s[14:15]
	global_load_dword v9, v[1:2], off
	global_load_dword v10, v[1:2], off offset:1024
	global_load_dword v11, v[1:2], off offset:2048
	;; [unrolled: 1-line block ×3, first 2 shown]
	global_load_dword v14, v[3:4], off
	global_load_dword v15, v[3:4], off offset:1024
	global_load_dword v16, v[3:4], off offset:2048
	s_waitcnt vmcnt(7)
	ds_write2st64_b32 v13, v8, v5 offset1:4
	ds_write2st64_b32 v13, v6, v7 offset0:8 offset1:12
	s_waitcnt vmcnt(5)
	ds_write2st64_b32 v13, v9, v10 offset0:16 offset1:20
	s_waitcnt vmcnt(3)
	;; [unrolled: 2-line block ×4, first 2 shown]
	ds_write_b32 v13, v16 offset:10240
	s_waitcnt lgkmcnt(0)
	s_barrier
.LBB620_26:
	v_mul_u32_u24_e32 v14, 44, v0
	ds_read2_b32 v[1:2], v14 offset1:1
	ds_read2_b32 v[3:4], v14 offset0:2 offset1:3
	ds_read2_b32 v[5:6], v14 offset0:4 offset1:5
	;; [unrolled: 1-line block ×4, first 2 shown]
	ds_read_b32 v11, v14 offset:40
	s_cmp_eq_u64 s[4:5], 0
	s_waitcnt lgkmcnt(0)
	s_barrier
	s_cbranch_scc1 .LBB620_31
; %bb.27:
	s_lshl_b64 s[10:11], s[10:11], 2
	s_add_u32 s8, s8, s10
	s_addc_u32 s9, s9, s11
	s_lshl_b64 s[6:7], s[6:7], 2
	s_add_u32 s6, s8, s6
	s_addc_u32 s7, s9, s7
	s_add_u32 s6, s6, -4
	s_addc_u32 s7, s7, -1
	s_load_dword s8, s[6:7], 0x0
	s_cmp_eq_u64 s[4:5], s[12:13]
	s_cbranch_scc1 .LBB620_32
; %bb.28:
	v_cmp_ne_u32_e32 vcc, 0, v0
	s_waitcnt lgkmcnt(0)
	v_mov_b32_e32 v12, s8
	ds_write_b32 v13, v11
	s_waitcnt lgkmcnt(0)
	s_barrier
	s_and_saveexec_b64 s[6:7], vcc
; %bb.29:
	v_add_u32_e32 v12, -4, v13
	ds_read_b32 v12, v12
; %bb.30:
	s_or_b64 exec, exec, s[6:7]
	v_add_f32_e32 v15, v10, v11
	v_add_f32_e32 v16, v9, v10
	;; [unrolled: 1-line block ×10, first 2 shown]
	s_waitcnt lgkmcnt(0)
	v_add_f32_e32 v25, v1, v12
	s_branch .LBB620_36
.LBB620_31:
                                        ; implicit-def: $vgpr15
                                        ; implicit-def: $vgpr16
                                        ; implicit-def: $vgpr17
                                        ; implicit-def: $vgpr25
                                        ; implicit-def: $vgpr24
                                        ; implicit-def: $vgpr23
                                        ; implicit-def: $vgpr22
                                        ; implicit-def: $vgpr21
                                        ; implicit-def: $vgpr20
                                        ; implicit-def: $vgpr19
                                        ; implicit-def: $vgpr18
	s_branch .LBB620_37
.LBB620_32:
                                        ; implicit-def: $vgpr15
                                        ; implicit-def: $vgpr16
                                        ; implicit-def: $vgpr17
                                        ; implicit-def: $vgpr25
                                        ; implicit-def: $vgpr24
                                        ; implicit-def: $vgpr23
                                        ; implicit-def: $vgpr22
                                        ; implicit-def: $vgpr21
                                        ; implicit-def: $vgpr20
                                        ; implicit-def: $vgpr19
                                        ; implicit-def: $vgpr18
	s_cbranch_execz .LBB620_36
; %bb.33:
	v_mul_u32_u24_e32 v12, 11, v0
	v_cmp_ne_u32_e32 vcc, 0, v0
	s_waitcnt lgkmcnt(0)
	v_mov_b32_e32 v25, s8
	ds_write_b32 v13, v11
	s_waitcnt lgkmcnt(0)
	s_barrier
	s_and_saveexec_b64 s[6:7], vcc
; %bb.34:
	v_add_u32_e32 v15, -4, v13
	ds_read_b32 v25, v15
; %bb.35:
	s_or_b64 exec, exec, s[6:7]
	s_mulk_i32 s4, 0xf500
	s_add_i32 s4, s4, s26
	v_add_u32_e32 v15, 10, v12
	v_add_f32_e32 v16, v10, v11
	v_cmp_gt_u32_e32 vcc, s4, v15
	v_cndmask_b32_e32 v15, v11, v16, vcc
	v_add_u32_e32 v16, 9, v12
	v_add_f32_e32 v17, v9, v10
	v_cmp_gt_u32_e32 vcc, s4, v16
	v_cndmask_b32_e32 v16, v10, v17, vcc
	;; [unrolled: 4-line block ×10, first 2 shown]
	s_waitcnt lgkmcnt(0)
	v_add_f32_e32 v25, v1, v25
	v_cmp_gt_u32_e32 vcc, s4, v12
	v_cndmask_b32_e32 v25, v1, v25, vcc
.LBB620_36:
	s_cbranch_execnz .LBB620_45
.LBB620_37:
	s_cmp_eq_u64 s[2:3], 1
	v_add_f32_e32 v15, v10, v11
	v_add_f32_e32 v16, v9, v10
	;; [unrolled: 1-line block ×10, first 2 shown]
	v_cmp_ne_u32_e32 vcc, 0, v0
	s_cbranch_scc1 .LBB620_41
; %bb.38:
	v_mov_b32_e32 v25, v1
	ds_write_b32 v13, v11
	s_waitcnt lgkmcnt(0)
	s_barrier
	s_and_saveexec_b64 s[2:3], vcc
	s_cbranch_execz .LBB620_40
; %bb.39:
	v_add_u32_e32 v12, -4, v13
	ds_read_b32 v12, v12
	s_waitcnt lgkmcnt(0)
	v_add_f32_e32 v25, v1, v12
.LBB620_40:
	s_or_b64 exec, exec, s[2:3]
	s_cbranch_execz .LBB620_42
	s_branch .LBB620_45
.LBB620_41:
                                        ; implicit-def: $vgpr25
.LBB620_42:
	v_mad_u32_u24 v25, v0, 11, 10
	v_cmp_gt_u32_e32 vcc, s26, v25
	v_mad_u32_u24 v25, v0, 11, 9
	v_cmp_gt_u32_e64 s[2:3], s26, v25
	v_mad_u32_u24 v25, v0, 11, 8
	v_cmp_gt_u32_e64 s[4:5], s26, v25
	;; [unrolled: 2-line block ×3, first 2 shown]
	v_mad_u32_u24 v25, v0, 11, 6
	s_waitcnt lgkmcnt(0)
	v_cmp_gt_u32_e64 s[8:9], s26, v25
	v_mad_u32_u24 v25, v0, 11, 5
	v_cmp_gt_u32_e64 s[10:11], s26, v25
	v_mad_u32_u24 v25, v0, 11, 4
	v_cmp_gt_u32_e64 s[12:13], s26, v25
	v_mad_u32_u24 v25, v0, 11, 3
	v_mul_u32_u24_e32 v12, 11, v0
	v_cmp_gt_u32_e64 s[14:15], s26, v25
	v_mad_u32_u24 v25, v0, 11, 2
	v_cmp_gt_u32_e64 s[16:17], s26, v25
	v_mad_u32_u24 v25, v0, 11, 1
	v_cmp_ne_u32_e64 s[20:21], 0, v0
	v_cmp_gt_u32_e64 s[22:23], s26, v12
	v_cmp_gt_u32_e64 s[18:19], s26, v25
	s_and_b64 s[22:23], s[20:21], s[22:23]
	ds_write_b32 v13, v11
	s_waitcnt lgkmcnt(0)
	s_barrier
	s_and_saveexec_b64 s[20:21], s[22:23]
	s_cbranch_execz .LBB620_44
; %bb.43:
	v_add_u32_e32 v12, -4, v13
	ds_read_b32 v12, v12
	s_waitcnt lgkmcnt(0)
	v_add_f32_e32 v1, v1, v12
.LBB620_44:
	s_or_b64 exec, exec, s[20:21]
	v_cndmask_b32_e32 v15, v11, v15, vcc
	v_cndmask_b32_e64 v16, v10, v16, s[2:3]
	v_cndmask_b32_e64 v17, v9, v17, s[4:5]
	;; [unrolled: 1-line block ×9, first 2 shown]
	v_mov_b32_e32 v25, v1
.LBB620_45:
	s_add_u32 s4, s24, s30
	s_addc_u32 s5, s25, s31
	s_and_b64 vcc, exec, s[0:1]
	s_waitcnt lgkmcnt(0)
	s_barrier
	s_cbranch_vccz .LBB620_67
; %bb.46:
	v_mul_i32_i24_e32 v26, 0xffffffd8, v0
	v_mad_u32_u24 v1, v0, 44, v26
	ds_write2_b32 v14, v25, v24 offset1:1
	ds_write2_b32 v14, v23, v22 offset0:2 offset1:3
	ds_write2_b32 v14, v21, v20 offset0:4 offset1:5
	;; [unrolled: 1-line block ×4, first 2 shown]
	ds_write_b32 v14, v15 offset:40
	s_waitcnt lgkmcnt(0)
	s_barrier
	ds_read2st64_b32 v[11:12], v1 offset0:4 offset1:8
	ds_read2st64_b32 v[9:10], v1 offset0:12 offset1:16
	;; [unrolled: 1-line block ×5, first 2 shown]
	s_mov_b32 s29, 0
	s_add_i32 s27, s27, s26
	s_lshl_b64 s[0:1], s[28:29], 2
	s_add_u32 s0, s4, s0
	s_addc_u32 s1, s5, s1
	v_mov_b32_e32 v4, s1
	v_add_co_u32_e32 v3, vcc, s0, v13
	v_addc_co_u32_e32 v4, vcc, 0, v4, vcc
	v_cmp_gt_u32_e32 vcc, s27, v0
	s_and_saveexec_b64 s[0:1], vcc
	s_cbranch_execz .LBB620_48
; %bb.47:
	v_add_u32_e32 v26, v14, v26
	ds_read_b32 v26, v26
	s_waitcnt lgkmcnt(0)
	global_store_dword v[3:4], v26, off
.LBB620_48:
	s_or_b64 exec, exec, s[0:1]
	v_or_b32_e32 v26, 0x100, v0
	v_cmp_gt_u32_e32 vcc, s27, v26
	s_and_saveexec_b64 s[0:1], vcc
	s_cbranch_execz .LBB620_50
; %bb.49:
	s_waitcnt lgkmcnt(4)
	global_store_dword v[3:4], v11, off offset:1024
.LBB620_50:
	s_or_b64 exec, exec, s[0:1]
	s_waitcnt lgkmcnt(4)
	v_or_b32_e32 v11, 0x200, v0
	v_cmp_gt_u32_e32 vcc, s27, v11
	s_and_saveexec_b64 s[0:1], vcc
	s_cbranch_execz .LBB620_52
; %bb.51:
	global_store_dword v[3:4], v12, off offset:2048
.LBB620_52:
	s_or_b64 exec, exec, s[0:1]
	v_or_b32_e32 v11, 0x300, v0
	v_cmp_gt_u32_e32 vcc, s27, v11
	s_and_saveexec_b64 s[0:1], vcc
	s_cbranch_execz .LBB620_54
; %bb.53:
	s_waitcnt lgkmcnt(3)
	global_store_dword v[3:4], v9, off offset:3072
.LBB620_54:
	s_or_b64 exec, exec, s[0:1]
	s_waitcnt lgkmcnt(3)
	v_or_b32_e32 v9, 0x400, v0
	v_cmp_gt_u32_e32 vcc, s27, v9
	s_and_saveexec_b64 s[0:1], vcc
	s_cbranch_execz .LBB620_56
; %bb.55:
	v_add_co_u32_e32 v11, vcc, 0x1000, v3
	v_addc_co_u32_e32 v12, vcc, 0, v4, vcc
	global_store_dword v[11:12], v10, off
.LBB620_56:
	s_or_b64 exec, exec, s[0:1]
	v_or_b32_e32 v9, 0x500, v0
	v_cmp_gt_u32_e32 vcc, s27, v9
	s_and_saveexec_b64 s[0:1], vcc
	s_cbranch_execz .LBB620_58
; %bb.57:
	v_add_co_u32_e32 v9, vcc, 0x1000, v3
	v_addc_co_u32_e32 v10, vcc, 0, v4, vcc
	s_waitcnt lgkmcnt(2)
	global_store_dword v[9:10], v7, off offset:1024
.LBB620_58:
	s_or_b64 exec, exec, s[0:1]
	s_waitcnt lgkmcnt(2)
	v_or_b32_e32 v7, 0x600, v0
	v_cmp_gt_u32_e32 vcc, s27, v7
	s_and_saveexec_b64 s[0:1], vcc
	s_cbranch_execz .LBB620_60
; %bb.59:
	v_add_co_u32_e32 v9, vcc, 0x1000, v3
	v_addc_co_u32_e32 v10, vcc, 0, v4, vcc
	global_store_dword v[9:10], v8, off offset:2048
.LBB620_60:
	s_or_b64 exec, exec, s[0:1]
	v_or_b32_e32 v7, 0x700, v0
	v_cmp_gt_u32_e32 vcc, s27, v7
	s_and_saveexec_b64 s[0:1], vcc
	s_cbranch_execz .LBB620_62
; %bb.61:
	v_add_co_u32_e32 v7, vcc, 0x1000, v3
	v_addc_co_u32_e32 v8, vcc, 0, v4, vcc
	s_waitcnt lgkmcnt(1)
	global_store_dword v[7:8], v5, off offset:3072
.LBB620_62:
	s_or_b64 exec, exec, s[0:1]
	s_waitcnt lgkmcnt(1)
	v_or_b32_e32 v5, 0x800, v0
	v_cmp_gt_u32_e32 vcc, s27, v5
	s_and_saveexec_b64 s[0:1], vcc
	s_cbranch_execz .LBB620_64
; %bb.63:
	v_add_co_u32_e32 v7, vcc, 0x2000, v3
	v_addc_co_u32_e32 v8, vcc, 0, v4, vcc
	global_store_dword v[7:8], v6, off
.LBB620_64:
	s_or_b64 exec, exec, s[0:1]
	v_or_b32_e32 v5, 0x900, v0
	v_cmp_gt_u32_e32 vcc, s27, v5
	s_and_saveexec_b64 s[0:1], vcc
	s_cbranch_execz .LBB620_66
; %bb.65:
	v_add_co_u32_e32 v5, vcc, 0x2000, v3
	v_addc_co_u32_e32 v6, vcc, 0, v4, vcc
	s_waitcnt lgkmcnt(0)
	global_store_dword v[5:6], v1, off offset:1024
.LBB620_66:
	s_or_b64 exec, exec, s[0:1]
	s_waitcnt lgkmcnt(0)
	v_or_b32_e32 v1, 0xa00, v0
	v_cmp_gt_u32_e64 s[0:1], s27, v1
	s_branch .LBB620_69
.LBB620_67:
	s_mov_b64 s[0:1], 0
                                        ; implicit-def: $vgpr2
                                        ; implicit-def: $vgpr3_vgpr4
	s_cbranch_execz .LBB620_69
; %bb.68:
	s_mov_b32 s29, 0
	s_lshl_b64 s[2:3], s[28:29], 2
	s_add_u32 s2, s4, s2
	v_mul_i32_i24_e32 v1, 0xffffffd8, v0
	s_addc_u32 s3, s5, s3
	v_mad_u32_u24 v2, v0, 44, v1
	ds_write2_b32 v14, v25, v24 offset1:1
	ds_write2_b32 v14, v23, v22 offset0:2 offset1:3
	ds_write2_b32 v14, v21, v20 offset0:4 offset1:5
	;; [unrolled: 1-line block ×4, first 2 shown]
	ds_write_b32 v14, v15 offset:40
	s_waitcnt vmcnt(0) lgkmcnt(0)
	s_barrier
	ds_read2st64_b32 v[0:1], v2 offset1:4
	ds_read2st64_b32 v[5:6], v2 offset0:8 offset1:12
	ds_read2st64_b32 v[7:8], v2 offset0:16 offset1:20
	;; [unrolled: 1-line block ×4, first 2 shown]
	ds_read_b32 v2, v2 offset:10240
	v_mov_b32_e32 v4, s3
	v_add_co_u32_e32 v3, vcc, s2, v13
	v_addc_co_u32_e32 v4, vcc, 0, v4, vcc
	s_waitcnt lgkmcnt(5)
	global_store_dword v13, v0, s[2:3]
	global_store_dword v13, v1, s[2:3] offset:1024
	s_waitcnt lgkmcnt(4)
	global_store_dword v13, v5, s[2:3] offset:2048
	global_store_dword v13, v6, s[2:3] offset:3072
	s_movk_i32 s2, 0x1000
	v_add_co_u32_e32 v0, vcc, s2, v3
	v_addc_co_u32_e32 v1, vcc, 0, v4, vcc
	s_waitcnt lgkmcnt(3)
	global_store_dword v[0:1], v7, off
	global_store_dword v[0:1], v8, off offset:1024
	s_waitcnt lgkmcnt(2)
	global_store_dword v[0:1], v9, off offset:2048
	global_store_dword v[0:1], v10, off offset:3072
	v_add_co_u32_e32 v0, vcc, 0x2000, v3
	v_addc_co_u32_e32 v1, vcc, 0, v4, vcc
	s_or_b64 s[0:1], s[0:1], exec
	s_waitcnt lgkmcnt(1)
	global_store_dword v[0:1], v11, off
	global_store_dword v[0:1], v12, off offset:1024
.LBB620_69:
	s_and_saveexec_b64 s[2:3], s[0:1]
	s_cbranch_execnz .LBB620_71
; %bb.70:
	s_endpgm
.LBB620_71:
	v_add_co_u32_e32 v0, vcc, 0x2000, v3
	v_addc_co_u32_e32 v1, vcc, 0, v4, vcc
	s_waitcnt lgkmcnt(0)
	global_store_dword v[0:1], v2, off offset:2048
	s_endpgm
	.section	.rodata,"a",@progbits
	.p2align	6, 0x0
	.amdhsa_kernel _ZN7rocprim17ROCPRIM_400000_NS6detail17trampoline_kernelINS0_14default_configENS1_35adjacent_difference_config_selectorILb1EfEEZNS1_24adjacent_difference_implIS3_Lb1ELb0EPKfPfN6thrust23THRUST_200600_302600_NS4plusIfEEEE10hipError_tPvRmT2_T3_mT4_P12ihipStream_tbEUlT_E_NS1_11comp_targetILNS1_3genE2ELNS1_11target_archE906ELNS1_3gpuE6ELNS1_3repE0EEENS1_30default_config_static_selectorELNS0_4arch9wavefront6targetE1EEEvT1_
		.amdhsa_group_segment_fixed_size 11264
		.amdhsa_private_segment_fixed_size 0
		.amdhsa_kernarg_size 56
		.amdhsa_user_sgpr_count 6
		.amdhsa_user_sgpr_private_segment_buffer 1
		.amdhsa_user_sgpr_dispatch_ptr 0
		.amdhsa_user_sgpr_queue_ptr 0
		.amdhsa_user_sgpr_kernarg_segment_ptr 1
		.amdhsa_user_sgpr_dispatch_id 0
		.amdhsa_user_sgpr_flat_scratch_init 0
		.amdhsa_user_sgpr_private_segment_size 0
		.amdhsa_uses_dynamic_stack 0
		.amdhsa_system_sgpr_private_segment_wavefront_offset 0
		.amdhsa_system_sgpr_workgroup_id_x 1
		.amdhsa_system_sgpr_workgroup_id_y 0
		.amdhsa_system_sgpr_workgroup_id_z 0
		.amdhsa_system_sgpr_workgroup_info 0
		.amdhsa_system_vgpr_workitem_id 0
		.amdhsa_next_free_vgpr 41
		.amdhsa_next_free_sgpr 98
		.amdhsa_reserve_vcc 1
		.amdhsa_reserve_flat_scratch 0
		.amdhsa_float_round_mode_32 0
		.amdhsa_float_round_mode_16_64 0
		.amdhsa_float_denorm_mode_32 3
		.amdhsa_float_denorm_mode_16_64 3
		.amdhsa_dx10_clamp 1
		.amdhsa_ieee_mode 1
		.amdhsa_fp16_overflow 0
		.amdhsa_exception_fp_ieee_invalid_op 0
		.amdhsa_exception_fp_denorm_src 0
		.amdhsa_exception_fp_ieee_div_zero 0
		.amdhsa_exception_fp_ieee_overflow 0
		.amdhsa_exception_fp_ieee_underflow 0
		.amdhsa_exception_fp_ieee_inexact 0
		.amdhsa_exception_int_div_zero 0
	.end_amdhsa_kernel
	.section	.text._ZN7rocprim17ROCPRIM_400000_NS6detail17trampoline_kernelINS0_14default_configENS1_35adjacent_difference_config_selectorILb1EfEEZNS1_24adjacent_difference_implIS3_Lb1ELb0EPKfPfN6thrust23THRUST_200600_302600_NS4plusIfEEEE10hipError_tPvRmT2_T3_mT4_P12ihipStream_tbEUlT_E_NS1_11comp_targetILNS1_3genE2ELNS1_11target_archE906ELNS1_3gpuE6ELNS1_3repE0EEENS1_30default_config_static_selectorELNS0_4arch9wavefront6targetE1EEEvT1_,"axG",@progbits,_ZN7rocprim17ROCPRIM_400000_NS6detail17trampoline_kernelINS0_14default_configENS1_35adjacent_difference_config_selectorILb1EfEEZNS1_24adjacent_difference_implIS3_Lb1ELb0EPKfPfN6thrust23THRUST_200600_302600_NS4plusIfEEEE10hipError_tPvRmT2_T3_mT4_P12ihipStream_tbEUlT_E_NS1_11comp_targetILNS1_3genE2ELNS1_11target_archE906ELNS1_3gpuE6ELNS1_3repE0EEENS1_30default_config_static_selectorELNS0_4arch9wavefront6targetE1EEEvT1_,comdat
.Lfunc_end620:
	.size	_ZN7rocprim17ROCPRIM_400000_NS6detail17trampoline_kernelINS0_14default_configENS1_35adjacent_difference_config_selectorILb1EfEEZNS1_24adjacent_difference_implIS3_Lb1ELb0EPKfPfN6thrust23THRUST_200600_302600_NS4plusIfEEEE10hipError_tPvRmT2_T3_mT4_P12ihipStream_tbEUlT_E_NS1_11comp_targetILNS1_3genE2ELNS1_11target_archE906ELNS1_3gpuE6ELNS1_3repE0EEENS1_30default_config_static_selectorELNS0_4arch9wavefront6targetE1EEEvT1_, .Lfunc_end620-_ZN7rocprim17ROCPRIM_400000_NS6detail17trampoline_kernelINS0_14default_configENS1_35adjacent_difference_config_selectorILb1EfEEZNS1_24adjacent_difference_implIS3_Lb1ELb0EPKfPfN6thrust23THRUST_200600_302600_NS4plusIfEEEE10hipError_tPvRmT2_T3_mT4_P12ihipStream_tbEUlT_E_NS1_11comp_targetILNS1_3genE2ELNS1_11target_archE906ELNS1_3gpuE6ELNS1_3repE0EEENS1_30default_config_static_selectorELNS0_4arch9wavefront6targetE1EEEvT1_
                                        ; -- End function
	.set _ZN7rocprim17ROCPRIM_400000_NS6detail17trampoline_kernelINS0_14default_configENS1_35adjacent_difference_config_selectorILb1EfEEZNS1_24adjacent_difference_implIS3_Lb1ELb0EPKfPfN6thrust23THRUST_200600_302600_NS4plusIfEEEE10hipError_tPvRmT2_T3_mT4_P12ihipStream_tbEUlT_E_NS1_11comp_targetILNS1_3genE2ELNS1_11target_archE906ELNS1_3gpuE6ELNS1_3repE0EEENS1_30default_config_static_selectorELNS0_4arch9wavefront6targetE1EEEvT1_.num_vgpr, 27
	.set _ZN7rocprim17ROCPRIM_400000_NS6detail17trampoline_kernelINS0_14default_configENS1_35adjacent_difference_config_selectorILb1EfEEZNS1_24adjacent_difference_implIS3_Lb1ELb0EPKfPfN6thrust23THRUST_200600_302600_NS4plusIfEEEE10hipError_tPvRmT2_T3_mT4_P12ihipStream_tbEUlT_E_NS1_11comp_targetILNS1_3genE2ELNS1_11target_archE906ELNS1_3gpuE6ELNS1_3repE0EEENS1_30default_config_static_selectorELNS0_4arch9wavefront6targetE1EEEvT1_.num_agpr, 0
	.set _ZN7rocprim17ROCPRIM_400000_NS6detail17trampoline_kernelINS0_14default_configENS1_35adjacent_difference_config_selectorILb1EfEEZNS1_24adjacent_difference_implIS3_Lb1ELb0EPKfPfN6thrust23THRUST_200600_302600_NS4plusIfEEEE10hipError_tPvRmT2_T3_mT4_P12ihipStream_tbEUlT_E_NS1_11comp_targetILNS1_3genE2ELNS1_11target_archE906ELNS1_3gpuE6ELNS1_3repE0EEENS1_30default_config_static_selectorELNS0_4arch9wavefront6targetE1EEEvT1_.numbered_sgpr, 32
	.set _ZN7rocprim17ROCPRIM_400000_NS6detail17trampoline_kernelINS0_14default_configENS1_35adjacent_difference_config_selectorILb1EfEEZNS1_24adjacent_difference_implIS3_Lb1ELb0EPKfPfN6thrust23THRUST_200600_302600_NS4plusIfEEEE10hipError_tPvRmT2_T3_mT4_P12ihipStream_tbEUlT_E_NS1_11comp_targetILNS1_3genE2ELNS1_11target_archE906ELNS1_3gpuE6ELNS1_3repE0EEENS1_30default_config_static_selectorELNS0_4arch9wavefront6targetE1EEEvT1_.num_named_barrier, 0
	.set _ZN7rocprim17ROCPRIM_400000_NS6detail17trampoline_kernelINS0_14default_configENS1_35adjacent_difference_config_selectorILb1EfEEZNS1_24adjacent_difference_implIS3_Lb1ELb0EPKfPfN6thrust23THRUST_200600_302600_NS4plusIfEEEE10hipError_tPvRmT2_T3_mT4_P12ihipStream_tbEUlT_E_NS1_11comp_targetILNS1_3genE2ELNS1_11target_archE906ELNS1_3gpuE6ELNS1_3repE0EEENS1_30default_config_static_selectorELNS0_4arch9wavefront6targetE1EEEvT1_.private_seg_size, 0
	.set _ZN7rocprim17ROCPRIM_400000_NS6detail17trampoline_kernelINS0_14default_configENS1_35adjacent_difference_config_selectorILb1EfEEZNS1_24adjacent_difference_implIS3_Lb1ELb0EPKfPfN6thrust23THRUST_200600_302600_NS4plusIfEEEE10hipError_tPvRmT2_T3_mT4_P12ihipStream_tbEUlT_E_NS1_11comp_targetILNS1_3genE2ELNS1_11target_archE906ELNS1_3gpuE6ELNS1_3repE0EEENS1_30default_config_static_selectorELNS0_4arch9wavefront6targetE1EEEvT1_.uses_vcc, 1
	.set _ZN7rocprim17ROCPRIM_400000_NS6detail17trampoline_kernelINS0_14default_configENS1_35adjacent_difference_config_selectorILb1EfEEZNS1_24adjacent_difference_implIS3_Lb1ELb0EPKfPfN6thrust23THRUST_200600_302600_NS4plusIfEEEE10hipError_tPvRmT2_T3_mT4_P12ihipStream_tbEUlT_E_NS1_11comp_targetILNS1_3genE2ELNS1_11target_archE906ELNS1_3gpuE6ELNS1_3repE0EEENS1_30default_config_static_selectorELNS0_4arch9wavefront6targetE1EEEvT1_.uses_flat_scratch, 0
	.set _ZN7rocprim17ROCPRIM_400000_NS6detail17trampoline_kernelINS0_14default_configENS1_35adjacent_difference_config_selectorILb1EfEEZNS1_24adjacent_difference_implIS3_Lb1ELb0EPKfPfN6thrust23THRUST_200600_302600_NS4plusIfEEEE10hipError_tPvRmT2_T3_mT4_P12ihipStream_tbEUlT_E_NS1_11comp_targetILNS1_3genE2ELNS1_11target_archE906ELNS1_3gpuE6ELNS1_3repE0EEENS1_30default_config_static_selectorELNS0_4arch9wavefront6targetE1EEEvT1_.has_dyn_sized_stack, 0
	.set _ZN7rocprim17ROCPRIM_400000_NS6detail17trampoline_kernelINS0_14default_configENS1_35adjacent_difference_config_selectorILb1EfEEZNS1_24adjacent_difference_implIS3_Lb1ELb0EPKfPfN6thrust23THRUST_200600_302600_NS4plusIfEEEE10hipError_tPvRmT2_T3_mT4_P12ihipStream_tbEUlT_E_NS1_11comp_targetILNS1_3genE2ELNS1_11target_archE906ELNS1_3gpuE6ELNS1_3repE0EEENS1_30default_config_static_selectorELNS0_4arch9wavefront6targetE1EEEvT1_.has_recursion, 0
	.set _ZN7rocprim17ROCPRIM_400000_NS6detail17trampoline_kernelINS0_14default_configENS1_35adjacent_difference_config_selectorILb1EfEEZNS1_24adjacent_difference_implIS3_Lb1ELb0EPKfPfN6thrust23THRUST_200600_302600_NS4plusIfEEEE10hipError_tPvRmT2_T3_mT4_P12ihipStream_tbEUlT_E_NS1_11comp_targetILNS1_3genE2ELNS1_11target_archE906ELNS1_3gpuE6ELNS1_3repE0EEENS1_30default_config_static_selectorELNS0_4arch9wavefront6targetE1EEEvT1_.has_indirect_call, 0
	.section	.AMDGPU.csdata,"",@progbits
; Kernel info:
; codeLenInByte = 2928
; TotalNumSgprs: 36
; NumVgprs: 27
; ScratchSize: 0
; MemoryBound: 0
; FloatMode: 240
; IeeeMode: 1
; LDSByteSize: 11264 bytes/workgroup (compile time only)
; SGPRBlocks: 12
; VGPRBlocks: 10
; NumSGPRsForWavesPerEU: 102
; NumVGPRsForWavesPerEU: 41
; Occupancy: 5
; WaveLimiterHint : 1
; COMPUTE_PGM_RSRC2:SCRATCH_EN: 0
; COMPUTE_PGM_RSRC2:USER_SGPR: 6
; COMPUTE_PGM_RSRC2:TRAP_HANDLER: 0
; COMPUTE_PGM_RSRC2:TGID_X_EN: 1
; COMPUTE_PGM_RSRC2:TGID_Y_EN: 0
; COMPUTE_PGM_RSRC2:TGID_Z_EN: 0
; COMPUTE_PGM_RSRC2:TIDIG_COMP_CNT: 0
	.section	.text._ZN7rocprim17ROCPRIM_400000_NS6detail17trampoline_kernelINS0_14default_configENS1_35adjacent_difference_config_selectorILb1EfEEZNS1_24adjacent_difference_implIS3_Lb1ELb0EPKfPfN6thrust23THRUST_200600_302600_NS4plusIfEEEE10hipError_tPvRmT2_T3_mT4_P12ihipStream_tbEUlT_E_NS1_11comp_targetILNS1_3genE9ELNS1_11target_archE1100ELNS1_3gpuE3ELNS1_3repE0EEENS1_30default_config_static_selectorELNS0_4arch9wavefront6targetE1EEEvT1_,"axG",@progbits,_ZN7rocprim17ROCPRIM_400000_NS6detail17trampoline_kernelINS0_14default_configENS1_35adjacent_difference_config_selectorILb1EfEEZNS1_24adjacent_difference_implIS3_Lb1ELb0EPKfPfN6thrust23THRUST_200600_302600_NS4plusIfEEEE10hipError_tPvRmT2_T3_mT4_P12ihipStream_tbEUlT_E_NS1_11comp_targetILNS1_3genE9ELNS1_11target_archE1100ELNS1_3gpuE3ELNS1_3repE0EEENS1_30default_config_static_selectorELNS0_4arch9wavefront6targetE1EEEvT1_,comdat
	.protected	_ZN7rocprim17ROCPRIM_400000_NS6detail17trampoline_kernelINS0_14default_configENS1_35adjacent_difference_config_selectorILb1EfEEZNS1_24adjacent_difference_implIS3_Lb1ELb0EPKfPfN6thrust23THRUST_200600_302600_NS4plusIfEEEE10hipError_tPvRmT2_T3_mT4_P12ihipStream_tbEUlT_E_NS1_11comp_targetILNS1_3genE9ELNS1_11target_archE1100ELNS1_3gpuE3ELNS1_3repE0EEENS1_30default_config_static_selectorELNS0_4arch9wavefront6targetE1EEEvT1_ ; -- Begin function _ZN7rocprim17ROCPRIM_400000_NS6detail17trampoline_kernelINS0_14default_configENS1_35adjacent_difference_config_selectorILb1EfEEZNS1_24adjacent_difference_implIS3_Lb1ELb0EPKfPfN6thrust23THRUST_200600_302600_NS4plusIfEEEE10hipError_tPvRmT2_T3_mT4_P12ihipStream_tbEUlT_E_NS1_11comp_targetILNS1_3genE9ELNS1_11target_archE1100ELNS1_3gpuE3ELNS1_3repE0EEENS1_30default_config_static_selectorELNS0_4arch9wavefront6targetE1EEEvT1_
	.globl	_ZN7rocprim17ROCPRIM_400000_NS6detail17trampoline_kernelINS0_14default_configENS1_35adjacent_difference_config_selectorILb1EfEEZNS1_24adjacent_difference_implIS3_Lb1ELb0EPKfPfN6thrust23THRUST_200600_302600_NS4plusIfEEEE10hipError_tPvRmT2_T3_mT4_P12ihipStream_tbEUlT_E_NS1_11comp_targetILNS1_3genE9ELNS1_11target_archE1100ELNS1_3gpuE3ELNS1_3repE0EEENS1_30default_config_static_selectorELNS0_4arch9wavefront6targetE1EEEvT1_
	.p2align	8
	.type	_ZN7rocprim17ROCPRIM_400000_NS6detail17trampoline_kernelINS0_14default_configENS1_35adjacent_difference_config_selectorILb1EfEEZNS1_24adjacent_difference_implIS3_Lb1ELb0EPKfPfN6thrust23THRUST_200600_302600_NS4plusIfEEEE10hipError_tPvRmT2_T3_mT4_P12ihipStream_tbEUlT_E_NS1_11comp_targetILNS1_3genE9ELNS1_11target_archE1100ELNS1_3gpuE3ELNS1_3repE0EEENS1_30default_config_static_selectorELNS0_4arch9wavefront6targetE1EEEvT1_,@function
_ZN7rocprim17ROCPRIM_400000_NS6detail17trampoline_kernelINS0_14default_configENS1_35adjacent_difference_config_selectorILb1EfEEZNS1_24adjacent_difference_implIS3_Lb1ELb0EPKfPfN6thrust23THRUST_200600_302600_NS4plusIfEEEE10hipError_tPvRmT2_T3_mT4_P12ihipStream_tbEUlT_E_NS1_11comp_targetILNS1_3genE9ELNS1_11target_archE1100ELNS1_3gpuE3ELNS1_3repE0EEENS1_30default_config_static_selectorELNS0_4arch9wavefront6targetE1EEEvT1_: ; @_ZN7rocprim17ROCPRIM_400000_NS6detail17trampoline_kernelINS0_14default_configENS1_35adjacent_difference_config_selectorILb1EfEEZNS1_24adjacent_difference_implIS3_Lb1ELb0EPKfPfN6thrust23THRUST_200600_302600_NS4plusIfEEEE10hipError_tPvRmT2_T3_mT4_P12ihipStream_tbEUlT_E_NS1_11comp_targetILNS1_3genE9ELNS1_11target_archE1100ELNS1_3gpuE3ELNS1_3repE0EEENS1_30default_config_static_selectorELNS0_4arch9wavefront6targetE1EEEvT1_
; %bb.0:
	.section	.rodata,"a",@progbits
	.p2align	6, 0x0
	.amdhsa_kernel _ZN7rocprim17ROCPRIM_400000_NS6detail17trampoline_kernelINS0_14default_configENS1_35adjacent_difference_config_selectorILb1EfEEZNS1_24adjacent_difference_implIS3_Lb1ELb0EPKfPfN6thrust23THRUST_200600_302600_NS4plusIfEEEE10hipError_tPvRmT2_T3_mT4_P12ihipStream_tbEUlT_E_NS1_11comp_targetILNS1_3genE9ELNS1_11target_archE1100ELNS1_3gpuE3ELNS1_3repE0EEENS1_30default_config_static_selectorELNS0_4arch9wavefront6targetE1EEEvT1_
		.amdhsa_group_segment_fixed_size 0
		.amdhsa_private_segment_fixed_size 0
		.amdhsa_kernarg_size 56
		.amdhsa_user_sgpr_count 6
		.amdhsa_user_sgpr_private_segment_buffer 1
		.amdhsa_user_sgpr_dispatch_ptr 0
		.amdhsa_user_sgpr_queue_ptr 0
		.amdhsa_user_sgpr_kernarg_segment_ptr 1
		.amdhsa_user_sgpr_dispatch_id 0
		.amdhsa_user_sgpr_flat_scratch_init 0
		.amdhsa_user_sgpr_private_segment_size 0
		.amdhsa_uses_dynamic_stack 0
		.amdhsa_system_sgpr_private_segment_wavefront_offset 0
		.amdhsa_system_sgpr_workgroup_id_x 1
		.amdhsa_system_sgpr_workgroup_id_y 0
		.amdhsa_system_sgpr_workgroup_id_z 0
		.amdhsa_system_sgpr_workgroup_info 0
		.amdhsa_system_vgpr_workitem_id 0
		.amdhsa_next_free_vgpr 1
		.amdhsa_next_free_sgpr 0
		.amdhsa_reserve_vcc 0
		.amdhsa_reserve_flat_scratch 0
		.amdhsa_float_round_mode_32 0
		.amdhsa_float_round_mode_16_64 0
		.amdhsa_float_denorm_mode_32 3
		.amdhsa_float_denorm_mode_16_64 3
		.amdhsa_dx10_clamp 1
		.amdhsa_ieee_mode 1
		.amdhsa_fp16_overflow 0
		.amdhsa_exception_fp_ieee_invalid_op 0
		.amdhsa_exception_fp_denorm_src 0
		.amdhsa_exception_fp_ieee_div_zero 0
		.amdhsa_exception_fp_ieee_overflow 0
		.amdhsa_exception_fp_ieee_underflow 0
		.amdhsa_exception_fp_ieee_inexact 0
		.amdhsa_exception_int_div_zero 0
	.end_amdhsa_kernel
	.section	.text._ZN7rocprim17ROCPRIM_400000_NS6detail17trampoline_kernelINS0_14default_configENS1_35adjacent_difference_config_selectorILb1EfEEZNS1_24adjacent_difference_implIS3_Lb1ELb0EPKfPfN6thrust23THRUST_200600_302600_NS4plusIfEEEE10hipError_tPvRmT2_T3_mT4_P12ihipStream_tbEUlT_E_NS1_11comp_targetILNS1_3genE9ELNS1_11target_archE1100ELNS1_3gpuE3ELNS1_3repE0EEENS1_30default_config_static_selectorELNS0_4arch9wavefront6targetE1EEEvT1_,"axG",@progbits,_ZN7rocprim17ROCPRIM_400000_NS6detail17trampoline_kernelINS0_14default_configENS1_35adjacent_difference_config_selectorILb1EfEEZNS1_24adjacent_difference_implIS3_Lb1ELb0EPKfPfN6thrust23THRUST_200600_302600_NS4plusIfEEEE10hipError_tPvRmT2_T3_mT4_P12ihipStream_tbEUlT_E_NS1_11comp_targetILNS1_3genE9ELNS1_11target_archE1100ELNS1_3gpuE3ELNS1_3repE0EEENS1_30default_config_static_selectorELNS0_4arch9wavefront6targetE1EEEvT1_,comdat
.Lfunc_end621:
	.size	_ZN7rocprim17ROCPRIM_400000_NS6detail17trampoline_kernelINS0_14default_configENS1_35adjacent_difference_config_selectorILb1EfEEZNS1_24adjacent_difference_implIS3_Lb1ELb0EPKfPfN6thrust23THRUST_200600_302600_NS4plusIfEEEE10hipError_tPvRmT2_T3_mT4_P12ihipStream_tbEUlT_E_NS1_11comp_targetILNS1_3genE9ELNS1_11target_archE1100ELNS1_3gpuE3ELNS1_3repE0EEENS1_30default_config_static_selectorELNS0_4arch9wavefront6targetE1EEEvT1_, .Lfunc_end621-_ZN7rocprim17ROCPRIM_400000_NS6detail17trampoline_kernelINS0_14default_configENS1_35adjacent_difference_config_selectorILb1EfEEZNS1_24adjacent_difference_implIS3_Lb1ELb0EPKfPfN6thrust23THRUST_200600_302600_NS4plusIfEEEE10hipError_tPvRmT2_T3_mT4_P12ihipStream_tbEUlT_E_NS1_11comp_targetILNS1_3genE9ELNS1_11target_archE1100ELNS1_3gpuE3ELNS1_3repE0EEENS1_30default_config_static_selectorELNS0_4arch9wavefront6targetE1EEEvT1_
                                        ; -- End function
	.set _ZN7rocprim17ROCPRIM_400000_NS6detail17trampoline_kernelINS0_14default_configENS1_35adjacent_difference_config_selectorILb1EfEEZNS1_24adjacent_difference_implIS3_Lb1ELb0EPKfPfN6thrust23THRUST_200600_302600_NS4plusIfEEEE10hipError_tPvRmT2_T3_mT4_P12ihipStream_tbEUlT_E_NS1_11comp_targetILNS1_3genE9ELNS1_11target_archE1100ELNS1_3gpuE3ELNS1_3repE0EEENS1_30default_config_static_selectorELNS0_4arch9wavefront6targetE1EEEvT1_.num_vgpr, 0
	.set _ZN7rocprim17ROCPRIM_400000_NS6detail17trampoline_kernelINS0_14default_configENS1_35adjacent_difference_config_selectorILb1EfEEZNS1_24adjacent_difference_implIS3_Lb1ELb0EPKfPfN6thrust23THRUST_200600_302600_NS4plusIfEEEE10hipError_tPvRmT2_T3_mT4_P12ihipStream_tbEUlT_E_NS1_11comp_targetILNS1_3genE9ELNS1_11target_archE1100ELNS1_3gpuE3ELNS1_3repE0EEENS1_30default_config_static_selectorELNS0_4arch9wavefront6targetE1EEEvT1_.num_agpr, 0
	.set _ZN7rocprim17ROCPRIM_400000_NS6detail17trampoline_kernelINS0_14default_configENS1_35adjacent_difference_config_selectorILb1EfEEZNS1_24adjacent_difference_implIS3_Lb1ELb0EPKfPfN6thrust23THRUST_200600_302600_NS4plusIfEEEE10hipError_tPvRmT2_T3_mT4_P12ihipStream_tbEUlT_E_NS1_11comp_targetILNS1_3genE9ELNS1_11target_archE1100ELNS1_3gpuE3ELNS1_3repE0EEENS1_30default_config_static_selectorELNS0_4arch9wavefront6targetE1EEEvT1_.numbered_sgpr, 0
	.set _ZN7rocprim17ROCPRIM_400000_NS6detail17trampoline_kernelINS0_14default_configENS1_35adjacent_difference_config_selectorILb1EfEEZNS1_24adjacent_difference_implIS3_Lb1ELb0EPKfPfN6thrust23THRUST_200600_302600_NS4plusIfEEEE10hipError_tPvRmT2_T3_mT4_P12ihipStream_tbEUlT_E_NS1_11comp_targetILNS1_3genE9ELNS1_11target_archE1100ELNS1_3gpuE3ELNS1_3repE0EEENS1_30default_config_static_selectorELNS0_4arch9wavefront6targetE1EEEvT1_.num_named_barrier, 0
	.set _ZN7rocprim17ROCPRIM_400000_NS6detail17trampoline_kernelINS0_14default_configENS1_35adjacent_difference_config_selectorILb1EfEEZNS1_24adjacent_difference_implIS3_Lb1ELb0EPKfPfN6thrust23THRUST_200600_302600_NS4plusIfEEEE10hipError_tPvRmT2_T3_mT4_P12ihipStream_tbEUlT_E_NS1_11comp_targetILNS1_3genE9ELNS1_11target_archE1100ELNS1_3gpuE3ELNS1_3repE0EEENS1_30default_config_static_selectorELNS0_4arch9wavefront6targetE1EEEvT1_.private_seg_size, 0
	.set _ZN7rocprim17ROCPRIM_400000_NS6detail17trampoline_kernelINS0_14default_configENS1_35adjacent_difference_config_selectorILb1EfEEZNS1_24adjacent_difference_implIS3_Lb1ELb0EPKfPfN6thrust23THRUST_200600_302600_NS4plusIfEEEE10hipError_tPvRmT2_T3_mT4_P12ihipStream_tbEUlT_E_NS1_11comp_targetILNS1_3genE9ELNS1_11target_archE1100ELNS1_3gpuE3ELNS1_3repE0EEENS1_30default_config_static_selectorELNS0_4arch9wavefront6targetE1EEEvT1_.uses_vcc, 0
	.set _ZN7rocprim17ROCPRIM_400000_NS6detail17trampoline_kernelINS0_14default_configENS1_35adjacent_difference_config_selectorILb1EfEEZNS1_24adjacent_difference_implIS3_Lb1ELb0EPKfPfN6thrust23THRUST_200600_302600_NS4plusIfEEEE10hipError_tPvRmT2_T3_mT4_P12ihipStream_tbEUlT_E_NS1_11comp_targetILNS1_3genE9ELNS1_11target_archE1100ELNS1_3gpuE3ELNS1_3repE0EEENS1_30default_config_static_selectorELNS0_4arch9wavefront6targetE1EEEvT1_.uses_flat_scratch, 0
	.set _ZN7rocprim17ROCPRIM_400000_NS6detail17trampoline_kernelINS0_14default_configENS1_35adjacent_difference_config_selectorILb1EfEEZNS1_24adjacent_difference_implIS3_Lb1ELb0EPKfPfN6thrust23THRUST_200600_302600_NS4plusIfEEEE10hipError_tPvRmT2_T3_mT4_P12ihipStream_tbEUlT_E_NS1_11comp_targetILNS1_3genE9ELNS1_11target_archE1100ELNS1_3gpuE3ELNS1_3repE0EEENS1_30default_config_static_selectorELNS0_4arch9wavefront6targetE1EEEvT1_.has_dyn_sized_stack, 0
	.set _ZN7rocprim17ROCPRIM_400000_NS6detail17trampoline_kernelINS0_14default_configENS1_35adjacent_difference_config_selectorILb1EfEEZNS1_24adjacent_difference_implIS3_Lb1ELb0EPKfPfN6thrust23THRUST_200600_302600_NS4plusIfEEEE10hipError_tPvRmT2_T3_mT4_P12ihipStream_tbEUlT_E_NS1_11comp_targetILNS1_3genE9ELNS1_11target_archE1100ELNS1_3gpuE3ELNS1_3repE0EEENS1_30default_config_static_selectorELNS0_4arch9wavefront6targetE1EEEvT1_.has_recursion, 0
	.set _ZN7rocprim17ROCPRIM_400000_NS6detail17trampoline_kernelINS0_14default_configENS1_35adjacent_difference_config_selectorILb1EfEEZNS1_24adjacent_difference_implIS3_Lb1ELb0EPKfPfN6thrust23THRUST_200600_302600_NS4plusIfEEEE10hipError_tPvRmT2_T3_mT4_P12ihipStream_tbEUlT_E_NS1_11comp_targetILNS1_3genE9ELNS1_11target_archE1100ELNS1_3gpuE3ELNS1_3repE0EEENS1_30default_config_static_selectorELNS0_4arch9wavefront6targetE1EEEvT1_.has_indirect_call, 0
	.section	.AMDGPU.csdata,"",@progbits
; Kernel info:
; codeLenInByte = 0
; TotalNumSgprs: 4
; NumVgprs: 0
; ScratchSize: 0
; MemoryBound: 0
; FloatMode: 240
; IeeeMode: 1
; LDSByteSize: 0 bytes/workgroup (compile time only)
; SGPRBlocks: 0
; VGPRBlocks: 0
; NumSGPRsForWavesPerEU: 4
; NumVGPRsForWavesPerEU: 1
; Occupancy: 10
; WaveLimiterHint : 0
; COMPUTE_PGM_RSRC2:SCRATCH_EN: 0
; COMPUTE_PGM_RSRC2:USER_SGPR: 6
; COMPUTE_PGM_RSRC2:TRAP_HANDLER: 0
; COMPUTE_PGM_RSRC2:TGID_X_EN: 1
; COMPUTE_PGM_RSRC2:TGID_Y_EN: 0
; COMPUTE_PGM_RSRC2:TGID_Z_EN: 0
; COMPUTE_PGM_RSRC2:TIDIG_COMP_CNT: 0
	.section	.text._ZN7rocprim17ROCPRIM_400000_NS6detail17trampoline_kernelINS0_14default_configENS1_35adjacent_difference_config_selectorILb1EfEEZNS1_24adjacent_difference_implIS3_Lb1ELb0EPKfPfN6thrust23THRUST_200600_302600_NS4plusIfEEEE10hipError_tPvRmT2_T3_mT4_P12ihipStream_tbEUlT_E_NS1_11comp_targetILNS1_3genE8ELNS1_11target_archE1030ELNS1_3gpuE2ELNS1_3repE0EEENS1_30default_config_static_selectorELNS0_4arch9wavefront6targetE1EEEvT1_,"axG",@progbits,_ZN7rocprim17ROCPRIM_400000_NS6detail17trampoline_kernelINS0_14default_configENS1_35adjacent_difference_config_selectorILb1EfEEZNS1_24adjacent_difference_implIS3_Lb1ELb0EPKfPfN6thrust23THRUST_200600_302600_NS4plusIfEEEE10hipError_tPvRmT2_T3_mT4_P12ihipStream_tbEUlT_E_NS1_11comp_targetILNS1_3genE8ELNS1_11target_archE1030ELNS1_3gpuE2ELNS1_3repE0EEENS1_30default_config_static_selectorELNS0_4arch9wavefront6targetE1EEEvT1_,comdat
	.protected	_ZN7rocprim17ROCPRIM_400000_NS6detail17trampoline_kernelINS0_14default_configENS1_35adjacent_difference_config_selectorILb1EfEEZNS1_24adjacent_difference_implIS3_Lb1ELb0EPKfPfN6thrust23THRUST_200600_302600_NS4plusIfEEEE10hipError_tPvRmT2_T3_mT4_P12ihipStream_tbEUlT_E_NS1_11comp_targetILNS1_3genE8ELNS1_11target_archE1030ELNS1_3gpuE2ELNS1_3repE0EEENS1_30default_config_static_selectorELNS0_4arch9wavefront6targetE1EEEvT1_ ; -- Begin function _ZN7rocprim17ROCPRIM_400000_NS6detail17trampoline_kernelINS0_14default_configENS1_35adjacent_difference_config_selectorILb1EfEEZNS1_24adjacent_difference_implIS3_Lb1ELb0EPKfPfN6thrust23THRUST_200600_302600_NS4plusIfEEEE10hipError_tPvRmT2_T3_mT4_P12ihipStream_tbEUlT_E_NS1_11comp_targetILNS1_3genE8ELNS1_11target_archE1030ELNS1_3gpuE2ELNS1_3repE0EEENS1_30default_config_static_selectorELNS0_4arch9wavefront6targetE1EEEvT1_
	.globl	_ZN7rocprim17ROCPRIM_400000_NS6detail17trampoline_kernelINS0_14default_configENS1_35adjacent_difference_config_selectorILb1EfEEZNS1_24adjacent_difference_implIS3_Lb1ELb0EPKfPfN6thrust23THRUST_200600_302600_NS4plusIfEEEE10hipError_tPvRmT2_T3_mT4_P12ihipStream_tbEUlT_E_NS1_11comp_targetILNS1_3genE8ELNS1_11target_archE1030ELNS1_3gpuE2ELNS1_3repE0EEENS1_30default_config_static_selectorELNS0_4arch9wavefront6targetE1EEEvT1_
	.p2align	8
	.type	_ZN7rocprim17ROCPRIM_400000_NS6detail17trampoline_kernelINS0_14default_configENS1_35adjacent_difference_config_selectorILb1EfEEZNS1_24adjacent_difference_implIS3_Lb1ELb0EPKfPfN6thrust23THRUST_200600_302600_NS4plusIfEEEE10hipError_tPvRmT2_T3_mT4_P12ihipStream_tbEUlT_E_NS1_11comp_targetILNS1_3genE8ELNS1_11target_archE1030ELNS1_3gpuE2ELNS1_3repE0EEENS1_30default_config_static_selectorELNS0_4arch9wavefront6targetE1EEEvT1_,@function
_ZN7rocprim17ROCPRIM_400000_NS6detail17trampoline_kernelINS0_14default_configENS1_35adjacent_difference_config_selectorILb1EfEEZNS1_24adjacent_difference_implIS3_Lb1ELb0EPKfPfN6thrust23THRUST_200600_302600_NS4plusIfEEEE10hipError_tPvRmT2_T3_mT4_P12ihipStream_tbEUlT_E_NS1_11comp_targetILNS1_3genE8ELNS1_11target_archE1030ELNS1_3gpuE2ELNS1_3repE0EEENS1_30default_config_static_selectorELNS0_4arch9wavefront6targetE1EEEvT1_: ; @_ZN7rocprim17ROCPRIM_400000_NS6detail17trampoline_kernelINS0_14default_configENS1_35adjacent_difference_config_selectorILb1EfEEZNS1_24adjacent_difference_implIS3_Lb1ELb0EPKfPfN6thrust23THRUST_200600_302600_NS4plusIfEEEE10hipError_tPvRmT2_T3_mT4_P12ihipStream_tbEUlT_E_NS1_11comp_targetILNS1_3genE8ELNS1_11target_archE1030ELNS1_3gpuE2ELNS1_3repE0EEENS1_30default_config_static_selectorELNS0_4arch9wavefront6targetE1EEEvT1_
; %bb.0:
	.section	.rodata,"a",@progbits
	.p2align	6, 0x0
	.amdhsa_kernel _ZN7rocprim17ROCPRIM_400000_NS6detail17trampoline_kernelINS0_14default_configENS1_35adjacent_difference_config_selectorILb1EfEEZNS1_24adjacent_difference_implIS3_Lb1ELb0EPKfPfN6thrust23THRUST_200600_302600_NS4plusIfEEEE10hipError_tPvRmT2_T3_mT4_P12ihipStream_tbEUlT_E_NS1_11comp_targetILNS1_3genE8ELNS1_11target_archE1030ELNS1_3gpuE2ELNS1_3repE0EEENS1_30default_config_static_selectorELNS0_4arch9wavefront6targetE1EEEvT1_
		.amdhsa_group_segment_fixed_size 0
		.amdhsa_private_segment_fixed_size 0
		.amdhsa_kernarg_size 56
		.amdhsa_user_sgpr_count 6
		.amdhsa_user_sgpr_private_segment_buffer 1
		.amdhsa_user_sgpr_dispatch_ptr 0
		.amdhsa_user_sgpr_queue_ptr 0
		.amdhsa_user_sgpr_kernarg_segment_ptr 1
		.amdhsa_user_sgpr_dispatch_id 0
		.amdhsa_user_sgpr_flat_scratch_init 0
		.amdhsa_user_sgpr_private_segment_size 0
		.amdhsa_uses_dynamic_stack 0
		.amdhsa_system_sgpr_private_segment_wavefront_offset 0
		.amdhsa_system_sgpr_workgroup_id_x 1
		.amdhsa_system_sgpr_workgroup_id_y 0
		.amdhsa_system_sgpr_workgroup_id_z 0
		.amdhsa_system_sgpr_workgroup_info 0
		.amdhsa_system_vgpr_workitem_id 0
		.amdhsa_next_free_vgpr 1
		.amdhsa_next_free_sgpr 0
		.amdhsa_reserve_vcc 0
		.amdhsa_reserve_flat_scratch 0
		.amdhsa_float_round_mode_32 0
		.amdhsa_float_round_mode_16_64 0
		.amdhsa_float_denorm_mode_32 3
		.amdhsa_float_denorm_mode_16_64 3
		.amdhsa_dx10_clamp 1
		.amdhsa_ieee_mode 1
		.amdhsa_fp16_overflow 0
		.amdhsa_exception_fp_ieee_invalid_op 0
		.amdhsa_exception_fp_denorm_src 0
		.amdhsa_exception_fp_ieee_div_zero 0
		.amdhsa_exception_fp_ieee_overflow 0
		.amdhsa_exception_fp_ieee_underflow 0
		.amdhsa_exception_fp_ieee_inexact 0
		.amdhsa_exception_int_div_zero 0
	.end_amdhsa_kernel
	.section	.text._ZN7rocprim17ROCPRIM_400000_NS6detail17trampoline_kernelINS0_14default_configENS1_35adjacent_difference_config_selectorILb1EfEEZNS1_24adjacent_difference_implIS3_Lb1ELb0EPKfPfN6thrust23THRUST_200600_302600_NS4plusIfEEEE10hipError_tPvRmT2_T3_mT4_P12ihipStream_tbEUlT_E_NS1_11comp_targetILNS1_3genE8ELNS1_11target_archE1030ELNS1_3gpuE2ELNS1_3repE0EEENS1_30default_config_static_selectorELNS0_4arch9wavefront6targetE1EEEvT1_,"axG",@progbits,_ZN7rocprim17ROCPRIM_400000_NS6detail17trampoline_kernelINS0_14default_configENS1_35adjacent_difference_config_selectorILb1EfEEZNS1_24adjacent_difference_implIS3_Lb1ELb0EPKfPfN6thrust23THRUST_200600_302600_NS4plusIfEEEE10hipError_tPvRmT2_T3_mT4_P12ihipStream_tbEUlT_E_NS1_11comp_targetILNS1_3genE8ELNS1_11target_archE1030ELNS1_3gpuE2ELNS1_3repE0EEENS1_30default_config_static_selectorELNS0_4arch9wavefront6targetE1EEEvT1_,comdat
.Lfunc_end622:
	.size	_ZN7rocprim17ROCPRIM_400000_NS6detail17trampoline_kernelINS0_14default_configENS1_35adjacent_difference_config_selectorILb1EfEEZNS1_24adjacent_difference_implIS3_Lb1ELb0EPKfPfN6thrust23THRUST_200600_302600_NS4plusIfEEEE10hipError_tPvRmT2_T3_mT4_P12ihipStream_tbEUlT_E_NS1_11comp_targetILNS1_3genE8ELNS1_11target_archE1030ELNS1_3gpuE2ELNS1_3repE0EEENS1_30default_config_static_selectorELNS0_4arch9wavefront6targetE1EEEvT1_, .Lfunc_end622-_ZN7rocprim17ROCPRIM_400000_NS6detail17trampoline_kernelINS0_14default_configENS1_35adjacent_difference_config_selectorILb1EfEEZNS1_24adjacent_difference_implIS3_Lb1ELb0EPKfPfN6thrust23THRUST_200600_302600_NS4plusIfEEEE10hipError_tPvRmT2_T3_mT4_P12ihipStream_tbEUlT_E_NS1_11comp_targetILNS1_3genE8ELNS1_11target_archE1030ELNS1_3gpuE2ELNS1_3repE0EEENS1_30default_config_static_selectorELNS0_4arch9wavefront6targetE1EEEvT1_
                                        ; -- End function
	.set _ZN7rocprim17ROCPRIM_400000_NS6detail17trampoline_kernelINS0_14default_configENS1_35adjacent_difference_config_selectorILb1EfEEZNS1_24adjacent_difference_implIS3_Lb1ELb0EPKfPfN6thrust23THRUST_200600_302600_NS4plusIfEEEE10hipError_tPvRmT2_T3_mT4_P12ihipStream_tbEUlT_E_NS1_11comp_targetILNS1_3genE8ELNS1_11target_archE1030ELNS1_3gpuE2ELNS1_3repE0EEENS1_30default_config_static_selectorELNS0_4arch9wavefront6targetE1EEEvT1_.num_vgpr, 0
	.set _ZN7rocprim17ROCPRIM_400000_NS6detail17trampoline_kernelINS0_14default_configENS1_35adjacent_difference_config_selectorILb1EfEEZNS1_24adjacent_difference_implIS3_Lb1ELb0EPKfPfN6thrust23THRUST_200600_302600_NS4plusIfEEEE10hipError_tPvRmT2_T3_mT4_P12ihipStream_tbEUlT_E_NS1_11comp_targetILNS1_3genE8ELNS1_11target_archE1030ELNS1_3gpuE2ELNS1_3repE0EEENS1_30default_config_static_selectorELNS0_4arch9wavefront6targetE1EEEvT1_.num_agpr, 0
	.set _ZN7rocprim17ROCPRIM_400000_NS6detail17trampoline_kernelINS0_14default_configENS1_35adjacent_difference_config_selectorILb1EfEEZNS1_24adjacent_difference_implIS3_Lb1ELb0EPKfPfN6thrust23THRUST_200600_302600_NS4plusIfEEEE10hipError_tPvRmT2_T3_mT4_P12ihipStream_tbEUlT_E_NS1_11comp_targetILNS1_3genE8ELNS1_11target_archE1030ELNS1_3gpuE2ELNS1_3repE0EEENS1_30default_config_static_selectorELNS0_4arch9wavefront6targetE1EEEvT1_.numbered_sgpr, 0
	.set _ZN7rocprim17ROCPRIM_400000_NS6detail17trampoline_kernelINS0_14default_configENS1_35adjacent_difference_config_selectorILb1EfEEZNS1_24adjacent_difference_implIS3_Lb1ELb0EPKfPfN6thrust23THRUST_200600_302600_NS4plusIfEEEE10hipError_tPvRmT2_T3_mT4_P12ihipStream_tbEUlT_E_NS1_11comp_targetILNS1_3genE8ELNS1_11target_archE1030ELNS1_3gpuE2ELNS1_3repE0EEENS1_30default_config_static_selectorELNS0_4arch9wavefront6targetE1EEEvT1_.num_named_barrier, 0
	.set _ZN7rocprim17ROCPRIM_400000_NS6detail17trampoline_kernelINS0_14default_configENS1_35adjacent_difference_config_selectorILb1EfEEZNS1_24adjacent_difference_implIS3_Lb1ELb0EPKfPfN6thrust23THRUST_200600_302600_NS4plusIfEEEE10hipError_tPvRmT2_T3_mT4_P12ihipStream_tbEUlT_E_NS1_11comp_targetILNS1_3genE8ELNS1_11target_archE1030ELNS1_3gpuE2ELNS1_3repE0EEENS1_30default_config_static_selectorELNS0_4arch9wavefront6targetE1EEEvT1_.private_seg_size, 0
	.set _ZN7rocprim17ROCPRIM_400000_NS6detail17trampoline_kernelINS0_14default_configENS1_35adjacent_difference_config_selectorILb1EfEEZNS1_24adjacent_difference_implIS3_Lb1ELb0EPKfPfN6thrust23THRUST_200600_302600_NS4plusIfEEEE10hipError_tPvRmT2_T3_mT4_P12ihipStream_tbEUlT_E_NS1_11comp_targetILNS1_3genE8ELNS1_11target_archE1030ELNS1_3gpuE2ELNS1_3repE0EEENS1_30default_config_static_selectorELNS0_4arch9wavefront6targetE1EEEvT1_.uses_vcc, 0
	.set _ZN7rocprim17ROCPRIM_400000_NS6detail17trampoline_kernelINS0_14default_configENS1_35adjacent_difference_config_selectorILb1EfEEZNS1_24adjacent_difference_implIS3_Lb1ELb0EPKfPfN6thrust23THRUST_200600_302600_NS4plusIfEEEE10hipError_tPvRmT2_T3_mT4_P12ihipStream_tbEUlT_E_NS1_11comp_targetILNS1_3genE8ELNS1_11target_archE1030ELNS1_3gpuE2ELNS1_3repE0EEENS1_30default_config_static_selectorELNS0_4arch9wavefront6targetE1EEEvT1_.uses_flat_scratch, 0
	.set _ZN7rocprim17ROCPRIM_400000_NS6detail17trampoline_kernelINS0_14default_configENS1_35adjacent_difference_config_selectorILb1EfEEZNS1_24adjacent_difference_implIS3_Lb1ELb0EPKfPfN6thrust23THRUST_200600_302600_NS4plusIfEEEE10hipError_tPvRmT2_T3_mT4_P12ihipStream_tbEUlT_E_NS1_11comp_targetILNS1_3genE8ELNS1_11target_archE1030ELNS1_3gpuE2ELNS1_3repE0EEENS1_30default_config_static_selectorELNS0_4arch9wavefront6targetE1EEEvT1_.has_dyn_sized_stack, 0
	.set _ZN7rocprim17ROCPRIM_400000_NS6detail17trampoline_kernelINS0_14default_configENS1_35adjacent_difference_config_selectorILb1EfEEZNS1_24adjacent_difference_implIS3_Lb1ELb0EPKfPfN6thrust23THRUST_200600_302600_NS4plusIfEEEE10hipError_tPvRmT2_T3_mT4_P12ihipStream_tbEUlT_E_NS1_11comp_targetILNS1_3genE8ELNS1_11target_archE1030ELNS1_3gpuE2ELNS1_3repE0EEENS1_30default_config_static_selectorELNS0_4arch9wavefront6targetE1EEEvT1_.has_recursion, 0
	.set _ZN7rocprim17ROCPRIM_400000_NS6detail17trampoline_kernelINS0_14default_configENS1_35adjacent_difference_config_selectorILb1EfEEZNS1_24adjacent_difference_implIS3_Lb1ELb0EPKfPfN6thrust23THRUST_200600_302600_NS4plusIfEEEE10hipError_tPvRmT2_T3_mT4_P12ihipStream_tbEUlT_E_NS1_11comp_targetILNS1_3genE8ELNS1_11target_archE1030ELNS1_3gpuE2ELNS1_3repE0EEENS1_30default_config_static_selectorELNS0_4arch9wavefront6targetE1EEEvT1_.has_indirect_call, 0
	.section	.AMDGPU.csdata,"",@progbits
; Kernel info:
; codeLenInByte = 0
; TotalNumSgprs: 4
; NumVgprs: 0
; ScratchSize: 0
; MemoryBound: 0
; FloatMode: 240
; IeeeMode: 1
; LDSByteSize: 0 bytes/workgroup (compile time only)
; SGPRBlocks: 0
; VGPRBlocks: 0
; NumSGPRsForWavesPerEU: 4
; NumVGPRsForWavesPerEU: 1
; Occupancy: 10
; WaveLimiterHint : 0
; COMPUTE_PGM_RSRC2:SCRATCH_EN: 0
; COMPUTE_PGM_RSRC2:USER_SGPR: 6
; COMPUTE_PGM_RSRC2:TRAP_HANDLER: 0
; COMPUTE_PGM_RSRC2:TGID_X_EN: 1
; COMPUTE_PGM_RSRC2:TGID_Y_EN: 0
; COMPUTE_PGM_RSRC2:TGID_Z_EN: 0
; COMPUTE_PGM_RSRC2:TIDIG_COMP_CNT: 0
	.section	.text._ZN7rocprim17ROCPRIM_400000_NS6detail17trampoline_kernelINS0_14default_configENS1_35adjacent_difference_config_selectorILb0EyEEZNS1_24adjacent_difference_implIS3_Lb0ELb0EPKyPyN6thrust23THRUST_200600_302600_NS4plusIyEEEE10hipError_tPvRmT2_T3_mT4_P12ihipStream_tbEUlT_E_NS1_11comp_targetILNS1_3genE0ELNS1_11target_archE4294967295ELNS1_3gpuE0ELNS1_3repE0EEENS1_30default_config_static_selectorELNS0_4arch9wavefront6targetE1EEEvT1_,"axG",@progbits,_ZN7rocprim17ROCPRIM_400000_NS6detail17trampoline_kernelINS0_14default_configENS1_35adjacent_difference_config_selectorILb0EyEEZNS1_24adjacent_difference_implIS3_Lb0ELb0EPKyPyN6thrust23THRUST_200600_302600_NS4plusIyEEEE10hipError_tPvRmT2_T3_mT4_P12ihipStream_tbEUlT_E_NS1_11comp_targetILNS1_3genE0ELNS1_11target_archE4294967295ELNS1_3gpuE0ELNS1_3repE0EEENS1_30default_config_static_selectorELNS0_4arch9wavefront6targetE1EEEvT1_,comdat
	.protected	_ZN7rocprim17ROCPRIM_400000_NS6detail17trampoline_kernelINS0_14default_configENS1_35adjacent_difference_config_selectorILb0EyEEZNS1_24adjacent_difference_implIS3_Lb0ELb0EPKyPyN6thrust23THRUST_200600_302600_NS4plusIyEEEE10hipError_tPvRmT2_T3_mT4_P12ihipStream_tbEUlT_E_NS1_11comp_targetILNS1_3genE0ELNS1_11target_archE4294967295ELNS1_3gpuE0ELNS1_3repE0EEENS1_30default_config_static_selectorELNS0_4arch9wavefront6targetE1EEEvT1_ ; -- Begin function _ZN7rocprim17ROCPRIM_400000_NS6detail17trampoline_kernelINS0_14default_configENS1_35adjacent_difference_config_selectorILb0EyEEZNS1_24adjacent_difference_implIS3_Lb0ELb0EPKyPyN6thrust23THRUST_200600_302600_NS4plusIyEEEE10hipError_tPvRmT2_T3_mT4_P12ihipStream_tbEUlT_E_NS1_11comp_targetILNS1_3genE0ELNS1_11target_archE4294967295ELNS1_3gpuE0ELNS1_3repE0EEENS1_30default_config_static_selectorELNS0_4arch9wavefront6targetE1EEEvT1_
	.globl	_ZN7rocprim17ROCPRIM_400000_NS6detail17trampoline_kernelINS0_14default_configENS1_35adjacent_difference_config_selectorILb0EyEEZNS1_24adjacent_difference_implIS3_Lb0ELb0EPKyPyN6thrust23THRUST_200600_302600_NS4plusIyEEEE10hipError_tPvRmT2_T3_mT4_P12ihipStream_tbEUlT_E_NS1_11comp_targetILNS1_3genE0ELNS1_11target_archE4294967295ELNS1_3gpuE0ELNS1_3repE0EEENS1_30default_config_static_selectorELNS0_4arch9wavefront6targetE1EEEvT1_
	.p2align	8
	.type	_ZN7rocprim17ROCPRIM_400000_NS6detail17trampoline_kernelINS0_14default_configENS1_35adjacent_difference_config_selectorILb0EyEEZNS1_24adjacent_difference_implIS3_Lb0ELb0EPKyPyN6thrust23THRUST_200600_302600_NS4plusIyEEEE10hipError_tPvRmT2_T3_mT4_P12ihipStream_tbEUlT_E_NS1_11comp_targetILNS1_3genE0ELNS1_11target_archE4294967295ELNS1_3gpuE0ELNS1_3repE0EEENS1_30default_config_static_selectorELNS0_4arch9wavefront6targetE1EEEvT1_,@function
_ZN7rocprim17ROCPRIM_400000_NS6detail17trampoline_kernelINS0_14default_configENS1_35adjacent_difference_config_selectorILb0EyEEZNS1_24adjacent_difference_implIS3_Lb0ELb0EPKyPyN6thrust23THRUST_200600_302600_NS4plusIyEEEE10hipError_tPvRmT2_T3_mT4_P12ihipStream_tbEUlT_E_NS1_11comp_targetILNS1_3genE0ELNS1_11target_archE4294967295ELNS1_3gpuE0ELNS1_3repE0EEENS1_30default_config_static_selectorELNS0_4arch9wavefront6targetE1EEEvT1_: ; @_ZN7rocprim17ROCPRIM_400000_NS6detail17trampoline_kernelINS0_14default_configENS1_35adjacent_difference_config_selectorILb0EyEEZNS1_24adjacent_difference_implIS3_Lb0ELb0EPKyPyN6thrust23THRUST_200600_302600_NS4plusIyEEEE10hipError_tPvRmT2_T3_mT4_P12ihipStream_tbEUlT_E_NS1_11comp_targetILNS1_3genE0ELNS1_11target_archE4294967295ELNS1_3gpuE0ELNS1_3repE0EEENS1_30default_config_static_selectorELNS0_4arch9wavefront6targetE1EEEvT1_
; %bb.0:
	.section	.rodata,"a",@progbits
	.p2align	6, 0x0
	.amdhsa_kernel _ZN7rocprim17ROCPRIM_400000_NS6detail17trampoline_kernelINS0_14default_configENS1_35adjacent_difference_config_selectorILb0EyEEZNS1_24adjacent_difference_implIS3_Lb0ELb0EPKyPyN6thrust23THRUST_200600_302600_NS4plusIyEEEE10hipError_tPvRmT2_T3_mT4_P12ihipStream_tbEUlT_E_NS1_11comp_targetILNS1_3genE0ELNS1_11target_archE4294967295ELNS1_3gpuE0ELNS1_3repE0EEENS1_30default_config_static_selectorELNS0_4arch9wavefront6targetE1EEEvT1_
		.amdhsa_group_segment_fixed_size 0
		.amdhsa_private_segment_fixed_size 0
		.amdhsa_kernarg_size 56
		.amdhsa_user_sgpr_count 6
		.amdhsa_user_sgpr_private_segment_buffer 1
		.amdhsa_user_sgpr_dispatch_ptr 0
		.amdhsa_user_sgpr_queue_ptr 0
		.amdhsa_user_sgpr_kernarg_segment_ptr 1
		.amdhsa_user_sgpr_dispatch_id 0
		.amdhsa_user_sgpr_flat_scratch_init 0
		.amdhsa_user_sgpr_private_segment_size 0
		.amdhsa_uses_dynamic_stack 0
		.amdhsa_system_sgpr_private_segment_wavefront_offset 0
		.amdhsa_system_sgpr_workgroup_id_x 1
		.amdhsa_system_sgpr_workgroup_id_y 0
		.amdhsa_system_sgpr_workgroup_id_z 0
		.amdhsa_system_sgpr_workgroup_info 0
		.amdhsa_system_vgpr_workitem_id 0
		.amdhsa_next_free_vgpr 1
		.amdhsa_next_free_sgpr 0
		.amdhsa_reserve_vcc 0
		.amdhsa_reserve_flat_scratch 0
		.amdhsa_float_round_mode_32 0
		.amdhsa_float_round_mode_16_64 0
		.amdhsa_float_denorm_mode_32 3
		.amdhsa_float_denorm_mode_16_64 3
		.amdhsa_dx10_clamp 1
		.amdhsa_ieee_mode 1
		.amdhsa_fp16_overflow 0
		.amdhsa_exception_fp_ieee_invalid_op 0
		.amdhsa_exception_fp_denorm_src 0
		.amdhsa_exception_fp_ieee_div_zero 0
		.amdhsa_exception_fp_ieee_overflow 0
		.amdhsa_exception_fp_ieee_underflow 0
		.amdhsa_exception_fp_ieee_inexact 0
		.amdhsa_exception_int_div_zero 0
	.end_amdhsa_kernel
	.section	.text._ZN7rocprim17ROCPRIM_400000_NS6detail17trampoline_kernelINS0_14default_configENS1_35adjacent_difference_config_selectorILb0EyEEZNS1_24adjacent_difference_implIS3_Lb0ELb0EPKyPyN6thrust23THRUST_200600_302600_NS4plusIyEEEE10hipError_tPvRmT2_T3_mT4_P12ihipStream_tbEUlT_E_NS1_11comp_targetILNS1_3genE0ELNS1_11target_archE4294967295ELNS1_3gpuE0ELNS1_3repE0EEENS1_30default_config_static_selectorELNS0_4arch9wavefront6targetE1EEEvT1_,"axG",@progbits,_ZN7rocprim17ROCPRIM_400000_NS6detail17trampoline_kernelINS0_14default_configENS1_35adjacent_difference_config_selectorILb0EyEEZNS1_24adjacent_difference_implIS3_Lb0ELb0EPKyPyN6thrust23THRUST_200600_302600_NS4plusIyEEEE10hipError_tPvRmT2_T3_mT4_P12ihipStream_tbEUlT_E_NS1_11comp_targetILNS1_3genE0ELNS1_11target_archE4294967295ELNS1_3gpuE0ELNS1_3repE0EEENS1_30default_config_static_selectorELNS0_4arch9wavefront6targetE1EEEvT1_,comdat
.Lfunc_end623:
	.size	_ZN7rocprim17ROCPRIM_400000_NS6detail17trampoline_kernelINS0_14default_configENS1_35adjacent_difference_config_selectorILb0EyEEZNS1_24adjacent_difference_implIS3_Lb0ELb0EPKyPyN6thrust23THRUST_200600_302600_NS4plusIyEEEE10hipError_tPvRmT2_T3_mT4_P12ihipStream_tbEUlT_E_NS1_11comp_targetILNS1_3genE0ELNS1_11target_archE4294967295ELNS1_3gpuE0ELNS1_3repE0EEENS1_30default_config_static_selectorELNS0_4arch9wavefront6targetE1EEEvT1_, .Lfunc_end623-_ZN7rocprim17ROCPRIM_400000_NS6detail17trampoline_kernelINS0_14default_configENS1_35adjacent_difference_config_selectorILb0EyEEZNS1_24adjacent_difference_implIS3_Lb0ELb0EPKyPyN6thrust23THRUST_200600_302600_NS4plusIyEEEE10hipError_tPvRmT2_T3_mT4_P12ihipStream_tbEUlT_E_NS1_11comp_targetILNS1_3genE0ELNS1_11target_archE4294967295ELNS1_3gpuE0ELNS1_3repE0EEENS1_30default_config_static_selectorELNS0_4arch9wavefront6targetE1EEEvT1_
                                        ; -- End function
	.set _ZN7rocprim17ROCPRIM_400000_NS6detail17trampoline_kernelINS0_14default_configENS1_35adjacent_difference_config_selectorILb0EyEEZNS1_24adjacent_difference_implIS3_Lb0ELb0EPKyPyN6thrust23THRUST_200600_302600_NS4plusIyEEEE10hipError_tPvRmT2_T3_mT4_P12ihipStream_tbEUlT_E_NS1_11comp_targetILNS1_3genE0ELNS1_11target_archE4294967295ELNS1_3gpuE0ELNS1_3repE0EEENS1_30default_config_static_selectorELNS0_4arch9wavefront6targetE1EEEvT1_.num_vgpr, 0
	.set _ZN7rocprim17ROCPRIM_400000_NS6detail17trampoline_kernelINS0_14default_configENS1_35adjacent_difference_config_selectorILb0EyEEZNS1_24adjacent_difference_implIS3_Lb0ELb0EPKyPyN6thrust23THRUST_200600_302600_NS4plusIyEEEE10hipError_tPvRmT2_T3_mT4_P12ihipStream_tbEUlT_E_NS1_11comp_targetILNS1_3genE0ELNS1_11target_archE4294967295ELNS1_3gpuE0ELNS1_3repE0EEENS1_30default_config_static_selectorELNS0_4arch9wavefront6targetE1EEEvT1_.num_agpr, 0
	.set _ZN7rocprim17ROCPRIM_400000_NS6detail17trampoline_kernelINS0_14default_configENS1_35adjacent_difference_config_selectorILb0EyEEZNS1_24adjacent_difference_implIS3_Lb0ELb0EPKyPyN6thrust23THRUST_200600_302600_NS4plusIyEEEE10hipError_tPvRmT2_T3_mT4_P12ihipStream_tbEUlT_E_NS1_11comp_targetILNS1_3genE0ELNS1_11target_archE4294967295ELNS1_3gpuE0ELNS1_3repE0EEENS1_30default_config_static_selectorELNS0_4arch9wavefront6targetE1EEEvT1_.numbered_sgpr, 0
	.set _ZN7rocprim17ROCPRIM_400000_NS6detail17trampoline_kernelINS0_14default_configENS1_35adjacent_difference_config_selectorILb0EyEEZNS1_24adjacent_difference_implIS3_Lb0ELb0EPKyPyN6thrust23THRUST_200600_302600_NS4plusIyEEEE10hipError_tPvRmT2_T3_mT4_P12ihipStream_tbEUlT_E_NS1_11comp_targetILNS1_3genE0ELNS1_11target_archE4294967295ELNS1_3gpuE0ELNS1_3repE0EEENS1_30default_config_static_selectorELNS0_4arch9wavefront6targetE1EEEvT1_.num_named_barrier, 0
	.set _ZN7rocprim17ROCPRIM_400000_NS6detail17trampoline_kernelINS0_14default_configENS1_35adjacent_difference_config_selectorILb0EyEEZNS1_24adjacent_difference_implIS3_Lb0ELb0EPKyPyN6thrust23THRUST_200600_302600_NS4plusIyEEEE10hipError_tPvRmT2_T3_mT4_P12ihipStream_tbEUlT_E_NS1_11comp_targetILNS1_3genE0ELNS1_11target_archE4294967295ELNS1_3gpuE0ELNS1_3repE0EEENS1_30default_config_static_selectorELNS0_4arch9wavefront6targetE1EEEvT1_.private_seg_size, 0
	.set _ZN7rocprim17ROCPRIM_400000_NS6detail17trampoline_kernelINS0_14default_configENS1_35adjacent_difference_config_selectorILb0EyEEZNS1_24adjacent_difference_implIS3_Lb0ELb0EPKyPyN6thrust23THRUST_200600_302600_NS4plusIyEEEE10hipError_tPvRmT2_T3_mT4_P12ihipStream_tbEUlT_E_NS1_11comp_targetILNS1_3genE0ELNS1_11target_archE4294967295ELNS1_3gpuE0ELNS1_3repE0EEENS1_30default_config_static_selectorELNS0_4arch9wavefront6targetE1EEEvT1_.uses_vcc, 0
	.set _ZN7rocprim17ROCPRIM_400000_NS6detail17trampoline_kernelINS0_14default_configENS1_35adjacent_difference_config_selectorILb0EyEEZNS1_24adjacent_difference_implIS3_Lb0ELb0EPKyPyN6thrust23THRUST_200600_302600_NS4plusIyEEEE10hipError_tPvRmT2_T3_mT4_P12ihipStream_tbEUlT_E_NS1_11comp_targetILNS1_3genE0ELNS1_11target_archE4294967295ELNS1_3gpuE0ELNS1_3repE0EEENS1_30default_config_static_selectorELNS0_4arch9wavefront6targetE1EEEvT1_.uses_flat_scratch, 0
	.set _ZN7rocprim17ROCPRIM_400000_NS6detail17trampoline_kernelINS0_14default_configENS1_35adjacent_difference_config_selectorILb0EyEEZNS1_24adjacent_difference_implIS3_Lb0ELb0EPKyPyN6thrust23THRUST_200600_302600_NS4plusIyEEEE10hipError_tPvRmT2_T3_mT4_P12ihipStream_tbEUlT_E_NS1_11comp_targetILNS1_3genE0ELNS1_11target_archE4294967295ELNS1_3gpuE0ELNS1_3repE0EEENS1_30default_config_static_selectorELNS0_4arch9wavefront6targetE1EEEvT1_.has_dyn_sized_stack, 0
	.set _ZN7rocprim17ROCPRIM_400000_NS6detail17trampoline_kernelINS0_14default_configENS1_35adjacent_difference_config_selectorILb0EyEEZNS1_24adjacent_difference_implIS3_Lb0ELb0EPKyPyN6thrust23THRUST_200600_302600_NS4plusIyEEEE10hipError_tPvRmT2_T3_mT4_P12ihipStream_tbEUlT_E_NS1_11comp_targetILNS1_3genE0ELNS1_11target_archE4294967295ELNS1_3gpuE0ELNS1_3repE0EEENS1_30default_config_static_selectorELNS0_4arch9wavefront6targetE1EEEvT1_.has_recursion, 0
	.set _ZN7rocprim17ROCPRIM_400000_NS6detail17trampoline_kernelINS0_14default_configENS1_35adjacent_difference_config_selectorILb0EyEEZNS1_24adjacent_difference_implIS3_Lb0ELb0EPKyPyN6thrust23THRUST_200600_302600_NS4plusIyEEEE10hipError_tPvRmT2_T3_mT4_P12ihipStream_tbEUlT_E_NS1_11comp_targetILNS1_3genE0ELNS1_11target_archE4294967295ELNS1_3gpuE0ELNS1_3repE0EEENS1_30default_config_static_selectorELNS0_4arch9wavefront6targetE1EEEvT1_.has_indirect_call, 0
	.section	.AMDGPU.csdata,"",@progbits
; Kernel info:
; codeLenInByte = 0
; TotalNumSgprs: 4
; NumVgprs: 0
; ScratchSize: 0
; MemoryBound: 0
; FloatMode: 240
; IeeeMode: 1
; LDSByteSize: 0 bytes/workgroup (compile time only)
; SGPRBlocks: 0
; VGPRBlocks: 0
; NumSGPRsForWavesPerEU: 4
; NumVGPRsForWavesPerEU: 1
; Occupancy: 10
; WaveLimiterHint : 0
; COMPUTE_PGM_RSRC2:SCRATCH_EN: 0
; COMPUTE_PGM_RSRC2:USER_SGPR: 6
; COMPUTE_PGM_RSRC2:TRAP_HANDLER: 0
; COMPUTE_PGM_RSRC2:TGID_X_EN: 1
; COMPUTE_PGM_RSRC2:TGID_Y_EN: 0
; COMPUTE_PGM_RSRC2:TGID_Z_EN: 0
; COMPUTE_PGM_RSRC2:TIDIG_COMP_CNT: 0
	.section	.text._ZN7rocprim17ROCPRIM_400000_NS6detail17trampoline_kernelINS0_14default_configENS1_35adjacent_difference_config_selectorILb0EyEEZNS1_24adjacent_difference_implIS3_Lb0ELb0EPKyPyN6thrust23THRUST_200600_302600_NS4plusIyEEEE10hipError_tPvRmT2_T3_mT4_P12ihipStream_tbEUlT_E_NS1_11comp_targetILNS1_3genE10ELNS1_11target_archE1201ELNS1_3gpuE5ELNS1_3repE0EEENS1_30default_config_static_selectorELNS0_4arch9wavefront6targetE1EEEvT1_,"axG",@progbits,_ZN7rocprim17ROCPRIM_400000_NS6detail17trampoline_kernelINS0_14default_configENS1_35adjacent_difference_config_selectorILb0EyEEZNS1_24adjacent_difference_implIS3_Lb0ELb0EPKyPyN6thrust23THRUST_200600_302600_NS4plusIyEEEE10hipError_tPvRmT2_T3_mT4_P12ihipStream_tbEUlT_E_NS1_11comp_targetILNS1_3genE10ELNS1_11target_archE1201ELNS1_3gpuE5ELNS1_3repE0EEENS1_30default_config_static_selectorELNS0_4arch9wavefront6targetE1EEEvT1_,comdat
	.protected	_ZN7rocprim17ROCPRIM_400000_NS6detail17trampoline_kernelINS0_14default_configENS1_35adjacent_difference_config_selectorILb0EyEEZNS1_24adjacent_difference_implIS3_Lb0ELb0EPKyPyN6thrust23THRUST_200600_302600_NS4plusIyEEEE10hipError_tPvRmT2_T3_mT4_P12ihipStream_tbEUlT_E_NS1_11comp_targetILNS1_3genE10ELNS1_11target_archE1201ELNS1_3gpuE5ELNS1_3repE0EEENS1_30default_config_static_selectorELNS0_4arch9wavefront6targetE1EEEvT1_ ; -- Begin function _ZN7rocprim17ROCPRIM_400000_NS6detail17trampoline_kernelINS0_14default_configENS1_35adjacent_difference_config_selectorILb0EyEEZNS1_24adjacent_difference_implIS3_Lb0ELb0EPKyPyN6thrust23THRUST_200600_302600_NS4plusIyEEEE10hipError_tPvRmT2_T3_mT4_P12ihipStream_tbEUlT_E_NS1_11comp_targetILNS1_3genE10ELNS1_11target_archE1201ELNS1_3gpuE5ELNS1_3repE0EEENS1_30default_config_static_selectorELNS0_4arch9wavefront6targetE1EEEvT1_
	.globl	_ZN7rocprim17ROCPRIM_400000_NS6detail17trampoline_kernelINS0_14default_configENS1_35adjacent_difference_config_selectorILb0EyEEZNS1_24adjacent_difference_implIS3_Lb0ELb0EPKyPyN6thrust23THRUST_200600_302600_NS4plusIyEEEE10hipError_tPvRmT2_T3_mT4_P12ihipStream_tbEUlT_E_NS1_11comp_targetILNS1_3genE10ELNS1_11target_archE1201ELNS1_3gpuE5ELNS1_3repE0EEENS1_30default_config_static_selectorELNS0_4arch9wavefront6targetE1EEEvT1_
	.p2align	8
	.type	_ZN7rocprim17ROCPRIM_400000_NS6detail17trampoline_kernelINS0_14default_configENS1_35adjacent_difference_config_selectorILb0EyEEZNS1_24adjacent_difference_implIS3_Lb0ELb0EPKyPyN6thrust23THRUST_200600_302600_NS4plusIyEEEE10hipError_tPvRmT2_T3_mT4_P12ihipStream_tbEUlT_E_NS1_11comp_targetILNS1_3genE10ELNS1_11target_archE1201ELNS1_3gpuE5ELNS1_3repE0EEENS1_30default_config_static_selectorELNS0_4arch9wavefront6targetE1EEEvT1_,@function
_ZN7rocprim17ROCPRIM_400000_NS6detail17trampoline_kernelINS0_14default_configENS1_35adjacent_difference_config_selectorILb0EyEEZNS1_24adjacent_difference_implIS3_Lb0ELb0EPKyPyN6thrust23THRUST_200600_302600_NS4plusIyEEEE10hipError_tPvRmT2_T3_mT4_P12ihipStream_tbEUlT_E_NS1_11comp_targetILNS1_3genE10ELNS1_11target_archE1201ELNS1_3gpuE5ELNS1_3repE0EEENS1_30default_config_static_selectorELNS0_4arch9wavefront6targetE1EEEvT1_: ; @_ZN7rocprim17ROCPRIM_400000_NS6detail17trampoline_kernelINS0_14default_configENS1_35adjacent_difference_config_selectorILb0EyEEZNS1_24adjacent_difference_implIS3_Lb0ELb0EPKyPyN6thrust23THRUST_200600_302600_NS4plusIyEEEE10hipError_tPvRmT2_T3_mT4_P12ihipStream_tbEUlT_E_NS1_11comp_targetILNS1_3genE10ELNS1_11target_archE1201ELNS1_3gpuE5ELNS1_3repE0EEENS1_30default_config_static_selectorELNS0_4arch9wavefront6targetE1EEEvT1_
; %bb.0:
	.section	.rodata,"a",@progbits
	.p2align	6, 0x0
	.amdhsa_kernel _ZN7rocprim17ROCPRIM_400000_NS6detail17trampoline_kernelINS0_14default_configENS1_35adjacent_difference_config_selectorILb0EyEEZNS1_24adjacent_difference_implIS3_Lb0ELb0EPKyPyN6thrust23THRUST_200600_302600_NS4plusIyEEEE10hipError_tPvRmT2_T3_mT4_P12ihipStream_tbEUlT_E_NS1_11comp_targetILNS1_3genE10ELNS1_11target_archE1201ELNS1_3gpuE5ELNS1_3repE0EEENS1_30default_config_static_selectorELNS0_4arch9wavefront6targetE1EEEvT1_
		.amdhsa_group_segment_fixed_size 0
		.amdhsa_private_segment_fixed_size 0
		.amdhsa_kernarg_size 56
		.amdhsa_user_sgpr_count 6
		.amdhsa_user_sgpr_private_segment_buffer 1
		.amdhsa_user_sgpr_dispatch_ptr 0
		.amdhsa_user_sgpr_queue_ptr 0
		.amdhsa_user_sgpr_kernarg_segment_ptr 1
		.amdhsa_user_sgpr_dispatch_id 0
		.amdhsa_user_sgpr_flat_scratch_init 0
		.amdhsa_user_sgpr_private_segment_size 0
		.amdhsa_uses_dynamic_stack 0
		.amdhsa_system_sgpr_private_segment_wavefront_offset 0
		.amdhsa_system_sgpr_workgroup_id_x 1
		.amdhsa_system_sgpr_workgroup_id_y 0
		.amdhsa_system_sgpr_workgroup_id_z 0
		.amdhsa_system_sgpr_workgroup_info 0
		.amdhsa_system_vgpr_workitem_id 0
		.amdhsa_next_free_vgpr 1
		.amdhsa_next_free_sgpr 0
		.amdhsa_reserve_vcc 0
		.amdhsa_reserve_flat_scratch 0
		.amdhsa_float_round_mode_32 0
		.amdhsa_float_round_mode_16_64 0
		.amdhsa_float_denorm_mode_32 3
		.amdhsa_float_denorm_mode_16_64 3
		.amdhsa_dx10_clamp 1
		.amdhsa_ieee_mode 1
		.amdhsa_fp16_overflow 0
		.amdhsa_exception_fp_ieee_invalid_op 0
		.amdhsa_exception_fp_denorm_src 0
		.amdhsa_exception_fp_ieee_div_zero 0
		.amdhsa_exception_fp_ieee_overflow 0
		.amdhsa_exception_fp_ieee_underflow 0
		.amdhsa_exception_fp_ieee_inexact 0
		.amdhsa_exception_int_div_zero 0
	.end_amdhsa_kernel
	.section	.text._ZN7rocprim17ROCPRIM_400000_NS6detail17trampoline_kernelINS0_14default_configENS1_35adjacent_difference_config_selectorILb0EyEEZNS1_24adjacent_difference_implIS3_Lb0ELb0EPKyPyN6thrust23THRUST_200600_302600_NS4plusIyEEEE10hipError_tPvRmT2_T3_mT4_P12ihipStream_tbEUlT_E_NS1_11comp_targetILNS1_3genE10ELNS1_11target_archE1201ELNS1_3gpuE5ELNS1_3repE0EEENS1_30default_config_static_selectorELNS0_4arch9wavefront6targetE1EEEvT1_,"axG",@progbits,_ZN7rocprim17ROCPRIM_400000_NS6detail17trampoline_kernelINS0_14default_configENS1_35adjacent_difference_config_selectorILb0EyEEZNS1_24adjacent_difference_implIS3_Lb0ELb0EPKyPyN6thrust23THRUST_200600_302600_NS4plusIyEEEE10hipError_tPvRmT2_T3_mT4_P12ihipStream_tbEUlT_E_NS1_11comp_targetILNS1_3genE10ELNS1_11target_archE1201ELNS1_3gpuE5ELNS1_3repE0EEENS1_30default_config_static_selectorELNS0_4arch9wavefront6targetE1EEEvT1_,comdat
.Lfunc_end624:
	.size	_ZN7rocprim17ROCPRIM_400000_NS6detail17trampoline_kernelINS0_14default_configENS1_35adjacent_difference_config_selectorILb0EyEEZNS1_24adjacent_difference_implIS3_Lb0ELb0EPKyPyN6thrust23THRUST_200600_302600_NS4plusIyEEEE10hipError_tPvRmT2_T3_mT4_P12ihipStream_tbEUlT_E_NS1_11comp_targetILNS1_3genE10ELNS1_11target_archE1201ELNS1_3gpuE5ELNS1_3repE0EEENS1_30default_config_static_selectorELNS0_4arch9wavefront6targetE1EEEvT1_, .Lfunc_end624-_ZN7rocprim17ROCPRIM_400000_NS6detail17trampoline_kernelINS0_14default_configENS1_35adjacent_difference_config_selectorILb0EyEEZNS1_24adjacent_difference_implIS3_Lb0ELb0EPKyPyN6thrust23THRUST_200600_302600_NS4plusIyEEEE10hipError_tPvRmT2_T3_mT4_P12ihipStream_tbEUlT_E_NS1_11comp_targetILNS1_3genE10ELNS1_11target_archE1201ELNS1_3gpuE5ELNS1_3repE0EEENS1_30default_config_static_selectorELNS0_4arch9wavefront6targetE1EEEvT1_
                                        ; -- End function
	.set _ZN7rocprim17ROCPRIM_400000_NS6detail17trampoline_kernelINS0_14default_configENS1_35adjacent_difference_config_selectorILb0EyEEZNS1_24adjacent_difference_implIS3_Lb0ELb0EPKyPyN6thrust23THRUST_200600_302600_NS4plusIyEEEE10hipError_tPvRmT2_T3_mT4_P12ihipStream_tbEUlT_E_NS1_11comp_targetILNS1_3genE10ELNS1_11target_archE1201ELNS1_3gpuE5ELNS1_3repE0EEENS1_30default_config_static_selectorELNS0_4arch9wavefront6targetE1EEEvT1_.num_vgpr, 0
	.set _ZN7rocprim17ROCPRIM_400000_NS6detail17trampoline_kernelINS0_14default_configENS1_35adjacent_difference_config_selectorILb0EyEEZNS1_24adjacent_difference_implIS3_Lb0ELb0EPKyPyN6thrust23THRUST_200600_302600_NS4plusIyEEEE10hipError_tPvRmT2_T3_mT4_P12ihipStream_tbEUlT_E_NS1_11comp_targetILNS1_3genE10ELNS1_11target_archE1201ELNS1_3gpuE5ELNS1_3repE0EEENS1_30default_config_static_selectorELNS0_4arch9wavefront6targetE1EEEvT1_.num_agpr, 0
	.set _ZN7rocprim17ROCPRIM_400000_NS6detail17trampoline_kernelINS0_14default_configENS1_35adjacent_difference_config_selectorILb0EyEEZNS1_24adjacent_difference_implIS3_Lb0ELb0EPKyPyN6thrust23THRUST_200600_302600_NS4plusIyEEEE10hipError_tPvRmT2_T3_mT4_P12ihipStream_tbEUlT_E_NS1_11comp_targetILNS1_3genE10ELNS1_11target_archE1201ELNS1_3gpuE5ELNS1_3repE0EEENS1_30default_config_static_selectorELNS0_4arch9wavefront6targetE1EEEvT1_.numbered_sgpr, 0
	.set _ZN7rocprim17ROCPRIM_400000_NS6detail17trampoline_kernelINS0_14default_configENS1_35adjacent_difference_config_selectorILb0EyEEZNS1_24adjacent_difference_implIS3_Lb0ELb0EPKyPyN6thrust23THRUST_200600_302600_NS4plusIyEEEE10hipError_tPvRmT2_T3_mT4_P12ihipStream_tbEUlT_E_NS1_11comp_targetILNS1_3genE10ELNS1_11target_archE1201ELNS1_3gpuE5ELNS1_3repE0EEENS1_30default_config_static_selectorELNS0_4arch9wavefront6targetE1EEEvT1_.num_named_barrier, 0
	.set _ZN7rocprim17ROCPRIM_400000_NS6detail17trampoline_kernelINS0_14default_configENS1_35adjacent_difference_config_selectorILb0EyEEZNS1_24adjacent_difference_implIS3_Lb0ELb0EPKyPyN6thrust23THRUST_200600_302600_NS4plusIyEEEE10hipError_tPvRmT2_T3_mT4_P12ihipStream_tbEUlT_E_NS1_11comp_targetILNS1_3genE10ELNS1_11target_archE1201ELNS1_3gpuE5ELNS1_3repE0EEENS1_30default_config_static_selectorELNS0_4arch9wavefront6targetE1EEEvT1_.private_seg_size, 0
	.set _ZN7rocprim17ROCPRIM_400000_NS6detail17trampoline_kernelINS0_14default_configENS1_35adjacent_difference_config_selectorILb0EyEEZNS1_24adjacent_difference_implIS3_Lb0ELb0EPKyPyN6thrust23THRUST_200600_302600_NS4plusIyEEEE10hipError_tPvRmT2_T3_mT4_P12ihipStream_tbEUlT_E_NS1_11comp_targetILNS1_3genE10ELNS1_11target_archE1201ELNS1_3gpuE5ELNS1_3repE0EEENS1_30default_config_static_selectorELNS0_4arch9wavefront6targetE1EEEvT1_.uses_vcc, 0
	.set _ZN7rocprim17ROCPRIM_400000_NS6detail17trampoline_kernelINS0_14default_configENS1_35adjacent_difference_config_selectorILb0EyEEZNS1_24adjacent_difference_implIS3_Lb0ELb0EPKyPyN6thrust23THRUST_200600_302600_NS4plusIyEEEE10hipError_tPvRmT2_T3_mT4_P12ihipStream_tbEUlT_E_NS1_11comp_targetILNS1_3genE10ELNS1_11target_archE1201ELNS1_3gpuE5ELNS1_3repE0EEENS1_30default_config_static_selectorELNS0_4arch9wavefront6targetE1EEEvT1_.uses_flat_scratch, 0
	.set _ZN7rocprim17ROCPRIM_400000_NS6detail17trampoline_kernelINS0_14default_configENS1_35adjacent_difference_config_selectorILb0EyEEZNS1_24adjacent_difference_implIS3_Lb0ELb0EPKyPyN6thrust23THRUST_200600_302600_NS4plusIyEEEE10hipError_tPvRmT2_T3_mT4_P12ihipStream_tbEUlT_E_NS1_11comp_targetILNS1_3genE10ELNS1_11target_archE1201ELNS1_3gpuE5ELNS1_3repE0EEENS1_30default_config_static_selectorELNS0_4arch9wavefront6targetE1EEEvT1_.has_dyn_sized_stack, 0
	.set _ZN7rocprim17ROCPRIM_400000_NS6detail17trampoline_kernelINS0_14default_configENS1_35adjacent_difference_config_selectorILb0EyEEZNS1_24adjacent_difference_implIS3_Lb0ELb0EPKyPyN6thrust23THRUST_200600_302600_NS4plusIyEEEE10hipError_tPvRmT2_T3_mT4_P12ihipStream_tbEUlT_E_NS1_11comp_targetILNS1_3genE10ELNS1_11target_archE1201ELNS1_3gpuE5ELNS1_3repE0EEENS1_30default_config_static_selectorELNS0_4arch9wavefront6targetE1EEEvT1_.has_recursion, 0
	.set _ZN7rocprim17ROCPRIM_400000_NS6detail17trampoline_kernelINS0_14default_configENS1_35adjacent_difference_config_selectorILb0EyEEZNS1_24adjacent_difference_implIS3_Lb0ELb0EPKyPyN6thrust23THRUST_200600_302600_NS4plusIyEEEE10hipError_tPvRmT2_T3_mT4_P12ihipStream_tbEUlT_E_NS1_11comp_targetILNS1_3genE10ELNS1_11target_archE1201ELNS1_3gpuE5ELNS1_3repE0EEENS1_30default_config_static_selectorELNS0_4arch9wavefront6targetE1EEEvT1_.has_indirect_call, 0
	.section	.AMDGPU.csdata,"",@progbits
; Kernel info:
; codeLenInByte = 0
; TotalNumSgprs: 4
; NumVgprs: 0
; ScratchSize: 0
; MemoryBound: 0
; FloatMode: 240
; IeeeMode: 1
; LDSByteSize: 0 bytes/workgroup (compile time only)
; SGPRBlocks: 0
; VGPRBlocks: 0
; NumSGPRsForWavesPerEU: 4
; NumVGPRsForWavesPerEU: 1
; Occupancy: 10
; WaveLimiterHint : 0
; COMPUTE_PGM_RSRC2:SCRATCH_EN: 0
; COMPUTE_PGM_RSRC2:USER_SGPR: 6
; COMPUTE_PGM_RSRC2:TRAP_HANDLER: 0
; COMPUTE_PGM_RSRC2:TGID_X_EN: 1
; COMPUTE_PGM_RSRC2:TGID_Y_EN: 0
; COMPUTE_PGM_RSRC2:TGID_Z_EN: 0
; COMPUTE_PGM_RSRC2:TIDIG_COMP_CNT: 0
	.section	.text._ZN7rocprim17ROCPRIM_400000_NS6detail17trampoline_kernelINS0_14default_configENS1_35adjacent_difference_config_selectorILb0EyEEZNS1_24adjacent_difference_implIS3_Lb0ELb0EPKyPyN6thrust23THRUST_200600_302600_NS4plusIyEEEE10hipError_tPvRmT2_T3_mT4_P12ihipStream_tbEUlT_E_NS1_11comp_targetILNS1_3genE5ELNS1_11target_archE942ELNS1_3gpuE9ELNS1_3repE0EEENS1_30default_config_static_selectorELNS0_4arch9wavefront6targetE1EEEvT1_,"axG",@progbits,_ZN7rocprim17ROCPRIM_400000_NS6detail17trampoline_kernelINS0_14default_configENS1_35adjacent_difference_config_selectorILb0EyEEZNS1_24adjacent_difference_implIS3_Lb0ELb0EPKyPyN6thrust23THRUST_200600_302600_NS4plusIyEEEE10hipError_tPvRmT2_T3_mT4_P12ihipStream_tbEUlT_E_NS1_11comp_targetILNS1_3genE5ELNS1_11target_archE942ELNS1_3gpuE9ELNS1_3repE0EEENS1_30default_config_static_selectorELNS0_4arch9wavefront6targetE1EEEvT1_,comdat
	.protected	_ZN7rocprim17ROCPRIM_400000_NS6detail17trampoline_kernelINS0_14default_configENS1_35adjacent_difference_config_selectorILb0EyEEZNS1_24adjacent_difference_implIS3_Lb0ELb0EPKyPyN6thrust23THRUST_200600_302600_NS4plusIyEEEE10hipError_tPvRmT2_T3_mT4_P12ihipStream_tbEUlT_E_NS1_11comp_targetILNS1_3genE5ELNS1_11target_archE942ELNS1_3gpuE9ELNS1_3repE0EEENS1_30default_config_static_selectorELNS0_4arch9wavefront6targetE1EEEvT1_ ; -- Begin function _ZN7rocprim17ROCPRIM_400000_NS6detail17trampoline_kernelINS0_14default_configENS1_35adjacent_difference_config_selectorILb0EyEEZNS1_24adjacent_difference_implIS3_Lb0ELb0EPKyPyN6thrust23THRUST_200600_302600_NS4plusIyEEEE10hipError_tPvRmT2_T3_mT4_P12ihipStream_tbEUlT_E_NS1_11comp_targetILNS1_3genE5ELNS1_11target_archE942ELNS1_3gpuE9ELNS1_3repE0EEENS1_30default_config_static_selectorELNS0_4arch9wavefront6targetE1EEEvT1_
	.globl	_ZN7rocprim17ROCPRIM_400000_NS6detail17trampoline_kernelINS0_14default_configENS1_35adjacent_difference_config_selectorILb0EyEEZNS1_24adjacent_difference_implIS3_Lb0ELb0EPKyPyN6thrust23THRUST_200600_302600_NS4plusIyEEEE10hipError_tPvRmT2_T3_mT4_P12ihipStream_tbEUlT_E_NS1_11comp_targetILNS1_3genE5ELNS1_11target_archE942ELNS1_3gpuE9ELNS1_3repE0EEENS1_30default_config_static_selectorELNS0_4arch9wavefront6targetE1EEEvT1_
	.p2align	8
	.type	_ZN7rocprim17ROCPRIM_400000_NS6detail17trampoline_kernelINS0_14default_configENS1_35adjacent_difference_config_selectorILb0EyEEZNS1_24adjacent_difference_implIS3_Lb0ELb0EPKyPyN6thrust23THRUST_200600_302600_NS4plusIyEEEE10hipError_tPvRmT2_T3_mT4_P12ihipStream_tbEUlT_E_NS1_11comp_targetILNS1_3genE5ELNS1_11target_archE942ELNS1_3gpuE9ELNS1_3repE0EEENS1_30default_config_static_selectorELNS0_4arch9wavefront6targetE1EEEvT1_,@function
_ZN7rocprim17ROCPRIM_400000_NS6detail17trampoline_kernelINS0_14default_configENS1_35adjacent_difference_config_selectorILb0EyEEZNS1_24adjacent_difference_implIS3_Lb0ELb0EPKyPyN6thrust23THRUST_200600_302600_NS4plusIyEEEE10hipError_tPvRmT2_T3_mT4_P12ihipStream_tbEUlT_E_NS1_11comp_targetILNS1_3genE5ELNS1_11target_archE942ELNS1_3gpuE9ELNS1_3repE0EEENS1_30default_config_static_selectorELNS0_4arch9wavefront6targetE1EEEvT1_: ; @_ZN7rocprim17ROCPRIM_400000_NS6detail17trampoline_kernelINS0_14default_configENS1_35adjacent_difference_config_selectorILb0EyEEZNS1_24adjacent_difference_implIS3_Lb0ELb0EPKyPyN6thrust23THRUST_200600_302600_NS4plusIyEEEE10hipError_tPvRmT2_T3_mT4_P12ihipStream_tbEUlT_E_NS1_11comp_targetILNS1_3genE5ELNS1_11target_archE942ELNS1_3gpuE9ELNS1_3repE0EEENS1_30default_config_static_selectorELNS0_4arch9wavefront6targetE1EEEvT1_
; %bb.0:
	.section	.rodata,"a",@progbits
	.p2align	6, 0x0
	.amdhsa_kernel _ZN7rocprim17ROCPRIM_400000_NS6detail17trampoline_kernelINS0_14default_configENS1_35adjacent_difference_config_selectorILb0EyEEZNS1_24adjacent_difference_implIS3_Lb0ELb0EPKyPyN6thrust23THRUST_200600_302600_NS4plusIyEEEE10hipError_tPvRmT2_T3_mT4_P12ihipStream_tbEUlT_E_NS1_11comp_targetILNS1_3genE5ELNS1_11target_archE942ELNS1_3gpuE9ELNS1_3repE0EEENS1_30default_config_static_selectorELNS0_4arch9wavefront6targetE1EEEvT1_
		.amdhsa_group_segment_fixed_size 0
		.amdhsa_private_segment_fixed_size 0
		.amdhsa_kernarg_size 56
		.amdhsa_user_sgpr_count 6
		.amdhsa_user_sgpr_private_segment_buffer 1
		.amdhsa_user_sgpr_dispatch_ptr 0
		.amdhsa_user_sgpr_queue_ptr 0
		.amdhsa_user_sgpr_kernarg_segment_ptr 1
		.amdhsa_user_sgpr_dispatch_id 0
		.amdhsa_user_sgpr_flat_scratch_init 0
		.amdhsa_user_sgpr_private_segment_size 0
		.amdhsa_uses_dynamic_stack 0
		.amdhsa_system_sgpr_private_segment_wavefront_offset 0
		.amdhsa_system_sgpr_workgroup_id_x 1
		.amdhsa_system_sgpr_workgroup_id_y 0
		.amdhsa_system_sgpr_workgroup_id_z 0
		.amdhsa_system_sgpr_workgroup_info 0
		.amdhsa_system_vgpr_workitem_id 0
		.amdhsa_next_free_vgpr 1
		.amdhsa_next_free_sgpr 0
		.amdhsa_reserve_vcc 0
		.amdhsa_reserve_flat_scratch 0
		.amdhsa_float_round_mode_32 0
		.amdhsa_float_round_mode_16_64 0
		.amdhsa_float_denorm_mode_32 3
		.amdhsa_float_denorm_mode_16_64 3
		.amdhsa_dx10_clamp 1
		.amdhsa_ieee_mode 1
		.amdhsa_fp16_overflow 0
		.amdhsa_exception_fp_ieee_invalid_op 0
		.amdhsa_exception_fp_denorm_src 0
		.amdhsa_exception_fp_ieee_div_zero 0
		.amdhsa_exception_fp_ieee_overflow 0
		.amdhsa_exception_fp_ieee_underflow 0
		.amdhsa_exception_fp_ieee_inexact 0
		.amdhsa_exception_int_div_zero 0
	.end_amdhsa_kernel
	.section	.text._ZN7rocprim17ROCPRIM_400000_NS6detail17trampoline_kernelINS0_14default_configENS1_35adjacent_difference_config_selectorILb0EyEEZNS1_24adjacent_difference_implIS3_Lb0ELb0EPKyPyN6thrust23THRUST_200600_302600_NS4plusIyEEEE10hipError_tPvRmT2_T3_mT4_P12ihipStream_tbEUlT_E_NS1_11comp_targetILNS1_3genE5ELNS1_11target_archE942ELNS1_3gpuE9ELNS1_3repE0EEENS1_30default_config_static_selectorELNS0_4arch9wavefront6targetE1EEEvT1_,"axG",@progbits,_ZN7rocprim17ROCPRIM_400000_NS6detail17trampoline_kernelINS0_14default_configENS1_35adjacent_difference_config_selectorILb0EyEEZNS1_24adjacent_difference_implIS3_Lb0ELb0EPKyPyN6thrust23THRUST_200600_302600_NS4plusIyEEEE10hipError_tPvRmT2_T3_mT4_P12ihipStream_tbEUlT_E_NS1_11comp_targetILNS1_3genE5ELNS1_11target_archE942ELNS1_3gpuE9ELNS1_3repE0EEENS1_30default_config_static_selectorELNS0_4arch9wavefront6targetE1EEEvT1_,comdat
.Lfunc_end625:
	.size	_ZN7rocprim17ROCPRIM_400000_NS6detail17trampoline_kernelINS0_14default_configENS1_35adjacent_difference_config_selectorILb0EyEEZNS1_24adjacent_difference_implIS3_Lb0ELb0EPKyPyN6thrust23THRUST_200600_302600_NS4plusIyEEEE10hipError_tPvRmT2_T3_mT4_P12ihipStream_tbEUlT_E_NS1_11comp_targetILNS1_3genE5ELNS1_11target_archE942ELNS1_3gpuE9ELNS1_3repE0EEENS1_30default_config_static_selectorELNS0_4arch9wavefront6targetE1EEEvT1_, .Lfunc_end625-_ZN7rocprim17ROCPRIM_400000_NS6detail17trampoline_kernelINS0_14default_configENS1_35adjacent_difference_config_selectorILb0EyEEZNS1_24adjacent_difference_implIS3_Lb0ELb0EPKyPyN6thrust23THRUST_200600_302600_NS4plusIyEEEE10hipError_tPvRmT2_T3_mT4_P12ihipStream_tbEUlT_E_NS1_11comp_targetILNS1_3genE5ELNS1_11target_archE942ELNS1_3gpuE9ELNS1_3repE0EEENS1_30default_config_static_selectorELNS0_4arch9wavefront6targetE1EEEvT1_
                                        ; -- End function
	.set _ZN7rocprim17ROCPRIM_400000_NS6detail17trampoline_kernelINS0_14default_configENS1_35adjacent_difference_config_selectorILb0EyEEZNS1_24adjacent_difference_implIS3_Lb0ELb0EPKyPyN6thrust23THRUST_200600_302600_NS4plusIyEEEE10hipError_tPvRmT2_T3_mT4_P12ihipStream_tbEUlT_E_NS1_11comp_targetILNS1_3genE5ELNS1_11target_archE942ELNS1_3gpuE9ELNS1_3repE0EEENS1_30default_config_static_selectorELNS0_4arch9wavefront6targetE1EEEvT1_.num_vgpr, 0
	.set _ZN7rocprim17ROCPRIM_400000_NS6detail17trampoline_kernelINS0_14default_configENS1_35adjacent_difference_config_selectorILb0EyEEZNS1_24adjacent_difference_implIS3_Lb0ELb0EPKyPyN6thrust23THRUST_200600_302600_NS4plusIyEEEE10hipError_tPvRmT2_T3_mT4_P12ihipStream_tbEUlT_E_NS1_11comp_targetILNS1_3genE5ELNS1_11target_archE942ELNS1_3gpuE9ELNS1_3repE0EEENS1_30default_config_static_selectorELNS0_4arch9wavefront6targetE1EEEvT1_.num_agpr, 0
	.set _ZN7rocprim17ROCPRIM_400000_NS6detail17trampoline_kernelINS0_14default_configENS1_35adjacent_difference_config_selectorILb0EyEEZNS1_24adjacent_difference_implIS3_Lb0ELb0EPKyPyN6thrust23THRUST_200600_302600_NS4plusIyEEEE10hipError_tPvRmT2_T3_mT4_P12ihipStream_tbEUlT_E_NS1_11comp_targetILNS1_3genE5ELNS1_11target_archE942ELNS1_3gpuE9ELNS1_3repE0EEENS1_30default_config_static_selectorELNS0_4arch9wavefront6targetE1EEEvT1_.numbered_sgpr, 0
	.set _ZN7rocprim17ROCPRIM_400000_NS6detail17trampoline_kernelINS0_14default_configENS1_35adjacent_difference_config_selectorILb0EyEEZNS1_24adjacent_difference_implIS3_Lb0ELb0EPKyPyN6thrust23THRUST_200600_302600_NS4plusIyEEEE10hipError_tPvRmT2_T3_mT4_P12ihipStream_tbEUlT_E_NS1_11comp_targetILNS1_3genE5ELNS1_11target_archE942ELNS1_3gpuE9ELNS1_3repE0EEENS1_30default_config_static_selectorELNS0_4arch9wavefront6targetE1EEEvT1_.num_named_barrier, 0
	.set _ZN7rocprim17ROCPRIM_400000_NS6detail17trampoline_kernelINS0_14default_configENS1_35adjacent_difference_config_selectorILb0EyEEZNS1_24adjacent_difference_implIS3_Lb0ELb0EPKyPyN6thrust23THRUST_200600_302600_NS4plusIyEEEE10hipError_tPvRmT2_T3_mT4_P12ihipStream_tbEUlT_E_NS1_11comp_targetILNS1_3genE5ELNS1_11target_archE942ELNS1_3gpuE9ELNS1_3repE0EEENS1_30default_config_static_selectorELNS0_4arch9wavefront6targetE1EEEvT1_.private_seg_size, 0
	.set _ZN7rocprim17ROCPRIM_400000_NS6detail17trampoline_kernelINS0_14default_configENS1_35adjacent_difference_config_selectorILb0EyEEZNS1_24adjacent_difference_implIS3_Lb0ELb0EPKyPyN6thrust23THRUST_200600_302600_NS4plusIyEEEE10hipError_tPvRmT2_T3_mT4_P12ihipStream_tbEUlT_E_NS1_11comp_targetILNS1_3genE5ELNS1_11target_archE942ELNS1_3gpuE9ELNS1_3repE0EEENS1_30default_config_static_selectorELNS0_4arch9wavefront6targetE1EEEvT1_.uses_vcc, 0
	.set _ZN7rocprim17ROCPRIM_400000_NS6detail17trampoline_kernelINS0_14default_configENS1_35adjacent_difference_config_selectorILb0EyEEZNS1_24adjacent_difference_implIS3_Lb0ELb0EPKyPyN6thrust23THRUST_200600_302600_NS4plusIyEEEE10hipError_tPvRmT2_T3_mT4_P12ihipStream_tbEUlT_E_NS1_11comp_targetILNS1_3genE5ELNS1_11target_archE942ELNS1_3gpuE9ELNS1_3repE0EEENS1_30default_config_static_selectorELNS0_4arch9wavefront6targetE1EEEvT1_.uses_flat_scratch, 0
	.set _ZN7rocprim17ROCPRIM_400000_NS6detail17trampoline_kernelINS0_14default_configENS1_35adjacent_difference_config_selectorILb0EyEEZNS1_24adjacent_difference_implIS3_Lb0ELb0EPKyPyN6thrust23THRUST_200600_302600_NS4plusIyEEEE10hipError_tPvRmT2_T3_mT4_P12ihipStream_tbEUlT_E_NS1_11comp_targetILNS1_3genE5ELNS1_11target_archE942ELNS1_3gpuE9ELNS1_3repE0EEENS1_30default_config_static_selectorELNS0_4arch9wavefront6targetE1EEEvT1_.has_dyn_sized_stack, 0
	.set _ZN7rocprim17ROCPRIM_400000_NS6detail17trampoline_kernelINS0_14default_configENS1_35adjacent_difference_config_selectorILb0EyEEZNS1_24adjacent_difference_implIS3_Lb0ELb0EPKyPyN6thrust23THRUST_200600_302600_NS4plusIyEEEE10hipError_tPvRmT2_T3_mT4_P12ihipStream_tbEUlT_E_NS1_11comp_targetILNS1_3genE5ELNS1_11target_archE942ELNS1_3gpuE9ELNS1_3repE0EEENS1_30default_config_static_selectorELNS0_4arch9wavefront6targetE1EEEvT1_.has_recursion, 0
	.set _ZN7rocprim17ROCPRIM_400000_NS6detail17trampoline_kernelINS0_14default_configENS1_35adjacent_difference_config_selectorILb0EyEEZNS1_24adjacent_difference_implIS3_Lb0ELb0EPKyPyN6thrust23THRUST_200600_302600_NS4plusIyEEEE10hipError_tPvRmT2_T3_mT4_P12ihipStream_tbEUlT_E_NS1_11comp_targetILNS1_3genE5ELNS1_11target_archE942ELNS1_3gpuE9ELNS1_3repE0EEENS1_30default_config_static_selectorELNS0_4arch9wavefront6targetE1EEEvT1_.has_indirect_call, 0
	.section	.AMDGPU.csdata,"",@progbits
; Kernel info:
; codeLenInByte = 0
; TotalNumSgprs: 4
; NumVgprs: 0
; ScratchSize: 0
; MemoryBound: 0
; FloatMode: 240
; IeeeMode: 1
; LDSByteSize: 0 bytes/workgroup (compile time only)
; SGPRBlocks: 0
; VGPRBlocks: 0
; NumSGPRsForWavesPerEU: 4
; NumVGPRsForWavesPerEU: 1
; Occupancy: 10
; WaveLimiterHint : 0
; COMPUTE_PGM_RSRC2:SCRATCH_EN: 0
; COMPUTE_PGM_RSRC2:USER_SGPR: 6
; COMPUTE_PGM_RSRC2:TRAP_HANDLER: 0
; COMPUTE_PGM_RSRC2:TGID_X_EN: 1
; COMPUTE_PGM_RSRC2:TGID_Y_EN: 0
; COMPUTE_PGM_RSRC2:TGID_Z_EN: 0
; COMPUTE_PGM_RSRC2:TIDIG_COMP_CNT: 0
	.section	.text._ZN7rocprim17ROCPRIM_400000_NS6detail17trampoline_kernelINS0_14default_configENS1_35adjacent_difference_config_selectorILb0EyEEZNS1_24adjacent_difference_implIS3_Lb0ELb0EPKyPyN6thrust23THRUST_200600_302600_NS4plusIyEEEE10hipError_tPvRmT2_T3_mT4_P12ihipStream_tbEUlT_E_NS1_11comp_targetILNS1_3genE4ELNS1_11target_archE910ELNS1_3gpuE8ELNS1_3repE0EEENS1_30default_config_static_selectorELNS0_4arch9wavefront6targetE1EEEvT1_,"axG",@progbits,_ZN7rocprim17ROCPRIM_400000_NS6detail17trampoline_kernelINS0_14default_configENS1_35adjacent_difference_config_selectorILb0EyEEZNS1_24adjacent_difference_implIS3_Lb0ELb0EPKyPyN6thrust23THRUST_200600_302600_NS4plusIyEEEE10hipError_tPvRmT2_T3_mT4_P12ihipStream_tbEUlT_E_NS1_11comp_targetILNS1_3genE4ELNS1_11target_archE910ELNS1_3gpuE8ELNS1_3repE0EEENS1_30default_config_static_selectorELNS0_4arch9wavefront6targetE1EEEvT1_,comdat
	.protected	_ZN7rocprim17ROCPRIM_400000_NS6detail17trampoline_kernelINS0_14default_configENS1_35adjacent_difference_config_selectorILb0EyEEZNS1_24adjacent_difference_implIS3_Lb0ELb0EPKyPyN6thrust23THRUST_200600_302600_NS4plusIyEEEE10hipError_tPvRmT2_T3_mT4_P12ihipStream_tbEUlT_E_NS1_11comp_targetILNS1_3genE4ELNS1_11target_archE910ELNS1_3gpuE8ELNS1_3repE0EEENS1_30default_config_static_selectorELNS0_4arch9wavefront6targetE1EEEvT1_ ; -- Begin function _ZN7rocprim17ROCPRIM_400000_NS6detail17trampoline_kernelINS0_14default_configENS1_35adjacent_difference_config_selectorILb0EyEEZNS1_24adjacent_difference_implIS3_Lb0ELb0EPKyPyN6thrust23THRUST_200600_302600_NS4plusIyEEEE10hipError_tPvRmT2_T3_mT4_P12ihipStream_tbEUlT_E_NS1_11comp_targetILNS1_3genE4ELNS1_11target_archE910ELNS1_3gpuE8ELNS1_3repE0EEENS1_30default_config_static_selectorELNS0_4arch9wavefront6targetE1EEEvT1_
	.globl	_ZN7rocprim17ROCPRIM_400000_NS6detail17trampoline_kernelINS0_14default_configENS1_35adjacent_difference_config_selectorILb0EyEEZNS1_24adjacent_difference_implIS3_Lb0ELb0EPKyPyN6thrust23THRUST_200600_302600_NS4plusIyEEEE10hipError_tPvRmT2_T3_mT4_P12ihipStream_tbEUlT_E_NS1_11comp_targetILNS1_3genE4ELNS1_11target_archE910ELNS1_3gpuE8ELNS1_3repE0EEENS1_30default_config_static_selectorELNS0_4arch9wavefront6targetE1EEEvT1_
	.p2align	8
	.type	_ZN7rocprim17ROCPRIM_400000_NS6detail17trampoline_kernelINS0_14default_configENS1_35adjacent_difference_config_selectorILb0EyEEZNS1_24adjacent_difference_implIS3_Lb0ELb0EPKyPyN6thrust23THRUST_200600_302600_NS4plusIyEEEE10hipError_tPvRmT2_T3_mT4_P12ihipStream_tbEUlT_E_NS1_11comp_targetILNS1_3genE4ELNS1_11target_archE910ELNS1_3gpuE8ELNS1_3repE0EEENS1_30default_config_static_selectorELNS0_4arch9wavefront6targetE1EEEvT1_,@function
_ZN7rocprim17ROCPRIM_400000_NS6detail17trampoline_kernelINS0_14default_configENS1_35adjacent_difference_config_selectorILb0EyEEZNS1_24adjacent_difference_implIS3_Lb0ELb0EPKyPyN6thrust23THRUST_200600_302600_NS4plusIyEEEE10hipError_tPvRmT2_T3_mT4_P12ihipStream_tbEUlT_E_NS1_11comp_targetILNS1_3genE4ELNS1_11target_archE910ELNS1_3gpuE8ELNS1_3repE0EEENS1_30default_config_static_selectorELNS0_4arch9wavefront6targetE1EEEvT1_: ; @_ZN7rocprim17ROCPRIM_400000_NS6detail17trampoline_kernelINS0_14default_configENS1_35adjacent_difference_config_selectorILb0EyEEZNS1_24adjacent_difference_implIS3_Lb0ELb0EPKyPyN6thrust23THRUST_200600_302600_NS4plusIyEEEE10hipError_tPvRmT2_T3_mT4_P12ihipStream_tbEUlT_E_NS1_11comp_targetILNS1_3genE4ELNS1_11target_archE910ELNS1_3gpuE8ELNS1_3repE0EEENS1_30default_config_static_selectorELNS0_4arch9wavefront6targetE1EEEvT1_
; %bb.0:
	.section	.rodata,"a",@progbits
	.p2align	6, 0x0
	.amdhsa_kernel _ZN7rocprim17ROCPRIM_400000_NS6detail17trampoline_kernelINS0_14default_configENS1_35adjacent_difference_config_selectorILb0EyEEZNS1_24adjacent_difference_implIS3_Lb0ELb0EPKyPyN6thrust23THRUST_200600_302600_NS4plusIyEEEE10hipError_tPvRmT2_T3_mT4_P12ihipStream_tbEUlT_E_NS1_11comp_targetILNS1_3genE4ELNS1_11target_archE910ELNS1_3gpuE8ELNS1_3repE0EEENS1_30default_config_static_selectorELNS0_4arch9wavefront6targetE1EEEvT1_
		.amdhsa_group_segment_fixed_size 0
		.amdhsa_private_segment_fixed_size 0
		.amdhsa_kernarg_size 56
		.amdhsa_user_sgpr_count 6
		.amdhsa_user_sgpr_private_segment_buffer 1
		.amdhsa_user_sgpr_dispatch_ptr 0
		.amdhsa_user_sgpr_queue_ptr 0
		.amdhsa_user_sgpr_kernarg_segment_ptr 1
		.amdhsa_user_sgpr_dispatch_id 0
		.amdhsa_user_sgpr_flat_scratch_init 0
		.amdhsa_user_sgpr_private_segment_size 0
		.amdhsa_uses_dynamic_stack 0
		.amdhsa_system_sgpr_private_segment_wavefront_offset 0
		.amdhsa_system_sgpr_workgroup_id_x 1
		.amdhsa_system_sgpr_workgroup_id_y 0
		.amdhsa_system_sgpr_workgroup_id_z 0
		.amdhsa_system_sgpr_workgroup_info 0
		.amdhsa_system_vgpr_workitem_id 0
		.amdhsa_next_free_vgpr 1
		.amdhsa_next_free_sgpr 0
		.amdhsa_reserve_vcc 0
		.amdhsa_reserve_flat_scratch 0
		.amdhsa_float_round_mode_32 0
		.amdhsa_float_round_mode_16_64 0
		.amdhsa_float_denorm_mode_32 3
		.amdhsa_float_denorm_mode_16_64 3
		.amdhsa_dx10_clamp 1
		.amdhsa_ieee_mode 1
		.amdhsa_fp16_overflow 0
		.amdhsa_exception_fp_ieee_invalid_op 0
		.amdhsa_exception_fp_denorm_src 0
		.amdhsa_exception_fp_ieee_div_zero 0
		.amdhsa_exception_fp_ieee_overflow 0
		.amdhsa_exception_fp_ieee_underflow 0
		.amdhsa_exception_fp_ieee_inexact 0
		.amdhsa_exception_int_div_zero 0
	.end_amdhsa_kernel
	.section	.text._ZN7rocprim17ROCPRIM_400000_NS6detail17trampoline_kernelINS0_14default_configENS1_35adjacent_difference_config_selectorILb0EyEEZNS1_24adjacent_difference_implIS3_Lb0ELb0EPKyPyN6thrust23THRUST_200600_302600_NS4plusIyEEEE10hipError_tPvRmT2_T3_mT4_P12ihipStream_tbEUlT_E_NS1_11comp_targetILNS1_3genE4ELNS1_11target_archE910ELNS1_3gpuE8ELNS1_3repE0EEENS1_30default_config_static_selectorELNS0_4arch9wavefront6targetE1EEEvT1_,"axG",@progbits,_ZN7rocprim17ROCPRIM_400000_NS6detail17trampoline_kernelINS0_14default_configENS1_35adjacent_difference_config_selectorILb0EyEEZNS1_24adjacent_difference_implIS3_Lb0ELb0EPKyPyN6thrust23THRUST_200600_302600_NS4plusIyEEEE10hipError_tPvRmT2_T3_mT4_P12ihipStream_tbEUlT_E_NS1_11comp_targetILNS1_3genE4ELNS1_11target_archE910ELNS1_3gpuE8ELNS1_3repE0EEENS1_30default_config_static_selectorELNS0_4arch9wavefront6targetE1EEEvT1_,comdat
.Lfunc_end626:
	.size	_ZN7rocprim17ROCPRIM_400000_NS6detail17trampoline_kernelINS0_14default_configENS1_35adjacent_difference_config_selectorILb0EyEEZNS1_24adjacent_difference_implIS3_Lb0ELb0EPKyPyN6thrust23THRUST_200600_302600_NS4plusIyEEEE10hipError_tPvRmT2_T3_mT4_P12ihipStream_tbEUlT_E_NS1_11comp_targetILNS1_3genE4ELNS1_11target_archE910ELNS1_3gpuE8ELNS1_3repE0EEENS1_30default_config_static_selectorELNS0_4arch9wavefront6targetE1EEEvT1_, .Lfunc_end626-_ZN7rocprim17ROCPRIM_400000_NS6detail17trampoline_kernelINS0_14default_configENS1_35adjacent_difference_config_selectorILb0EyEEZNS1_24adjacent_difference_implIS3_Lb0ELb0EPKyPyN6thrust23THRUST_200600_302600_NS4plusIyEEEE10hipError_tPvRmT2_T3_mT4_P12ihipStream_tbEUlT_E_NS1_11comp_targetILNS1_3genE4ELNS1_11target_archE910ELNS1_3gpuE8ELNS1_3repE0EEENS1_30default_config_static_selectorELNS0_4arch9wavefront6targetE1EEEvT1_
                                        ; -- End function
	.set _ZN7rocprim17ROCPRIM_400000_NS6detail17trampoline_kernelINS0_14default_configENS1_35adjacent_difference_config_selectorILb0EyEEZNS1_24adjacent_difference_implIS3_Lb0ELb0EPKyPyN6thrust23THRUST_200600_302600_NS4plusIyEEEE10hipError_tPvRmT2_T3_mT4_P12ihipStream_tbEUlT_E_NS1_11comp_targetILNS1_3genE4ELNS1_11target_archE910ELNS1_3gpuE8ELNS1_3repE0EEENS1_30default_config_static_selectorELNS0_4arch9wavefront6targetE1EEEvT1_.num_vgpr, 0
	.set _ZN7rocprim17ROCPRIM_400000_NS6detail17trampoline_kernelINS0_14default_configENS1_35adjacent_difference_config_selectorILb0EyEEZNS1_24adjacent_difference_implIS3_Lb0ELb0EPKyPyN6thrust23THRUST_200600_302600_NS4plusIyEEEE10hipError_tPvRmT2_T3_mT4_P12ihipStream_tbEUlT_E_NS1_11comp_targetILNS1_3genE4ELNS1_11target_archE910ELNS1_3gpuE8ELNS1_3repE0EEENS1_30default_config_static_selectorELNS0_4arch9wavefront6targetE1EEEvT1_.num_agpr, 0
	.set _ZN7rocprim17ROCPRIM_400000_NS6detail17trampoline_kernelINS0_14default_configENS1_35adjacent_difference_config_selectorILb0EyEEZNS1_24adjacent_difference_implIS3_Lb0ELb0EPKyPyN6thrust23THRUST_200600_302600_NS4plusIyEEEE10hipError_tPvRmT2_T3_mT4_P12ihipStream_tbEUlT_E_NS1_11comp_targetILNS1_3genE4ELNS1_11target_archE910ELNS1_3gpuE8ELNS1_3repE0EEENS1_30default_config_static_selectorELNS0_4arch9wavefront6targetE1EEEvT1_.numbered_sgpr, 0
	.set _ZN7rocprim17ROCPRIM_400000_NS6detail17trampoline_kernelINS0_14default_configENS1_35adjacent_difference_config_selectorILb0EyEEZNS1_24adjacent_difference_implIS3_Lb0ELb0EPKyPyN6thrust23THRUST_200600_302600_NS4plusIyEEEE10hipError_tPvRmT2_T3_mT4_P12ihipStream_tbEUlT_E_NS1_11comp_targetILNS1_3genE4ELNS1_11target_archE910ELNS1_3gpuE8ELNS1_3repE0EEENS1_30default_config_static_selectorELNS0_4arch9wavefront6targetE1EEEvT1_.num_named_barrier, 0
	.set _ZN7rocprim17ROCPRIM_400000_NS6detail17trampoline_kernelINS0_14default_configENS1_35adjacent_difference_config_selectorILb0EyEEZNS1_24adjacent_difference_implIS3_Lb0ELb0EPKyPyN6thrust23THRUST_200600_302600_NS4plusIyEEEE10hipError_tPvRmT2_T3_mT4_P12ihipStream_tbEUlT_E_NS1_11comp_targetILNS1_3genE4ELNS1_11target_archE910ELNS1_3gpuE8ELNS1_3repE0EEENS1_30default_config_static_selectorELNS0_4arch9wavefront6targetE1EEEvT1_.private_seg_size, 0
	.set _ZN7rocprim17ROCPRIM_400000_NS6detail17trampoline_kernelINS0_14default_configENS1_35adjacent_difference_config_selectorILb0EyEEZNS1_24adjacent_difference_implIS3_Lb0ELb0EPKyPyN6thrust23THRUST_200600_302600_NS4plusIyEEEE10hipError_tPvRmT2_T3_mT4_P12ihipStream_tbEUlT_E_NS1_11comp_targetILNS1_3genE4ELNS1_11target_archE910ELNS1_3gpuE8ELNS1_3repE0EEENS1_30default_config_static_selectorELNS0_4arch9wavefront6targetE1EEEvT1_.uses_vcc, 0
	.set _ZN7rocprim17ROCPRIM_400000_NS6detail17trampoline_kernelINS0_14default_configENS1_35adjacent_difference_config_selectorILb0EyEEZNS1_24adjacent_difference_implIS3_Lb0ELb0EPKyPyN6thrust23THRUST_200600_302600_NS4plusIyEEEE10hipError_tPvRmT2_T3_mT4_P12ihipStream_tbEUlT_E_NS1_11comp_targetILNS1_3genE4ELNS1_11target_archE910ELNS1_3gpuE8ELNS1_3repE0EEENS1_30default_config_static_selectorELNS0_4arch9wavefront6targetE1EEEvT1_.uses_flat_scratch, 0
	.set _ZN7rocprim17ROCPRIM_400000_NS6detail17trampoline_kernelINS0_14default_configENS1_35adjacent_difference_config_selectorILb0EyEEZNS1_24adjacent_difference_implIS3_Lb0ELb0EPKyPyN6thrust23THRUST_200600_302600_NS4plusIyEEEE10hipError_tPvRmT2_T3_mT4_P12ihipStream_tbEUlT_E_NS1_11comp_targetILNS1_3genE4ELNS1_11target_archE910ELNS1_3gpuE8ELNS1_3repE0EEENS1_30default_config_static_selectorELNS0_4arch9wavefront6targetE1EEEvT1_.has_dyn_sized_stack, 0
	.set _ZN7rocprim17ROCPRIM_400000_NS6detail17trampoline_kernelINS0_14default_configENS1_35adjacent_difference_config_selectorILb0EyEEZNS1_24adjacent_difference_implIS3_Lb0ELb0EPKyPyN6thrust23THRUST_200600_302600_NS4plusIyEEEE10hipError_tPvRmT2_T3_mT4_P12ihipStream_tbEUlT_E_NS1_11comp_targetILNS1_3genE4ELNS1_11target_archE910ELNS1_3gpuE8ELNS1_3repE0EEENS1_30default_config_static_selectorELNS0_4arch9wavefront6targetE1EEEvT1_.has_recursion, 0
	.set _ZN7rocprim17ROCPRIM_400000_NS6detail17trampoline_kernelINS0_14default_configENS1_35adjacent_difference_config_selectorILb0EyEEZNS1_24adjacent_difference_implIS3_Lb0ELb0EPKyPyN6thrust23THRUST_200600_302600_NS4plusIyEEEE10hipError_tPvRmT2_T3_mT4_P12ihipStream_tbEUlT_E_NS1_11comp_targetILNS1_3genE4ELNS1_11target_archE910ELNS1_3gpuE8ELNS1_3repE0EEENS1_30default_config_static_selectorELNS0_4arch9wavefront6targetE1EEEvT1_.has_indirect_call, 0
	.section	.AMDGPU.csdata,"",@progbits
; Kernel info:
; codeLenInByte = 0
; TotalNumSgprs: 4
; NumVgprs: 0
; ScratchSize: 0
; MemoryBound: 0
; FloatMode: 240
; IeeeMode: 1
; LDSByteSize: 0 bytes/workgroup (compile time only)
; SGPRBlocks: 0
; VGPRBlocks: 0
; NumSGPRsForWavesPerEU: 4
; NumVGPRsForWavesPerEU: 1
; Occupancy: 10
; WaveLimiterHint : 0
; COMPUTE_PGM_RSRC2:SCRATCH_EN: 0
; COMPUTE_PGM_RSRC2:USER_SGPR: 6
; COMPUTE_PGM_RSRC2:TRAP_HANDLER: 0
; COMPUTE_PGM_RSRC2:TGID_X_EN: 1
; COMPUTE_PGM_RSRC2:TGID_Y_EN: 0
; COMPUTE_PGM_RSRC2:TGID_Z_EN: 0
; COMPUTE_PGM_RSRC2:TIDIG_COMP_CNT: 0
	.section	.text._ZN7rocprim17ROCPRIM_400000_NS6detail17trampoline_kernelINS0_14default_configENS1_35adjacent_difference_config_selectorILb0EyEEZNS1_24adjacent_difference_implIS3_Lb0ELb0EPKyPyN6thrust23THRUST_200600_302600_NS4plusIyEEEE10hipError_tPvRmT2_T3_mT4_P12ihipStream_tbEUlT_E_NS1_11comp_targetILNS1_3genE3ELNS1_11target_archE908ELNS1_3gpuE7ELNS1_3repE0EEENS1_30default_config_static_selectorELNS0_4arch9wavefront6targetE1EEEvT1_,"axG",@progbits,_ZN7rocprim17ROCPRIM_400000_NS6detail17trampoline_kernelINS0_14default_configENS1_35adjacent_difference_config_selectorILb0EyEEZNS1_24adjacent_difference_implIS3_Lb0ELb0EPKyPyN6thrust23THRUST_200600_302600_NS4plusIyEEEE10hipError_tPvRmT2_T3_mT4_P12ihipStream_tbEUlT_E_NS1_11comp_targetILNS1_3genE3ELNS1_11target_archE908ELNS1_3gpuE7ELNS1_3repE0EEENS1_30default_config_static_selectorELNS0_4arch9wavefront6targetE1EEEvT1_,comdat
	.protected	_ZN7rocprim17ROCPRIM_400000_NS6detail17trampoline_kernelINS0_14default_configENS1_35adjacent_difference_config_selectorILb0EyEEZNS1_24adjacent_difference_implIS3_Lb0ELb0EPKyPyN6thrust23THRUST_200600_302600_NS4plusIyEEEE10hipError_tPvRmT2_T3_mT4_P12ihipStream_tbEUlT_E_NS1_11comp_targetILNS1_3genE3ELNS1_11target_archE908ELNS1_3gpuE7ELNS1_3repE0EEENS1_30default_config_static_selectorELNS0_4arch9wavefront6targetE1EEEvT1_ ; -- Begin function _ZN7rocprim17ROCPRIM_400000_NS6detail17trampoline_kernelINS0_14default_configENS1_35adjacent_difference_config_selectorILb0EyEEZNS1_24adjacent_difference_implIS3_Lb0ELb0EPKyPyN6thrust23THRUST_200600_302600_NS4plusIyEEEE10hipError_tPvRmT2_T3_mT4_P12ihipStream_tbEUlT_E_NS1_11comp_targetILNS1_3genE3ELNS1_11target_archE908ELNS1_3gpuE7ELNS1_3repE0EEENS1_30default_config_static_selectorELNS0_4arch9wavefront6targetE1EEEvT1_
	.globl	_ZN7rocprim17ROCPRIM_400000_NS6detail17trampoline_kernelINS0_14default_configENS1_35adjacent_difference_config_selectorILb0EyEEZNS1_24adjacent_difference_implIS3_Lb0ELb0EPKyPyN6thrust23THRUST_200600_302600_NS4plusIyEEEE10hipError_tPvRmT2_T3_mT4_P12ihipStream_tbEUlT_E_NS1_11comp_targetILNS1_3genE3ELNS1_11target_archE908ELNS1_3gpuE7ELNS1_3repE0EEENS1_30default_config_static_selectorELNS0_4arch9wavefront6targetE1EEEvT1_
	.p2align	8
	.type	_ZN7rocprim17ROCPRIM_400000_NS6detail17trampoline_kernelINS0_14default_configENS1_35adjacent_difference_config_selectorILb0EyEEZNS1_24adjacent_difference_implIS3_Lb0ELb0EPKyPyN6thrust23THRUST_200600_302600_NS4plusIyEEEE10hipError_tPvRmT2_T3_mT4_P12ihipStream_tbEUlT_E_NS1_11comp_targetILNS1_3genE3ELNS1_11target_archE908ELNS1_3gpuE7ELNS1_3repE0EEENS1_30default_config_static_selectorELNS0_4arch9wavefront6targetE1EEEvT1_,@function
_ZN7rocprim17ROCPRIM_400000_NS6detail17trampoline_kernelINS0_14default_configENS1_35adjacent_difference_config_selectorILb0EyEEZNS1_24adjacent_difference_implIS3_Lb0ELb0EPKyPyN6thrust23THRUST_200600_302600_NS4plusIyEEEE10hipError_tPvRmT2_T3_mT4_P12ihipStream_tbEUlT_E_NS1_11comp_targetILNS1_3genE3ELNS1_11target_archE908ELNS1_3gpuE7ELNS1_3repE0EEENS1_30default_config_static_selectorELNS0_4arch9wavefront6targetE1EEEvT1_: ; @_ZN7rocprim17ROCPRIM_400000_NS6detail17trampoline_kernelINS0_14default_configENS1_35adjacent_difference_config_selectorILb0EyEEZNS1_24adjacent_difference_implIS3_Lb0ELb0EPKyPyN6thrust23THRUST_200600_302600_NS4plusIyEEEE10hipError_tPvRmT2_T3_mT4_P12ihipStream_tbEUlT_E_NS1_11comp_targetILNS1_3genE3ELNS1_11target_archE908ELNS1_3gpuE7ELNS1_3repE0EEENS1_30default_config_static_selectorELNS0_4arch9wavefront6targetE1EEEvT1_
; %bb.0:
	.section	.rodata,"a",@progbits
	.p2align	6, 0x0
	.amdhsa_kernel _ZN7rocprim17ROCPRIM_400000_NS6detail17trampoline_kernelINS0_14default_configENS1_35adjacent_difference_config_selectorILb0EyEEZNS1_24adjacent_difference_implIS3_Lb0ELb0EPKyPyN6thrust23THRUST_200600_302600_NS4plusIyEEEE10hipError_tPvRmT2_T3_mT4_P12ihipStream_tbEUlT_E_NS1_11comp_targetILNS1_3genE3ELNS1_11target_archE908ELNS1_3gpuE7ELNS1_3repE0EEENS1_30default_config_static_selectorELNS0_4arch9wavefront6targetE1EEEvT1_
		.amdhsa_group_segment_fixed_size 0
		.amdhsa_private_segment_fixed_size 0
		.amdhsa_kernarg_size 56
		.amdhsa_user_sgpr_count 6
		.amdhsa_user_sgpr_private_segment_buffer 1
		.amdhsa_user_sgpr_dispatch_ptr 0
		.amdhsa_user_sgpr_queue_ptr 0
		.amdhsa_user_sgpr_kernarg_segment_ptr 1
		.amdhsa_user_sgpr_dispatch_id 0
		.amdhsa_user_sgpr_flat_scratch_init 0
		.amdhsa_user_sgpr_private_segment_size 0
		.amdhsa_uses_dynamic_stack 0
		.amdhsa_system_sgpr_private_segment_wavefront_offset 0
		.amdhsa_system_sgpr_workgroup_id_x 1
		.amdhsa_system_sgpr_workgroup_id_y 0
		.amdhsa_system_sgpr_workgroup_id_z 0
		.amdhsa_system_sgpr_workgroup_info 0
		.amdhsa_system_vgpr_workitem_id 0
		.amdhsa_next_free_vgpr 1
		.amdhsa_next_free_sgpr 0
		.amdhsa_reserve_vcc 0
		.amdhsa_reserve_flat_scratch 0
		.amdhsa_float_round_mode_32 0
		.amdhsa_float_round_mode_16_64 0
		.amdhsa_float_denorm_mode_32 3
		.amdhsa_float_denorm_mode_16_64 3
		.amdhsa_dx10_clamp 1
		.amdhsa_ieee_mode 1
		.amdhsa_fp16_overflow 0
		.amdhsa_exception_fp_ieee_invalid_op 0
		.amdhsa_exception_fp_denorm_src 0
		.amdhsa_exception_fp_ieee_div_zero 0
		.amdhsa_exception_fp_ieee_overflow 0
		.amdhsa_exception_fp_ieee_underflow 0
		.amdhsa_exception_fp_ieee_inexact 0
		.amdhsa_exception_int_div_zero 0
	.end_amdhsa_kernel
	.section	.text._ZN7rocprim17ROCPRIM_400000_NS6detail17trampoline_kernelINS0_14default_configENS1_35adjacent_difference_config_selectorILb0EyEEZNS1_24adjacent_difference_implIS3_Lb0ELb0EPKyPyN6thrust23THRUST_200600_302600_NS4plusIyEEEE10hipError_tPvRmT2_T3_mT4_P12ihipStream_tbEUlT_E_NS1_11comp_targetILNS1_3genE3ELNS1_11target_archE908ELNS1_3gpuE7ELNS1_3repE0EEENS1_30default_config_static_selectorELNS0_4arch9wavefront6targetE1EEEvT1_,"axG",@progbits,_ZN7rocprim17ROCPRIM_400000_NS6detail17trampoline_kernelINS0_14default_configENS1_35adjacent_difference_config_selectorILb0EyEEZNS1_24adjacent_difference_implIS3_Lb0ELb0EPKyPyN6thrust23THRUST_200600_302600_NS4plusIyEEEE10hipError_tPvRmT2_T3_mT4_P12ihipStream_tbEUlT_E_NS1_11comp_targetILNS1_3genE3ELNS1_11target_archE908ELNS1_3gpuE7ELNS1_3repE0EEENS1_30default_config_static_selectorELNS0_4arch9wavefront6targetE1EEEvT1_,comdat
.Lfunc_end627:
	.size	_ZN7rocprim17ROCPRIM_400000_NS6detail17trampoline_kernelINS0_14default_configENS1_35adjacent_difference_config_selectorILb0EyEEZNS1_24adjacent_difference_implIS3_Lb0ELb0EPKyPyN6thrust23THRUST_200600_302600_NS4plusIyEEEE10hipError_tPvRmT2_T3_mT4_P12ihipStream_tbEUlT_E_NS1_11comp_targetILNS1_3genE3ELNS1_11target_archE908ELNS1_3gpuE7ELNS1_3repE0EEENS1_30default_config_static_selectorELNS0_4arch9wavefront6targetE1EEEvT1_, .Lfunc_end627-_ZN7rocprim17ROCPRIM_400000_NS6detail17trampoline_kernelINS0_14default_configENS1_35adjacent_difference_config_selectorILb0EyEEZNS1_24adjacent_difference_implIS3_Lb0ELb0EPKyPyN6thrust23THRUST_200600_302600_NS4plusIyEEEE10hipError_tPvRmT2_T3_mT4_P12ihipStream_tbEUlT_E_NS1_11comp_targetILNS1_3genE3ELNS1_11target_archE908ELNS1_3gpuE7ELNS1_3repE0EEENS1_30default_config_static_selectorELNS0_4arch9wavefront6targetE1EEEvT1_
                                        ; -- End function
	.set _ZN7rocprim17ROCPRIM_400000_NS6detail17trampoline_kernelINS0_14default_configENS1_35adjacent_difference_config_selectorILb0EyEEZNS1_24adjacent_difference_implIS3_Lb0ELb0EPKyPyN6thrust23THRUST_200600_302600_NS4plusIyEEEE10hipError_tPvRmT2_T3_mT4_P12ihipStream_tbEUlT_E_NS1_11comp_targetILNS1_3genE3ELNS1_11target_archE908ELNS1_3gpuE7ELNS1_3repE0EEENS1_30default_config_static_selectorELNS0_4arch9wavefront6targetE1EEEvT1_.num_vgpr, 0
	.set _ZN7rocprim17ROCPRIM_400000_NS6detail17trampoline_kernelINS0_14default_configENS1_35adjacent_difference_config_selectorILb0EyEEZNS1_24adjacent_difference_implIS3_Lb0ELb0EPKyPyN6thrust23THRUST_200600_302600_NS4plusIyEEEE10hipError_tPvRmT2_T3_mT4_P12ihipStream_tbEUlT_E_NS1_11comp_targetILNS1_3genE3ELNS1_11target_archE908ELNS1_3gpuE7ELNS1_3repE0EEENS1_30default_config_static_selectorELNS0_4arch9wavefront6targetE1EEEvT1_.num_agpr, 0
	.set _ZN7rocprim17ROCPRIM_400000_NS6detail17trampoline_kernelINS0_14default_configENS1_35adjacent_difference_config_selectorILb0EyEEZNS1_24adjacent_difference_implIS3_Lb0ELb0EPKyPyN6thrust23THRUST_200600_302600_NS4plusIyEEEE10hipError_tPvRmT2_T3_mT4_P12ihipStream_tbEUlT_E_NS1_11comp_targetILNS1_3genE3ELNS1_11target_archE908ELNS1_3gpuE7ELNS1_3repE0EEENS1_30default_config_static_selectorELNS0_4arch9wavefront6targetE1EEEvT1_.numbered_sgpr, 0
	.set _ZN7rocprim17ROCPRIM_400000_NS6detail17trampoline_kernelINS0_14default_configENS1_35adjacent_difference_config_selectorILb0EyEEZNS1_24adjacent_difference_implIS3_Lb0ELb0EPKyPyN6thrust23THRUST_200600_302600_NS4plusIyEEEE10hipError_tPvRmT2_T3_mT4_P12ihipStream_tbEUlT_E_NS1_11comp_targetILNS1_3genE3ELNS1_11target_archE908ELNS1_3gpuE7ELNS1_3repE0EEENS1_30default_config_static_selectorELNS0_4arch9wavefront6targetE1EEEvT1_.num_named_barrier, 0
	.set _ZN7rocprim17ROCPRIM_400000_NS6detail17trampoline_kernelINS0_14default_configENS1_35adjacent_difference_config_selectorILb0EyEEZNS1_24adjacent_difference_implIS3_Lb0ELb0EPKyPyN6thrust23THRUST_200600_302600_NS4plusIyEEEE10hipError_tPvRmT2_T3_mT4_P12ihipStream_tbEUlT_E_NS1_11comp_targetILNS1_3genE3ELNS1_11target_archE908ELNS1_3gpuE7ELNS1_3repE0EEENS1_30default_config_static_selectorELNS0_4arch9wavefront6targetE1EEEvT1_.private_seg_size, 0
	.set _ZN7rocprim17ROCPRIM_400000_NS6detail17trampoline_kernelINS0_14default_configENS1_35adjacent_difference_config_selectorILb0EyEEZNS1_24adjacent_difference_implIS3_Lb0ELb0EPKyPyN6thrust23THRUST_200600_302600_NS4plusIyEEEE10hipError_tPvRmT2_T3_mT4_P12ihipStream_tbEUlT_E_NS1_11comp_targetILNS1_3genE3ELNS1_11target_archE908ELNS1_3gpuE7ELNS1_3repE0EEENS1_30default_config_static_selectorELNS0_4arch9wavefront6targetE1EEEvT1_.uses_vcc, 0
	.set _ZN7rocprim17ROCPRIM_400000_NS6detail17trampoline_kernelINS0_14default_configENS1_35adjacent_difference_config_selectorILb0EyEEZNS1_24adjacent_difference_implIS3_Lb0ELb0EPKyPyN6thrust23THRUST_200600_302600_NS4plusIyEEEE10hipError_tPvRmT2_T3_mT4_P12ihipStream_tbEUlT_E_NS1_11comp_targetILNS1_3genE3ELNS1_11target_archE908ELNS1_3gpuE7ELNS1_3repE0EEENS1_30default_config_static_selectorELNS0_4arch9wavefront6targetE1EEEvT1_.uses_flat_scratch, 0
	.set _ZN7rocprim17ROCPRIM_400000_NS6detail17trampoline_kernelINS0_14default_configENS1_35adjacent_difference_config_selectorILb0EyEEZNS1_24adjacent_difference_implIS3_Lb0ELb0EPKyPyN6thrust23THRUST_200600_302600_NS4plusIyEEEE10hipError_tPvRmT2_T3_mT4_P12ihipStream_tbEUlT_E_NS1_11comp_targetILNS1_3genE3ELNS1_11target_archE908ELNS1_3gpuE7ELNS1_3repE0EEENS1_30default_config_static_selectorELNS0_4arch9wavefront6targetE1EEEvT1_.has_dyn_sized_stack, 0
	.set _ZN7rocprim17ROCPRIM_400000_NS6detail17trampoline_kernelINS0_14default_configENS1_35adjacent_difference_config_selectorILb0EyEEZNS1_24adjacent_difference_implIS3_Lb0ELb0EPKyPyN6thrust23THRUST_200600_302600_NS4plusIyEEEE10hipError_tPvRmT2_T3_mT4_P12ihipStream_tbEUlT_E_NS1_11comp_targetILNS1_3genE3ELNS1_11target_archE908ELNS1_3gpuE7ELNS1_3repE0EEENS1_30default_config_static_selectorELNS0_4arch9wavefront6targetE1EEEvT1_.has_recursion, 0
	.set _ZN7rocprim17ROCPRIM_400000_NS6detail17trampoline_kernelINS0_14default_configENS1_35adjacent_difference_config_selectorILb0EyEEZNS1_24adjacent_difference_implIS3_Lb0ELb0EPKyPyN6thrust23THRUST_200600_302600_NS4plusIyEEEE10hipError_tPvRmT2_T3_mT4_P12ihipStream_tbEUlT_E_NS1_11comp_targetILNS1_3genE3ELNS1_11target_archE908ELNS1_3gpuE7ELNS1_3repE0EEENS1_30default_config_static_selectorELNS0_4arch9wavefront6targetE1EEEvT1_.has_indirect_call, 0
	.section	.AMDGPU.csdata,"",@progbits
; Kernel info:
; codeLenInByte = 0
; TotalNumSgprs: 4
; NumVgprs: 0
; ScratchSize: 0
; MemoryBound: 0
; FloatMode: 240
; IeeeMode: 1
; LDSByteSize: 0 bytes/workgroup (compile time only)
; SGPRBlocks: 0
; VGPRBlocks: 0
; NumSGPRsForWavesPerEU: 4
; NumVGPRsForWavesPerEU: 1
; Occupancy: 10
; WaveLimiterHint : 0
; COMPUTE_PGM_RSRC2:SCRATCH_EN: 0
; COMPUTE_PGM_RSRC2:USER_SGPR: 6
; COMPUTE_PGM_RSRC2:TRAP_HANDLER: 0
; COMPUTE_PGM_RSRC2:TGID_X_EN: 1
; COMPUTE_PGM_RSRC2:TGID_Y_EN: 0
; COMPUTE_PGM_RSRC2:TGID_Z_EN: 0
; COMPUTE_PGM_RSRC2:TIDIG_COMP_CNT: 0
	.section	.text._ZN7rocprim17ROCPRIM_400000_NS6detail17trampoline_kernelINS0_14default_configENS1_35adjacent_difference_config_selectorILb0EyEEZNS1_24adjacent_difference_implIS3_Lb0ELb0EPKyPyN6thrust23THRUST_200600_302600_NS4plusIyEEEE10hipError_tPvRmT2_T3_mT4_P12ihipStream_tbEUlT_E_NS1_11comp_targetILNS1_3genE2ELNS1_11target_archE906ELNS1_3gpuE6ELNS1_3repE0EEENS1_30default_config_static_selectorELNS0_4arch9wavefront6targetE1EEEvT1_,"axG",@progbits,_ZN7rocprim17ROCPRIM_400000_NS6detail17trampoline_kernelINS0_14default_configENS1_35adjacent_difference_config_selectorILb0EyEEZNS1_24adjacent_difference_implIS3_Lb0ELb0EPKyPyN6thrust23THRUST_200600_302600_NS4plusIyEEEE10hipError_tPvRmT2_T3_mT4_P12ihipStream_tbEUlT_E_NS1_11comp_targetILNS1_3genE2ELNS1_11target_archE906ELNS1_3gpuE6ELNS1_3repE0EEENS1_30default_config_static_selectorELNS0_4arch9wavefront6targetE1EEEvT1_,comdat
	.protected	_ZN7rocprim17ROCPRIM_400000_NS6detail17trampoline_kernelINS0_14default_configENS1_35adjacent_difference_config_selectorILb0EyEEZNS1_24adjacent_difference_implIS3_Lb0ELb0EPKyPyN6thrust23THRUST_200600_302600_NS4plusIyEEEE10hipError_tPvRmT2_T3_mT4_P12ihipStream_tbEUlT_E_NS1_11comp_targetILNS1_3genE2ELNS1_11target_archE906ELNS1_3gpuE6ELNS1_3repE0EEENS1_30default_config_static_selectorELNS0_4arch9wavefront6targetE1EEEvT1_ ; -- Begin function _ZN7rocprim17ROCPRIM_400000_NS6detail17trampoline_kernelINS0_14default_configENS1_35adjacent_difference_config_selectorILb0EyEEZNS1_24adjacent_difference_implIS3_Lb0ELb0EPKyPyN6thrust23THRUST_200600_302600_NS4plusIyEEEE10hipError_tPvRmT2_T3_mT4_P12ihipStream_tbEUlT_E_NS1_11comp_targetILNS1_3genE2ELNS1_11target_archE906ELNS1_3gpuE6ELNS1_3repE0EEENS1_30default_config_static_selectorELNS0_4arch9wavefront6targetE1EEEvT1_
	.globl	_ZN7rocprim17ROCPRIM_400000_NS6detail17trampoline_kernelINS0_14default_configENS1_35adjacent_difference_config_selectorILb0EyEEZNS1_24adjacent_difference_implIS3_Lb0ELb0EPKyPyN6thrust23THRUST_200600_302600_NS4plusIyEEEE10hipError_tPvRmT2_T3_mT4_P12ihipStream_tbEUlT_E_NS1_11comp_targetILNS1_3genE2ELNS1_11target_archE906ELNS1_3gpuE6ELNS1_3repE0EEENS1_30default_config_static_selectorELNS0_4arch9wavefront6targetE1EEEvT1_
	.p2align	8
	.type	_ZN7rocprim17ROCPRIM_400000_NS6detail17trampoline_kernelINS0_14default_configENS1_35adjacent_difference_config_selectorILb0EyEEZNS1_24adjacent_difference_implIS3_Lb0ELb0EPKyPyN6thrust23THRUST_200600_302600_NS4plusIyEEEE10hipError_tPvRmT2_T3_mT4_P12ihipStream_tbEUlT_E_NS1_11comp_targetILNS1_3genE2ELNS1_11target_archE906ELNS1_3gpuE6ELNS1_3repE0EEENS1_30default_config_static_selectorELNS0_4arch9wavefront6targetE1EEEvT1_,@function
_ZN7rocprim17ROCPRIM_400000_NS6detail17trampoline_kernelINS0_14default_configENS1_35adjacent_difference_config_selectorILb0EyEEZNS1_24adjacent_difference_implIS3_Lb0ELb0EPKyPyN6thrust23THRUST_200600_302600_NS4plusIyEEEE10hipError_tPvRmT2_T3_mT4_P12ihipStream_tbEUlT_E_NS1_11comp_targetILNS1_3genE2ELNS1_11target_archE906ELNS1_3gpuE6ELNS1_3repE0EEENS1_30default_config_static_selectorELNS0_4arch9wavefront6targetE1EEEvT1_: ; @_ZN7rocprim17ROCPRIM_400000_NS6detail17trampoline_kernelINS0_14default_configENS1_35adjacent_difference_config_selectorILb0EyEEZNS1_24adjacent_difference_implIS3_Lb0ELb0EPKyPyN6thrust23THRUST_200600_302600_NS4plusIyEEEE10hipError_tPvRmT2_T3_mT4_P12ihipStream_tbEUlT_E_NS1_11comp_targetILNS1_3genE2ELNS1_11target_archE906ELNS1_3gpuE6ELNS1_3repE0EEENS1_30default_config_static_selectorELNS0_4arch9wavefront6targetE1EEEvT1_
; %bb.0:
	s_load_dwordx8 s[8:15], s[4:5], 0x0
	s_load_dwordx2 s[0:1], s[4:5], 0x30
	s_mov_b32 s5, 0
	s_mov_b64 s[16:17], -1
	s_waitcnt lgkmcnt(0)
	s_lshl_b64 s[10:11], s[10:11], 3
	s_add_u32 s20, s8, s10
	s_addc_u32 s21, s9, s11
	s_lshl_b32 s4, s6, 8
	s_lshr_b64 s[2:3], s[14:15], 8
	s_and_b32 s8, s14, 0xff
	s_mov_b32 s9, s5
	s_cmp_lg_u64 s[8:9], 0
	s_cselect_b64 s[8:9], -1, 0
	v_cndmask_b32_e64 v1, 0, 1, s[8:9]
	v_readfirstlane_b32 s7, v1
	s_add_u32 s2, s2, s7
	s_addc_u32 s3, s3, 0
	s_add_u32 s8, s0, s6
	s_addc_u32 s9, s1, 0
	s_add_u32 s6, s2, -1
	s_addc_u32 s7, s3, -1
	v_mov_b32_e32 v1, s6
	v_mov_b32_e32 v2, s7
	v_cmp_ge_u64_e64 s[0:1], s[8:9], v[1:2]
	s_and_b64 vcc, exec, s[0:1]
	s_cbranch_vccz .LBB628_6
; %bb.1:
	s_lshl_b32 s15, s6, 8
	s_sub_i32 s15, s14, s15
	s_lshl_b64 s[16:17], s[4:5], 3
	s_add_u32 s16, s20, s16
	v_mov_b32_e32 v1, 0
	s_addc_u32 s17, s21, s17
	v_cmp_gt_u32_e32 vcc, s15, v0
	v_mov_b32_e32 v2, v1
	v_mov_b32_e32 v3, v1
	;; [unrolled: 1-line block ×3, first 2 shown]
	s_and_saveexec_b64 s[18:19], vcc
	s_cbranch_execz .LBB628_3
; %bb.2:
	v_lshlrev_b32_e32 v2, 3, v0
	global_load_dwordx2 v[2:3], v2, s[16:17]
	v_mov_b32_e32 v4, v1
	v_mov_b32_e32 v5, v1
	s_waitcnt vmcnt(0)
	v_mov_b32_e32 v1, v2
	v_mov_b32_e32 v2, v3
	;; [unrolled: 1-line block ×4, first 2 shown]
.LBB628_3:
	s_or_b64 exec, exec, s[18:19]
	v_or_b32_e32 v5, 0x80, v0
	v_cmp_gt_u32_e32 vcc, s15, v5
	s_and_saveexec_b64 s[18:19], vcc
	s_cbranch_execz .LBB628_5
; %bb.4:
	v_lshlrev_b32_e32 v3, 3, v0
	global_load_dwordx2 v[3:4], v3, s[16:17] offset:1024
.LBB628_5:
	s_or_b64 exec, exec, s[18:19]
	v_lshrrev_b32_e32 v6, 2, v0
	v_and_b32_e32 v6, 24, v6
	v_lshlrev_b32_e32 v7, 3, v0
	v_add_u32_e32 v6, v6, v7
	ds_write_b64 v6, v[1:2]
	v_lshrrev_b32_e32 v1, 2, v5
	v_and_b32_e32 v1, 56, v1
	v_add_u32_e32 v1, v1, v7
	s_mov_b64 s[16:17], 0
	s_waitcnt vmcnt(0)
	ds_write_b64 v1, v[3:4] offset:1024
	s_waitcnt lgkmcnt(0)
	s_barrier
.LBB628_6:
	s_and_b64 vcc, exec, s[16:17]
	v_lshlrev_b32_e32 v9, 3, v0
	v_lshrrev_b32_e32 v10, 2, v0
	s_cbranch_vccz .LBB628_8
; %bb.7:
	s_lshl_b64 s[16:17], s[4:5], 3
	s_add_u32 s16, s20, s16
	s_addc_u32 s17, s21, s17
	global_load_dwordx2 v[1:2], v9, s[16:17]
	global_load_dwordx2 v[3:4], v9, s[16:17] offset:1024
	v_or_b32_e32 v6, 0x80, v0
	v_and_b32_e32 v5, 24, v10
	v_lshrrev_b32_e32 v6, 2, v6
	v_add_u32_e32 v5, v5, v9
	v_and_b32_e32 v6, 56, v6
	v_add_u32_e32 v6, v6, v9
	s_waitcnt vmcnt(1)
	ds_write_b64 v5, v[1:2]
	s_waitcnt vmcnt(0)
	ds_write_b64 v6, v[3:4] offset:1024
	s_waitcnt lgkmcnt(0)
	s_barrier
.LBB628_8:
	v_lshrrev_b32_e32 v1, 1, v0
	v_and_b32_e32 v1, 56, v1
	v_lshl_add_u32 v11, v0, 4, v1
	ds_read2_b64 v[1:4], v11 offset1:1
	s_cmp_eq_u64 s[8:9], 0
	s_waitcnt lgkmcnt(0)
	s_barrier
	s_cbranch_scc1 .LBB628_13
; %bb.9:
	s_lshl_b64 s[16:17], s[4:5], 3
	s_add_u32 s5, s20, s16
	s_addc_u32 s15, s21, s17
	s_add_u32 s16, s5, -8
	s_addc_u32 s17, s15, -1
	s_load_dwordx2 s[16:17], s[16:17], 0x0
	s_cmp_eq_u64 s[8:9], s[6:7]
	s_cbranch_scc1 .LBB628_14
; %bb.10:
	v_add_co_u32_e32 v5, vcc, v3, v1
	v_addc_co_u32_e32 v6, vcc, v4, v2, vcc
	s_waitcnt lgkmcnt(0)
	v_mov_b32_e32 v7, s16
	v_cmp_ne_u32_e32 vcc, 0, v0
	v_mov_b32_e32 v8, s17
	ds_write_b64 v9, v[3:4]
	s_waitcnt lgkmcnt(0)
	s_barrier
	s_and_saveexec_b64 s[18:19], vcc
; %bb.11:
	v_add_u32_e32 v7, -8, v9
	ds_read_b64 v[7:8], v7
; %bb.12:
	s_or_b64 exec, exec, s[18:19]
	s_cbranch_execz .LBB628_15
	s_branch .LBB628_18
.LBB628_13:
	s_mov_b64 s[8:9], 0
                                        ; implicit-def: $vgpr7_vgpr8
                                        ; implicit-def: $vgpr5_vgpr6
	s_branch .LBB628_19
.LBB628_14:
                                        ; implicit-def: $vgpr5_vgpr6
                                        ; implicit-def: $vgpr7_vgpr8
.LBB628_15:
	s_lshl_b32 s5, s8, 8
	v_lshlrev_b32_e32 v12, 1, v0
	s_sub_i32 s5, s14, s5
	v_or_b32_e32 v5, 1, v12
	v_cmp_gt_u32_e32 vcc, s5, v5
	v_cndmask_b32_e32 v5, 0, v1, vcc
	v_cndmask_b32_e32 v6, 0, v2, vcc
	v_add_co_u32_e32 v5, vcc, v5, v3
	v_addc_co_u32_e32 v6, vcc, v6, v4, vcc
	s_waitcnt lgkmcnt(0)
	v_mov_b32_e32 v7, s16
	v_cmp_ne_u32_e32 vcc, 0, v0
	v_mov_b32_e32 v8, s17
	ds_write_b64 v9, v[3:4]
	s_waitcnt lgkmcnt(0)
	s_barrier
	s_and_saveexec_b64 s[8:9], vcc
; %bb.16:
	v_add_u32_e32 v7, -8, v9
	ds_read_b64 v[7:8], v7
; %bb.17:
	s_or_b64 exec, exec, s[8:9]
	v_cmp_gt_u32_e32 vcc, s5, v12
	s_waitcnt lgkmcnt(0)
	v_cndmask_b32_e32 v8, 0, v8, vcc
	v_cndmask_b32_e32 v7, 0, v7, vcc
.LBB628_18:
	s_waitcnt lgkmcnt(0)
	s_mov_b64 s[8:9], -1
	s_cbranch_execnz .LBB628_27
.LBB628_19:
	s_cmp_lg_u64 s[2:3], 1
	v_cmp_ne_u32_e32 vcc, 0, v0
	s_cbranch_scc0 .LBB628_23
; %bb.20:
	v_add_co_u32_e64 v5, s[2:3], v3, v1
	v_addc_co_u32_e64 v6, s[2:3], v4, v2, s[2:3]
	ds_write_b64 v9, v[3:4]
	s_waitcnt lgkmcnt(0)
	s_barrier
                                        ; implicit-def: $vgpr7_vgpr8
	s_and_saveexec_b64 s[2:3], vcc
; %bb.21:
	v_add_u32_e32 v7, -8, v9
	ds_read_b64 v[7:8], v7
	s_or_b64 s[8:9], s[8:9], exec
; %bb.22:
	s_or_b64 exec, exec, s[2:3]
	s_branch .LBB628_27
.LBB628_23:
                                        ; implicit-def: $vgpr5_vgpr6
                                        ; implicit-def: $vgpr7_vgpr8
	s_cbranch_execz .LBB628_27
; %bb.24:
	s_waitcnt lgkmcnt(0)
	v_lshlrev_b32_e32 v7, 1, v0
	v_or_b32_e32 v5, 1, v7
	v_cmp_gt_u32_e32 vcc, s14, v5
	v_cndmask_b32_e32 v5, 0, v1, vcc
	v_cndmask_b32_e32 v6, 0, v2, vcc
	v_add_co_u32_e32 v5, vcc, v5, v3
	v_addc_co_u32_e32 v6, vcc, v6, v4, vcc
	v_cmp_ne_u32_e32 vcc, 0, v0
	v_cmp_gt_u32_e64 s[2:3], s14, v7
	s_and_b64 s[16:17], vcc, s[2:3]
	ds_write_b64 v9, v[3:4]
	s_waitcnt lgkmcnt(0)
	s_barrier
                                        ; implicit-def: $vgpr7_vgpr8
	s_and_saveexec_b64 s[2:3], s[16:17]
; %bb.25:
	v_add_u32_e32 v3, -8, v9
	ds_read_b64 v[7:8], v3
	s_or_b64 s[8:9], s[8:9], exec
; %bb.26:
	s_or_b64 exec, exec, s[2:3]
.LBB628_27:
	s_and_saveexec_b64 s[2:3], s[8:9]
	s_cbranch_execz .LBB628_29
; %bb.28:
	s_waitcnt lgkmcnt(0)
	v_add_co_u32_e32 v1, vcc, v7, v1
	v_addc_co_u32_e32 v2, vcc, v8, v2, vcc
.LBB628_29:
	s_or_b64 exec, exec, s[2:3]
	s_add_u32 s7, s12, s10
	s_addc_u32 s8, s13, s11
	s_and_b64 vcc, exec, s[0:1]
	s_waitcnt lgkmcnt(0)
	s_barrier
	s_cbranch_vccz .LBB628_33
; %bb.30:
	v_mov_b32_e32 v3, v5
	v_mov_b32_e32 v4, v6
	v_or_b32_e32 v12, 0x80, v0
	ds_write2_b64 v11, v[1:2], v[3:4] offset1:1
	v_lshrrev_b32_e32 v3, 2, v12
	s_lshl_b32 s0, s6, 8
	s_mov_b32 s5, 0
	v_and_b32_e32 v3, 56, v3
	s_sub_i32 s2, s14, s0
	s_lshl_b64 s[0:1], s[4:5], 3
	v_add_u32_e32 v3, v3, v9
	s_add_u32 s0, s7, s0
	s_waitcnt lgkmcnt(0)
	s_barrier
	ds_read_b64 v[3:4], v3 offset:1024
	s_addc_u32 s1, s8, s1
	v_mov_b32_e32 v8, s1
	v_add_co_u32_e32 v7, vcc, s0, v9
	v_addc_co_u32_e32 v8, vcc, 0, v8, vcc
	v_cmp_gt_u32_e32 vcc, s2, v0
	s_and_saveexec_b64 s[0:1], vcc
	s_cbranch_execz .LBB628_32
; %bb.31:
	v_and_b32_e32 v13, 24, v10
	v_lshl_add_u32 v13, v0, 3, v13
	ds_read_b64 v[13:14], v13
	s_waitcnt lgkmcnt(0)
	global_store_dwordx2 v[7:8], v[13:14], off
.LBB628_32:
	s_or_b64 exec, exec, s[0:1]
	v_cmp_gt_u32_e64 s[0:1], s2, v12
	s_branch .LBB628_35
.LBB628_33:
	s_mov_b64 s[0:1], 0
                                        ; implicit-def: $vgpr3_vgpr4
                                        ; implicit-def: $vgpr7_vgpr8
	s_cbranch_execz .LBB628_35
; %bb.34:
	v_or_b32_e32 v0, 0x80, v0
	s_mov_b32 s5, 0
	ds_write2_b64 v11, v[1:2], v[5:6] offset1:1
	v_and_b32_e32 v1, 24, v10
	v_lshrrev_b32_e32 v0, 2, v0
	s_lshl_b64 s[2:3], s[4:5], 3
	v_add_u32_e32 v1, v1, v9
	v_and_b32_e32 v0, 56, v0
	s_add_u32 s2, s7, s2
	s_waitcnt vmcnt(0) lgkmcnt(0)
	s_barrier
	v_add_u32_e32 v2, v0, v9
	ds_read_b64 v[0:1], v1
	ds_read_b64 v[3:4], v2 offset:1024
	s_addc_u32 s3, s8, s3
	v_mov_b32_e32 v2, s3
	v_add_co_u32_e32 v7, vcc, s2, v9
	v_addc_co_u32_e32 v8, vcc, 0, v2, vcc
	s_or_b64 s[0:1], s[0:1], exec
	s_waitcnt lgkmcnt(1)
	global_store_dwordx2 v9, v[0:1], s[2:3]
.LBB628_35:
	s_and_saveexec_b64 s[2:3], s[0:1]
	s_cbranch_execnz .LBB628_37
; %bb.36:
	s_endpgm
.LBB628_37:
	s_waitcnt lgkmcnt(0)
	global_store_dwordx2 v[7:8], v[3:4], off offset:1024
	s_endpgm
	.section	.rodata,"a",@progbits
	.p2align	6, 0x0
	.amdhsa_kernel _ZN7rocprim17ROCPRIM_400000_NS6detail17trampoline_kernelINS0_14default_configENS1_35adjacent_difference_config_selectorILb0EyEEZNS1_24adjacent_difference_implIS3_Lb0ELb0EPKyPyN6thrust23THRUST_200600_302600_NS4plusIyEEEE10hipError_tPvRmT2_T3_mT4_P12ihipStream_tbEUlT_E_NS1_11comp_targetILNS1_3genE2ELNS1_11target_archE906ELNS1_3gpuE6ELNS1_3repE0EEENS1_30default_config_static_selectorELNS0_4arch9wavefront6targetE1EEEvT1_
		.amdhsa_group_segment_fixed_size 2112
		.amdhsa_private_segment_fixed_size 0
		.amdhsa_kernarg_size 56
		.amdhsa_user_sgpr_count 6
		.amdhsa_user_sgpr_private_segment_buffer 1
		.amdhsa_user_sgpr_dispatch_ptr 0
		.amdhsa_user_sgpr_queue_ptr 0
		.amdhsa_user_sgpr_kernarg_segment_ptr 1
		.amdhsa_user_sgpr_dispatch_id 0
		.amdhsa_user_sgpr_flat_scratch_init 0
		.amdhsa_user_sgpr_private_segment_size 0
		.amdhsa_uses_dynamic_stack 0
		.amdhsa_system_sgpr_private_segment_wavefront_offset 0
		.amdhsa_system_sgpr_workgroup_id_x 1
		.amdhsa_system_sgpr_workgroup_id_y 0
		.amdhsa_system_sgpr_workgroup_id_z 0
		.amdhsa_system_sgpr_workgroup_info 0
		.amdhsa_system_vgpr_workitem_id 0
		.amdhsa_next_free_vgpr 29
		.amdhsa_next_free_sgpr 61
		.amdhsa_reserve_vcc 1
		.amdhsa_reserve_flat_scratch 0
		.amdhsa_float_round_mode_32 0
		.amdhsa_float_round_mode_16_64 0
		.amdhsa_float_denorm_mode_32 3
		.amdhsa_float_denorm_mode_16_64 3
		.amdhsa_dx10_clamp 1
		.amdhsa_ieee_mode 1
		.amdhsa_fp16_overflow 0
		.amdhsa_exception_fp_ieee_invalid_op 0
		.amdhsa_exception_fp_denorm_src 0
		.amdhsa_exception_fp_ieee_div_zero 0
		.amdhsa_exception_fp_ieee_overflow 0
		.amdhsa_exception_fp_ieee_underflow 0
		.amdhsa_exception_fp_ieee_inexact 0
		.amdhsa_exception_int_div_zero 0
	.end_amdhsa_kernel
	.section	.text._ZN7rocprim17ROCPRIM_400000_NS6detail17trampoline_kernelINS0_14default_configENS1_35adjacent_difference_config_selectorILb0EyEEZNS1_24adjacent_difference_implIS3_Lb0ELb0EPKyPyN6thrust23THRUST_200600_302600_NS4plusIyEEEE10hipError_tPvRmT2_T3_mT4_P12ihipStream_tbEUlT_E_NS1_11comp_targetILNS1_3genE2ELNS1_11target_archE906ELNS1_3gpuE6ELNS1_3repE0EEENS1_30default_config_static_selectorELNS0_4arch9wavefront6targetE1EEEvT1_,"axG",@progbits,_ZN7rocprim17ROCPRIM_400000_NS6detail17trampoline_kernelINS0_14default_configENS1_35adjacent_difference_config_selectorILb0EyEEZNS1_24adjacent_difference_implIS3_Lb0ELb0EPKyPyN6thrust23THRUST_200600_302600_NS4plusIyEEEE10hipError_tPvRmT2_T3_mT4_P12ihipStream_tbEUlT_E_NS1_11comp_targetILNS1_3genE2ELNS1_11target_archE906ELNS1_3gpuE6ELNS1_3repE0EEENS1_30default_config_static_selectorELNS0_4arch9wavefront6targetE1EEEvT1_,comdat
.Lfunc_end628:
	.size	_ZN7rocprim17ROCPRIM_400000_NS6detail17trampoline_kernelINS0_14default_configENS1_35adjacent_difference_config_selectorILb0EyEEZNS1_24adjacent_difference_implIS3_Lb0ELb0EPKyPyN6thrust23THRUST_200600_302600_NS4plusIyEEEE10hipError_tPvRmT2_T3_mT4_P12ihipStream_tbEUlT_E_NS1_11comp_targetILNS1_3genE2ELNS1_11target_archE906ELNS1_3gpuE6ELNS1_3repE0EEENS1_30default_config_static_selectorELNS0_4arch9wavefront6targetE1EEEvT1_, .Lfunc_end628-_ZN7rocprim17ROCPRIM_400000_NS6detail17trampoline_kernelINS0_14default_configENS1_35adjacent_difference_config_selectorILb0EyEEZNS1_24adjacent_difference_implIS3_Lb0ELb0EPKyPyN6thrust23THRUST_200600_302600_NS4plusIyEEEE10hipError_tPvRmT2_T3_mT4_P12ihipStream_tbEUlT_E_NS1_11comp_targetILNS1_3genE2ELNS1_11target_archE906ELNS1_3gpuE6ELNS1_3repE0EEENS1_30default_config_static_selectorELNS0_4arch9wavefront6targetE1EEEvT1_
                                        ; -- End function
	.set _ZN7rocprim17ROCPRIM_400000_NS6detail17trampoline_kernelINS0_14default_configENS1_35adjacent_difference_config_selectorILb0EyEEZNS1_24adjacent_difference_implIS3_Lb0ELb0EPKyPyN6thrust23THRUST_200600_302600_NS4plusIyEEEE10hipError_tPvRmT2_T3_mT4_P12ihipStream_tbEUlT_E_NS1_11comp_targetILNS1_3genE2ELNS1_11target_archE906ELNS1_3gpuE6ELNS1_3repE0EEENS1_30default_config_static_selectorELNS0_4arch9wavefront6targetE1EEEvT1_.num_vgpr, 15
	.set _ZN7rocprim17ROCPRIM_400000_NS6detail17trampoline_kernelINS0_14default_configENS1_35adjacent_difference_config_selectorILb0EyEEZNS1_24adjacent_difference_implIS3_Lb0ELb0EPKyPyN6thrust23THRUST_200600_302600_NS4plusIyEEEE10hipError_tPvRmT2_T3_mT4_P12ihipStream_tbEUlT_E_NS1_11comp_targetILNS1_3genE2ELNS1_11target_archE906ELNS1_3gpuE6ELNS1_3repE0EEENS1_30default_config_static_selectorELNS0_4arch9wavefront6targetE1EEEvT1_.num_agpr, 0
	.set _ZN7rocprim17ROCPRIM_400000_NS6detail17trampoline_kernelINS0_14default_configENS1_35adjacent_difference_config_selectorILb0EyEEZNS1_24adjacent_difference_implIS3_Lb0ELb0EPKyPyN6thrust23THRUST_200600_302600_NS4plusIyEEEE10hipError_tPvRmT2_T3_mT4_P12ihipStream_tbEUlT_E_NS1_11comp_targetILNS1_3genE2ELNS1_11target_archE906ELNS1_3gpuE6ELNS1_3repE0EEENS1_30default_config_static_selectorELNS0_4arch9wavefront6targetE1EEEvT1_.numbered_sgpr, 22
	.set _ZN7rocprim17ROCPRIM_400000_NS6detail17trampoline_kernelINS0_14default_configENS1_35adjacent_difference_config_selectorILb0EyEEZNS1_24adjacent_difference_implIS3_Lb0ELb0EPKyPyN6thrust23THRUST_200600_302600_NS4plusIyEEEE10hipError_tPvRmT2_T3_mT4_P12ihipStream_tbEUlT_E_NS1_11comp_targetILNS1_3genE2ELNS1_11target_archE906ELNS1_3gpuE6ELNS1_3repE0EEENS1_30default_config_static_selectorELNS0_4arch9wavefront6targetE1EEEvT1_.num_named_barrier, 0
	.set _ZN7rocprim17ROCPRIM_400000_NS6detail17trampoline_kernelINS0_14default_configENS1_35adjacent_difference_config_selectorILb0EyEEZNS1_24adjacent_difference_implIS3_Lb0ELb0EPKyPyN6thrust23THRUST_200600_302600_NS4plusIyEEEE10hipError_tPvRmT2_T3_mT4_P12ihipStream_tbEUlT_E_NS1_11comp_targetILNS1_3genE2ELNS1_11target_archE906ELNS1_3gpuE6ELNS1_3repE0EEENS1_30default_config_static_selectorELNS0_4arch9wavefront6targetE1EEEvT1_.private_seg_size, 0
	.set _ZN7rocprim17ROCPRIM_400000_NS6detail17trampoline_kernelINS0_14default_configENS1_35adjacent_difference_config_selectorILb0EyEEZNS1_24adjacent_difference_implIS3_Lb0ELb0EPKyPyN6thrust23THRUST_200600_302600_NS4plusIyEEEE10hipError_tPvRmT2_T3_mT4_P12ihipStream_tbEUlT_E_NS1_11comp_targetILNS1_3genE2ELNS1_11target_archE906ELNS1_3gpuE6ELNS1_3repE0EEENS1_30default_config_static_selectorELNS0_4arch9wavefront6targetE1EEEvT1_.uses_vcc, 1
	.set _ZN7rocprim17ROCPRIM_400000_NS6detail17trampoline_kernelINS0_14default_configENS1_35adjacent_difference_config_selectorILb0EyEEZNS1_24adjacent_difference_implIS3_Lb0ELb0EPKyPyN6thrust23THRUST_200600_302600_NS4plusIyEEEE10hipError_tPvRmT2_T3_mT4_P12ihipStream_tbEUlT_E_NS1_11comp_targetILNS1_3genE2ELNS1_11target_archE906ELNS1_3gpuE6ELNS1_3repE0EEENS1_30default_config_static_selectorELNS0_4arch9wavefront6targetE1EEEvT1_.uses_flat_scratch, 0
	.set _ZN7rocprim17ROCPRIM_400000_NS6detail17trampoline_kernelINS0_14default_configENS1_35adjacent_difference_config_selectorILb0EyEEZNS1_24adjacent_difference_implIS3_Lb0ELb0EPKyPyN6thrust23THRUST_200600_302600_NS4plusIyEEEE10hipError_tPvRmT2_T3_mT4_P12ihipStream_tbEUlT_E_NS1_11comp_targetILNS1_3genE2ELNS1_11target_archE906ELNS1_3gpuE6ELNS1_3repE0EEENS1_30default_config_static_selectorELNS0_4arch9wavefront6targetE1EEEvT1_.has_dyn_sized_stack, 0
	.set _ZN7rocprim17ROCPRIM_400000_NS6detail17trampoline_kernelINS0_14default_configENS1_35adjacent_difference_config_selectorILb0EyEEZNS1_24adjacent_difference_implIS3_Lb0ELb0EPKyPyN6thrust23THRUST_200600_302600_NS4plusIyEEEE10hipError_tPvRmT2_T3_mT4_P12ihipStream_tbEUlT_E_NS1_11comp_targetILNS1_3genE2ELNS1_11target_archE906ELNS1_3gpuE6ELNS1_3repE0EEENS1_30default_config_static_selectorELNS0_4arch9wavefront6targetE1EEEvT1_.has_recursion, 0
	.set _ZN7rocprim17ROCPRIM_400000_NS6detail17trampoline_kernelINS0_14default_configENS1_35adjacent_difference_config_selectorILb0EyEEZNS1_24adjacent_difference_implIS3_Lb0ELb0EPKyPyN6thrust23THRUST_200600_302600_NS4plusIyEEEE10hipError_tPvRmT2_T3_mT4_P12ihipStream_tbEUlT_E_NS1_11comp_targetILNS1_3genE2ELNS1_11target_archE906ELNS1_3gpuE6ELNS1_3repE0EEENS1_30default_config_static_selectorELNS0_4arch9wavefront6targetE1EEEvT1_.has_indirect_call, 0
	.section	.AMDGPU.csdata,"",@progbits
; Kernel info:
; codeLenInByte = 1188
; TotalNumSgprs: 26
; NumVgprs: 15
; ScratchSize: 0
; MemoryBound: 0
; FloatMode: 240
; IeeeMode: 1
; LDSByteSize: 2112 bytes/workgroup (compile time only)
; SGPRBlocks: 8
; VGPRBlocks: 7
; NumSGPRsForWavesPerEU: 65
; NumVGPRsForWavesPerEU: 29
; Occupancy: 8
; WaveLimiterHint : 1
; COMPUTE_PGM_RSRC2:SCRATCH_EN: 0
; COMPUTE_PGM_RSRC2:USER_SGPR: 6
; COMPUTE_PGM_RSRC2:TRAP_HANDLER: 0
; COMPUTE_PGM_RSRC2:TGID_X_EN: 1
; COMPUTE_PGM_RSRC2:TGID_Y_EN: 0
; COMPUTE_PGM_RSRC2:TGID_Z_EN: 0
; COMPUTE_PGM_RSRC2:TIDIG_COMP_CNT: 0
	.section	.text._ZN7rocprim17ROCPRIM_400000_NS6detail17trampoline_kernelINS0_14default_configENS1_35adjacent_difference_config_selectorILb0EyEEZNS1_24adjacent_difference_implIS3_Lb0ELb0EPKyPyN6thrust23THRUST_200600_302600_NS4plusIyEEEE10hipError_tPvRmT2_T3_mT4_P12ihipStream_tbEUlT_E_NS1_11comp_targetILNS1_3genE9ELNS1_11target_archE1100ELNS1_3gpuE3ELNS1_3repE0EEENS1_30default_config_static_selectorELNS0_4arch9wavefront6targetE1EEEvT1_,"axG",@progbits,_ZN7rocprim17ROCPRIM_400000_NS6detail17trampoline_kernelINS0_14default_configENS1_35adjacent_difference_config_selectorILb0EyEEZNS1_24adjacent_difference_implIS3_Lb0ELb0EPKyPyN6thrust23THRUST_200600_302600_NS4plusIyEEEE10hipError_tPvRmT2_T3_mT4_P12ihipStream_tbEUlT_E_NS1_11comp_targetILNS1_3genE9ELNS1_11target_archE1100ELNS1_3gpuE3ELNS1_3repE0EEENS1_30default_config_static_selectorELNS0_4arch9wavefront6targetE1EEEvT1_,comdat
	.protected	_ZN7rocprim17ROCPRIM_400000_NS6detail17trampoline_kernelINS0_14default_configENS1_35adjacent_difference_config_selectorILb0EyEEZNS1_24adjacent_difference_implIS3_Lb0ELb0EPKyPyN6thrust23THRUST_200600_302600_NS4plusIyEEEE10hipError_tPvRmT2_T3_mT4_P12ihipStream_tbEUlT_E_NS1_11comp_targetILNS1_3genE9ELNS1_11target_archE1100ELNS1_3gpuE3ELNS1_3repE0EEENS1_30default_config_static_selectorELNS0_4arch9wavefront6targetE1EEEvT1_ ; -- Begin function _ZN7rocprim17ROCPRIM_400000_NS6detail17trampoline_kernelINS0_14default_configENS1_35adjacent_difference_config_selectorILb0EyEEZNS1_24adjacent_difference_implIS3_Lb0ELb0EPKyPyN6thrust23THRUST_200600_302600_NS4plusIyEEEE10hipError_tPvRmT2_T3_mT4_P12ihipStream_tbEUlT_E_NS1_11comp_targetILNS1_3genE9ELNS1_11target_archE1100ELNS1_3gpuE3ELNS1_3repE0EEENS1_30default_config_static_selectorELNS0_4arch9wavefront6targetE1EEEvT1_
	.globl	_ZN7rocprim17ROCPRIM_400000_NS6detail17trampoline_kernelINS0_14default_configENS1_35adjacent_difference_config_selectorILb0EyEEZNS1_24adjacent_difference_implIS3_Lb0ELb0EPKyPyN6thrust23THRUST_200600_302600_NS4plusIyEEEE10hipError_tPvRmT2_T3_mT4_P12ihipStream_tbEUlT_E_NS1_11comp_targetILNS1_3genE9ELNS1_11target_archE1100ELNS1_3gpuE3ELNS1_3repE0EEENS1_30default_config_static_selectorELNS0_4arch9wavefront6targetE1EEEvT1_
	.p2align	8
	.type	_ZN7rocprim17ROCPRIM_400000_NS6detail17trampoline_kernelINS0_14default_configENS1_35adjacent_difference_config_selectorILb0EyEEZNS1_24adjacent_difference_implIS3_Lb0ELb0EPKyPyN6thrust23THRUST_200600_302600_NS4plusIyEEEE10hipError_tPvRmT2_T3_mT4_P12ihipStream_tbEUlT_E_NS1_11comp_targetILNS1_3genE9ELNS1_11target_archE1100ELNS1_3gpuE3ELNS1_3repE0EEENS1_30default_config_static_selectorELNS0_4arch9wavefront6targetE1EEEvT1_,@function
_ZN7rocprim17ROCPRIM_400000_NS6detail17trampoline_kernelINS0_14default_configENS1_35adjacent_difference_config_selectorILb0EyEEZNS1_24adjacent_difference_implIS3_Lb0ELb0EPKyPyN6thrust23THRUST_200600_302600_NS4plusIyEEEE10hipError_tPvRmT2_T3_mT4_P12ihipStream_tbEUlT_E_NS1_11comp_targetILNS1_3genE9ELNS1_11target_archE1100ELNS1_3gpuE3ELNS1_3repE0EEENS1_30default_config_static_selectorELNS0_4arch9wavefront6targetE1EEEvT1_: ; @_ZN7rocprim17ROCPRIM_400000_NS6detail17trampoline_kernelINS0_14default_configENS1_35adjacent_difference_config_selectorILb0EyEEZNS1_24adjacent_difference_implIS3_Lb0ELb0EPKyPyN6thrust23THRUST_200600_302600_NS4plusIyEEEE10hipError_tPvRmT2_T3_mT4_P12ihipStream_tbEUlT_E_NS1_11comp_targetILNS1_3genE9ELNS1_11target_archE1100ELNS1_3gpuE3ELNS1_3repE0EEENS1_30default_config_static_selectorELNS0_4arch9wavefront6targetE1EEEvT1_
; %bb.0:
	.section	.rodata,"a",@progbits
	.p2align	6, 0x0
	.amdhsa_kernel _ZN7rocprim17ROCPRIM_400000_NS6detail17trampoline_kernelINS0_14default_configENS1_35adjacent_difference_config_selectorILb0EyEEZNS1_24adjacent_difference_implIS3_Lb0ELb0EPKyPyN6thrust23THRUST_200600_302600_NS4plusIyEEEE10hipError_tPvRmT2_T3_mT4_P12ihipStream_tbEUlT_E_NS1_11comp_targetILNS1_3genE9ELNS1_11target_archE1100ELNS1_3gpuE3ELNS1_3repE0EEENS1_30default_config_static_selectorELNS0_4arch9wavefront6targetE1EEEvT1_
		.amdhsa_group_segment_fixed_size 0
		.amdhsa_private_segment_fixed_size 0
		.amdhsa_kernarg_size 56
		.amdhsa_user_sgpr_count 6
		.amdhsa_user_sgpr_private_segment_buffer 1
		.amdhsa_user_sgpr_dispatch_ptr 0
		.amdhsa_user_sgpr_queue_ptr 0
		.amdhsa_user_sgpr_kernarg_segment_ptr 1
		.amdhsa_user_sgpr_dispatch_id 0
		.amdhsa_user_sgpr_flat_scratch_init 0
		.amdhsa_user_sgpr_private_segment_size 0
		.amdhsa_uses_dynamic_stack 0
		.amdhsa_system_sgpr_private_segment_wavefront_offset 0
		.amdhsa_system_sgpr_workgroup_id_x 1
		.amdhsa_system_sgpr_workgroup_id_y 0
		.amdhsa_system_sgpr_workgroup_id_z 0
		.amdhsa_system_sgpr_workgroup_info 0
		.amdhsa_system_vgpr_workitem_id 0
		.amdhsa_next_free_vgpr 1
		.amdhsa_next_free_sgpr 0
		.amdhsa_reserve_vcc 0
		.amdhsa_reserve_flat_scratch 0
		.amdhsa_float_round_mode_32 0
		.amdhsa_float_round_mode_16_64 0
		.amdhsa_float_denorm_mode_32 3
		.amdhsa_float_denorm_mode_16_64 3
		.amdhsa_dx10_clamp 1
		.amdhsa_ieee_mode 1
		.amdhsa_fp16_overflow 0
		.amdhsa_exception_fp_ieee_invalid_op 0
		.amdhsa_exception_fp_denorm_src 0
		.amdhsa_exception_fp_ieee_div_zero 0
		.amdhsa_exception_fp_ieee_overflow 0
		.amdhsa_exception_fp_ieee_underflow 0
		.amdhsa_exception_fp_ieee_inexact 0
		.amdhsa_exception_int_div_zero 0
	.end_amdhsa_kernel
	.section	.text._ZN7rocprim17ROCPRIM_400000_NS6detail17trampoline_kernelINS0_14default_configENS1_35adjacent_difference_config_selectorILb0EyEEZNS1_24adjacent_difference_implIS3_Lb0ELb0EPKyPyN6thrust23THRUST_200600_302600_NS4plusIyEEEE10hipError_tPvRmT2_T3_mT4_P12ihipStream_tbEUlT_E_NS1_11comp_targetILNS1_3genE9ELNS1_11target_archE1100ELNS1_3gpuE3ELNS1_3repE0EEENS1_30default_config_static_selectorELNS0_4arch9wavefront6targetE1EEEvT1_,"axG",@progbits,_ZN7rocprim17ROCPRIM_400000_NS6detail17trampoline_kernelINS0_14default_configENS1_35adjacent_difference_config_selectorILb0EyEEZNS1_24adjacent_difference_implIS3_Lb0ELb0EPKyPyN6thrust23THRUST_200600_302600_NS4plusIyEEEE10hipError_tPvRmT2_T3_mT4_P12ihipStream_tbEUlT_E_NS1_11comp_targetILNS1_3genE9ELNS1_11target_archE1100ELNS1_3gpuE3ELNS1_3repE0EEENS1_30default_config_static_selectorELNS0_4arch9wavefront6targetE1EEEvT1_,comdat
.Lfunc_end629:
	.size	_ZN7rocprim17ROCPRIM_400000_NS6detail17trampoline_kernelINS0_14default_configENS1_35adjacent_difference_config_selectorILb0EyEEZNS1_24adjacent_difference_implIS3_Lb0ELb0EPKyPyN6thrust23THRUST_200600_302600_NS4plusIyEEEE10hipError_tPvRmT2_T3_mT4_P12ihipStream_tbEUlT_E_NS1_11comp_targetILNS1_3genE9ELNS1_11target_archE1100ELNS1_3gpuE3ELNS1_3repE0EEENS1_30default_config_static_selectorELNS0_4arch9wavefront6targetE1EEEvT1_, .Lfunc_end629-_ZN7rocprim17ROCPRIM_400000_NS6detail17trampoline_kernelINS0_14default_configENS1_35adjacent_difference_config_selectorILb0EyEEZNS1_24adjacent_difference_implIS3_Lb0ELb0EPKyPyN6thrust23THRUST_200600_302600_NS4plusIyEEEE10hipError_tPvRmT2_T3_mT4_P12ihipStream_tbEUlT_E_NS1_11comp_targetILNS1_3genE9ELNS1_11target_archE1100ELNS1_3gpuE3ELNS1_3repE0EEENS1_30default_config_static_selectorELNS0_4arch9wavefront6targetE1EEEvT1_
                                        ; -- End function
	.set _ZN7rocprim17ROCPRIM_400000_NS6detail17trampoline_kernelINS0_14default_configENS1_35adjacent_difference_config_selectorILb0EyEEZNS1_24adjacent_difference_implIS3_Lb0ELb0EPKyPyN6thrust23THRUST_200600_302600_NS4plusIyEEEE10hipError_tPvRmT2_T3_mT4_P12ihipStream_tbEUlT_E_NS1_11comp_targetILNS1_3genE9ELNS1_11target_archE1100ELNS1_3gpuE3ELNS1_3repE0EEENS1_30default_config_static_selectorELNS0_4arch9wavefront6targetE1EEEvT1_.num_vgpr, 0
	.set _ZN7rocprim17ROCPRIM_400000_NS6detail17trampoline_kernelINS0_14default_configENS1_35adjacent_difference_config_selectorILb0EyEEZNS1_24adjacent_difference_implIS3_Lb0ELb0EPKyPyN6thrust23THRUST_200600_302600_NS4plusIyEEEE10hipError_tPvRmT2_T3_mT4_P12ihipStream_tbEUlT_E_NS1_11comp_targetILNS1_3genE9ELNS1_11target_archE1100ELNS1_3gpuE3ELNS1_3repE0EEENS1_30default_config_static_selectorELNS0_4arch9wavefront6targetE1EEEvT1_.num_agpr, 0
	.set _ZN7rocprim17ROCPRIM_400000_NS6detail17trampoline_kernelINS0_14default_configENS1_35adjacent_difference_config_selectorILb0EyEEZNS1_24adjacent_difference_implIS3_Lb0ELb0EPKyPyN6thrust23THRUST_200600_302600_NS4plusIyEEEE10hipError_tPvRmT2_T3_mT4_P12ihipStream_tbEUlT_E_NS1_11comp_targetILNS1_3genE9ELNS1_11target_archE1100ELNS1_3gpuE3ELNS1_3repE0EEENS1_30default_config_static_selectorELNS0_4arch9wavefront6targetE1EEEvT1_.numbered_sgpr, 0
	.set _ZN7rocprim17ROCPRIM_400000_NS6detail17trampoline_kernelINS0_14default_configENS1_35adjacent_difference_config_selectorILb0EyEEZNS1_24adjacent_difference_implIS3_Lb0ELb0EPKyPyN6thrust23THRUST_200600_302600_NS4plusIyEEEE10hipError_tPvRmT2_T3_mT4_P12ihipStream_tbEUlT_E_NS1_11comp_targetILNS1_3genE9ELNS1_11target_archE1100ELNS1_3gpuE3ELNS1_3repE0EEENS1_30default_config_static_selectorELNS0_4arch9wavefront6targetE1EEEvT1_.num_named_barrier, 0
	.set _ZN7rocprim17ROCPRIM_400000_NS6detail17trampoline_kernelINS0_14default_configENS1_35adjacent_difference_config_selectorILb0EyEEZNS1_24adjacent_difference_implIS3_Lb0ELb0EPKyPyN6thrust23THRUST_200600_302600_NS4plusIyEEEE10hipError_tPvRmT2_T3_mT4_P12ihipStream_tbEUlT_E_NS1_11comp_targetILNS1_3genE9ELNS1_11target_archE1100ELNS1_3gpuE3ELNS1_3repE0EEENS1_30default_config_static_selectorELNS0_4arch9wavefront6targetE1EEEvT1_.private_seg_size, 0
	.set _ZN7rocprim17ROCPRIM_400000_NS6detail17trampoline_kernelINS0_14default_configENS1_35adjacent_difference_config_selectorILb0EyEEZNS1_24adjacent_difference_implIS3_Lb0ELb0EPKyPyN6thrust23THRUST_200600_302600_NS4plusIyEEEE10hipError_tPvRmT2_T3_mT4_P12ihipStream_tbEUlT_E_NS1_11comp_targetILNS1_3genE9ELNS1_11target_archE1100ELNS1_3gpuE3ELNS1_3repE0EEENS1_30default_config_static_selectorELNS0_4arch9wavefront6targetE1EEEvT1_.uses_vcc, 0
	.set _ZN7rocprim17ROCPRIM_400000_NS6detail17trampoline_kernelINS0_14default_configENS1_35adjacent_difference_config_selectorILb0EyEEZNS1_24adjacent_difference_implIS3_Lb0ELb0EPKyPyN6thrust23THRUST_200600_302600_NS4plusIyEEEE10hipError_tPvRmT2_T3_mT4_P12ihipStream_tbEUlT_E_NS1_11comp_targetILNS1_3genE9ELNS1_11target_archE1100ELNS1_3gpuE3ELNS1_3repE0EEENS1_30default_config_static_selectorELNS0_4arch9wavefront6targetE1EEEvT1_.uses_flat_scratch, 0
	.set _ZN7rocprim17ROCPRIM_400000_NS6detail17trampoline_kernelINS0_14default_configENS1_35adjacent_difference_config_selectorILb0EyEEZNS1_24adjacent_difference_implIS3_Lb0ELb0EPKyPyN6thrust23THRUST_200600_302600_NS4plusIyEEEE10hipError_tPvRmT2_T3_mT4_P12ihipStream_tbEUlT_E_NS1_11comp_targetILNS1_3genE9ELNS1_11target_archE1100ELNS1_3gpuE3ELNS1_3repE0EEENS1_30default_config_static_selectorELNS0_4arch9wavefront6targetE1EEEvT1_.has_dyn_sized_stack, 0
	.set _ZN7rocprim17ROCPRIM_400000_NS6detail17trampoline_kernelINS0_14default_configENS1_35adjacent_difference_config_selectorILb0EyEEZNS1_24adjacent_difference_implIS3_Lb0ELb0EPKyPyN6thrust23THRUST_200600_302600_NS4plusIyEEEE10hipError_tPvRmT2_T3_mT4_P12ihipStream_tbEUlT_E_NS1_11comp_targetILNS1_3genE9ELNS1_11target_archE1100ELNS1_3gpuE3ELNS1_3repE0EEENS1_30default_config_static_selectorELNS0_4arch9wavefront6targetE1EEEvT1_.has_recursion, 0
	.set _ZN7rocprim17ROCPRIM_400000_NS6detail17trampoline_kernelINS0_14default_configENS1_35adjacent_difference_config_selectorILb0EyEEZNS1_24adjacent_difference_implIS3_Lb0ELb0EPKyPyN6thrust23THRUST_200600_302600_NS4plusIyEEEE10hipError_tPvRmT2_T3_mT4_P12ihipStream_tbEUlT_E_NS1_11comp_targetILNS1_3genE9ELNS1_11target_archE1100ELNS1_3gpuE3ELNS1_3repE0EEENS1_30default_config_static_selectorELNS0_4arch9wavefront6targetE1EEEvT1_.has_indirect_call, 0
	.section	.AMDGPU.csdata,"",@progbits
; Kernel info:
; codeLenInByte = 0
; TotalNumSgprs: 4
; NumVgprs: 0
; ScratchSize: 0
; MemoryBound: 0
; FloatMode: 240
; IeeeMode: 1
; LDSByteSize: 0 bytes/workgroup (compile time only)
; SGPRBlocks: 0
; VGPRBlocks: 0
; NumSGPRsForWavesPerEU: 4
; NumVGPRsForWavesPerEU: 1
; Occupancy: 10
; WaveLimiterHint : 0
; COMPUTE_PGM_RSRC2:SCRATCH_EN: 0
; COMPUTE_PGM_RSRC2:USER_SGPR: 6
; COMPUTE_PGM_RSRC2:TRAP_HANDLER: 0
; COMPUTE_PGM_RSRC2:TGID_X_EN: 1
; COMPUTE_PGM_RSRC2:TGID_Y_EN: 0
; COMPUTE_PGM_RSRC2:TGID_Z_EN: 0
; COMPUTE_PGM_RSRC2:TIDIG_COMP_CNT: 0
	.section	.text._ZN7rocprim17ROCPRIM_400000_NS6detail17trampoline_kernelINS0_14default_configENS1_35adjacent_difference_config_selectorILb0EyEEZNS1_24adjacent_difference_implIS3_Lb0ELb0EPKyPyN6thrust23THRUST_200600_302600_NS4plusIyEEEE10hipError_tPvRmT2_T3_mT4_P12ihipStream_tbEUlT_E_NS1_11comp_targetILNS1_3genE8ELNS1_11target_archE1030ELNS1_3gpuE2ELNS1_3repE0EEENS1_30default_config_static_selectorELNS0_4arch9wavefront6targetE1EEEvT1_,"axG",@progbits,_ZN7rocprim17ROCPRIM_400000_NS6detail17trampoline_kernelINS0_14default_configENS1_35adjacent_difference_config_selectorILb0EyEEZNS1_24adjacent_difference_implIS3_Lb0ELb0EPKyPyN6thrust23THRUST_200600_302600_NS4plusIyEEEE10hipError_tPvRmT2_T3_mT4_P12ihipStream_tbEUlT_E_NS1_11comp_targetILNS1_3genE8ELNS1_11target_archE1030ELNS1_3gpuE2ELNS1_3repE0EEENS1_30default_config_static_selectorELNS0_4arch9wavefront6targetE1EEEvT1_,comdat
	.protected	_ZN7rocprim17ROCPRIM_400000_NS6detail17trampoline_kernelINS0_14default_configENS1_35adjacent_difference_config_selectorILb0EyEEZNS1_24adjacent_difference_implIS3_Lb0ELb0EPKyPyN6thrust23THRUST_200600_302600_NS4plusIyEEEE10hipError_tPvRmT2_T3_mT4_P12ihipStream_tbEUlT_E_NS1_11comp_targetILNS1_3genE8ELNS1_11target_archE1030ELNS1_3gpuE2ELNS1_3repE0EEENS1_30default_config_static_selectorELNS0_4arch9wavefront6targetE1EEEvT1_ ; -- Begin function _ZN7rocprim17ROCPRIM_400000_NS6detail17trampoline_kernelINS0_14default_configENS1_35adjacent_difference_config_selectorILb0EyEEZNS1_24adjacent_difference_implIS3_Lb0ELb0EPKyPyN6thrust23THRUST_200600_302600_NS4plusIyEEEE10hipError_tPvRmT2_T3_mT4_P12ihipStream_tbEUlT_E_NS1_11comp_targetILNS1_3genE8ELNS1_11target_archE1030ELNS1_3gpuE2ELNS1_3repE0EEENS1_30default_config_static_selectorELNS0_4arch9wavefront6targetE1EEEvT1_
	.globl	_ZN7rocprim17ROCPRIM_400000_NS6detail17trampoline_kernelINS0_14default_configENS1_35adjacent_difference_config_selectorILb0EyEEZNS1_24adjacent_difference_implIS3_Lb0ELb0EPKyPyN6thrust23THRUST_200600_302600_NS4plusIyEEEE10hipError_tPvRmT2_T3_mT4_P12ihipStream_tbEUlT_E_NS1_11comp_targetILNS1_3genE8ELNS1_11target_archE1030ELNS1_3gpuE2ELNS1_3repE0EEENS1_30default_config_static_selectorELNS0_4arch9wavefront6targetE1EEEvT1_
	.p2align	8
	.type	_ZN7rocprim17ROCPRIM_400000_NS6detail17trampoline_kernelINS0_14default_configENS1_35adjacent_difference_config_selectorILb0EyEEZNS1_24adjacent_difference_implIS3_Lb0ELb0EPKyPyN6thrust23THRUST_200600_302600_NS4plusIyEEEE10hipError_tPvRmT2_T3_mT4_P12ihipStream_tbEUlT_E_NS1_11comp_targetILNS1_3genE8ELNS1_11target_archE1030ELNS1_3gpuE2ELNS1_3repE0EEENS1_30default_config_static_selectorELNS0_4arch9wavefront6targetE1EEEvT1_,@function
_ZN7rocprim17ROCPRIM_400000_NS6detail17trampoline_kernelINS0_14default_configENS1_35adjacent_difference_config_selectorILb0EyEEZNS1_24adjacent_difference_implIS3_Lb0ELb0EPKyPyN6thrust23THRUST_200600_302600_NS4plusIyEEEE10hipError_tPvRmT2_T3_mT4_P12ihipStream_tbEUlT_E_NS1_11comp_targetILNS1_3genE8ELNS1_11target_archE1030ELNS1_3gpuE2ELNS1_3repE0EEENS1_30default_config_static_selectorELNS0_4arch9wavefront6targetE1EEEvT1_: ; @_ZN7rocprim17ROCPRIM_400000_NS6detail17trampoline_kernelINS0_14default_configENS1_35adjacent_difference_config_selectorILb0EyEEZNS1_24adjacent_difference_implIS3_Lb0ELb0EPKyPyN6thrust23THRUST_200600_302600_NS4plusIyEEEE10hipError_tPvRmT2_T3_mT4_P12ihipStream_tbEUlT_E_NS1_11comp_targetILNS1_3genE8ELNS1_11target_archE1030ELNS1_3gpuE2ELNS1_3repE0EEENS1_30default_config_static_selectorELNS0_4arch9wavefront6targetE1EEEvT1_
; %bb.0:
	.section	.rodata,"a",@progbits
	.p2align	6, 0x0
	.amdhsa_kernel _ZN7rocprim17ROCPRIM_400000_NS6detail17trampoline_kernelINS0_14default_configENS1_35adjacent_difference_config_selectorILb0EyEEZNS1_24adjacent_difference_implIS3_Lb0ELb0EPKyPyN6thrust23THRUST_200600_302600_NS4plusIyEEEE10hipError_tPvRmT2_T3_mT4_P12ihipStream_tbEUlT_E_NS1_11comp_targetILNS1_3genE8ELNS1_11target_archE1030ELNS1_3gpuE2ELNS1_3repE0EEENS1_30default_config_static_selectorELNS0_4arch9wavefront6targetE1EEEvT1_
		.amdhsa_group_segment_fixed_size 0
		.amdhsa_private_segment_fixed_size 0
		.amdhsa_kernarg_size 56
		.amdhsa_user_sgpr_count 6
		.amdhsa_user_sgpr_private_segment_buffer 1
		.amdhsa_user_sgpr_dispatch_ptr 0
		.amdhsa_user_sgpr_queue_ptr 0
		.amdhsa_user_sgpr_kernarg_segment_ptr 1
		.amdhsa_user_sgpr_dispatch_id 0
		.amdhsa_user_sgpr_flat_scratch_init 0
		.amdhsa_user_sgpr_private_segment_size 0
		.amdhsa_uses_dynamic_stack 0
		.amdhsa_system_sgpr_private_segment_wavefront_offset 0
		.amdhsa_system_sgpr_workgroup_id_x 1
		.amdhsa_system_sgpr_workgroup_id_y 0
		.amdhsa_system_sgpr_workgroup_id_z 0
		.amdhsa_system_sgpr_workgroup_info 0
		.amdhsa_system_vgpr_workitem_id 0
		.amdhsa_next_free_vgpr 1
		.amdhsa_next_free_sgpr 0
		.amdhsa_reserve_vcc 0
		.amdhsa_reserve_flat_scratch 0
		.amdhsa_float_round_mode_32 0
		.amdhsa_float_round_mode_16_64 0
		.amdhsa_float_denorm_mode_32 3
		.amdhsa_float_denorm_mode_16_64 3
		.amdhsa_dx10_clamp 1
		.amdhsa_ieee_mode 1
		.amdhsa_fp16_overflow 0
		.amdhsa_exception_fp_ieee_invalid_op 0
		.amdhsa_exception_fp_denorm_src 0
		.amdhsa_exception_fp_ieee_div_zero 0
		.amdhsa_exception_fp_ieee_overflow 0
		.amdhsa_exception_fp_ieee_underflow 0
		.amdhsa_exception_fp_ieee_inexact 0
		.amdhsa_exception_int_div_zero 0
	.end_amdhsa_kernel
	.section	.text._ZN7rocprim17ROCPRIM_400000_NS6detail17trampoline_kernelINS0_14default_configENS1_35adjacent_difference_config_selectorILb0EyEEZNS1_24adjacent_difference_implIS3_Lb0ELb0EPKyPyN6thrust23THRUST_200600_302600_NS4plusIyEEEE10hipError_tPvRmT2_T3_mT4_P12ihipStream_tbEUlT_E_NS1_11comp_targetILNS1_3genE8ELNS1_11target_archE1030ELNS1_3gpuE2ELNS1_3repE0EEENS1_30default_config_static_selectorELNS0_4arch9wavefront6targetE1EEEvT1_,"axG",@progbits,_ZN7rocprim17ROCPRIM_400000_NS6detail17trampoline_kernelINS0_14default_configENS1_35adjacent_difference_config_selectorILb0EyEEZNS1_24adjacent_difference_implIS3_Lb0ELb0EPKyPyN6thrust23THRUST_200600_302600_NS4plusIyEEEE10hipError_tPvRmT2_T3_mT4_P12ihipStream_tbEUlT_E_NS1_11comp_targetILNS1_3genE8ELNS1_11target_archE1030ELNS1_3gpuE2ELNS1_3repE0EEENS1_30default_config_static_selectorELNS0_4arch9wavefront6targetE1EEEvT1_,comdat
.Lfunc_end630:
	.size	_ZN7rocprim17ROCPRIM_400000_NS6detail17trampoline_kernelINS0_14default_configENS1_35adjacent_difference_config_selectorILb0EyEEZNS1_24adjacent_difference_implIS3_Lb0ELb0EPKyPyN6thrust23THRUST_200600_302600_NS4plusIyEEEE10hipError_tPvRmT2_T3_mT4_P12ihipStream_tbEUlT_E_NS1_11comp_targetILNS1_3genE8ELNS1_11target_archE1030ELNS1_3gpuE2ELNS1_3repE0EEENS1_30default_config_static_selectorELNS0_4arch9wavefront6targetE1EEEvT1_, .Lfunc_end630-_ZN7rocprim17ROCPRIM_400000_NS6detail17trampoline_kernelINS0_14default_configENS1_35adjacent_difference_config_selectorILb0EyEEZNS1_24adjacent_difference_implIS3_Lb0ELb0EPKyPyN6thrust23THRUST_200600_302600_NS4plusIyEEEE10hipError_tPvRmT2_T3_mT4_P12ihipStream_tbEUlT_E_NS1_11comp_targetILNS1_3genE8ELNS1_11target_archE1030ELNS1_3gpuE2ELNS1_3repE0EEENS1_30default_config_static_selectorELNS0_4arch9wavefront6targetE1EEEvT1_
                                        ; -- End function
	.set _ZN7rocprim17ROCPRIM_400000_NS6detail17trampoline_kernelINS0_14default_configENS1_35adjacent_difference_config_selectorILb0EyEEZNS1_24adjacent_difference_implIS3_Lb0ELb0EPKyPyN6thrust23THRUST_200600_302600_NS4plusIyEEEE10hipError_tPvRmT2_T3_mT4_P12ihipStream_tbEUlT_E_NS1_11comp_targetILNS1_3genE8ELNS1_11target_archE1030ELNS1_3gpuE2ELNS1_3repE0EEENS1_30default_config_static_selectorELNS0_4arch9wavefront6targetE1EEEvT1_.num_vgpr, 0
	.set _ZN7rocprim17ROCPRIM_400000_NS6detail17trampoline_kernelINS0_14default_configENS1_35adjacent_difference_config_selectorILb0EyEEZNS1_24adjacent_difference_implIS3_Lb0ELb0EPKyPyN6thrust23THRUST_200600_302600_NS4plusIyEEEE10hipError_tPvRmT2_T3_mT4_P12ihipStream_tbEUlT_E_NS1_11comp_targetILNS1_3genE8ELNS1_11target_archE1030ELNS1_3gpuE2ELNS1_3repE0EEENS1_30default_config_static_selectorELNS0_4arch9wavefront6targetE1EEEvT1_.num_agpr, 0
	.set _ZN7rocprim17ROCPRIM_400000_NS6detail17trampoline_kernelINS0_14default_configENS1_35adjacent_difference_config_selectorILb0EyEEZNS1_24adjacent_difference_implIS3_Lb0ELb0EPKyPyN6thrust23THRUST_200600_302600_NS4plusIyEEEE10hipError_tPvRmT2_T3_mT4_P12ihipStream_tbEUlT_E_NS1_11comp_targetILNS1_3genE8ELNS1_11target_archE1030ELNS1_3gpuE2ELNS1_3repE0EEENS1_30default_config_static_selectorELNS0_4arch9wavefront6targetE1EEEvT1_.numbered_sgpr, 0
	.set _ZN7rocprim17ROCPRIM_400000_NS6detail17trampoline_kernelINS0_14default_configENS1_35adjacent_difference_config_selectorILb0EyEEZNS1_24adjacent_difference_implIS3_Lb0ELb0EPKyPyN6thrust23THRUST_200600_302600_NS4plusIyEEEE10hipError_tPvRmT2_T3_mT4_P12ihipStream_tbEUlT_E_NS1_11comp_targetILNS1_3genE8ELNS1_11target_archE1030ELNS1_3gpuE2ELNS1_3repE0EEENS1_30default_config_static_selectorELNS0_4arch9wavefront6targetE1EEEvT1_.num_named_barrier, 0
	.set _ZN7rocprim17ROCPRIM_400000_NS6detail17trampoline_kernelINS0_14default_configENS1_35adjacent_difference_config_selectorILb0EyEEZNS1_24adjacent_difference_implIS3_Lb0ELb0EPKyPyN6thrust23THRUST_200600_302600_NS4plusIyEEEE10hipError_tPvRmT2_T3_mT4_P12ihipStream_tbEUlT_E_NS1_11comp_targetILNS1_3genE8ELNS1_11target_archE1030ELNS1_3gpuE2ELNS1_3repE0EEENS1_30default_config_static_selectorELNS0_4arch9wavefront6targetE1EEEvT1_.private_seg_size, 0
	.set _ZN7rocprim17ROCPRIM_400000_NS6detail17trampoline_kernelINS0_14default_configENS1_35adjacent_difference_config_selectorILb0EyEEZNS1_24adjacent_difference_implIS3_Lb0ELb0EPKyPyN6thrust23THRUST_200600_302600_NS4plusIyEEEE10hipError_tPvRmT2_T3_mT4_P12ihipStream_tbEUlT_E_NS1_11comp_targetILNS1_3genE8ELNS1_11target_archE1030ELNS1_3gpuE2ELNS1_3repE0EEENS1_30default_config_static_selectorELNS0_4arch9wavefront6targetE1EEEvT1_.uses_vcc, 0
	.set _ZN7rocprim17ROCPRIM_400000_NS6detail17trampoline_kernelINS0_14default_configENS1_35adjacent_difference_config_selectorILb0EyEEZNS1_24adjacent_difference_implIS3_Lb0ELb0EPKyPyN6thrust23THRUST_200600_302600_NS4plusIyEEEE10hipError_tPvRmT2_T3_mT4_P12ihipStream_tbEUlT_E_NS1_11comp_targetILNS1_3genE8ELNS1_11target_archE1030ELNS1_3gpuE2ELNS1_3repE0EEENS1_30default_config_static_selectorELNS0_4arch9wavefront6targetE1EEEvT1_.uses_flat_scratch, 0
	.set _ZN7rocprim17ROCPRIM_400000_NS6detail17trampoline_kernelINS0_14default_configENS1_35adjacent_difference_config_selectorILb0EyEEZNS1_24adjacent_difference_implIS3_Lb0ELb0EPKyPyN6thrust23THRUST_200600_302600_NS4plusIyEEEE10hipError_tPvRmT2_T3_mT4_P12ihipStream_tbEUlT_E_NS1_11comp_targetILNS1_3genE8ELNS1_11target_archE1030ELNS1_3gpuE2ELNS1_3repE0EEENS1_30default_config_static_selectorELNS0_4arch9wavefront6targetE1EEEvT1_.has_dyn_sized_stack, 0
	.set _ZN7rocprim17ROCPRIM_400000_NS6detail17trampoline_kernelINS0_14default_configENS1_35adjacent_difference_config_selectorILb0EyEEZNS1_24adjacent_difference_implIS3_Lb0ELb0EPKyPyN6thrust23THRUST_200600_302600_NS4plusIyEEEE10hipError_tPvRmT2_T3_mT4_P12ihipStream_tbEUlT_E_NS1_11comp_targetILNS1_3genE8ELNS1_11target_archE1030ELNS1_3gpuE2ELNS1_3repE0EEENS1_30default_config_static_selectorELNS0_4arch9wavefront6targetE1EEEvT1_.has_recursion, 0
	.set _ZN7rocprim17ROCPRIM_400000_NS6detail17trampoline_kernelINS0_14default_configENS1_35adjacent_difference_config_selectorILb0EyEEZNS1_24adjacent_difference_implIS3_Lb0ELb0EPKyPyN6thrust23THRUST_200600_302600_NS4plusIyEEEE10hipError_tPvRmT2_T3_mT4_P12ihipStream_tbEUlT_E_NS1_11comp_targetILNS1_3genE8ELNS1_11target_archE1030ELNS1_3gpuE2ELNS1_3repE0EEENS1_30default_config_static_selectorELNS0_4arch9wavefront6targetE1EEEvT1_.has_indirect_call, 0
	.section	.AMDGPU.csdata,"",@progbits
; Kernel info:
; codeLenInByte = 0
; TotalNumSgprs: 4
; NumVgprs: 0
; ScratchSize: 0
; MemoryBound: 0
; FloatMode: 240
; IeeeMode: 1
; LDSByteSize: 0 bytes/workgroup (compile time only)
; SGPRBlocks: 0
; VGPRBlocks: 0
; NumSGPRsForWavesPerEU: 4
; NumVGPRsForWavesPerEU: 1
; Occupancy: 10
; WaveLimiterHint : 0
; COMPUTE_PGM_RSRC2:SCRATCH_EN: 0
; COMPUTE_PGM_RSRC2:USER_SGPR: 6
; COMPUTE_PGM_RSRC2:TRAP_HANDLER: 0
; COMPUTE_PGM_RSRC2:TGID_X_EN: 1
; COMPUTE_PGM_RSRC2:TGID_Y_EN: 0
; COMPUTE_PGM_RSRC2:TGID_Z_EN: 0
; COMPUTE_PGM_RSRC2:TIDIG_COMP_CNT: 0
	.section	.text._ZN7rocprim17ROCPRIM_400000_NS6detail17trampoline_kernelINS0_14default_configENS1_25transform_config_selectorIyLb0EEEZNS1_14transform_implILb0ES3_S5_NS0_18transform_iteratorINS0_17counting_iteratorImlEEZNS1_24adjacent_difference_implIS3_Lb1ELb0EPKyPyN6thrust23THRUST_200600_302600_NS4plusIyEEEE10hipError_tPvRmT2_T3_mT4_P12ihipStream_tbEUlmE_yEESD_NS0_8identityIvEEEESI_SL_SM_mSN_SP_bEUlT_E_NS1_11comp_targetILNS1_3genE0ELNS1_11target_archE4294967295ELNS1_3gpuE0ELNS1_3repE0EEENS1_30default_config_static_selectorELNS0_4arch9wavefront6targetE1EEEvT1_,"axG",@progbits,_ZN7rocprim17ROCPRIM_400000_NS6detail17trampoline_kernelINS0_14default_configENS1_25transform_config_selectorIyLb0EEEZNS1_14transform_implILb0ES3_S5_NS0_18transform_iteratorINS0_17counting_iteratorImlEEZNS1_24adjacent_difference_implIS3_Lb1ELb0EPKyPyN6thrust23THRUST_200600_302600_NS4plusIyEEEE10hipError_tPvRmT2_T3_mT4_P12ihipStream_tbEUlmE_yEESD_NS0_8identityIvEEEESI_SL_SM_mSN_SP_bEUlT_E_NS1_11comp_targetILNS1_3genE0ELNS1_11target_archE4294967295ELNS1_3gpuE0ELNS1_3repE0EEENS1_30default_config_static_selectorELNS0_4arch9wavefront6targetE1EEEvT1_,comdat
	.protected	_ZN7rocprim17ROCPRIM_400000_NS6detail17trampoline_kernelINS0_14default_configENS1_25transform_config_selectorIyLb0EEEZNS1_14transform_implILb0ES3_S5_NS0_18transform_iteratorINS0_17counting_iteratorImlEEZNS1_24adjacent_difference_implIS3_Lb1ELb0EPKyPyN6thrust23THRUST_200600_302600_NS4plusIyEEEE10hipError_tPvRmT2_T3_mT4_P12ihipStream_tbEUlmE_yEESD_NS0_8identityIvEEEESI_SL_SM_mSN_SP_bEUlT_E_NS1_11comp_targetILNS1_3genE0ELNS1_11target_archE4294967295ELNS1_3gpuE0ELNS1_3repE0EEENS1_30default_config_static_selectorELNS0_4arch9wavefront6targetE1EEEvT1_ ; -- Begin function _ZN7rocprim17ROCPRIM_400000_NS6detail17trampoline_kernelINS0_14default_configENS1_25transform_config_selectorIyLb0EEEZNS1_14transform_implILb0ES3_S5_NS0_18transform_iteratorINS0_17counting_iteratorImlEEZNS1_24adjacent_difference_implIS3_Lb1ELb0EPKyPyN6thrust23THRUST_200600_302600_NS4plusIyEEEE10hipError_tPvRmT2_T3_mT4_P12ihipStream_tbEUlmE_yEESD_NS0_8identityIvEEEESI_SL_SM_mSN_SP_bEUlT_E_NS1_11comp_targetILNS1_3genE0ELNS1_11target_archE4294967295ELNS1_3gpuE0ELNS1_3repE0EEENS1_30default_config_static_selectorELNS0_4arch9wavefront6targetE1EEEvT1_
	.globl	_ZN7rocprim17ROCPRIM_400000_NS6detail17trampoline_kernelINS0_14default_configENS1_25transform_config_selectorIyLb0EEEZNS1_14transform_implILb0ES3_S5_NS0_18transform_iteratorINS0_17counting_iteratorImlEEZNS1_24adjacent_difference_implIS3_Lb1ELb0EPKyPyN6thrust23THRUST_200600_302600_NS4plusIyEEEE10hipError_tPvRmT2_T3_mT4_P12ihipStream_tbEUlmE_yEESD_NS0_8identityIvEEEESI_SL_SM_mSN_SP_bEUlT_E_NS1_11comp_targetILNS1_3genE0ELNS1_11target_archE4294967295ELNS1_3gpuE0ELNS1_3repE0EEENS1_30default_config_static_selectorELNS0_4arch9wavefront6targetE1EEEvT1_
	.p2align	8
	.type	_ZN7rocprim17ROCPRIM_400000_NS6detail17trampoline_kernelINS0_14default_configENS1_25transform_config_selectorIyLb0EEEZNS1_14transform_implILb0ES3_S5_NS0_18transform_iteratorINS0_17counting_iteratorImlEEZNS1_24adjacent_difference_implIS3_Lb1ELb0EPKyPyN6thrust23THRUST_200600_302600_NS4plusIyEEEE10hipError_tPvRmT2_T3_mT4_P12ihipStream_tbEUlmE_yEESD_NS0_8identityIvEEEESI_SL_SM_mSN_SP_bEUlT_E_NS1_11comp_targetILNS1_3genE0ELNS1_11target_archE4294967295ELNS1_3gpuE0ELNS1_3repE0EEENS1_30default_config_static_selectorELNS0_4arch9wavefront6targetE1EEEvT1_,@function
_ZN7rocprim17ROCPRIM_400000_NS6detail17trampoline_kernelINS0_14default_configENS1_25transform_config_selectorIyLb0EEEZNS1_14transform_implILb0ES3_S5_NS0_18transform_iteratorINS0_17counting_iteratorImlEEZNS1_24adjacent_difference_implIS3_Lb1ELb0EPKyPyN6thrust23THRUST_200600_302600_NS4plusIyEEEE10hipError_tPvRmT2_T3_mT4_P12ihipStream_tbEUlmE_yEESD_NS0_8identityIvEEEESI_SL_SM_mSN_SP_bEUlT_E_NS1_11comp_targetILNS1_3genE0ELNS1_11target_archE4294967295ELNS1_3gpuE0ELNS1_3repE0EEENS1_30default_config_static_selectorELNS0_4arch9wavefront6targetE1EEEvT1_: ; @_ZN7rocprim17ROCPRIM_400000_NS6detail17trampoline_kernelINS0_14default_configENS1_25transform_config_selectorIyLb0EEEZNS1_14transform_implILb0ES3_S5_NS0_18transform_iteratorINS0_17counting_iteratorImlEEZNS1_24adjacent_difference_implIS3_Lb1ELb0EPKyPyN6thrust23THRUST_200600_302600_NS4plusIyEEEE10hipError_tPvRmT2_T3_mT4_P12ihipStream_tbEUlmE_yEESD_NS0_8identityIvEEEESI_SL_SM_mSN_SP_bEUlT_E_NS1_11comp_targetILNS1_3genE0ELNS1_11target_archE4294967295ELNS1_3gpuE0ELNS1_3repE0EEENS1_30default_config_static_selectorELNS0_4arch9wavefront6targetE1EEEvT1_
; %bb.0:
	.section	.rodata,"a",@progbits
	.p2align	6, 0x0
	.amdhsa_kernel _ZN7rocprim17ROCPRIM_400000_NS6detail17trampoline_kernelINS0_14default_configENS1_25transform_config_selectorIyLb0EEEZNS1_14transform_implILb0ES3_S5_NS0_18transform_iteratorINS0_17counting_iteratorImlEEZNS1_24adjacent_difference_implIS3_Lb1ELb0EPKyPyN6thrust23THRUST_200600_302600_NS4plusIyEEEE10hipError_tPvRmT2_T3_mT4_P12ihipStream_tbEUlmE_yEESD_NS0_8identityIvEEEESI_SL_SM_mSN_SP_bEUlT_E_NS1_11comp_targetILNS1_3genE0ELNS1_11target_archE4294967295ELNS1_3gpuE0ELNS1_3repE0EEENS1_30default_config_static_selectorELNS0_4arch9wavefront6targetE1EEEvT1_
		.amdhsa_group_segment_fixed_size 0
		.amdhsa_private_segment_fixed_size 0
		.amdhsa_kernarg_size 56
		.amdhsa_user_sgpr_count 6
		.amdhsa_user_sgpr_private_segment_buffer 1
		.amdhsa_user_sgpr_dispatch_ptr 0
		.amdhsa_user_sgpr_queue_ptr 0
		.amdhsa_user_sgpr_kernarg_segment_ptr 1
		.amdhsa_user_sgpr_dispatch_id 0
		.amdhsa_user_sgpr_flat_scratch_init 0
		.amdhsa_user_sgpr_private_segment_size 0
		.amdhsa_uses_dynamic_stack 0
		.amdhsa_system_sgpr_private_segment_wavefront_offset 0
		.amdhsa_system_sgpr_workgroup_id_x 1
		.amdhsa_system_sgpr_workgroup_id_y 0
		.amdhsa_system_sgpr_workgroup_id_z 0
		.amdhsa_system_sgpr_workgroup_info 0
		.amdhsa_system_vgpr_workitem_id 0
		.amdhsa_next_free_vgpr 1
		.amdhsa_next_free_sgpr 0
		.amdhsa_reserve_vcc 0
		.amdhsa_reserve_flat_scratch 0
		.amdhsa_float_round_mode_32 0
		.amdhsa_float_round_mode_16_64 0
		.amdhsa_float_denorm_mode_32 3
		.amdhsa_float_denorm_mode_16_64 3
		.amdhsa_dx10_clamp 1
		.amdhsa_ieee_mode 1
		.amdhsa_fp16_overflow 0
		.amdhsa_exception_fp_ieee_invalid_op 0
		.amdhsa_exception_fp_denorm_src 0
		.amdhsa_exception_fp_ieee_div_zero 0
		.amdhsa_exception_fp_ieee_overflow 0
		.amdhsa_exception_fp_ieee_underflow 0
		.amdhsa_exception_fp_ieee_inexact 0
		.amdhsa_exception_int_div_zero 0
	.end_amdhsa_kernel
	.section	.text._ZN7rocprim17ROCPRIM_400000_NS6detail17trampoline_kernelINS0_14default_configENS1_25transform_config_selectorIyLb0EEEZNS1_14transform_implILb0ES3_S5_NS0_18transform_iteratorINS0_17counting_iteratorImlEEZNS1_24adjacent_difference_implIS3_Lb1ELb0EPKyPyN6thrust23THRUST_200600_302600_NS4plusIyEEEE10hipError_tPvRmT2_T3_mT4_P12ihipStream_tbEUlmE_yEESD_NS0_8identityIvEEEESI_SL_SM_mSN_SP_bEUlT_E_NS1_11comp_targetILNS1_3genE0ELNS1_11target_archE4294967295ELNS1_3gpuE0ELNS1_3repE0EEENS1_30default_config_static_selectorELNS0_4arch9wavefront6targetE1EEEvT1_,"axG",@progbits,_ZN7rocprim17ROCPRIM_400000_NS6detail17trampoline_kernelINS0_14default_configENS1_25transform_config_selectorIyLb0EEEZNS1_14transform_implILb0ES3_S5_NS0_18transform_iteratorINS0_17counting_iteratorImlEEZNS1_24adjacent_difference_implIS3_Lb1ELb0EPKyPyN6thrust23THRUST_200600_302600_NS4plusIyEEEE10hipError_tPvRmT2_T3_mT4_P12ihipStream_tbEUlmE_yEESD_NS0_8identityIvEEEESI_SL_SM_mSN_SP_bEUlT_E_NS1_11comp_targetILNS1_3genE0ELNS1_11target_archE4294967295ELNS1_3gpuE0ELNS1_3repE0EEENS1_30default_config_static_selectorELNS0_4arch9wavefront6targetE1EEEvT1_,comdat
.Lfunc_end631:
	.size	_ZN7rocprim17ROCPRIM_400000_NS6detail17trampoline_kernelINS0_14default_configENS1_25transform_config_selectorIyLb0EEEZNS1_14transform_implILb0ES3_S5_NS0_18transform_iteratorINS0_17counting_iteratorImlEEZNS1_24adjacent_difference_implIS3_Lb1ELb0EPKyPyN6thrust23THRUST_200600_302600_NS4plusIyEEEE10hipError_tPvRmT2_T3_mT4_P12ihipStream_tbEUlmE_yEESD_NS0_8identityIvEEEESI_SL_SM_mSN_SP_bEUlT_E_NS1_11comp_targetILNS1_3genE0ELNS1_11target_archE4294967295ELNS1_3gpuE0ELNS1_3repE0EEENS1_30default_config_static_selectorELNS0_4arch9wavefront6targetE1EEEvT1_, .Lfunc_end631-_ZN7rocprim17ROCPRIM_400000_NS6detail17trampoline_kernelINS0_14default_configENS1_25transform_config_selectorIyLb0EEEZNS1_14transform_implILb0ES3_S5_NS0_18transform_iteratorINS0_17counting_iteratorImlEEZNS1_24adjacent_difference_implIS3_Lb1ELb0EPKyPyN6thrust23THRUST_200600_302600_NS4plusIyEEEE10hipError_tPvRmT2_T3_mT4_P12ihipStream_tbEUlmE_yEESD_NS0_8identityIvEEEESI_SL_SM_mSN_SP_bEUlT_E_NS1_11comp_targetILNS1_3genE0ELNS1_11target_archE4294967295ELNS1_3gpuE0ELNS1_3repE0EEENS1_30default_config_static_selectorELNS0_4arch9wavefront6targetE1EEEvT1_
                                        ; -- End function
	.set _ZN7rocprim17ROCPRIM_400000_NS6detail17trampoline_kernelINS0_14default_configENS1_25transform_config_selectorIyLb0EEEZNS1_14transform_implILb0ES3_S5_NS0_18transform_iteratorINS0_17counting_iteratorImlEEZNS1_24adjacent_difference_implIS3_Lb1ELb0EPKyPyN6thrust23THRUST_200600_302600_NS4plusIyEEEE10hipError_tPvRmT2_T3_mT4_P12ihipStream_tbEUlmE_yEESD_NS0_8identityIvEEEESI_SL_SM_mSN_SP_bEUlT_E_NS1_11comp_targetILNS1_3genE0ELNS1_11target_archE4294967295ELNS1_3gpuE0ELNS1_3repE0EEENS1_30default_config_static_selectorELNS0_4arch9wavefront6targetE1EEEvT1_.num_vgpr, 0
	.set _ZN7rocprim17ROCPRIM_400000_NS6detail17trampoline_kernelINS0_14default_configENS1_25transform_config_selectorIyLb0EEEZNS1_14transform_implILb0ES3_S5_NS0_18transform_iteratorINS0_17counting_iteratorImlEEZNS1_24adjacent_difference_implIS3_Lb1ELb0EPKyPyN6thrust23THRUST_200600_302600_NS4plusIyEEEE10hipError_tPvRmT2_T3_mT4_P12ihipStream_tbEUlmE_yEESD_NS0_8identityIvEEEESI_SL_SM_mSN_SP_bEUlT_E_NS1_11comp_targetILNS1_3genE0ELNS1_11target_archE4294967295ELNS1_3gpuE0ELNS1_3repE0EEENS1_30default_config_static_selectorELNS0_4arch9wavefront6targetE1EEEvT1_.num_agpr, 0
	.set _ZN7rocprim17ROCPRIM_400000_NS6detail17trampoline_kernelINS0_14default_configENS1_25transform_config_selectorIyLb0EEEZNS1_14transform_implILb0ES3_S5_NS0_18transform_iteratorINS0_17counting_iteratorImlEEZNS1_24adjacent_difference_implIS3_Lb1ELb0EPKyPyN6thrust23THRUST_200600_302600_NS4plusIyEEEE10hipError_tPvRmT2_T3_mT4_P12ihipStream_tbEUlmE_yEESD_NS0_8identityIvEEEESI_SL_SM_mSN_SP_bEUlT_E_NS1_11comp_targetILNS1_3genE0ELNS1_11target_archE4294967295ELNS1_3gpuE0ELNS1_3repE0EEENS1_30default_config_static_selectorELNS0_4arch9wavefront6targetE1EEEvT1_.numbered_sgpr, 0
	.set _ZN7rocprim17ROCPRIM_400000_NS6detail17trampoline_kernelINS0_14default_configENS1_25transform_config_selectorIyLb0EEEZNS1_14transform_implILb0ES3_S5_NS0_18transform_iteratorINS0_17counting_iteratorImlEEZNS1_24adjacent_difference_implIS3_Lb1ELb0EPKyPyN6thrust23THRUST_200600_302600_NS4plusIyEEEE10hipError_tPvRmT2_T3_mT4_P12ihipStream_tbEUlmE_yEESD_NS0_8identityIvEEEESI_SL_SM_mSN_SP_bEUlT_E_NS1_11comp_targetILNS1_3genE0ELNS1_11target_archE4294967295ELNS1_3gpuE0ELNS1_3repE0EEENS1_30default_config_static_selectorELNS0_4arch9wavefront6targetE1EEEvT1_.num_named_barrier, 0
	.set _ZN7rocprim17ROCPRIM_400000_NS6detail17trampoline_kernelINS0_14default_configENS1_25transform_config_selectorIyLb0EEEZNS1_14transform_implILb0ES3_S5_NS0_18transform_iteratorINS0_17counting_iteratorImlEEZNS1_24adjacent_difference_implIS3_Lb1ELb0EPKyPyN6thrust23THRUST_200600_302600_NS4plusIyEEEE10hipError_tPvRmT2_T3_mT4_P12ihipStream_tbEUlmE_yEESD_NS0_8identityIvEEEESI_SL_SM_mSN_SP_bEUlT_E_NS1_11comp_targetILNS1_3genE0ELNS1_11target_archE4294967295ELNS1_3gpuE0ELNS1_3repE0EEENS1_30default_config_static_selectorELNS0_4arch9wavefront6targetE1EEEvT1_.private_seg_size, 0
	.set _ZN7rocprim17ROCPRIM_400000_NS6detail17trampoline_kernelINS0_14default_configENS1_25transform_config_selectorIyLb0EEEZNS1_14transform_implILb0ES3_S5_NS0_18transform_iteratorINS0_17counting_iteratorImlEEZNS1_24adjacent_difference_implIS3_Lb1ELb0EPKyPyN6thrust23THRUST_200600_302600_NS4plusIyEEEE10hipError_tPvRmT2_T3_mT4_P12ihipStream_tbEUlmE_yEESD_NS0_8identityIvEEEESI_SL_SM_mSN_SP_bEUlT_E_NS1_11comp_targetILNS1_3genE0ELNS1_11target_archE4294967295ELNS1_3gpuE0ELNS1_3repE0EEENS1_30default_config_static_selectorELNS0_4arch9wavefront6targetE1EEEvT1_.uses_vcc, 0
	.set _ZN7rocprim17ROCPRIM_400000_NS6detail17trampoline_kernelINS0_14default_configENS1_25transform_config_selectorIyLb0EEEZNS1_14transform_implILb0ES3_S5_NS0_18transform_iteratorINS0_17counting_iteratorImlEEZNS1_24adjacent_difference_implIS3_Lb1ELb0EPKyPyN6thrust23THRUST_200600_302600_NS4plusIyEEEE10hipError_tPvRmT2_T3_mT4_P12ihipStream_tbEUlmE_yEESD_NS0_8identityIvEEEESI_SL_SM_mSN_SP_bEUlT_E_NS1_11comp_targetILNS1_3genE0ELNS1_11target_archE4294967295ELNS1_3gpuE0ELNS1_3repE0EEENS1_30default_config_static_selectorELNS0_4arch9wavefront6targetE1EEEvT1_.uses_flat_scratch, 0
	.set _ZN7rocprim17ROCPRIM_400000_NS6detail17trampoline_kernelINS0_14default_configENS1_25transform_config_selectorIyLb0EEEZNS1_14transform_implILb0ES3_S5_NS0_18transform_iteratorINS0_17counting_iteratorImlEEZNS1_24adjacent_difference_implIS3_Lb1ELb0EPKyPyN6thrust23THRUST_200600_302600_NS4plusIyEEEE10hipError_tPvRmT2_T3_mT4_P12ihipStream_tbEUlmE_yEESD_NS0_8identityIvEEEESI_SL_SM_mSN_SP_bEUlT_E_NS1_11comp_targetILNS1_3genE0ELNS1_11target_archE4294967295ELNS1_3gpuE0ELNS1_3repE0EEENS1_30default_config_static_selectorELNS0_4arch9wavefront6targetE1EEEvT1_.has_dyn_sized_stack, 0
	.set _ZN7rocprim17ROCPRIM_400000_NS6detail17trampoline_kernelINS0_14default_configENS1_25transform_config_selectorIyLb0EEEZNS1_14transform_implILb0ES3_S5_NS0_18transform_iteratorINS0_17counting_iteratorImlEEZNS1_24adjacent_difference_implIS3_Lb1ELb0EPKyPyN6thrust23THRUST_200600_302600_NS4plusIyEEEE10hipError_tPvRmT2_T3_mT4_P12ihipStream_tbEUlmE_yEESD_NS0_8identityIvEEEESI_SL_SM_mSN_SP_bEUlT_E_NS1_11comp_targetILNS1_3genE0ELNS1_11target_archE4294967295ELNS1_3gpuE0ELNS1_3repE0EEENS1_30default_config_static_selectorELNS0_4arch9wavefront6targetE1EEEvT1_.has_recursion, 0
	.set _ZN7rocprim17ROCPRIM_400000_NS6detail17trampoline_kernelINS0_14default_configENS1_25transform_config_selectorIyLb0EEEZNS1_14transform_implILb0ES3_S5_NS0_18transform_iteratorINS0_17counting_iteratorImlEEZNS1_24adjacent_difference_implIS3_Lb1ELb0EPKyPyN6thrust23THRUST_200600_302600_NS4plusIyEEEE10hipError_tPvRmT2_T3_mT4_P12ihipStream_tbEUlmE_yEESD_NS0_8identityIvEEEESI_SL_SM_mSN_SP_bEUlT_E_NS1_11comp_targetILNS1_3genE0ELNS1_11target_archE4294967295ELNS1_3gpuE0ELNS1_3repE0EEENS1_30default_config_static_selectorELNS0_4arch9wavefront6targetE1EEEvT1_.has_indirect_call, 0
	.section	.AMDGPU.csdata,"",@progbits
; Kernel info:
; codeLenInByte = 0
; TotalNumSgprs: 4
; NumVgprs: 0
; ScratchSize: 0
; MemoryBound: 0
; FloatMode: 240
; IeeeMode: 1
; LDSByteSize: 0 bytes/workgroup (compile time only)
; SGPRBlocks: 0
; VGPRBlocks: 0
; NumSGPRsForWavesPerEU: 4
; NumVGPRsForWavesPerEU: 1
; Occupancy: 10
; WaveLimiterHint : 0
; COMPUTE_PGM_RSRC2:SCRATCH_EN: 0
; COMPUTE_PGM_RSRC2:USER_SGPR: 6
; COMPUTE_PGM_RSRC2:TRAP_HANDLER: 0
; COMPUTE_PGM_RSRC2:TGID_X_EN: 1
; COMPUTE_PGM_RSRC2:TGID_Y_EN: 0
; COMPUTE_PGM_RSRC2:TGID_Z_EN: 0
; COMPUTE_PGM_RSRC2:TIDIG_COMP_CNT: 0
	.section	.text._ZN7rocprim17ROCPRIM_400000_NS6detail17trampoline_kernelINS0_14default_configENS1_25transform_config_selectorIyLb0EEEZNS1_14transform_implILb0ES3_S5_NS0_18transform_iteratorINS0_17counting_iteratorImlEEZNS1_24adjacent_difference_implIS3_Lb1ELb0EPKyPyN6thrust23THRUST_200600_302600_NS4plusIyEEEE10hipError_tPvRmT2_T3_mT4_P12ihipStream_tbEUlmE_yEESD_NS0_8identityIvEEEESI_SL_SM_mSN_SP_bEUlT_E_NS1_11comp_targetILNS1_3genE5ELNS1_11target_archE942ELNS1_3gpuE9ELNS1_3repE0EEENS1_30default_config_static_selectorELNS0_4arch9wavefront6targetE1EEEvT1_,"axG",@progbits,_ZN7rocprim17ROCPRIM_400000_NS6detail17trampoline_kernelINS0_14default_configENS1_25transform_config_selectorIyLb0EEEZNS1_14transform_implILb0ES3_S5_NS0_18transform_iteratorINS0_17counting_iteratorImlEEZNS1_24adjacent_difference_implIS3_Lb1ELb0EPKyPyN6thrust23THRUST_200600_302600_NS4plusIyEEEE10hipError_tPvRmT2_T3_mT4_P12ihipStream_tbEUlmE_yEESD_NS0_8identityIvEEEESI_SL_SM_mSN_SP_bEUlT_E_NS1_11comp_targetILNS1_3genE5ELNS1_11target_archE942ELNS1_3gpuE9ELNS1_3repE0EEENS1_30default_config_static_selectorELNS0_4arch9wavefront6targetE1EEEvT1_,comdat
	.protected	_ZN7rocprim17ROCPRIM_400000_NS6detail17trampoline_kernelINS0_14default_configENS1_25transform_config_selectorIyLb0EEEZNS1_14transform_implILb0ES3_S5_NS0_18transform_iteratorINS0_17counting_iteratorImlEEZNS1_24adjacent_difference_implIS3_Lb1ELb0EPKyPyN6thrust23THRUST_200600_302600_NS4plusIyEEEE10hipError_tPvRmT2_T3_mT4_P12ihipStream_tbEUlmE_yEESD_NS0_8identityIvEEEESI_SL_SM_mSN_SP_bEUlT_E_NS1_11comp_targetILNS1_3genE5ELNS1_11target_archE942ELNS1_3gpuE9ELNS1_3repE0EEENS1_30default_config_static_selectorELNS0_4arch9wavefront6targetE1EEEvT1_ ; -- Begin function _ZN7rocprim17ROCPRIM_400000_NS6detail17trampoline_kernelINS0_14default_configENS1_25transform_config_selectorIyLb0EEEZNS1_14transform_implILb0ES3_S5_NS0_18transform_iteratorINS0_17counting_iteratorImlEEZNS1_24adjacent_difference_implIS3_Lb1ELb0EPKyPyN6thrust23THRUST_200600_302600_NS4plusIyEEEE10hipError_tPvRmT2_T3_mT4_P12ihipStream_tbEUlmE_yEESD_NS0_8identityIvEEEESI_SL_SM_mSN_SP_bEUlT_E_NS1_11comp_targetILNS1_3genE5ELNS1_11target_archE942ELNS1_3gpuE9ELNS1_3repE0EEENS1_30default_config_static_selectorELNS0_4arch9wavefront6targetE1EEEvT1_
	.globl	_ZN7rocprim17ROCPRIM_400000_NS6detail17trampoline_kernelINS0_14default_configENS1_25transform_config_selectorIyLb0EEEZNS1_14transform_implILb0ES3_S5_NS0_18transform_iteratorINS0_17counting_iteratorImlEEZNS1_24adjacent_difference_implIS3_Lb1ELb0EPKyPyN6thrust23THRUST_200600_302600_NS4plusIyEEEE10hipError_tPvRmT2_T3_mT4_P12ihipStream_tbEUlmE_yEESD_NS0_8identityIvEEEESI_SL_SM_mSN_SP_bEUlT_E_NS1_11comp_targetILNS1_3genE5ELNS1_11target_archE942ELNS1_3gpuE9ELNS1_3repE0EEENS1_30default_config_static_selectorELNS0_4arch9wavefront6targetE1EEEvT1_
	.p2align	8
	.type	_ZN7rocprim17ROCPRIM_400000_NS6detail17trampoline_kernelINS0_14default_configENS1_25transform_config_selectorIyLb0EEEZNS1_14transform_implILb0ES3_S5_NS0_18transform_iteratorINS0_17counting_iteratorImlEEZNS1_24adjacent_difference_implIS3_Lb1ELb0EPKyPyN6thrust23THRUST_200600_302600_NS4plusIyEEEE10hipError_tPvRmT2_T3_mT4_P12ihipStream_tbEUlmE_yEESD_NS0_8identityIvEEEESI_SL_SM_mSN_SP_bEUlT_E_NS1_11comp_targetILNS1_3genE5ELNS1_11target_archE942ELNS1_3gpuE9ELNS1_3repE0EEENS1_30default_config_static_selectorELNS0_4arch9wavefront6targetE1EEEvT1_,@function
_ZN7rocprim17ROCPRIM_400000_NS6detail17trampoline_kernelINS0_14default_configENS1_25transform_config_selectorIyLb0EEEZNS1_14transform_implILb0ES3_S5_NS0_18transform_iteratorINS0_17counting_iteratorImlEEZNS1_24adjacent_difference_implIS3_Lb1ELb0EPKyPyN6thrust23THRUST_200600_302600_NS4plusIyEEEE10hipError_tPvRmT2_T3_mT4_P12ihipStream_tbEUlmE_yEESD_NS0_8identityIvEEEESI_SL_SM_mSN_SP_bEUlT_E_NS1_11comp_targetILNS1_3genE5ELNS1_11target_archE942ELNS1_3gpuE9ELNS1_3repE0EEENS1_30default_config_static_selectorELNS0_4arch9wavefront6targetE1EEEvT1_: ; @_ZN7rocprim17ROCPRIM_400000_NS6detail17trampoline_kernelINS0_14default_configENS1_25transform_config_selectorIyLb0EEEZNS1_14transform_implILb0ES3_S5_NS0_18transform_iteratorINS0_17counting_iteratorImlEEZNS1_24adjacent_difference_implIS3_Lb1ELb0EPKyPyN6thrust23THRUST_200600_302600_NS4plusIyEEEE10hipError_tPvRmT2_T3_mT4_P12ihipStream_tbEUlmE_yEESD_NS0_8identityIvEEEESI_SL_SM_mSN_SP_bEUlT_E_NS1_11comp_targetILNS1_3genE5ELNS1_11target_archE942ELNS1_3gpuE9ELNS1_3repE0EEENS1_30default_config_static_selectorELNS0_4arch9wavefront6targetE1EEEvT1_
; %bb.0:
	.section	.rodata,"a",@progbits
	.p2align	6, 0x0
	.amdhsa_kernel _ZN7rocprim17ROCPRIM_400000_NS6detail17trampoline_kernelINS0_14default_configENS1_25transform_config_selectorIyLb0EEEZNS1_14transform_implILb0ES3_S5_NS0_18transform_iteratorINS0_17counting_iteratorImlEEZNS1_24adjacent_difference_implIS3_Lb1ELb0EPKyPyN6thrust23THRUST_200600_302600_NS4plusIyEEEE10hipError_tPvRmT2_T3_mT4_P12ihipStream_tbEUlmE_yEESD_NS0_8identityIvEEEESI_SL_SM_mSN_SP_bEUlT_E_NS1_11comp_targetILNS1_3genE5ELNS1_11target_archE942ELNS1_3gpuE9ELNS1_3repE0EEENS1_30default_config_static_selectorELNS0_4arch9wavefront6targetE1EEEvT1_
		.amdhsa_group_segment_fixed_size 0
		.amdhsa_private_segment_fixed_size 0
		.amdhsa_kernarg_size 56
		.amdhsa_user_sgpr_count 6
		.amdhsa_user_sgpr_private_segment_buffer 1
		.amdhsa_user_sgpr_dispatch_ptr 0
		.amdhsa_user_sgpr_queue_ptr 0
		.amdhsa_user_sgpr_kernarg_segment_ptr 1
		.amdhsa_user_sgpr_dispatch_id 0
		.amdhsa_user_sgpr_flat_scratch_init 0
		.amdhsa_user_sgpr_private_segment_size 0
		.amdhsa_uses_dynamic_stack 0
		.amdhsa_system_sgpr_private_segment_wavefront_offset 0
		.amdhsa_system_sgpr_workgroup_id_x 1
		.amdhsa_system_sgpr_workgroup_id_y 0
		.amdhsa_system_sgpr_workgroup_id_z 0
		.amdhsa_system_sgpr_workgroup_info 0
		.amdhsa_system_vgpr_workitem_id 0
		.amdhsa_next_free_vgpr 1
		.amdhsa_next_free_sgpr 0
		.amdhsa_reserve_vcc 0
		.amdhsa_reserve_flat_scratch 0
		.amdhsa_float_round_mode_32 0
		.amdhsa_float_round_mode_16_64 0
		.amdhsa_float_denorm_mode_32 3
		.amdhsa_float_denorm_mode_16_64 3
		.amdhsa_dx10_clamp 1
		.amdhsa_ieee_mode 1
		.amdhsa_fp16_overflow 0
		.amdhsa_exception_fp_ieee_invalid_op 0
		.amdhsa_exception_fp_denorm_src 0
		.amdhsa_exception_fp_ieee_div_zero 0
		.amdhsa_exception_fp_ieee_overflow 0
		.amdhsa_exception_fp_ieee_underflow 0
		.amdhsa_exception_fp_ieee_inexact 0
		.amdhsa_exception_int_div_zero 0
	.end_amdhsa_kernel
	.section	.text._ZN7rocprim17ROCPRIM_400000_NS6detail17trampoline_kernelINS0_14default_configENS1_25transform_config_selectorIyLb0EEEZNS1_14transform_implILb0ES3_S5_NS0_18transform_iteratorINS0_17counting_iteratorImlEEZNS1_24adjacent_difference_implIS3_Lb1ELb0EPKyPyN6thrust23THRUST_200600_302600_NS4plusIyEEEE10hipError_tPvRmT2_T3_mT4_P12ihipStream_tbEUlmE_yEESD_NS0_8identityIvEEEESI_SL_SM_mSN_SP_bEUlT_E_NS1_11comp_targetILNS1_3genE5ELNS1_11target_archE942ELNS1_3gpuE9ELNS1_3repE0EEENS1_30default_config_static_selectorELNS0_4arch9wavefront6targetE1EEEvT1_,"axG",@progbits,_ZN7rocprim17ROCPRIM_400000_NS6detail17trampoline_kernelINS0_14default_configENS1_25transform_config_selectorIyLb0EEEZNS1_14transform_implILb0ES3_S5_NS0_18transform_iteratorINS0_17counting_iteratorImlEEZNS1_24adjacent_difference_implIS3_Lb1ELb0EPKyPyN6thrust23THRUST_200600_302600_NS4plusIyEEEE10hipError_tPvRmT2_T3_mT4_P12ihipStream_tbEUlmE_yEESD_NS0_8identityIvEEEESI_SL_SM_mSN_SP_bEUlT_E_NS1_11comp_targetILNS1_3genE5ELNS1_11target_archE942ELNS1_3gpuE9ELNS1_3repE0EEENS1_30default_config_static_selectorELNS0_4arch9wavefront6targetE1EEEvT1_,comdat
.Lfunc_end632:
	.size	_ZN7rocprim17ROCPRIM_400000_NS6detail17trampoline_kernelINS0_14default_configENS1_25transform_config_selectorIyLb0EEEZNS1_14transform_implILb0ES3_S5_NS0_18transform_iteratorINS0_17counting_iteratorImlEEZNS1_24adjacent_difference_implIS3_Lb1ELb0EPKyPyN6thrust23THRUST_200600_302600_NS4plusIyEEEE10hipError_tPvRmT2_T3_mT4_P12ihipStream_tbEUlmE_yEESD_NS0_8identityIvEEEESI_SL_SM_mSN_SP_bEUlT_E_NS1_11comp_targetILNS1_3genE5ELNS1_11target_archE942ELNS1_3gpuE9ELNS1_3repE0EEENS1_30default_config_static_selectorELNS0_4arch9wavefront6targetE1EEEvT1_, .Lfunc_end632-_ZN7rocprim17ROCPRIM_400000_NS6detail17trampoline_kernelINS0_14default_configENS1_25transform_config_selectorIyLb0EEEZNS1_14transform_implILb0ES3_S5_NS0_18transform_iteratorINS0_17counting_iteratorImlEEZNS1_24adjacent_difference_implIS3_Lb1ELb0EPKyPyN6thrust23THRUST_200600_302600_NS4plusIyEEEE10hipError_tPvRmT2_T3_mT4_P12ihipStream_tbEUlmE_yEESD_NS0_8identityIvEEEESI_SL_SM_mSN_SP_bEUlT_E_NS1_11comp_targetILNS1_3genE5ELNS1_11target_archE942ELNS1_3gpuE9ELNS1_3repE0EEENS1_30default_config_static_selectorELNS0_4arch9wavefront6targetE1EEEvT1_
                                        ; -- End function
	.set _ZN7rocprim17ROCPRIM_400000_NS6detail17trampoline_kernelINS0_14default_configENS1_25transform_config_selectorIyLb0EEEZNS1_14transform_implILb0ES3_S5_NS0_18transform_iteratorINS0_17counting_iteratorImlEEZNS1_24adjacent_difference_implIS3_Lb1ELb0EPKyPyN6thrust23THRUST_200600_302600_NS4plusIyEEEE10hipError_tPvRmT2_T3_mT4_P12ihipStream_tbEUlmE_yEESD_NS0_8identityIvEEEESI_SL_SM_mSN_SP_bEUlT_E_NS1_11comp_targetILNS1_3genE5ELNS1_11target_archE942ELNS1_3gpuE9ELNS1_3repE0EEENS1_30default_config_static_selectorELNS0_4arch9wavefront6targetE1EEEvT1_.num_vgpr, 0
	.set _ZN7rocprim17ROCPRIM_400000_NS6detail17trampoline_kernelINS0_14default_configENS1_25transform_config_selectorIyLb0EEEZNS1_14transform_implILb0ES3_S5_NS0_18transform_iteratorINS0_17counting_iteratorImlEEZNS1_24adjacent_difference_implIS3_Lb1ELb0EPKyPyN6thrust23THRUST_200600_302600_NS4plusIyEEEE10hipError_tPvRmT2_T3_mT4_P12ihipStream_tbEUlmE_yEESD_NS0_8identityIvEEEESI_SL_SM_mSN_SP_bEUlT_E_NS1_11comp_targetILNS1_3genE5ELNS1_11target_archE942ELNS1_3gpuE9ELNS1_3repE0EEENS1_30default_config_static_selectorELNS0_4arch9wavefront6targetE1EEEvT1_.num_agpr, 0
	.set _ZN7rocprim17ROCPRIM_400000_NS6detail17trampoline_kernelINS0_14default_configENS1_25transform_config_selectorIyLb0EEEZNS1_14transform_implILb0ES3_S5_NS0_18transform_iteratorINS0_17counting_iteratorImlEEZNS1_24adjacent_difference_implIS3_Lb1ELb0EPKyPyN6thrust23THRUST_200600_302600_NS4plusIyEEEE10hipError_tPvRmT2_T3_mT4_P12ihipStream_tbEUlmE_yEESD_NS0_8identityIvEEEESI_SL_SM_mSN_SP_bEUlT_E_NS1_11comp_targetILNS1_3genE5ELNS1_11target_archE942ELNS1_3gpuE9ELNS1_3repE0EEENS1_30default_config_static_selectorELNS0_4arch9wavefront6targetE1EEEvT1_.numbered_sgpr, 0
	.set _ZN7rocprim17ROCPRIM_400000_NS6detail17trampoline_kernelINS0_14default_configENS1_25transform_config_selectorIyLb0EEEZNS1_14transform_implILb0ES3_S5_NS0_18transform_iteratorINS0_17counting_iteratorImlEEZNS1_24adjacent_difference_implIS3_Lb1ELb0EPKyPyN6thrust23THRUST_200600_302600_NS4plusIyEEEE10hipError_tPvRmT2_T3_mT4_P12ihipStream_tbEUlmE_yEESD_NS0_8identityIvEEEESI_SL_SM_mSN_SP_bEUlT_E_NS1_11comp_targetILNS1_3genE5ELNS1_11target_archE942ELNS1_3gpuE9ELNS1_3repE0EEENS1_30default_config_static_selectorELNS0_4arch9wavefront6targetE1EEEvT1_.num_named_barrier, 0
	.set _ZN7rocprim17ROCPRIM_400000_NS6detail17trampoline_kernelINS0_14default_configENS1_25transform_config_selectorIyLb0EEEZNS1_14transform_implILb0ES3_S5_NS0_18transform_iteratorINS0_17counting_iteratorImlEEZNS1_24adjacent_difference_implIS3_Lb1ELb0EPKyPyN6thrust23THRUST_200600_302600_NS4plusIyEEEE10hipError_tPvRmT2_T3_mT4_P12ihipStream_tbEUlmE_yEESD_NS0_8identityIvEEEESI_SL_SM_mSN_SP_bEUlT_E_NS1_11comp_targetILNS1_3genE5ELNS1_11target_archE942ELNS1_3gpuE9ELNS1_3repE0EEENS1_30default_config_static_selectorELNS0_4arch9wavefront6targetE1EEEvT1_.private_seg_size, 0
	.set _ZN7rocprim17ROCPRIM_400000_NS6detail17trampoline_kernelINS0_14default_configENS1_25transform_config_selectorIyLb0EEEZNS1_14transform_implILb0ES3_S5_NS0_18transform_iteratorINS0_17counting_iteratorImlEEZNS1_24adjacent_difference_implIS3_Lb1ELb0EPKyPyN6thrust23THRUST_200600_302600_NS4plusIyEEEE10hipError_tPvRmT2_T3_mT4_P12ihipStream_tbEUlmE_yEESD_NS0_8identityIvEEEESI_SL_SM_mSN_SP_bEUlT_E_NS1_11comp_targetILNS1_3genE5ELNS1_11target_archE942ELNS1_3gpuE9ELNS1_3repE0EEENS1_30default_config_static_selectorELNS0_4arch9wavefront6targetE1EEEvT1_.uses_vcc, 0
	.set _ZN7rocprim17ROCPRIM_400000_NS6detail17trampoline_kernelINS0_14default_configENS1_25transform_config_selectorIyLb0EEEZNS1_14transform_implILb0ES3_S5_NS0_18transform_iteratorINS0_17counting_iteratorImlEEZNS1_24adjacent_difference_implIS3_Lb1ELb0EPKyPyN6thrust23THRUST_200600_302600_NS4plusIyEEEE10hipError_tPvRmT2_T3_mT4_P12ihipStream_tbEUlmE_yEESD_NS0_8identityIvEEEESI_SL_SM_mSN_SP_bEUlT_E_NS1_11comp_targetILNS1_3genE5ELNS1_11target_archE942ELNS1_3gpuE9ELNS1_3repE0EEENS1_30default_config_static_selectorELNS0_4arch9wavefront6targetE1EEEvT1_.uses_flat_scratch, 0
	.set _ZN7rocprim17ROCPRIM_400000_NS6detail17trampoline_kernelINS0_14default_configENS1_25transform_config_selectorIyLb0EEEZNS1_14transform_implILb0ES3_S5_NS0_18transform_iteratorINS0_17counting_iteratorImlEEZNS1_24adjacent_difference_implIS3_Lb1ELb0EPKyPyN6thrust23THRUST_200600_302600_NS4plusIyEEEE10hipError_tPvRmT2_T3_mT4_P12ihipStream_tbEUlmE_yEESD_NS0_8identityIvEEEESI_SL_SM_mSN_SP_bEUlT_E_NS1_11comp_targetILNS1_3genE5ELNS1_11target_archE942ELNS1_3gpuE9ELNS1_3repE0EEENS1_30default_config_static_selectorELNS0_4arch9wavefront6targetE1EEEvT1_.has_dyn_sized_stack, 0
	.set _ZN7rocprim17ROCPRIM_400000_NS6detail17trampoline_kernelINS0_14default_configENS1_25transform_config_selectorIyLb0EEEZNS1_14transform_implILb0ES3_S5_NS0_18transform_iteratorINS0_17counting_iteratorImlEEZNS1_24adjacent_difference_implIS3_Lb1ELb0EPKyPyN6thrust23THRUST_200600_302600_NS4plusIyEEEE10hipError_tPvRmT2_T3_mT4_P12ihipStream_tbEUlmE_yEESD_NS0_8identityIvEEEESI_SL_SM_mSN_SP_bEUlT_E_NS1_11comp_targetILNS1_3genE5ELNS1_11target_archE942ELNS1_3gpuE9ELNS1_3repE0EEENS1_30default_config_static_selectorELNS0_4arch9wavefront6targetE1EEEvT1_.has_recursion, 0
	.set _ZN7rocprim17ROCPRIM_400000_NS6detail17trampoline_kernelINS0_14default_configENS1_25transform_config_selectorIyLb0EEEZNS1_14transform_implILb0ES3_S5_NS0_18transform_iteratorINS0_17counting_iteratorImlEEZNS1_24adjacent_difference_implIS3_Lb1ELb0EPKyPyN6thrust23THRUST_200600_302600_NS4plusIyEEEE10hipError_tPvRmT2_T3_mT4_P12ihipStream_tbEUlmE_yEESD_NS0_8identityIvEEEESI_SL_SM_mSN_SP_bEUlT_E_NS1_11comp_targetILNS1_3genE5ELNS1_11target_archE942ELNS1_3gpuE9ELNS1_3repE0EEENS1_30default_config_static_selectorELNS0_4arch9wavefront6targetE1EEEvT1_.has_indirect_call, 0
	.section	.AMDGPU.csdata,"",@progbits
; Kernel info:
; codeLenInByte = 0
; TotalNumSgprs: 4
; NumVgprs: 0
; ScratchSize: 0
; MemoryBound: 0
; FloatMode: 240
; IeeeMode: 1
; LDSByteSize: 0 bytes/workgroup (compile time only)
; SGPRBlocks: 0
; VGPRBlocks: 0
; NumSGPRsForWavesPerEU: 4
; NumVGPRsForWavesPerEU: 1
; Occupancy: 10
; WaveLimiterHint : 0
; COMPUTE_PGM_RSRC2:SCRATCH_EN: 0
; COMPUTE_PGM_RSRC2:USER_SGPR: 6
; COMPUTE_PGM_RSRC2:TRAP_HANDLER: 0
; COMPUTE_PGM_RSRC2:TGID_X_EN: 1
; COMPUTE_PGM_RSRC2:TGID_Y_EN: 0
; COMPUTE_PGM_RSRC2:TGID_Z_EN: 0
; COMPUTE_PGM_RSRC2:TIDIG_COMP_CNT: 0
	.section	.text._ZN7rocprim17ROCPRIM_400000_NS6detail17trampoline_kernelINS0_14default_configENS1_25transform_config_selectorIyLb0EEEZNS1_14transform_implILb0ES3_S5_NS0_18transform_iteratorINS0_17counting_iteratorImlEEZNS1_24adjacent_difference_implIS3_Lb1ELb0EPKyPyN6thrust23THRUST_200600_302600_NS4plusIyEEEE10hipError_tPvRmT2_T3_mT4_P12ihipStream_tbEUlmE_yEESD_NS0_8identityIvEEEESI_SL_SM_mSN_SP_bEUlT_E_NS1_11comp_targetILNS1_3genE4ELNS1_11target_archE910ELNS1_3gpuE8ELNS1_3repE0EEENS1_30default_config_static_selectorELNS0_4arch9wavefront6targetE1EEEvT1_,"axG",@progbits,_ZN7rocprim17ROCPRIM_400000_NS6detail17trampoline_kernelINS0_14default_configENS1_25transform_config_selectorIyLb0EEEZNS1_14transform_implILb0ES3_S5_NS0_18transform_iteratorINS0_17counting_iteratorImlEEZNS1_24adjacent_difference_implIS3_Lb1ELb0EPKyPyN6thrust23THRUST_200600_302600_NS4plusIyEEEE10hipError_tPvRmT2_T3_mT4_P12ihipStream_tbEUlmE_yEESD_NS0_8identityIvEEEESI_SL_SM_mSN_SP_bEUlT_E_NS1_11comp_targetILNS1_3genE4ELNS1_11target_archE910ELNS1_3gpuE8ELNS1_3repE0EEENS1_30default_config_static_selectorELNS0_4arch9wavefront6targetE1EEEvT1_,comdat
	.protected	_ZN7rocprim17ROCPRIM_400000_NS6detail17trampoline_kernelINS0_14default_configENS1_25transform_config_selectorIyLb0EEEZNS1_14transform_implILb0ES3_S5_NS0_18transform_iteratorINS0_17counting_iteratorImlEEZNS1_24adjacent_difference_implIS3_Lb1ELb0EPKyPyN6thrust23THRUST_200600_302600_NS4plusIyEEEE10hipError_tPvRmT2_T3_mT4_P12ihipStream_tbEUlmE_yEESD_NS0_8identityIvEEEESI_SL_SM_mSN_SP_bEUlT_E_NS1_11comp_targetILNS1_3genE4ELNS1_11target_archE910ELNS1_3gpuE8ELNS1_3repE0EEENS1_30default_config_static_selectorELNS0_4arch9wavefront6targetE1EEEvT1_ ; -- Begin function _ZN7rocprim17ROCPRIM_400000_NS6detail17trampoline_kernelINS0_14default_configENS1_25transform_config_selectorIyLb0EEEZNS1_14transform_implILb0ES3_S5_NS0_18transform_iteratorINS0_17counting_iteratorImlEEZNS1_24adjacent_difference_implIS3_Lb1ELb0EPKyPyN6thrust23THRUST_200600_302600_NS4plusIyEEEE10hipError_tPvRmT2_T3_mT4_P12ihipStream_tbEUlmE_yEESD_NS0_8identityIvEEEESI_SL_SM_mSN_SP_bEUlT_E_NS1_11comp_targetILNS1_3genE4ELNS1_11target_archE910ELNS1_3gpuE8ELNS1_3repE0EEENS1_30default_config_static_selectorELNS0_4arch9wavefront6targetE1EEEvT1_
	.globl	_ZN7rocprim17ROCPRIM_400000_NS6detail17trampoline_kernelINS0_14default_configENS1_25transform_config_selectorIyLb0EEEZNS1_14transform_implILb0ES3_S5_NS0_18transform_iteratorINS0_17counting_iteratorImlEEZNS1_24adjacent_difference_implIS3_Lb1ELb0EPKyPyN6thrust23THRUST_200600_302600_NS4plusIyEEEE10hipError_tPvRmT2_T3_mT4_P12ihipStream_tbEUlmE_yEESD_NS0_8identityIvEEEESI_SL_SM_mSN_SP_bEUlT_E_NS1_11comp_targetILNS1_3genE4ELNS1_11target_archE910ELNS1_3gpuE8ELNS1_3repE0EEENS1_30default_config_static_selectorELNS0_4arch9wavefront6targetE1EEEvT1_
	.p2align	8
	.type	_ZN7rocprim17ROCPRIM_400000_NS6detail17trampoline_kernelINS0_14default_configENS1_25transform_config_selectorIyLb0EEEZNS1_14transform_implILb0ES3_S5_NS0_18transform_iteratorINS0_17counting_iteratorImlEEZNS1_24adjacent_difference_implIS3_Lb1ELb0EPKyPyN6thrust23THRUST_200600_302600_NS4plusIyEEEE10hipError_tPvRmT2_T3_mT4_P12ihipStream_tbEUlmE_yEESD_NS0_8identityIvEEEESI_SL_SM_mSN_SP_bEUlT_E_NS1_11comp_targetILNS1_3genE4ELNS1_11target_archE910ELNS1_3gpuE8ELNS1_3repE0EEENS1_30default_config_static_selectorELNS0_4arch9wavefront6targetE1EEEvT1_,@function
_ZN7rocprim17ROCPRIM_400000_NS6detail17trampoline_kernelINS0_14default_configENS1_25transform_config_selectorIyLb0EEEZNS1_14transform_implILb0ES3_S5_NS0_18transform_iteratorINS0_17counting_iteratorImlEEZNS1_24adjacent_difference_implIS3_Lb1ELb0EPKyPyN6thrust23THRUST_200600_302600_NS4plusIyEEEE10hipError_tPvRmT2_T3_mT4_P12ihipStream_tbEUlmE_yEESD_NS0_8identityIvEEEESI_SL_SM_mSN_SP_bEUlT_E_NS1_11comp_targetILNS1_3genE4ELNS1_11target_archE910ELNS1_3gpuE8ELNS1_3repE0EEENS1_30default_config_static_selectorELNS0_4arch9wavefront6targetE1EEEvT1_: ; @_ZN7rocprim17ROCPRIM_400000_NS6detail17trampoline_kernelINS0_14default_configENS1_25transform_config_selectorIyLb0EEEZNS1_14transform_implILb0ES3_S5_NS0_18transform_iteratorINS0_17counting_iteratorImlEEZNS1_24adjacent_difference_implIS3_Lb1ELb0EPKyPyN6thrust23THRUST_200600_302600_NS4plusIyEEEE10hipError_tPvRmT2_T3_mT4_P12ihipStream_tbEUlmE_yEESD_NS0_8identityIvEEEESI_SL_SM_mSN_SP_bEUlT_E_NS1_11comp_targetILNS1_3genE4ELNS1_11target_archE910ELNS1_3gpuE8ELNS1_3repE0EEENS1_30default_config_static_selectorELNS0_4arch9wavefront6targetE1EEEvT1_
; %bb.0:
	.section	.rodata,"a",@progbits
	.p2align	6, 0x0
	.amdhsa_kernel _ZN7rocprim17ROCPRIM_400000_NS6detail17trampoline_kernelINS0_14default_configENS1_25transform_config_selectorIyLb0EEEZNS1_14transform_implILb0ES3_S5_NS0_18transform_iteratorINS0_17counting_iteratorImlEEZNS1_24adjacent_difference_implIS3_Lb1ELb0EPKyPyN6thrust23THRUST_200600_302600_NS4plusIyEEEE10hipError_tPvRmT2_T3_mT4_P12ihipStream_tbEUlmE_yEESD_NS0_8identityIvEEEESI_SL_SM_mSN_SP_bEUlT_E_NS1_11comp_targetILNS1_3genE4ELNS1_11target_archE910ELNS1_3gpuE8ELNS1_3repE0EEENS1_30default_config_static_selectorELNS0_4arch9wavefront6targetE1EEEvT1_
		.amdhsa_group_segment_fixed_size 0
		.amdhsa_private_segment_fixed_size 0
		.amdhsa_kernarg_size 56
		.amdhsa_user_sgpr_count 6
		.amdhsa_user_sgpr_private_segment_buffer 1
		.amdhsa_user_sgpr_dispatch_ptr 0
		.amdhsa_user_sgpr_queue_ptr 0
		.amdhsa_user_sgpr_kernarg_segment_ptr 1
		.amdhsa_user_sgpr_dispatch_id 0
		.amdhsa_user_sgpr_flat_scratch_init 0
		.amdhsa_user_sgpr_private_segment_size 0
		.amdhsa_uses_dynamic_stack 0
		.amdhsa_system_sgpr_private_segment_wavefront_offset 0
		.amdhsa_system_sgpr_workgroup_id_x 1
		.amdhsa_system_sgpr_workgroup_id_y 0
		.amdhsa_system_sgpr_workgroup_id_z 0
		.amdhsa_system_sgpr_workgroup_info 0
		.amdhsa_system_vgpr_workitem_id 0
		.amdhsa_next_free_vgpr 1
		.amdhsa_next_free_sgpr 0
		.amdhsa_reserve_vcc 0
		.amdhsa_reserve_flat_scratch 0
		.amdhsa_float_round_mode_32 0
		.amdhsa_float_round_mode_16_64 0
		.amdhsa_float_denorm_mode_32 3
		.amdhsa_float_denorm_mode_16_64 3
		.amdhsa_dx10_clamp 1
		.amdhsa_ieee_mode 1
		.amdhsa_fp16_overflow 0
		.amdhsa_exception_fp_ieee_invalid_op 0
		.amdhsa_exception_fp_denorm_src 0
		.amdhsa_exception_fp_ieee_div_zero 0
		.amdhsa_exception_fp_ieee_overflow 0
		.amdhsa_exception_fp_ieee_underflow 0
		.amdhsa_exception_fp_ieee_inexact 0
		.amdhsa_exception_int_div_zero 0
	.end_amdhsa_kernel
	.section	.text._ZN7rocprim17ROCPRIM_400000_NS6detail17trampoline_kernelINS0_14default_configENS1_25transform_config_selectorIyLb0EEEZNS1_14transform_implILb0ES3_S5_NS0_18transform_iteratorINS0_17counting_iteratorImlEEZNS1_24adjacent_difference_implIS3_Lb1ELb0EPKyPyN6thrust23THRUST_200600_302600_NS4plusIyEEEE10hipError_tPvRmT2_T3_mT4_P12ihipStream_tbEUlmE_yEESD_NS0_8identityIvEEEESI_SL_SM_mSN_SP_bEUlT_E_NS1_11comp_targetILNS1_3genE4ELNS1_11target_archE910ELNS1_3gpuE8ELNS1_3repE0EEENS1_30default_config_static_selectorELNS0_4arch9wavefront6targetE1EEEvT1_,"axG",@progbits,_ZN7rocprim17ROCPRIM_400000_NS6detail17trampoline_kernelINS0_14default_configENS1_25transform_config_selectorIyLb0EEEZNS1_14transform_implILb0ES3_S5_NS0_18transform_iteratorINS0_17counting_iteratorImlEEZNS1_24adjacent_difference_implIS3_Lb1ELb0EPKyPyN6thrust23THRUST_200600_302600_NS4plusIyEEEE10hipError_tPvRmT2_T3_mT4_P12ihipStream_tbEUlmE_yEESD_NS0_8identityIvEEEESI_SL_SM_mSN_SP_bEUlT_E_NS1_11comp_targetILNS1_3genE4ELNS1_11target_archE910ELNS1_3gpuE8ELNS1_3repE0EEENS1_30default_config_static_selectorELNS0_4arch9wavefront6targetE1EEEvT1_,comdat
.Lfunc_end633:
	.size	_ZN7rocprim17ROCPRIM_400000_NS6detail17trampoline_kernelINS0_14default_configENS1_25transform_config_selectorIyLb0EEEZNS1_14transform_implILb0ES3_S5_NS0_18transform_iteratorINS0_17counting_iteratorImlEEZNS1_24adjacent_difference_implIS3_Lb1ELb0EPKyPyN6thrust23THRUST_200600_302600_NS4plusIyEEEE10hipError_tPvRmT2_T3_mT4_P12ihipStream_tbEUlmE_yEESD_NS0_8identityIvEEEESI_SL_SM_mSN_SP_bEUlT_E_NS1_11comp_targetILNS1_3genE4ELNS1_11target_archE910ELNS1_3gpuE8ELNS1_3repE0EEENS1_30default_config_static_selectorELNS0_4arch9wavefront6targetE1EEEvT1_, .Lfunc_end633-_ZN7rocprim17ROCPRIM_400000_NS6detail17trampoline_kernelINS0_14default_configENS1_25transform_config_selectorIyLb0EEEZNS1_14transform_implILb0ES3_S5_NS0_18transform_iteratorINS0_17counting_iteratorImlEEZNS1_24adjacent_difference_implIS3_Lb1ELb0EPKyPyN6thrust23THRUST_200600_302600_NS4plusIyEEEE10hipError_tPvRmT2_T3_mT4_P12ihipStream_tbEUlmE_yEESD_NS0_8identityIvEEEESI_SL_SM_mSN_SP_bEUlT_E_NS1_11comp_targetILNS1_3genE4ELNS1_11target_archE910ELNS1_3gpuE8ELNS1_3repE0EEENS1_30default_config_static_selectorELNS0_4arch9wavefront6targetE1EEEvT1_
                                        ; -- End function
	.set _ZN7rocprim17ROCPRIM_400000_NS6detail17trampoline_kernelINS0_14default_configENS1_25transform_config_selectorIyLb0EEEZNS1_14transform_implILb0ES3_S5_NS0_18transform_iteratorINS0_17counting_iteratorImlEEZNS1_24adjacent_difference_implIS3_Lb1ELb0EPKyPyN6thrust23THRUST_200600_302600_NS4plusIyEEEE10hipError_tPvRmT2_T3_mT4_P12ihipStream_tbEUlmE_yEESD_NS0_8identityIvEEEESI_SL_SM_mSN_SP_bEUlT_E_NS1_11comp_targetILNS1_3genE4ELNS1_11target_archE910ELNS1_3gpuE8ELNS1_3repE0EEENS1_30default_config_static_selectorELNS0_4arch9wavefront6targetE1EEEvT1_.num_vgpr, 0
	.set _ZN7rocprim17ROCPRIM_400000_NS6detail17trampoline_kernelINS0_14default_configENS1_25transform_config_selectorIyLb0EEEZNS1_14transform_implILb0ES3_S5_NS0_18transform_iteratorINS0_17counting_iteratorImlEEZNS1_24adjacent_difference_implIS3_Lb1ELb0EPKyPyN6thrust23THRUST_200600_302600_NS4plusIyEEEE10hipError_tPvRmT2_T3_mT4_P12ihipStream_tbEUlmE_yEESD_NS0_8identityIvEEEESI_SL_SM_mSN_SP_bEUlT_E_NS1_11comp_targetILNS1_3genE4ELNS1_11target_archE910ELNS1_3gpuE8ELNS1_3repE0EEENS1_30default_config_static_selectorELNS0_4arch9wavefront6targetE1EEEvT1_.num_agpr, 0
	.set _ZN7rocprim17ROCPRIM_400000_NS6detail17trampoline_kernelINS0_14default_configENS1_25transform_config_selectorIyLb0EEEZNS1_14transform_implILb0ES3_S5_NS0_18transform_iteratorINS0_17counting_iteratorImlEEZNS1_24adjacent_difference_implIS3_Lb1ELb0EPKyPyN6thrust23THRUST_200600_302600_NS4plusIyEEEE10hipError_tPvRmT2_T3_mT4_P12ihipStream_tbEUlmE_yEESD_NS0_8identityIvEEEESI_SL_SM_mSN_SP_bEUlT_E_NS1_11comp_targetILNS1_3genE4ELNS1_11target_archE910ELNS1_3gpuE8ELNS1_3repE0EEENS1_30default_config_static_selectorELNS0_4arch9wavefront6targetE1EEEvT1_.numbered_sgpr, 0
	.set _ZN7rocprim17ROCPRIM_400000_NS6detail17trampoline_kernelINS0_14default_configENS1_25transform_config_selectorIyLb0EEEZNS1_14transform_implILb0ES3_S5_NS0_18transform_iteratorINS0_17counting_iteratorImlEEZNS1_24adjacent_difference_implIS3_Lb1ELb0EPKyPyN6thrust23THRUST_200600_302600_NS4plusIyEEEE10hipError_tPvRmT2_T3_mT4_P12ihipStream_tbEUlmE_yEESD_NS0_8identityIvEEEESI_SL_SM_mSN_SP_bEUlT_E_NS1_11comp_targetILNS1_3genE4ELNS1_11target_archE910ELNS1_3gpuE8ELNS1_3repE0EEENS1_30default_config_static_selectorELNS0_4arch9wavefront6targetE1EEEvT1_.num_named_barrier, 0
	.set _ZN7rocprim17ROCPRIM_400000_NS6detail17trampoline_kernelINS0_14default_configENS1_25transform_config_selectorIyLb0EEEZNS1_14transform_implILb0ES3_S5_NS0_18transform_iteratorINS0_17counting_iteratorImlEEZNS1_24adjacent_difference_implIS3_Lb1ELb0EPKyPyN6thrust23THRUST_200600_302600_NS4plusIyEEEE10hipError_tPvRmT2_T3_mT4_P12ihipStream_tbEUlmE_yEESD_NS0_8identityIvEEEESI_SL_SM_mSN_SP_bEUlT_E_NS1_11comp_targetILNS1_3genE4ELNS1_11target_archE910ELNS1_3gpuE8ELNS1_3repE0EEENS1_30default_config_static_selectorELNS0_4arch9wavefront6targetE1EEEvT1_.private_seg_size, 0
	.set _ZN7rocprim17ROCPRIM_400000_NS6detail17trampoline_kernelINS0_14default_configENS1_25transform_config_selectorIyLb0EEEZNS1_14transform_implILb0ES3_S5_NS0_18transform_iteratorINS0_17counting_iteratorImlEEZNS1_24adjacent_difference_implIS3_Lb1ELb0EPKyPyN6thrust23THRUST_200600_302600_NS4plusIyEEEE10hipError_tPvRmT2_T3_mT4_P12ihipStream_tbEUlmE_yEESD_NS0_8identityIvEEEESI_SL_SM_mSN_SP_bEUlT_E_NS1_11comp_targetILNS1_3genE4ELNS1_11target_archE910ELNS1_3gpuE8ELNS1_3repE0EEENS1_30default_config_static_selectorELNS0_4arch9wavefront6targetE1EEEvT1_.uses_vcc, 0
	.set _ZN7rocprim17ROCPRIM_400000_NS6detail17trampoline_kernelINS0_14default_configENS1_25transform_config_selectorIyLb0EEEZNS1_14transform_implILb0ES3_S5_NS0_18transform_iteratorINS0_17counting_iteratorImlEEZNS1_24adjacent_difference_implIS3_Lb1ELb0EPKyPyN6thrust23THRUST_200600_302600_NS4plusIyEEEE10hipError_tPvRmT2_T3_mT4_P12ihipStream_tbEUlmE_yEESD_NS0_8identityIvEEEESI_SL_SM_mSN_SP_bEUlT_E_NS1_11comp_targetILNS1_3genE4ELNS1_11target_archE910ELNS1_3gpuE8ELNS1_3repE0EEENS1_30default_config_static_selectorELNS0_4arch9wavefront6targetE1EEEvT1_.uses_flat_scratch, 0
	.set _ZN7rocprim17ROCPRIM_400000_NS6detail17trampoline_kernelINS0_14default_configENS1_25transform_config_selectorIyLb0EEEZNS1_14transform_implILb0ES3_S5_NS0_18transform_iteratorINS0_17counting_iteratorImlEEZNS1_24adjacent_difference_implIS3_Lb1ELb0EPKyPyN6thrust23THRUST_200600_302600_NS4plusIyEEEE10hipError_tPvRmT2_T3_mT4_P12ihipStream_tbEUlmE_yEESD_NS0_8identityIvEEEESI_SL_SM_mSN_SP_bEUlT_E_NS1_11comp_targetILNS1_3genE4ELNS1_11target_archE910ELNS1_3gpuE8ELNS1_3repE0EEENS1_30default_config_static_selectorELNS0_4arch9wavefront6targetE1EEEvT1_.has_dyn_sized_stack, 0
	.set _ZN7rocprim17ROCPRIM_400000_NS6detail17trampoline_kernelINS0_14default_configENS1_25transform_config_selectorIyLb0EEEZNS1_14transform_implILb0ES3_S5_NS0_18transform_iteratorINS0_17counting_iteratorImlEEZNS1_24adjacent_difference_implIS3_Lb1ELb0EPKyPyN6thrust23THRUST_200600_302600_NS4plusIyEEEE10hipError_tPvRmT2_T3_mT4_P12ihipStream_tbEUlmE_yEESD_NS0_8identityIvEEEESI_SL_SM_mSN_SP_bEUlT_E_NS1_11comp_targetILNS1_3genE4ELNS1_11target_archE910ELNS1_3gpuE8ELNS1_3repE0EEENS1_30default_config_static_selectorELNS0_4arch9wavefront6targetE1EEEvT1_.has_recursion, 0
	.set _ZN7rocprim17ROCPRIM_400000_NS6detail17trampoline_kernelINS0_14default_configENS1_25transform_config_selectorIyLb0EEEZNS1_14transform_implILb0ES3_S5_NS0_18transform_iteratorINS0_17counting_iteratorImlEEZNS1_24adjacent_difference_implIS3_Lb1ELb0EPKyPyN6thrust23THRUST_200600_302600_NS4plusIyEEEE10hipError_tPvRmT2_T3_mT4_P12ihipStream_tbEUlmE_yEESD_NS0_8identityIvEEEESI_SL_SM_mSN_SP_bEUlT_E_NS1_11comp_targetILNS1_3genE4ELNS1_11target_archE910ELNS1_3gpuE8ELNS1_3repE0EEENS1_30default_config_static_selectorELNS0_4arch9wavefront6targetE1EEEvT1_.has_indirect_call, 0
	.section	.AMDGPU.csdata,"",@progbits
; Kernel info:
; codeLenInByte = 0
; TotalNumSgprs: 4
; NumVgprs: 0
; ScratchSize: 0
; MemoryBound: 0
; FloatMode: 240
; IeeeMode: 1
; LDSByteSize: 0 bytes/workgroup (compile time only)
; SGPRBlocks: 0
; VGPRBlocks: 0
; NumSGPRsForWavesPerEU: 4
; NumVGPRsForWavesPerEU: 1
; Occupancy: 10
; WaveLimiterHint : 0
; COMPUTE_PGM_RSRC2:SCRATCH_EN: 0
; COMPUTE_PGM_RSRC2:USER_SGPR: 6
; COMPUTE_PGM_RSRC2:TRAP_HANDLER: 0
; COMPUTE_PGM_RSRC2:TGID_X_EN: 1
; COMPUTE_PGM_RSRC2:TGID_Y_EN: 0
; COMPUTE_PGM_RSRC2:TGID_Z_EN: 0
; COMPUTE_PGM_RSRC2:TIDIG_COMP_CNT: 0
	.section	.text._ZN7rocprim17ROCPRIM_400000_NS6detail17trampoline_kernelINS0_14default_configENS1_25transform_config_selectorIyLb0EEEZNS1_14transform_implILb0ES3_S5_NS0_18transform_iteratorINS0_17counting_iteratorImlEEZNS1_24adjacent_difference_implIS3_Lb1ELb0EPKyPyN6thrust23THRUST_200600_302600_NS4plusIyEEEE10hipError_tPvRmT2_T3_mT4_P12ihipStream_tbEUlmE_yEESD_NS0_8identityIvEEEESI_SL_SM_mSN_SP_bEUlT_E_NS1_11comp_targetILNS1_3genE3ELNS1_11target_archE908ELNS1_3gpuE7ELNS1_3repE0EEENS1_30default_config_static_selectorELNS0_4arch9wavefront6targetE1EEEvT1_,"axG",@progbits,_ZN7rocprim17ROCPRIM_400000_NS6detail17trampoline_kernelINS0_14default_configENS1_25transform_config_selectorIyLb0EEEZNS1_14transform_implILb0ES3_S5_NS0_18transform_iteratorINS0_17counting_iteratorImlEEZNS1_24adjacent_difference_implIS3_Lb1ELb0EPKyPyN6thrust23THRUST_200600_302600_NS4plusIyEEEE10hipError_tPvRmT2_T3_mT4_P12ihipStream_tbEUlmE_yEESD_NS0_8identityIvEEEESI_SL_SM_mSN_SP_bEUlT_E_NS1_11comp_targetILNS1_3genE3ELNS1_11target_archE908ELNS1_3gpuE7ELNS1_3repE0EEENS1_30default_config_static_selectorELNS0_4arch9wavefront6targetE1EEEvT1_,comdat
	.protected	_ZN7rocprim17ROCPRIM_400000_NS6detail17trampoline_kernelINS0_14default_configENS1_25transform_config_selectorIyLb0EEEZNS1_14transform_implILb0ES3_S5_NS0_18transform_iteratorINS0_17counting_iteratorImlEEZNS1_24adjacent_difference_implIS3_Lb1ELb0EPKyPyN6thrust23THRUST_200600_302600_NS4plusIyEEEE10hipError_tPvRmT2_T3_mT4_P12ihipStream_tbEUlmE_yEESD_NS0_8identityIvEEEESI_SL_SM_mSN_SP_bEUlT_E_NS1_11comp_targetILNS1_3genE3ELNS1_11target_archE908ELNS1_3gpuE7ELNS1_3repE0EEENS1_30default_config_static_selectorELNS0_4arch9wavefront6targetE1EEEvT1_ ; -- Begin function _ZN7rocprim17ROCPRIM_400000_NS6detail17trampoline_kernelINS0_14default_configENS1_25transform_config_selectorIyLb0EEEZNS1_14transform_implILb0ES3_S5_NS0_18transform_iteratorINS0_17counting_iteratorImlEEZNS1_24adjacent_difference_implIS3_Lb1ELb0EPKyPyN6thrust23THRUST_200600_302600_NS4plusIyEEEE10hipError_tPvRmT2_T3_mT4_P12ihipStream_tbEUlmE_yEESD_NS0_8identityIvEEEESI_SL_SM_mSN_SP_bEUlT_E_NS1_11comp_targetILNS1_3genE3ELNS1_11target_archE908ELNS1_3gpuE7ELNS1_3repE0EEENS1_30default_config_static_selectorELNS0_4arch9wavefront6targetE1EEEvT1_
	.globl	_ZN7rocprim17ROCPRIM_400000_NS6detail17trampoline_kernelINS0_14default_configENS1_25transform_config_selectorIyLb0EEEZNS1_14transform_implILb0ES3_S5_NS0_18transform_iteratorINS0_17counting_iteratorImlEEZNS1_24adjacent_difference_implIS3_Lb1ELb0EPKyPyN6thrust23THRUST_200600_302600_NS4plusIyEEEE10hipError_tPvRmT2_T3_mT4_P12ihipStream_tbEUlmE_yEESD_NS0_8identityIvEEEESI_SL_SM_mSN_SP_bEUlT_E_NS1_11comp_targetILNS1_3genE3ELNS1_11target_archE908ELNS1_3gpuE7ELNS1_3repE0EEENS1_30default_config_static_selectorELNS0_4arch9wavefront6targetE1EEEvT1_
	.p2align	8
	.type	_ZN7rocprim17ROCPRIM_400000_NS6detail17trampoline_kernelINS0_14default_configENS1_25transform_config_selectorIyLb0EEEZNS1_14transform_implILb0ES3_S5_NS0_18transform_iteratorINS0_17counting_iteratorImlEEZNS1_24adjacent_difference_implIS3_Lb1ELb0EPKyPyN6thrust23THRUST_200600_302600_NS4plusIyEEEE10hipError_tPvRmT2_T3_mT4_P12ihipStream_tbEUlmE_yEESD_NS0_8identityIvEEEESI_SL_SM_mSN_SP_bEUlT_E_NS1_11comp_targetILNS1_3genE3ELNS1_11target_archE908ELNS1_3gpuE7ELNS1_3repE0EEENS1_30default_config_static_selectorELNS0_4arch9wavefront6targetE1EEEvT1_,@function
_ZN7rocprim17ROCPRIM_400000_NS6detail17trampoline_kernelINS0_14default_configENS1_25transform_config_selectorIyLb0EEEZNS1_14transform_implILb0ES3_S5_NS0_18transform_iteratorINS0_17counting_iteratorImlEEZNS1_24adjacent_difference_implIS3_Lb1ELb0EPKyPyN6thrust23THRUST_200600_302600_NS4plusIyEEEE10hipError_tPvRmT2_T3_mT4_P12ihipStream_tbEUlmE_yEESD_NS0_8identityIvEEEESI_SL_SM_mSN_SP_bEUlT_E_NS1_11comp_targetILNS1_3genE3ELNS1_11target_archE908ELNS1_3gpuE7ELNS1_3repE0EEENS1_30default_config_static_selectorELNS0_4arch9wavefront6targetE1EEEvT1_: ; @_ZN7rocprim17ROCPRIM_400000_NS6detail17trampoline_kernelINS0_14default_configENS1_25transform_config_selectorIyLb0EEEZNS1_14transform_implILb0ES3_S5_NS0_18transform_iteratorINS0_17counting_iteratorImlEEZNS1_24adjacent_difference_implIS3_Lb1ELb0EPKyPyN6thrust23THRUST_200600_302600_NS4plusIyEEEE10hipError_tPvRmT2_T3_mT4_P12ihipStream_tbEUlmE_yEESD_NS0_8identityIvEEEESI_SL_SM_mSN_SP_bEUlT_E_NS1_11comp_targetILNS1_3genE3ELNS1_11target_archE908ELNS1_3gpuE7ELNS1_3repE0EEENS1_30default_config_static_selectorELNS0_4arch9wavefront6targetE1EEEvT1_
; %bb.0:
	.section	.rodata,"a",@progbits
	.p2align	6, 0x0
	.amdhsa_kernel _ZN7rocprim17ROCPRIM_400000_NS6detail17trampoline_kernelINS0_14default_configENS1_25transform_config_selectorIyLb0EEEZNS1_14transform_implILb0ES3_S5_NS0_18transform_iteratorINS0_17counting_iteratorImlEEZNS1_24adjacent_difference_implIS3_Lb1ELb0EPKyPyN6thrust23THRUST_200600_302600_NS4plusIyEEEE10hipError_tPvRmT2_T3_mT4_P12ihipStream_tbEUlmE_yEESD_NS0_8identityIvEEEESI_SL_SM_mSN_SP_bEUlT_E_NS1_11comp_targetILNS1_3genE3ELNS1_11target_archE908ELNS1_3gpuE7ELNS1_3repE0EEENS1_30default_config_static_selectorELNS0_4arch9wavefront6targetE1EEEvT1_
		.amdhsa_group_segment_fixed_size 0
		.amdhsa_private_segment_fixed_size 0
		.amdhsa_kernarg_size 56
		.amdhsa_user_sgpr_count 6
		.amdhsa_user_sgpr_private_segment_buffer 1
		.amdhsa_user_sgpr_dispatch_ptr 0
		.amdhsa_user_sgpr_queue_ptr 0
		.amdhsa_user_sgpr_kernarg_segment_ptr 1
		.amdhsa_user_sgpr_dispatch_id 0
		.amdhsa_user_sgpr_flat_scratch_init 0
		.amdhsa_user_sgpr_private_segment_size 0
		.amdhsa_uses_dynamic_stack 0
		.amdhsa_system_sgpr_private_segment_wavefront_offset 0
		.amdhsa_system_sgpr_workgroup_id_x 1
		.amdhsa_system_sgpr_workgroup_id_y 0
		.amdhsa_system_sgpr_workgroup_id_z 0
		.amdhsa_system_sgpr_workgroup_info 0
		.amdhsa_system_vgpr_workitem_id 0
		.amdhsa_next_free_vgpr 1
		.amdhsa_next_free_sgpr 0
		.amdhsa_reserve_vcc 0
		.amdhsa_reserve_flat_scratch 0
		.amdhsa_float_round_mode_32 0
		.amdhsa_float_round_mode_16_64 0
		.amdhsa_float_denorm_mode_32 3
		.amdhsa_float_denorm_mode_16_64 3
		.amdhsa_dx10_clamp 1
		.amdhsa_ieee_mode 1
		.amdhsa_fp16_overflow 0
		.amdhsa_exception_fp_ieee_invalid_op 0
		.amdhsa_exception_fp_denorm_src 0
		.amdhsa_exception_fp_ieee_div_zero 0
		.amdhsa_exception_fp_ieee_overflow 0
		.amdhsa_exception_fp_ieee_underflow 0
		.amdhsa_exception_fp_ieee_inexact 0
		.amdhsa_exception_int_div_zero 0
	.end_amdhsa_kernel
	.section	.text._ZN7rocprim17ROCPRIM_400000_NS6detail17trampoline_kernelINS0_14default_configENS1_25transform_config_selectorIyLb0EEEZNS1_14transform_implILb0ES3_S5_NS0_18transform_iteratorINS0_17counting_iteratorImlEEZNS1_24adjacent_difference_implIS3_Lb1ELb0EPKyPyN6thrust23THRUST_200600_302600_NS4plusIyEEEE10hipError_tPvRmT2_T3_mT4_P12ihipStream_tbEUlmE_yEESD_NS0_8identityIvEEEESI_SL_SM_mSN_SP_bEUlT_E_NS1_11comp_targetILNS1_3genE3ELNS1_11target_archE908ELNS1_3gpuE7ELNS1_3repE0EEENS1_30default_config_static_selectorELNS0_4arch9wavefront6targetE1EEEvT1_,"axG",@progbits,_ZN7rocprim17ROCPRIM_400000_NS6detail17trampoline_kernelINS0_14default_configENS1_25transform_config_selectorIyLb0EEEZNS1_14transform_implILb0ES3_S5_NS0_18transform_iteratorINS0_17counting_iteratorImlEEZNS1_24adjacent_difference_implIS3_Lb1ELb0EPKyPyN6thrust23THRUST_200600_302600_NS4plusIyEEEE10hipError_tPvRmT2_T3_mT4_P12ihipStream_tbEUlmE_yEESD_NS0_8identityIvEEEESI_SL_SM_mSN_SP_bEUlT_E_NS1_11comp_targetILNS1_3genE3ELNS1_11target_archE908ELNS1_3gpuE7ELNS1_3repE0EEENS1_30default_config_static_selectorELNS0_4arch9wavefront6targetE1EEEvT1_,comdat
.Lfunc_end634:
	.size	_ZN7rocprim17ROCPRIM_400000_NS6detail17trampoline_kernelINS0_14default_configENS1_25transform_config_selectorIyLb0EEEZNS1_14transform_implILb0ES3_S5_NS0_18transform_iteratorINS0_17counting_iteratorImlEEZNS1_24adjacent_difference_implIS3_Lb1ELb0EPKyPyN6thrust23THRUST_200600_302600_NS4plusIyEEEE10hipError_tPvRmT2_T3_mT4_P12ihipStream_tbEUlmE_yEESD_NS0_8identityIvEEEESI_SL_SM_mSN_SP_bEUlT_E_NS1_11comp_targetILNS1_3genE3ELNS1_11target_archE908ELNS1_3gpuE7ELNS1_3repE0EEENS1_30default_config_static_selectorELNS0_4arch9wavefront6targetE1EEEvT1_, .Lfunc_end634-_ZN7rocprim17ROCPRIM_400000_NS6detail17trampoline_kernelINS0_14default_configENS1_25transform_config_selectorIyLb0EEEZNS1_14transform_implILb0ES3_S5_NS0_18transform_iteratorINS0_17counting_iteratorImlEEZNS1_24adjacent_difference_implIS3_Lb1ELb0EPKyPyN6thrust23THRUST_200600_302600_NS4plusIyEEEE10hipError_tPvRmT2_T3_mT4_P12ihipStream_tbEUlmE_yEESD_NS0_8identityIvEEEESI_SL_SM_mSN_SP_bEUlT_E_NS1_11comp_targetILNS1_3genE3ELNS1_11target_archE908ELNS1_3gpuE7ELNS1_3repE0EEENS1_30default_config_static_selectorELNS0_4arch9wavefront6targetE1EEEvT1_
                                        ; -- End function
	.set _ZN7rocprim17ROCPRIM_400000_NS6detail17trampoline_kernelINS0_14default_configENS1_25transform_config_selectorIyLb0EEEZNS1_14transform_implILb0ES3_S5_NS0_18transform_iteratorINS0_17counting_iteratorImlEEZNS1_24adjacent_difference_implIS3_Lb1ELb0EPKyPyN6thrust23THRUST_200600_302600_NS4plusIyEEEE10hipError_tPvRmT2_T3_mT4_P12ihipStream_tbEUlmE_yEESD_NS0_8identityIvEEEESI_SL_SM_mSN_SP_bEUlT_E_NS1_11comp_targetILNS1_3genE3ELNS1_11target_archE908ELNS1_3gpuE7ELNS1_3repE0EEENS1_30default_config_static_selectorELNS0_4arch9wavefront6targetE1EEEvT1_.num_vgpr, 0
	.set _ZN7rocprim17ROCPRIM_400000_NS6detail17trampoline_kernelINS0_14default_configENS1_25transform_config_selectorIyLb0EEEZNS1_14transform_implILb0ES3_S5_NS0_18transform_iteratorINS0_17counting_iteratorImlEEZNS1_24adjacent_difference_implIS3_Lb1ELb0EPKyPyN6thrust23THRUST_200600_302600_NS4plusIyEEEE10hipError_tPvRmT2_T3_mT4_P12ihipStream_tbEUlmE_yEESD_NS0_8identityIvEEEESI_SL_SM_mSN_SP_bEUlT_E_NS1_11comp_targetILNS1_3genE3ELNS1_11target_archE908ELNS1_3gpuE7ELNS1_3repE0EEENS1_30default_config_static_selectorELNS0_4arch9wavefront6targetE1EEEvT1_.num_agpr, 0
	.set _ZN7rocprim17ROCPRIM_400000_NS6detail17trampoline_kernelINS0_14default_configENS1_25transform_config_selectorIyLb0EEEZNS1_14transform_implILb0ES3_S5_NS0_18transform_iteratorINS0_17counting_iteratorImlEEZNS1_24adjacent_difference_implIS3_Lb1ELb0EPKyPyN6thrust23THRUST_200600_302600_NS4plusIyEEEE10hipError_tPvRmT2_T3_mT4_P12ihipStream_tbEUlmE_yEESD_NS0_8identityIvEEEESI_SL_SM_mSN_SP_bEUlT_E_NS1_11comp_targetILNS1_3genE3ELNS1_11target_archE908ELNS1_3gpuE7ELNS1_3repE0EEENS1_30default_config_static_selectorELNS0_4arch9wavefront6targetE1EEEvT1_.numbered_sgpr, 0
	.set _ZN7rocprim17ROCPRIM_400000_NS6detail17trampoline_kernelINS0_14default_configENS1_25transform_config_selectorIyLb0EEEZNS1_14transform_implILb0ES3_S5_NS0_18transform_iteratorINS0_17counting_iteratorImlEEZNS1_24adjacent_difference_implIS3_Lb1ELb0EPKyPyN6thrust23THRUST_200600_302600_NS4plusIyEEEE10hipError_tPvRmT2_T3_mT4_P12ihipStream_tbEUlmE_yEESD_NS0_8identityIvEEEESI_SL_SM_mSN_SP_bEUlT_E_NS1_11comp_targetILNS1_3genE3ELNS1_11target_archE908ELNS1_3gpuE7ELNS1_3repE0EEENS1_30default_config_static_selectorELNS0_4arch9wavefront6targetE1EEEvT1_.num_named_barrier, 0
	.set _ZN7rocprim17ROCPRIM_400000_NS6detail17trampoline_kernelINS0_14default_configENS1_25transform_config_selectorIyLb0EEEZNS1_14transform_implILb0ES3_S5_NS0_18transform_iteratorINS0_17counting_iteratorImlEEZNS1_24adjacent_difference_implIS3_Lb1ELb0EPKyPyN6thrust23THRUST_200600_302600_NS4plusIyEEEE10hipError_tPvRmT2_T3_mT4_P12ihipStream_tbEUlmE_yEESD_NS0_8identityIvEEEESI_SL_SM_mSN_SP_bEUlT_E_NS1_11comp_targetILNS1_3genE3ELNS1_11target_archE908ELNS1_3gpuE7ELNS1_3repE0EEENS1_30default_config_static_selectorELNS0_4arch9wavefront6targetE1EEEvT1_.private_seg_size, 0
	.set _ZN7rocprim17ROCPRIM_400000_NS6detail17trampoline_kernelINS0_14default_configENS1_25transform_config_selectorIyLb0EEEZNS1_14transform_implILb0ES3_S5_NS0_18transform_iteratorINS0_17counting_iteratorImlEEZNS1_24adjacent_difference_implIS3_Lb1ELb0EPKyPyN6thrust23THRUST_200600_302600_NS4plusIyEEEE10hipError_tPvRmT2_T3_mT4_P12ihipStream_tbEUlmE_yEESD_NS0_8identityIvEEEESI_SL_SM_mSN_SP_bEUlT_E_NS1_11comp_targetILNS1_3genE3ELNS1_11target_archE908ELNS1_3gpuE7ELNS1_3repE0EEENS1_30default_config_static_selectorELNS0_4arch9wavefront6targetE1EEEvT1_.uses_vcc, 0
	.set _ZN7rocprim17ROCPRIM_400000_NS6detail17trampoline_kernelINS0_14default_configENS1_25transform_config_selectorIyLb0EEEZNS1_14transform_implILb0ES3_S5_NS0_18transform_iteratorINS0_17counting_iteratorImlEEZNS1_24adjacent_difference_implIS3_Lb1ELb0EPKyPyN6thrust23THRUST_200600_302600_NS4plusIyEEEE10hipError_tPvRmT2_T3_mT4_P12ihipStream_tbEUlmE_yEESD_NS0_8identityIvEEEESI_SL_SM_mSN_SP_bEUlT_E_NS1_11comp_targetILNS1_3genE3ELNS1_11target_archE908ELNS1_3gpuE7ELNS1_3repE0EEENS1_30default_config_static_selectorELNS0_4arch9wavefront6targetE1EEEvT1_.uses_flat_scratch, 0
	.set _ZN7rocprim17ROCPRIM_400000_NS6detail17trampoline_kernelINS0_14default_configENS1_25transform_config_selectorIyLb0EEEZNS1_14transform_implILb0ES3_S5_NS0_18transform_iteratorINS0_17counting_iteratorImlEEZNS1_24adjacent_difference_implIS3_Lb1ELb0EPKyPyN6thrust23THRUST_200600_302600_NS4plusIyEEEE10hipError_tPvRmT2_T3_mT4_P12ihipStream_tbEUlmE_yEESD_NS0_8identityIvEEEESI_SL_SM_mSN_SP_bEUlT_E_NS1_11comp_targetILNS1_3genE3ELNS1_11target_archE908ELNS1_3gpuE7ELNS1_3repE0EEENS1_30default_config_static_selectorELNS0_4arch9wavefront6targetE1EEEvT1_.has_dyn_sized_stack, 0
	.set _ZN7rocprim17ROCPRIM_400000_NS6detail17trampoline_kernelINS0_14default_configENS1_25transform_config_selectorIyLb0EEEZNS1_14transform_implILb0ES3_S5_NS0_18transform_iteratorINS0_17counting_iteratorImlEEZNS1_24adjacent_difference_implIS3_Lb1ELb0EPKyPyN6thrust23THRUST_200600_302600_NS4plusIyEEEE10hipError_tPvRmT2_T3_mT4_P12ihipStream_tbEUlmE_yEESD_NS0_8identityIvEEEESI_SL_SM_mSN_SP_bEUlT_E_NS1_11comp_targetILNS1_3genE3ELNS1_11target_archE908ELNS1_3gpuE7ELNS1_3repE0EEENS1_30default_config_static_selectorELNS0_4arch9wavefront6targetE1EEEvT1_.has_recursion, 0
	.set _ZN7rocprim17ROCPRIM_400000_NS6detail17trampoline_kernelINS0_14default_configENS1_25transform_config_selectorIyLb0EEEZNS1_14transform_implILb0ES3_S5_NS0_18transform_iteratorINS0_17counting_iteratorImlEEZNS1_24adjacent_difference_implIS3_Lb1ELb0EPKyPyN6thrust23THRUST_200600_302600_NS4plusIyEEEE10hipError_tPvRmT2_T3_mT4_P12ihipStream_tbEUlmE_yEESD_NS0_8identityIvEEEESI_SL_SM_mSN_SP_bEUlT_E_NS1_11comp_targetILNS1_3genE3ELNS1_11target_archE908ELNS1_3gpuE7ELNS1_3repE0EEENS1_30default_config_static_selectorELNS0_4arch9wavefront6targetE1EEEvT1_.has_indirect_call, 0
	.section	.AMDGPU.csdata,"",@progbits
; Kernel info:
; codeLenInByte = 0
; TotalNumSgprs: 4
; NumVgprs: 0
; ScratchSize: 0
; MemoryBound: 0
; FloatMode: 240
; IeeeMode: 1
; LDSByteSize: 0 bytes/workgroup (compile time only)
; SGPRBlocks: 0
; VGPRBlocks: 0
; NumSGPRsForWavesPerEU: 4
; NumVGPRsForWavesPerEU: 1
; Occupancy: 10
; WaveLimiterHint : 0
; COMPUTE_PGM_RSRC2:SCRATCH_EN: 0
; COMPUTE_PGM_RSRC2:USER_SGPR: 6
; COMPUTE_PGM_RSRC2:TRAP_HANDLER: 0
; COMPUTE_PGM_RSRC2:TGID_X_EN: 1
; COMPUTE_PGM_RSRC2:TGID_Y_EN: 0
; COMPUTE_PGM_RSRC2:TGID_Z_EN: 0
; COMPUTE_PGM_RSRC2:TIDIG_COMP_CNT: 0
	.section	.text._ZN7rocprim17ROCPRIM_400000_NS6detail17trampoline_kernelINS0_14default_configENS1_25transform_config_selectorIyLb0EEEZNS1_14transform_implILb0ES3_S5_NS0_18transform_iteratorINS0_17counting_iteratorImlEEZNS1_24adjacent_difference_implIS3_Lb1ELb0EPKyPyN6thrust23THRUST_200600_302600_NS4plusIyEEEE10hipError_tPvRmT2_T3_mT4_P12ihipStream_tbEUlmE_yEESD_NS0_8identityIvEEEESI_SL_SM_mSN_SP_bEUlT_E_NS1_11comp_targetILNS1_3genE2ELNS1_11target_archE906ELNS1_3gpuE6ELNS1_3repE0EEENS1_30default_config_static_selectorELNS0_4arch9wavefront6targetE1EEEvT1_,"axG",@progbits,_ZN7rocprim17ROCPRIM_400000_NS6detail17trampoline_kernelINS0_14default_configENS1_25transform_config_selectorIyLb0EEEZNS1_14transform_implILb0ES3_S5_NS0_18transform_iteratorINS0_17counting_iteratorImlEEZNS1_24adjacent_difference_implIS3_Lb1ELb0EPKyPyN6thrust23THRUST_200600_302600_NS4plusIyEEEE10hipError_tPvRmT2_T3_mT4_P12ihipStream_tbEUlmE_yEESD_NS0_8identityIvEEEESI_SL_SM_mSN_SP_bEUlT_E_NS1_11comp_targetILNS1_3genE2ELNS1_11target_archE906ELNS1_3gpuE6ELNS1_3repE0EEENS1_30default_config_static_selectorELNS0_4arch9wavefront6targetE1EEEvT1_,comdat
	.protected	_ZN7rocprim17ROCPRIM_400000_NS6detail17trampoline_kernelINS0_14default_configENS1_25transform_config_selectorIyLb0EEEZNS1_14transform_implILb0ES3_S5_NS0_18transform_iteratorINS0_17counting_iteratorImlEEZNS1_24adjacent_difference_implIS3_Lb1ELb0EPKyPyN6thrust23THRUST_200600_302600_NS4plusIyEEEE10hipError_tPvRmT2_T3_mT4_P12ihipStream_tbEUlmE_yEESD_NS0_8identityIvEEEESI_SL_SM_mSN_SP_bEUlT_E_NS1_11comp_targetILNS1_3genE2ELNS1_11target_archE906ELNS1_3gpuE6ELNS1_3repE0EEENS1_30default_config_static_selectorELNS0_4arch9wavefront6targetE1EEEvT1_ ; -- Begin function _ZN7rocprim17ROCPRIM_400000_NS6detail17trampoline_kernelINS0_14default_configENS1_25transform_config_selectorIyLb0EEEZNS1_14transform_implILb0ES3_S5_NS0_18transform_iteratorINS0_17counting_iteratorImlEEZNS1_24adjacent_difference_implIS3_Lb1ELb0EPKyPyN6thrust23THRUST_200600_302600_NS4plusIyEEEE10hipError_tPvRmT2_T3_mT4_P12ihipStream_tbEUlmE_yEESD_NS0_8identityIvEEEESI_SL_SM_mSN_SP_bEUlT_E_NS1_11comp_targetILNS1_3genE2ELNS1_11target_archE906ELNS1_3gpuE6ELNS1_3repE0EEENS1_30default_config_static_selectorELNS0_4arch9wavefront6targetE1EEEvT1_
	.globl	_ZN7rocprim17ROCPRIM_400000_NS6detail17trampoline_kernelINS0_14default_configENS1_25transform_config_selectorIyLb0EEEZNS1_14transform_implILb0ES3_S5_NS0_18transform_iteratorINS0_17counting_iteratorImlEEZNS1_24adjacent_difference_implIS3_Lb1ELb0EPKyPyN6thrust23THRUST_200600_302600_NS4plusIyEEEE10hipError_tPvRmT2_T3_mT4_P12ihipStream_tbEUlmE_yEESD_NS0_8identityIvEEEESI_SL_SM_mSN_SP_bEUlT_E_NS1_11comp_targetILNS1_3genE2ELNS1_11target_archE906ELNS1_3gpuE6ELNS1_3repE0EEENS1_30default_config_static_selectorELNS0_4arch9wavefront6targetE1EEEvT1_
	.p2align	8
	.type	_ZN7rocprim17ROCPRIM_400000_NS6detail17trampoline_kernelINS0_14default_configENS1_25transform_config_selectorIyLb0EEEZNS1_14transform_implILb0ES3_S5_NS0_18transform_iteratorINS0_17counting_iteratorImlEEZNS1_24adjacent_difference_implIS3_Lb1ELb0EPKyPyN6thrust23THRUST_200600_302600_NS4plusIyEEEE10hipError_tPvRmT2_T3_mT4_P12ihipStream_tbEUlmE_yEESD_NS0_8identityIvEEEESI_SL_SM_mSN_SP_bEUlT_E_NS1_11comp_targetILNS1_3genE2ELNS1_11target_archE906ELNS1_3gpuE6ELNS1_3repE0EEENS1_30default_config_static_selectorELNS0_4arch9wavefront6targetE1EEEvT1_,@function
_ZN7rocprim17ROCPRIM_400000_NS6detail17trampoline_kernelINS0_14default_configENS1_25transform_config_selectorIyLb0EEEZNS1_14transform_implILb0ES3_S5_NS0_18transform_iteratorINS0_17counting_iteratorImlEEZNS1_24adjacent_difference_implIS3_Lb1ELb0EPKyPyN6thrust23THRUST_200600_302600_NS4plusIyEEEE10hipError_tPvRmT2_T3_mT4_P12ihipStream_tbEUlmE_yEESD_NS0_8identityIvEEEESI_SL_SM_mSN_SP_bEUlT_E_NS1_11comp_targetILNS1_3genE2ELNS1_11target_archE906ELNS1_3gpuE6ELNS1_3repE0EEENS1_30default_config_static_selectorELNS0_4arch9wavefront6targetE1EEEvT1_: ; @_ZN7rocprim17ROCPRIM_400000_NS6detail17trampoline_kernelINS0_14default_configENS1_25transform_config_selectorIyLb0EEEZNS1_14transform_implILb0ES3_S5_NS0_18transform_iteratorINS0_17counting_iteratorImlEEZNS1_24adjacent_difference_implIS3_Lb1ELb0EPKyPyN6thrust23THRUST_200600_302600_NS4plusIyEEEE10hipError_tPvRmT2_T3_mT4_P12ihipStream_tbEUlmE_yEESD_NS0_8identityIvEEEESI_SL_SM_mSN_SP_bEUlT_E_NS1_11comp_targetILNS1_3genE2ELNS1_11target_archE906ELNS1_3gpuE6ELNS1_3repE0EEENS1_30default_config_static_selectorELNS0_4arch9wavefront6targetE1EEEvT1_
; %bb.0:
	s_load_dword s1, s[4:5], 0x38
	s_load_dword s7, s[4:5], 0x20
	s_lshl_b32 s0, s6, 9
	s_waitcnt lgkmcnt(0)
	s_add_i32 s1, s1, -1
	s_cmp_lg_u32 s6, s1
	s_cselect_b64 s[2:3], -1, 0
	s_sub_i32 s1, s7, s0
	v_cmp_gt_u32_e32 vcc, s1, v0
	s_or_b64 s[2:3], s[2:3], vcc
	s_and_saveexec_b64 s[6:7], s[2:3]
	s_cbranch_execz .LBB635_2
; %bb.1:
	s_load_dwordx2 s[2:3], s[4:5], 0x18
	s_load_dwordx2 s[6:7], s[4:5], 0x28
	s_load_dwordx4 s[8:11], s[4:5], 0x0
	s_load_dword s1, s[4:5], 0x10
	s_waitcnt lgkmcnt(0)
	s_lshl_b64 s[4:5], s[2:3], 3
	s_add_u32 s4, s6, s4
	s_addc_u32 s5, s7, s5
	s_add_u32 s2, s8, s2
	s_addc_u32 s3, s9, s3
	;; [unrolled: 2-line block ×3, first 2 shown]
	v_mov_b32_e32 v1, s3
	v_add_co_u32_e32 v2, vcc, s2, v0
	v_addc_co_u32_e32 v3, vcc, 0, v1, vcc
	v_mad_u64_u32 v[1:2], s[2:3], v2, s1, 0
	v_mad_u64_u32 v[2:3], s[2:3], v3, s1, v[2:3]
	v_mov_b32_e32 v3, s11
	s_mov_b32 s1, 0
	v_lshlrev_b64 v[1:2], 3, v[1:2]
	s_lshl_b64 s[0:1], s[0:1], 3
	v_add_co_u32_e32 v1, vcc, s10, v1
	v_addc_co_u32_e32 v2, vcc, v3, v2, vcc
	global_load_dwordx2 v[2:3], v[1:2], off
	v_mov_b32_e32 v1, 0
	s_add_u32 s0, s4, s0
	v_lshlrev_b64 v[0:1], 3, v[0:1]
	s_addc_u32 s1, s5, s1
	v_mov_b32_e32 v4, s1
	v_add_co_u32_e32 v0, vcc, s0, v0
	v_addc_co_u32_e32 v1, vcc, v4, v1, vcc
	s_waitcnt vmcnt(0)
	global_store_dwordx2 v[0:1], v[2:3], off
.LBB635_2:
	s_endpgm
	.section	.rodata,"a",@progbits
	.p2align	6, 0x0
	.amdhsa_kernel _ZN7rocprim17ROCPRIM_400000_NS6detail17trampoline_kernelINS0_14default_configENS1_25transform_config_selectorIyLb0EEEZNS1_14transform_implILb0ES3_S5_NS0_18transform_iteratorINS0_17counting_iteratorImlEEZNS1_24adjacent_difference_implIS3_Lb1ELb0EPKyPyN6thrust23THRUST_200600_302600_NS4plusIyEEEE10hipError_tPvRmT2_T3_mT4_P12ihipStream_tbEUlmE_yEESD_NS0_8identityIvEEEESI_SL_SM_mSN_SP_bEUlT_E_NS1_11comp_targetILNS1_3genE2ELNS1_11target_archE906ELNS1_3gpuE6ELNS1_3repE0EEENS1_30default_config_static_selectorELNS0_4arch9wavefront6targetE1EEEvT1_
		.amdhsa_group_segment_fixed_size 0
		.amdhsa_private_segment_fixed_size 0
		.amdhsa_kernarg_size 312
		.amdhsa_user_sgpr_count 6
		.amdhsa_user_sgpr_private_segment_buffer 1
		.amdhsa_user_sgpr_dispatch_ptr 0
		.amdhsa_user_sgpr_queue_ptr 0
		.amdhsa_user_sgpr_kernarg_segment_ptr 1
		.amdhsa_user_sgpr_dispatch_id 0
		.amdhsa_user_sgpr_flat_scratch_init 0
		.amdhsa_user_sgpr_private_segment_size 0
		.amdhsa_uses_dynamic_stack 0
		.amdhsa_system_sgpr_private_segment_wavefront_offset 0
		.amdhsa_system_sgpr_workgroup_id_x 1
		.amdhsa_system_sgpr_workgroup_id_y 0
		.amdhsa_system_sgpr_workgroup_id_z 0
		.amdhsa_system_sgpr_workgroup_info 0
		.amdhsa_system_vgpr_workitem_id 0
		.amdhsa_next_free_vgpr 5
		.amdhsa_next_free_sgpr 12
		.amdhsa_reserve_vcc 1
		.amdhsa_reserve_flat_scratch 0
		.amdhsa_float_round_mode_32 0
		.amdhsa_float_round_mode_16_64 0
		.amdhsa_float_denorm_mode_32 3
		.amdhsa_float_denorm_mode_16_64 3
		.amdhsa_dx10_clamp 1
		.amdhsa_ieee_mode 1
		.amdhsa_fp16_overflow 0
		.amdhsa_exception_fp_ieee_invalid_op 0
		.amdhsa_exception_fp_denorm_src 0
		.amdhsa_exception_fp_ieee_div_zero 0
		.amdhsa_exception_fp_ieee_overflow 0
		.amdhsa_exception_fp_ieee_underflow 0
		.amdhsa_exception_fp_ieee_inexact 0
		.amdhsa_exception_int_div_zero 0
	.end_amdhsa_kernel
	.section	.text._ZN7rocprim17ROCPRIM_400000_NS6detail17trampoline_kernelINS0_14default_configENS1_25transform_config_selectorIyLb0EEEZNS1_14transform_implILb0ES3_S5_NS0_18transform_iteratorINS0_17counting_iteratorImlEEZNS1_24adjacent_difference_implIS3_Lb1ELb0EPKyPyN6thrust23THRUST_200600_302600_NS4plusIyEEEE10hipError_tPvRmT2_T3_mT4_P12ihipStream_tbEUlmE_yEESD_NS0_8identityIvEEEESI_SL_SM_mSN_SP_bEUlT_E_NS1_11comp_targetILNS1_3genE2ELNS1_11target_archE906ELNS1_3gpuE6ELNS1_3repE0EEENS1_30default_config_static_selectorELNS0_4arch9wavefront6targetE1EEEvT1_,"axG",@progbits,_ZN7rocprim17ROCPRIM_400000_NS6detail17trampoline_kernelINS0_14default_configENS1_25transform_config_selectorIyLb0EEEZNS1_14transform_implILb0ES3_S5_NS0_18transform_iteratorINS0_17counting_iteratorImlEEZNS1_24adjacent_difference_implIS3_Lb1ELb0EPKyPyN6thrust23THRUST_200600_302600_NS4plusIyEEEE10hipError_tPvRmT2_T3_mT4_P12ihipStream_tbEUlmE_yEESD_NS0_8identityIvEEEESI_SL_SM_mSN_SP_bEUlT_E_NS1_11comp_targetILNS1_3genE2ELNS1_11target_archE906ELNS1_3gpuE6ELNS1_3repE0EEENS1_30default_config_static_selectorELNS0_4arch9wavefront6targetE1EEEvT1_,comdat
.Lfunc_end635:
	.size	_ZN7rocprim17ROCPRIM_400000_NS6detail17trampoline_kernelINS0_14default_configENS1_25transform_config_selectorIyLb0EEEZNS1_14transform_implILb0ES3_S5_NS0_18transform_iteratorINS0_17counting_iteratorImlEEZNS1_24adjacent_difference_implIS3_Lb1ELb0EPKyPyN6thrust23THRUST_200600_302600_NS4plusIyEEEE10hipError_tPvRmT2_T3_mT4_P12ihipStream_tbEUlmE_yEESD_NS0_8identityIvEEEESI_SL_SM_mSN_SP_bEUlT_E_NS1_11comp_targetILNS1_3genE2ELNS1_11target_archE906ELNS1_3gpuE6ELNS1_3repE0EEENS1_30default_config_static_selectorELNS0_4arch9wavefront6targetE1EEEvT1_, .Lfunc_end635-_ZN7rocprim17ROCPRIM_400000_NS6detail17trampoline_kernelINS0_14default_configENS1_25transform_config_selectorIyLb0EEEZNS1_14transform_implILb0ES3_S5_NS0_18transform_iteratorINS0_17counting_iteratorImlEEZNS1_24adjacent_difference_implIS3_Lb1ELb0EPKyPyN6thrust23THRUST_200600_302600_NS4plusIyEEEE10hipError_tPvRmT2_T3_mT4_P12ihipStream_tbEUlmE_yEESD_NS0_8identityIvEEEESI_SL_SM_mSN_SP_bEUlT_E_NS1_11comp_targetILNS1_3genE2ELNS1_11target_archE906ELNS1_3gpuE6ELNS1_3repE0EEENS1_30default_config_static_selectorELNS0_4arch9wavefront6targetE1EEEvT1_
                                        ; -- End function
	.set _ZN7rocprim17ROCPRIM_400000_NS6detail17trampoline_kernelINS0_14default_configENS1_25transform_config_selectorIyLb0EEEZNS1_14transform_implILb0ES3_S5_NS0_18transform_iteratorINS0_17counting_iteratorImlEEZNS1_24adjacent_difference_implIS3_Lb1ELb0EPKyPyN6thrust23THRUST_200600_302600_NS4plusIyEEEE10hipError_tPvRmT2_T3_mT4_P12ihipStream_tbEUlmE_yEESD_NS0_8identityIvEEEESI_SL_SM_mSN_SP_bEUlT_E_NS1_11comp_targetILNS1_3genE2ELNS1_11target_archE906ELNS1_3gpuE6ELNS1_3repE0EEENS1_30default_config_static_selectorELNS0_4arch9wavefront6targetE1EEEvT1_.num_vgpr, 5
	.set _ZN7rocprim17ROCPRIM_400000_NS6detail17trampoline_kernelINS0_14default_configENS1_25transform_config_selectorIyLb0EEEZNS1_14transform_implILb0ES3_S5_NS0_18transform_iteratorINS0_17counting_iteratorImlEEZNS1_24adjacent_difference_implIS3_Lb1ELb0EPKyPyN6thrust23THRUST_200600_302600_NS4plusIyEEEE10hipError_tPvRmT2_T3_mT4_P12ihipStream_tbEUlmE_yEESD_NS0_8identityIvEEEESI_SL_SM_mSN_SP_bEUlT_E_NS1_11comp_targetILNS1_3genE2ELNS1_11target_archE906ELNS1_3gpuE6ELNS1_3repE0EEENS1_30default_config_static_selectorELNS0_4arch9wavefront6targetE1EEEvT1_.num_agpr, 0
	.set _ZN7rocprim17ROCPRIM_400000_NS6detail17trampoline_kernelINS0_14default_configENS1_25transform_config_selectorIyLb0EEEZNS1_14transform_implILb0ES3_S5_NS0_18transform_iteratorINS0_17counting_iteratorImlEEZNS1_24adjacent_difference_implIS3_Lb1ELb0EPKyPyN6thrust23THRUST_200600_302600_NS4plusIyEEEE10hipError_tPvRmT2_T3_mT4_P12ihipStream_tbEUlmE_yEESD_NS0_8identityIvEEEESI_SL_SM_mSN_SP_bEUlT_E_NS1_11comp_targetILNS1_3genE2ELNS1_11target_archE906ELNS1_3gpuE6ELNS1_3repE0EEENS1_30default_config_static_selectorELNS0_4arch9wavefront6targetE1EEEvT1_.numbered_sgpr, 12
	.set _ZN7rocprim17ROCPRIM_400000_NS6detail17trampoline_kernelINS0_14default_configENS1_25transform_config_selectorIyLb0EEEZNS1_14transform_implILb0ES3_S5_NS0_18transform_iteratorINS0_17counting_iteratorImlEEZNS1_24adjacent_difference_implIS3_Lb1ELb0EPKyPyN6thrust23THRUST_200600_302600_NS4plusIyEEEE10hipError_tPvRmT2_T3_mT4_P12ihipStream_tbEUlmE_yEESD_NS0_8identityIvEEEESI_SL_SM_mSN_SP_bEUlT_E_NS1_11comp_targetILNS1_3genE2ELNS1_11target_archE906ELNS1_3gpuE6ELNS1_3repE0EEENS1_30default_config_static_selectorELNS0_4arch9wavefront6targetE1EEEvT1_.num_named_barrier, 0
	.set _ZN7rocprim17ROCPRIM_400000_NS6detail17trampoline_kernelINS0_14default_configENS1_25transform_config_selectorIyLb0EEEZNS1_14transform_implILb0ES3_S5_NS0_18transform_iteratorINS0_17counting_iteratorImlEEZNS1_24adjacent_difference_implIS3_Lb1ELb0EPKyPyN6thrust23THRUST_200600_302600_NS4plusIyEEEE10hipError_tPvRmT2_T3_mT4_P12ihipStream_tbEUlmE_yEESD_NS0_8identityIvEEEESI_SL_SM_mSN_SP_bEUlT_E_NS1_11comp_targetILNS1_3genE2ELNS1_11target_archE906ELNS1_3gpuE6ELNS1_3repE0EEENS1_30default_config_static_selectorELNS0_4arch9wavefront6targetE1EEEvT1_.private_seg_size, 0
	.set _ZN7rocprim17ROCPRIM_400000_NS6detail17trampoline_kernelINS0_14default_configENS1_25transform_config_selectorIyLb0EEEZNS1_14transform_implILb0ES3_S5_NS0_18transform_iteratorINS0_17counting_iteratorImlEEZNS1_24adjacent_difference_implIS3_Lb1ELb0EPKyPyN6thrust23THRUST_200600_302600_NS4plusIyEEEE10hipError_tPvRmT2_T3_mT4_P12ihipStream_tbEUlmE_yEESD_NS0_8identityIvEEEESI_SL_SM_mSN_SP_bEUlT_E_NS1_11comp_targetILNS1_3genE2ELNS1_11target_archE906ELNS1_3gpuE6ELNS1_3repE0EEENS1_30default_config_static_selectorELNS0_4arch9wavefront6targetE1EEEvT1_.uses_vcc, 1
	.set _ZN7rocprim17ROCPRIM_400000_NS6detail17trampoline_kernelINS0_14default_configENS1_25transform_config_selectorIyLb0EEEZNS1_14transform_implILb0ES3_S5_NS0_18transform_iteratorINS0_17counting_iteratorImlEEZNS1_24adjacent_difference_implIS3_Lb1ELb0EPKyPyN6thrust23THRUST_200600_302600_NS4plusIyEEEE10hipError_tPvRmT2_T3_mT4_P12ihipStream_tbEUlmE_yEESD_NS0_8identityIvEEEESI_SL_SM_mSN_SP_bEUlT_E_NS1_11comp_targetILNS1_3genE2ELNS1_11target_archE906ELNS1_3gpuE6ELNS1_3repE0EEENS1_30default_config_static_selectorELNS0_4arch9wavefront6targetE1EEEvT1_.uses_flat_scratch, 0
	.set _ZN7rocprim17ROCPRIM_400000_NS6detail17trampoline_kernelINS0_14default_configENS1_25transform_config_selectorIyLb0EEEZNS1_14transform_implILb0ES3_S5_NS0_18transform_iteratorINS0_17counting_iteratorImlEEZNS1_24adjacent_difference_implIS3_Lb1ELb0EPKyPyN6thrust23THRUST_200600_302600_NS4plusIyEEEE10hipError_tPvRmT2_T3_mT4_P12ihipStream_tbEUlmE_yEESD_NS0_8identityIvEEEESI_SL_SM_mSN_SP_bEUlT_E_NS1_11comp_targetILNS1_3genE2ELNS1_11target_archE906ELNS1_3gpuE6ELNS1_3repE0EEENS1_30default_config_static_selectorELNS0_4arch9wavefront6targetE1EEEvT1_.has_dyn_sized_stack, 0
	.set _ZN7rocprim17ROCPRIM_400000_NS6detail17trampoline_kernelINS0_14default_configENS1_25transform_config_selectorIyLb0EEEZNS1_14transform_implILb0ES3_S5_NS0_18transform_iteratorINS0_17counting_iteratorImlEEZNS1_24adjacent_difference_implIS3_Lb1ELb0EPKyPyN6thrust23THRUST_200600_302600_NS4plusIyEEEE10hipError_tPvRmT2_T3_mT4_P12ihipStream_tbEUlmE_yEESD_NS0_8identityIvEEEESI_SL_SM_mSN_SP_bEUlT_E_NS1_11comp_targetILNS1_3genE2ELNS1_11target_archE906ELNS1_3gpuE6ELNS1_3repE0EEENS1_30default_config_static_selectorELNS0_4arch9wavefront6targetE1EEEvT1_.has_recursion, 0
	.set _ZN7rocprim17ROCPRIM_400000_NS6detail17trampoline_kernelINS0_14default_configENS1_25transform_config_selectorIyLb0EEEZNS1_14transform_implILb0ES3_S5_NS0_18transform_iteratorINS0_17counting_iteratorImlEEZNS1_24adjacent_difference_implIS3_Lb1ELb0EPKyPyN6thrust23THRUST_200600_302600_NS4plusIyEEEE10hipError_tPvRmT2_T3_mT4_P12ihipStream_tbEUlmE_yEESD_NS0_8identityIvEEEESI_SL_SM_mSN_SP_bEUlT_E_NS1_11comp_targetILNS1_3genE2ELNS1_11target_archE906ELNS1_3gpuE6ELNS1_3repE0EEENS1_30default_config_static_selectorELNS0_4arch9wavefront6targetE1EEEvT1_.has_indirect_call, 0
	.section	.AMDGPU.csdata,"",@progbits
; Kernel info:
; codeLenInByte = 232
; TotalNumSgprs: 16
; NumVgprs: 5
; ScratchSize: 0
; MemoryBound: 0
; FloatMode: 240
; IeeeMode: 1
; LDSByteSize: 0 bytes/workgroup (compile time only)
; SGPRBlocks: 1
; VGPRBlocks: 1
; NumSGPRsForWavesPerEU: 16
; NumVGPRsForWavesPerEU: 5
; Occupancy: 10
; WaveLimiterHint : 0
; COMPUTE_PGM_RSRC2:SCRATCH_EN: 0
; COMPUTE_PGM_RSRC2:USER_SGPR: 6
; COMPUTE_PGM_RSRC2:TRAP_HANDLER: 0
; COMPUTE_PGM_RSRC2:TGID_X_EN: 1
; COMPUTE_PGM_RSRC2:TGID_Y_EN: 0
; COMPUTE_PGM_RSRC2:TGID_Z_EN: 0
; COMPUTE_PGM_RSRC2:TIDIG_COMP_CNT: 0
	.section	.text._ZN7rocprim17ROCPRIM_400000_NS6detail17trampoline_kernelINS0_14default_configENS1_25transform_config_selectorIyLb0EEEZNS1_14transform_implILb0ES3_S5_NS0_18transform_iteratorINS0_17counting_iteratorImlEEZNS1_24adjacent_difference_implIS3_Lb1ELb0EPKyPyN6thrust23THRUST_200600_302600_NS4plusIyEEEE10hipError_tPvRmT2_T3_mT4_P12ihipStream_tbEUlmE_yEESD_NS0_8identityIvEEEESI_SL_SM_mSN_SP_bEUlT_E_NS1_11comp_targetILNS1_3genE10ELNS1_11target_archE1201ELNS1_3gpuE5ELNS1_3repE0EEENS1_30default_config_static_selectorELNS0_4arch9wavefront6targetE1EEEvT1_,"axG",@progbits,_ZN7rocprim17ROCPRIM_400000_NS6detail17trampoline_kernelINS0_14default_configENS1_25transform_config_selectorIyLb0EEEZNS1_14transform_implILb0ES3_S5_NS0_18transform_iteratorINS0_17counting_iteratorImlEEZNS1_24adjacent_difference_implIS3_Lb1ELb0EPKyPyN6thrust23THRUST_200600_302600_NS4plusIyEEEE10hipError_tPvRmT2_T3_mT4_P12ihipStream_tbEUlmE_yEESD_NS0_8identityIvEEEESI_SL_SM_mSN_SP_bEUlT_E_NS1_11comp_targetILNS1_3genE10ELNS1_11target_archE1201ELNS1_3gpuE5ELNS1_3repE0EEENS1_30default_config_static_selectorELNS0_4arch9wavefront6targetE1EEEvT1_,comdat
	.protected	_ZN7rocprim17ROCPRIM_400000_NS6detail17trampoline_kernelINS0_14default_configENS1_25transform_config_selectorIyLb0EEEZNS1_14transform_implILb0ES3_S5_NS0_18transform_iteratorINS0_17counting_iteratorImlEEZNS1_24adjacent_difference_implIS3_Lb1ELb0EPKyPyN6thrust23THRUST_200600_302600_NS4plusIyEEEE10hipError_tPvRmT2_T3_mT4_P12ihipStream_tbEUlmE_yEESD_NS0_8identityIvEEEESI_SL_SM_mSN_SP_bEUlT_E_NS1_11comp_targetILNS1_3genE10ELNS1_11target_archE1201ELNS1_3gpuE5ELNS1_3repE0EEENS1_30default_config_static_selectorELNS0_4arch9wavefront6targetE1EEEvT1_ ; -- Begin function _ZN7rocprim17ROCPRIM_400000_NS6detail17trampoline_kernelINS0_14default_configENS1_25transform_config_selectorIyLb0EEEZNS1_14transform_implILb0ES3_S5_NS0_18transform_iteratorINS0_17counting_iteratorImlEEZNS1_24adjacent_difference_implIS3_Lb1ELb0EPKyPyN6thrust23THRUST_200600_302600_NS4plusIyEEEE10hipError_tPvRmT2_T3_mT4_P12ihipStream_tbEUlmE_yEESD_NS0_8identityIvEEEESI_SL_SM_mSN_SP_bEUlT_E_NS1_11comp_targetILNS1_3genE10ELNS1_11target_archE1201ELNS1_3gpuE5ELNS1_3repE0EEENS1_30default_config_static_selectorELNS0_4arch9wavefront6targetE1EEEvT1_
	.globl	_ZN7rocprim17ROCPRIM_400000_NS6detail17trampoline_kernelINS0_14default_configENS1_25transform_config_selectorIyLb0EEEZNS1_14transform_implILb0ES3_S5_NS0_18transform_iteratorINS0_17counting_iteratorImlEEZNS1_24adjacent_difference_implIS3_Lb1ELb0EPKyPyN6thrust23THRUST_200600_302600_NS4plusIyEEEE10hipError_tPvRmT2_T3_mT4_P12ihipStream_tbEUlmE_yEESD_NS0_8identityIvEEEESI_SL_SM_mSN_SP_bEUlT_E_NS1_11comp_targetILNS1_3genE10ELNS1_11target_archE1201ELNS1_3gpuE5ELNS1_3repE0EEENS1_30default_config_static_selectorELNS0_4arch9wavefront6targetE1EEEvT1_
	.p2align	8
	.type	_ZN7rocprim17ROCPRIM_400000_NS6detail17trampoline_kernelINS0_14default_configENS1_25transform_config_selectorIyLb0EEEZNS1_14transform_implILb0ES3_S5_NS0_18transform_iteratorINS0_17counting_iteratorImlEEZNS1_24adjacent_difference_implIS3_Lb1ELb0EPKyPyN6thrust23THRUST_200600_302600_NS4plusIyEEEE10hipError_tPvRmT2_T3_mT4_P12ihipStream_tbEUlmE_yEESD_NS0_8identityIvEEEESI_SL_SM_mSN_SP_bEUlT_E_NS1_11comp_targetILNS1_3genE10ELNS1_11target_archE1201ELNS1_3gpuE5ELNS1_3repE0EEENS1_30default_config_static_selectorELNS0_4arch9wavefront6targetE1EEEvT1_,@function
_ZN7rocprim17ROCPRIM_400000_NS6detail17trampoline_kernelINS0_14default_configENS1_25transform_config_selectorIyLb0EEEZNS1_14transform_implILb0ES3_S5_NS0_18transform_iteratorINS0_17counting_iteratorImlEEZNS1_24adjacent_difference_implIS3_Lb1ELb0EPKyPyN6thrust23THRUST_200600_302600_NS4plusIyEEEE10hipError_tPvRmT2_T3_mT4_P12ihipStream_tbEUlmE_yEESD_NS0_8identityIvEEEESI_SL_SM_mSN_SP_bEUlT_E_NS1_11comp_targetILNS1_3genE10ELNS1_11target_archE1201ELNS1_3gpuE5ELNS1_3repE0EEENS1_30default_config_static_selectorELNS0_4arch9wavefront6targetE1EEEvT1_: ; @_ZN7rocprim17ROCPRIM_400000_NS6detail17trampoline_kernelINS0_14default_configENS1_25transform_config_selectorIyLb0EEEZNS1_14transform_implILb0ES3_S5_NS0_18transform_iteratorINS0_17counting_iteratorImlEEZNS1_24adjacent_difference_implIS3_Lb1ELb0EPKyPyN6thrust23THRUST_200600_302600_NS4plusIyEEEE10hipError_tPvRmT2_T3_mT4_P12ihipStream_tbEUlmE_yEESD_NS0_8identityIvEEEESI_SL_SM_mSN_SP_bEUlT_E_NS1_11comp_targetILNS1_3genE10ELNS1_11target_archE1201ELNS1_3gpuE5ELNS1_3repE0EEENS1_30default_config_static_selectorELNS0_4arch9wavefront6targetE1EEEvT1_
; %bb.0:
	.section	.rodata,"a",@progbits
	.p2align	6, 0x0
	.amdhsa_kernel _ZN7rocprim17ROCPRIM_400000_NS6detail17trampoline_kernelINS0_14default_configENS1_25transform_config_selectorIyLb0EEEZNS1_14transform_implILb0ES3_S5_NS0_18transform_iteratorINS0_17counting_iteratorImlEEZNS1_24adjacent_difference_implIS3_Lb1ELb0EPKyPyN6thrust23THRUST_200600_302600_NS4plusIyEEEE10hipError_tPvRmT2_T3_mT4_P12ihipStream_tbEUlmE_yEESD_NS0_8identityIvEEEESI_SL_SM_mSN_SP_bEUlT_E_NS1_11comp_targetILNS1_3genE10ELNS1_11target_archE1201ELNS1_3gpuE5ELNS1_3repE0EEENS1_30default_config_static_selectorELNS0_4arch9wavefront6targetE1EEEvT1_
		.amdhsa_group_segment_fixed_size 0
		.amdhsa_private_segment_fixed_size 0
		.amdhsa_kernarg_size 56
		.amdhsa_user_sgpr_count 6
		.amdhsa_user_sgpr_private_segment_buffer 1
		.amdhsa_user_sgpr_dispatch_ptr 0
		.amdhsa_user_sgpr_queue_ptr 0
		.amdhsa_user_sgpr_kernarg_segment_ptr 1
		.amdhsa_user_sgpr_dispatch_id 0
		.amdhsa_user_sgpr_flat_scratch_init 0
		.amdhsa_user_sgpr_private_segment_size 0
		.amdhsa_uses_dynamic_stack 0
		.amdhsa_system_sgpr_private_segment_wavefront_offset 0
		.amdhsa_system_sgpr_workgroup_id_x 1
		.amdhsa_system_sgpr_workgroup_id_y 0
		.amdhsa_system_sgpr_workgroup_id_z 0
		.amdhsa_system_sgpr_workgroup_info 0
		.amdhsa_system_vgpr_workitem_id 0
		.amdhsa_next_free_vgpr 1
		.amdhsa_next_free_sgpr 0
		.amdhsa_reserve_vcc 0
		.amdhsa_reserve_flat_scratch 0
		.amdhsa_float_round_mode_32 0
		.amdhsa_float_round_mode_16_64 0
		.amdhsa_float_denorm_mode_32 3
		.amdhsa_float_denorm_mode_16_64 3
		.amdhsa_dx10_clamp 1
		.amdhsa_ieee_mode 1
		.amdhsa_fp16_overflow 0
		.amdhsa_exception_fp_ieee_invalid_op 0
		.amdhsa_exception_fp_denorm_src 0
		.amdhsa_exception_fp_ieee_div_zero 0
		.amdhsa_exception_fp_ieee_overflow 0
		.amdhsa_exception_fp_ieee_underflow 0
		.amdhsa_exception_fp_ieee_inexact 0
		.amdhsa_exception_int_div_zero 0
	.end_amdhsa_kernel
	.section	.text._ZN7rocprim17ROCPRIM_400000_NS6detail17trampoline_kernelINS0_14default_configENS1_25transform_config_selectorIyLb0EEEZNS1_14transform_implILb0ES3_S5_NS0_18transform_iteratorINS0_17counting_iteratorImlEEZNS1_24adjacent_difference_implIS3_Lb1ELb0EPKyPyN6thrust23THRUST_200600_302600_NS4plusIyEEEE10hipError_tPvRmT2_T3_mT4_P12ihipStream_tbEUlmE_yEESD_NS0_8identityIvEEEESI_SL_SM_mSN_SP_bEUlT_E_NS1_11comp_targetILNS1_3genE10ELNS1_11target_archE1201ELNS1_3gpuE5ELNS1_3repE0EEENS1_30default_config_static_selectorELNS0_4arch9wavefront6targetE1EEEvT1_,"axG",@progbits,_ZN7rocprim17ROCPRIM_400000_NS6detail17trampoline_kernelINS0_14default_configENS1_25transform_config_selectorIyLb0EEEZNS1_14transform_implILb0ES3_S5_NS0_18transform_iteratorINS0_17counting_iteratorImlEEZNS1_24adjacent_difference_implIS3_Lb1ELb0EPKyPyN6thrust23THRUST_200600_302600_NS4plusIyEEEE10hipError_tPvRmT2_T3_mT4_P12ihipStream_tbEUlmE_yEESD_NS0_8identityIvEEEESI_SL_SM_mSN_SP_bEUlT_E_NS1_11comp_targetILNS1_3genE10ELNS1_11target_archE1201ELNS1_3gpuE5ELNS1_3repE0EEENS1_30default_config_static_selectorELNS0_4arch9wavefront6targetE1EEEvT1_,comdat
.Lfunc_end636:
	.size	_ZN7rocprim17ROCPRIM_400000_NS6detail17trampoline_kernelINS0_14default_configENS1_25transform_config_selectorIyLb0EEEZNS1_14transform_implILb0ES3_S5_NS0_18transform_iteratorINS0_17counting_iteratorImlEEZNS1_24adjacent_difference_implIS3_Lb1ELb0EPKyPyN6thrust23THRUST_200600_302600_NS4plusIyEEEE10hipError_tPvRmT2_T3_mT4_P12ihipStream_tbEUlmE_yEESD_NS0_8identityIvEEEESI_SL_SM_mSN_SP_bEUlT_E_NS1_11comp_targetILNS1_3genE10ELNS1_11target_archE1201ELNS1_3gpuE5ELNS1_3repE0EEENS1_30default_config_static_selectorELNS0_4arch9wavefront6targetE1EEEvT1_, .Lfunc_end636-_ZN7rocprim17ROCPRIM_400000_NS6detail17trampoline_kernelINS0_14default_configENS1_25transform_config_selectorIyLb0EEEZNS1_14transform_implILb0ES3_S5_NS0_18transform_iteratorINS0_17counting_iteratorImlEEZNS1_24adjacent_difference_implIS3_Lb1ELb0EPKyPyN6thrust23THRUST_200600_302600_NS4plusIyEEEE10hipError_tPvRmT2_T3_mT4_P12ihipStream_tbEUlmE_yEESD_NS0_8identityIvEEEESI_SL_SM_mSN_SP_bEUlT_E_NS1_11comp_targetILNS1_3genE10ELNS1_11target_archE1201ELNS1_3gpuE5ELNS1_3repE0EEENS1_30default_config_static_selectorELNS0_4arch9wavefront6targetE1EEEvT1_
                                        ; -- End function
	.set _ZN7rocprim17ROCPRIM_400000_NS6detail17trampoline_kernelINS0_14default_configENS1_25transform_config_selectorIyLb0EEEZNS1_14transform_implILb0ES3_S5_NS0_18transform_iteratorINS0_17counting_iteratorImlEEZNS1_24adjacent_difference_implIS3_Lb1ELb0EPKyPyN6thrust23THRUST_200600_302600_NS4plusIyEEEE10hipError_tPvRmT2_T3_mT4_P12ihipStream_tbEUlmE_yEESD_NS0_8identityIvEEEESI_SL_SM_mSN_SP_bEUlT_E_NS1_11comp_targetILNS1_3genE10ELNS1_11target_archE1201ELNS1_3gpuE5ELNS1_3repE0EEENS1_30default_config_static_selectorELNS0_4arch9wavefront6targetE1EEEvT1_.num_vgpr, 0
	.set _ZN7rocprim17ROCPRIM_400000_NS6detail17trampoline_kernelINS0_14default_configENS1_25transform_config_selectorIyLb0EEEZNS1_14transform_implILb0ES3_S5_NS0_18transform_iteratorINS0_17counting_iteratorImlEEZNS1_24adjacent_difference_implIS3_Lb1ELb0EPKyPyN6thrust23THRUST_200600_302600_NS4plusIyEEEE10hipError_tPvRmT2_T3_mT4_P12ihipStream_tbEUlmE_yEESD_NS0_8identityIvEEEESI_SL_SM_mSN_SP_bEUlT_E_NS1_11comp_targetILNS1_3genE10ELNS1_11target_archE1201ELNS1_3gpuE5ELNS1_3repE0EEENS1_30default_config_static_selectorELNS0_4arch9wavefront6targetE1EEEvT1_.num_agpr, 0
	.set _ZN7rocprim17ROCPRIM_400000_NS6detail17trampoline_kernelINS0_14default_configENS1_25transform_config_selectorIyLb0EEEZNS1_14transform_implILb0ES3_S5_NS0_18transform_iteratorINS0_17counting_iteratorImlEEZNS1_24adjacent_difference_implIS3_Lb1ELb0EPKyPyN6thrust23THRUST_200600_302600_NS4plusIyEEEE10hipError_tPvRmT2_T3_mT4_P12ihipStream_tbEUlmE_yEESD_NS0_8identityIvEEEESI_SL_SM_mSN_SP_bEUlT_E_NS1_11comp_targetILNS1_3genE10ELNS1_11target_archE1201ELNS1_3gpuE5ELNS1_3repE0EEENS1_30default_config_static_selectorELNS0_4arch9wavefront6targetE1EEEvT1_.numbered_sgpr, 0
	.set _ZN7rocprim17ROCPRIM_400000_NS6detail17trampoline_kernelINS0_14default_configENS1_25transform_config_selectorIyLb0EEEZNS1_14transform_implILb0ES3_S5_NS0_18transform_iteratorINS0_17counting_iteratorImlEEZNS1_24adjacent_difference_implIS3_Lb1ELb0EPKyPyN6thrust23THRUST_200600_302600_NS4plusIyEEEE10hipError_tPvRmT2_T3_mT4_P12ihipStream_tbEUlmE_yEESD_NS0_8identityIvEEEESI_SL_SM_mSN_SP_bEUlT_E_NS1_11comp_targetILNS1_3genE10ELNS1_11target_archE1201ELNS1_3gpuE5ELNS1_3repE0EEENS1_30default_config_static_selectorELNS0_4arch9wavefront6targetE1EEEvT1_.num_named_barrier, 0
	.set _ZN7rocprim17ROCPRIM_400000_NS6detail17trampoline_kernelINS0_14default_configENS1_25transform_config_selectorIyLb0EEEZNS1_14transform_implILb0ES3_S5_NS0_18transform_iteratorINS0_17counting_iteratorImlEEZNS1_24adjacent_difference_implIS3_Lb1ELb0EPKyPyN6thrust23THRUST_200600_302600_NS4plusIyEEEE10hipError_tPvRmT2_T3_mT4_P12ihipStream_tbEUlmE_yEESD_NS0_8identityIvEEEESI_SL_SM_mSN_SP_bEUlT_E_NS1_11comp_targetILNS1_3genE10ELNS1_11target_archE1201ELNS1_3gpuE5ELNS1_3repE0EEENS1_30default_config_static_selectorELNS0_4arch9wavefront6targetE1EEEvT1_.private_seg_size, 0
	.set _ZN7rocprim17ROCPRIM_400000_NS6detail17trampoline_kernelINS0_14default_configENS1_25transform_config_selectorIyLb0EEEZNS1_14transform_implILb0ES3_S5_NS0_18transform_iteratorINS0_17counting_iteratorImlEEZNS1_24adjacent_difference_implIS3_Lb1ELb0EPKyPyN6thrust23THRUST_200600_302600_NS4plusIyEEEE10hipError_tPvRmT2_T3_mT4_P12ihipStream_tbEUlmE_yEESD_NS0_8identityIvEEEESI_SL_SM_mSN_SP_bEUlT_E_NS1_11comp_targetILNS1_3genE10ELNS1_11target_archE1201ELNS1_3gpuE5ELNS1_3repE0EEENS1_30default_config_static_selectorELNS0_4arch9wavefront6targetE1EEEvT1_.uses_vcc, 0
	.set _ZN7rocprim17ROCPRIM_400000_NS6detail17trampoline_kernelINS0_14default_configENS1_25transform_config_selectorIyLb0EEEZNS1_14transform_implILb0ES3_S5_NS0_18transform_iteratorINS0_17counting_iteratorImlEEZNS1_24adjacent_difference_implIS3_Lb1ELb0EPKyPyN6thrust23THRUST_200600_302600_NS4plusIyEEEE10hipError_tPvRmT2_T3_mT4_P12ihipStream_tbEUlmE_yEESD_NS0_8identityIvEEEESI_SL_SM_mSN_SP_bEUlT_E_NS1_11comp_targetILNS1_3genE10ELNS1_11target_archE1201ELNS1_3gpuE5ELNS1_3repE0EEENS1_30default_config_static_selectorELNS0_4arch9wavefront6targetE1EEEvT1_.uses_flat_scratch, 0
	.set _ZN7rocprim17ROCPRIM_400000_NS6detail17trampoline_kernelINS0_14default_configENS1_25transform_config_selectorIyLb0EEEZNS1_14transform_implILb0ES3_S5_NS0_18transform_iteratorINS0_17counting_iteratorImlEEZNS1_24adjacent_difference_implIS3_Lb1ELb0EPKyPyN6thrust23THRUST_200600_302600_NS4plusIyEEEE10hipError_tPvRmT2_T3_mT4_P12ihipStream_tbEUlmE_yEESD_NS0_8identityIvEEEESI_SL_SM_mSN_SP_bEUlT_E_NS1_11comp_targetILNS1_3genE10ELNS1_11target_archE1201ELNS1_3gpuE5ELNS1_3repE0EEENS1_30default_config_static_selectorELNS0_4arch9wavefront6targetE1EEEvT1_.has_dyn_sized_stack, 0
	.set _ZN7rocprim17ROCPRIM_400000_NS6detail17trampoline_kernelINS0_14default_configENS1_25transform_config_selectorIyLb0EEEZNS1_14transform_implILb0ES3_S5_NS0_18transform_iteratorINS0_17counting_iteratorImlEEZNS1_24adjacent_difference_implIS3_Lb1ELb0EPKyPyN6thrust23THRUST_200600_302600_NS4plusIyEEEE10hipError_tPvRmT2_T3_mT4_P12ihipStream_tbEUlmE_yEESD_NS0_8identityIvEEEESI_SL_SM_mSN_SP_bEUlT_E_NS1_11comp_targetILNS1_3genE10ELNS1_11target_archE1201ELNS1_3gpuE5ELNS1_3repE0EEENS1_30default_config_static_selectorELNS0_4arch9wavefront6targetE1EEEvT1_.has_recursion, 0
	.set _ZN7rocprim17ROCPRIM_400000_NS6detail17trampoline_kernelINS0_14default_configENS1_25transform_config_selectorIyLb0EEEZNS1_14transform_implILb0ES3_S5_NS0_18transform_iteratorINS0_17counting_iteratorImlEEZNS1_24adjacent_difference_implIS3_Lb1ELb0EPKyPyN6thrust23THRUST_200600_302600_NS4plusIyEEEE10hipError_tPvRmT2_T3_mT4_P12ihipStream_tbEUlmE_yEESD_NS0_8identityIvEEEESI_SL_SM_mSN_SP_bEUlT_E_NS1_11comp_targetILNS1_3genE10ELNS1_11target_archE1201ELNS1_3gpuE5ELNS1_3repE0EEENS1_30default_config_static_selectorELNS0_4arch9wavefront6targetE1EEEvT1_.has_indirect_call, 0
	.section	.AMDGPU.csdata,"",@progbits
; Kernel info:
; codeLenInByte = 0
; TotalNumSgprs: 4
; NumVgprs: 0
; ScratchSize: 0
; MemoryBound: 0
; FloatMode: 240
; IeeeMode: 1
; LDSByteSize: 0 bytes/workgroup (compile time only)
; SGPRBlocks: 0
; VGPRBlocks: 0
; NumSGPRsForWavesPerEU: 4
; NumVGPRsForWavesPerEU: 1
; Occupancy: 10
; WaveLimiterHint : 0
; COMPUTE_PGM_RSRC2:SCRATCH_EN: 0
; COMPUTE_PGM_RSRC2:USER_SGPR: 6
; COMPUTE_PGM_RSRC2:TRAP_HANDLER: 0
; COMPUTE_PGM_RSRC2:TGID_X_EN: 1
; COMPUTE_PGM_RSRC2:TGID_Y_EN: 0
; COMPUTE_PGM_RSRC2:TGID_Z_EN: 0
; COMPUTE_PGM_RSRC2:TIDIG_COMP_CNT: 0
	.section	.text._ZN7rocprim17ROCPRIM_400000_NS6detail17trampoline_kernelINS0_14default_configENS1_25transform_config_selectorIyLb0EEEZNS1_14transform_implILb0ES3_S5_NS0_18transform_iteratorINS0_17counting_iteratorImlEEZNS1_24adjacent_difference_implIS3_Lb1ELb0EPKyPyN6thrust23THRUST_200600_302600_NS4plusIyEEEE10hipError_tPvRmT2_T3_mT4_P12ihipStream_tbEUlmE_yEESD_NS0_8identityIvEEEESI_SL_SM_mSN_SP_bEUlT_E_NS1_11comp_targetILNS1_3genE10ELNS1_11target_archE1200ELNS1_3gpuE4ELNS1_3repE0EEENS1_30default_config_static_selectorELNS0_4arch9wavefront6targetE1EEEvT1_,"axG",@progbits,_ZN7rocprim17ROCPRIM_400000_NS6detail17trampoline_kernelINS0_14default_configENS1_25transform_config_selectorIyLb0EEEZNS1_14transform_implILb0ES3_S5_NS0_18transform_iteratorINS0_17counting_iteratorImlEEZNS1_24adjacent_difference_implIS3_Lb1ELb0EPKyPyN6thrust23THRUST_200600_302600_NS4plusIyEEEE10hipError_tPvRmT2_T3_mT4_P12ihipStream_tbEUlmE_yEESD_NS0_8identityIvEEEESI_SL_SM_mSN_SP_bEUlT_E_NS1_11comp_targetILNS1_3genE10ELNS1_11target_archE1200ELNS1_3gpuE4ELNS1_3repE0EEENS1_30default_config_static_selectorELNS0_4arch9wavefront6targetE1EEEvT1_,comdat
	.protected	_ZN7rocprim17ROCPRIM_400000_NS6detail17trampoline_kernelINS0_14default_configENS1_25transform_config_selectorIyLb0EEEZNS1_14transform_implILb0ES3_S5_NS0_18transform_iteratorINS0_17counting_iteratorImlEEZNS1_24adjacent_difference_implIS3_Lb1ELb0EPKyPyN6thrust23THRUST_200600_302600_NS4plusIyEEEE10hipError_tPvRmT2_T3_mT4_P12ihipStream_tbEUlmE_yEESD_NS0_8identityIvEEEESI_SL_SM_mSN_SP_bEUlT_E_NS1_11comp_targetILNS1_3genE10ELNS1_11target_archE1200ELNS1_3gpuE4ELNS1_3repE0EEENS1_30default_config_static_selectorELNS0_4arch9wavefront6targetE1EEEvT1_ ; -- Begin function _ZN7rocprim17ROCPRIM_400000_NS6detail17trampoline_kernelINS0_14default_configENS1_25transform_config_selectorIyLb0EEEZNS1_14transform_implILb0ES3_S5_NS0_18transform_iteratorINS0_17counting_iteratorImlEEZNS1_24adjacent_difference_implIS3_Lb1ELb0EPKyPyN6thrust23THRUST_200600_302600_NS4plusIyEEEE10hipError_tPvRmT2_T3_mT4_P12ihipStream_tbEUlmE_yEESD_NS0_8identityIvEEEESI_SL_SM_mSN_SP_bEUlT_E_NS1_11comp_targetILNS1_3genE10ELNS1_11target_archE1200ELNS1_3gpuE4ELNS1_3repE0EEENS1_30default_config_static_selectorELNS0_4arch9wavefront6targetE1EEEvT1_
	.globl	_ZN7rocprim17ROCPRIM_400000_NS6detail17trampoline_kernelINS0_14default_configENS1_25transform_config_selectorIyLb0EEEZNS1_14transform_implILb0ES3_S5_NS0_18transform_iteratorINS0_17counting_iteratorImlEEZNS1_24adjacent_difference_implIS3_Lb1ELb0EPKyPyN6thrust23THRUST_200600_302600_NS4plusIyEEEE10hipError_tPvRmT2_T3_mT4_P12ihipStream_tbEUlmE_yEESD_NS0_8identityIvEEEESI_SL_SM_mSN_SP_bEUlT_E_NS1_11comp_targetILNS1_3genE10ELNS1_11target_archE1200ELNS1_3gpuE4ELNS1_3repE0EEENS1_30default_config_static_selectorELNS0_4arch9wavefront6targetE1EEEvT1_
	.p2align	8
	.type	_ZN7rocprim17ROCPRIM_400000_NS6detail17trampoline_kernelINS0_14default_configENS1_25transform_config_selectorIyLb0EEEZNS1_14transform_implILb0ES3_S5_NS0_18transform_iteratorINS0_17counting_iteratorImlEEZNS1_24adjacent_difference_implIS3_Lb1ELb0EPKyPyN6thrust23THRUST_200600_302600_NS4plusIyEEEE10hipError_tPvRmT2_T3_mT4_P12ihipStream_tbEUlmE_yEESD_NS0_8identityIvEEEESI_SL_SM_mSN_SP_bEUlT_E_NS1_11comp_targetILNS1_3genE10ELNS1_11target_archE1200ELNS1_3gpuE4ELNS1_3repE0EEENS1_30default_config_static_selectorELNS0_4arch9wavefront6targetE1EEEvT1_,@function
_ZN7rocprim17ROCPRIM_400000_NS6detail17trampoline_kernelINS0_14default_configENS1_25transform_config_selectorIyLb0EEEZNS1_14transform_implILb0ES3_S5_NS0_18transform_iteratorINS0_17counting_iteratorImlEEZNS1_24adjacent_difference_implIS3_Lb1ELb0EPKyPyN6thrust23THRUST_200600_302600_NS4plusIyEEEE10hipError_tPvRmT2_T3_mT4_P12ihipStream_tbEUlmE_yEESD_NS0_8identityIvEEEESI_SL_SM_mSN_SP_bEUlT_E_NS1_11comp_targetILNS1_3genE10ELNS1_11target_archE1200ELNS1_3gpuE4ELNS1_3repE0EEENS1_30default_config_static_selectorELNS0_4arch9wavefront6targetE1EEEvT1_: ; @_ZN7rocprim17ROCPRIM_400000_NS6detail17trampoline_kernelINS0_14default_configENS1_25transform_config_selectorIyLb0EEEZNS1_14transform_implILb0ES3_S5_NS0_18transform_iteratorINS0_17counting_iteratorImlEEZNS1_24adjacent_difference_implIS3_Lb1ELb0EPKyPyN6thrust23THRUST_200600_302600_NS4plusIyEEEE10hipError_tPvRmT2_T3_mT4_P12ihipStream_tbEUlmE_yEESD_NS0_8identityIvEEEESI_SL_SM_mSN_SP_bEUlT_E_NS1_11comp_targetILNS1_3genE10ELNS1_11target_archE1200ELNS1_3gpuE4ELNS1_3repE0EEENS1_30default_config_static_selectorELNS0_4arch9wavefront6targetE1EEEvT1_
; %bb.0:
	.section	.rodata,"a",@progbits
	.p2align	6, 0x0
	.amdhsa_kernel _ZN7rocprim17ROCPRIM_400000_NS6detail17trampoline_kernelINS0_14default_configENS1_25transform_config_selectorIyLb0EEEZNS1_14transform_implILb0ES3_S5_NS0_18transform_iteratorINS0_17counting_iteratorImlEEZNS1_24adjacent_difference_implIS3_Lb1ELb0EPKyPyN6thrust23THRUST_200600_302600_NS4plusIyEEEE10hipError_tPvRmT2_T3_mT4_P12ihipStream_tbEUlmE_yEESD_NS0_8identityIvEEEESI_SL_SM_mSN_SP_bEUlT_E_NS1_11comp_targetILNS1_3genE10ELNS1_11target_archE1200ELNS1_3gpuE4ELNS1_3repE0EEENS1_30default_config_static_selectorELNS0_4arch9wavefront6targetE1EEEvT1_
		.amdhsa_group_segment_fixed_size 0
		.amdhsa_private_segment_fixed_size 0
		.amdhsa_kernarg_size 56
		.amdhsa_user_sgpr_count 6
		.amdhsa_user_sgpr_private_segment_buffer 1
		.amdhsa_user_sgpr_dispatch_ptr 0
		.amdhsa_user_sgpr_queue_ptr 0
		.amdhsa_user_sgpr_kernarg_segment_ptr 1
		.amdhsa_user_sgpr_dispatch_id 0
		.amdhsa_user_sgpr_flat_scratch_init 0
		.amdhsa_user_sgpr_private_segment_size 0
		.amdhsa_uses_dynamic_stack 0
		.amdhsa_system_sgpr_private_segment_wavefront_offset 0
		.amdhsa_system_sgpr_workgroup_id_x 1
		.amdhsa_system_sgpr_workgroup_id_y 0
		.amdhsa_system_sgpr_workgroup_id_z 0
		.amdhsa_system_sgpr_workgroup_info 0
		.amdhsa_system_vgpr_workitem_id 0
		.amdhsa_next_free_vgpr 1
		.amdhsa_next_free_sgpr 0
		.amdhsa_reserve_vcc 0
		.amdhsa_reserve_flat_scratch 0
		.amdhsa_float_round_mode_32 0
		.amdhsa_float_round_mode_16_64 0
		.amdhsa_float_denorm_mode_32 3
		.amdhsa_float_denorm_mode_16_64 3
		.amdhsa_dx10_clamp 1
		.amdhsa_ieee_mode 1
		.amdhsa_fp16_overflow 0
		.amdhsa_exception_fp_ieee_invalid_op 0
		.amdhsa_exception_fp_denorm_src 0
		.amdhsa_exception_fp_ieee_div_zero 0
		.amdhsa_exception_fp_ieee_overflow 0
		.amdhsa_exception_fp_ieee_underflow 0
		.amdhsa_exception_fp_ieee_inexact 0
		.amdhsa_exception_int_div_zero 0
	.end_amdhsa_kernel
	.section	.text._ZN7rocprim17ROCPRIM_400000_NS6detail17trampoline_kernelINS0_14default_configENS1_25transform_config_selectorIyLb0EEEZNS1_14transform_implILb0ES3_S5_NS0_18transform_iteratorINS0_17counting_iteratorImlEEZNS1_24adjacent_difference_implIS3_Lb1ELb0EPKyPyN6thrust23THRUST_200600_302600_NS4plusIyEEEE10hipError_tPvRmT2_T3_mT4_P12ihipStream_tbEUlmE_yEESD_NS0_8identityIvEEEESI_SL_SM_mSN_SP_bEUlT_E_NS1_11comp_targetILNS1_3genE10ELNS1_11target_archE1200ELNS1_3gpuE4ELNS1_3repE0EEENS1_30default_config_static_selectorELNS0_4arch9wavefront6targetE1EEEvT1_,"axG",@progbits,_ZN7rocprim17ROCPRIM_400000_NS6detail17trampoline_kernelINS0_14default_configENS1_25transform_config_selectorIyLb0EEEZNS1_14transform_implILb0ES3_S5_NS0_18transform_iteratorINS0_17counting_iteratorImlEEZNS1_24adjacent_difference_implIS3_Lb1ELb0EPKyPyN6thrust23THRUST_200600_302600_NS4plusIyEEEE10hipError_tPvRmT2_T3_mT4_P12ihipStream_tbEUlmE_yEESD_NS0_8identityIvEEEESI_SL_SM_mSN_SP_bEUlT_E_NS1_11comp_targetILNS1_3genE10ELNS1_11target_archE1200ELNS1_3gpuE4ELNS1_3repE0EEENS1_30default_config_static_selectorELNS0_4arch9wavefront6targetE1EEEvT1_,comdat
.Lfunc_end637:
	.size	_ZN7rocprim17ROCPRIM_400000_NS6detail17trampoline_kernelINS0_14default_configENS1_25transform_config_selectorIyLb0EEEZNS1_14transform_implILb0ES3_S5_NS0_18transform_iteratorINS0_17counting_iteratorImlEEZNS1_24adjacent_difference_implIS3_Lb1ELb0EPKyPyN6thrust23THRUST_200600_302600_NS4plusIyEEEE10hipError_tPvRmT2_T3_mT4_P12ihipStream_tbEUlmE_yEESD_NS0_8identityIvEEEESI_SL_SM_mSN_SP_bEUlT_E_NS1_11comp_targetILNS1_3genE10ELNS1_11target_archE1200ELNS1_3gpuE4ELNS1_3repE0EEENS1_30default_config_static_selectorELNS0_4arch9wavefront6targetE1EEEvT1_, .Lfunc_end637-_ZN7rocprim17ROCPRIM_400000_NS6detail17trampoline_kernelINS0_14default_configENS1_25transform_config_selectorIyLb0EEEZNS1_14transform_implILb0ES3_S5_NS0_18transform_iteratorINS0_17counting_iteratorImlEEZNS1_24adjacent_difference_implIS3_Lb1ELb0EPKyPyN6thrust23THRUST_200600_302600_NS4plusIyEEEE10hipError_tPvRmT2_T3_mT4_P12ihipStream_tbEUlmE_yEESD_NS0_8identityIvEEEESI_SL_SM_mSN_SP_bEUlT_E_NS1_11comp_targetILNS1_3genE10ELNS1_11target_archE1200ELNS1_3gpuE4ELNS1_3repE0EEENS1_30default_config_static_selectorELNS0_4arch9wavefront6targetE1EEEvT1_
                                        ; -- End function
	.set _ZN7rocprim17ROCPRIM_400000_NS6detail17trampoline_kernelINS0_14default_configENS1_25transform_config_selectorIyLb0EEEZNS1_14transform_implILb0ES3_S5_NS0_18transform_iteratorINS0_17counting_iteratorImlEEZNS1_24adjacent_difference_implIS3_Lb1ELb0EPKyPyN6thrust23THRUST_200600_302600_NS4plusIyEEEE10hipError_tPvRmT2_T3_mT4_P12ihipStream_tbEUlmE_yEESD_NS0_8identityIvEEEESI_SL_SM_mSN_SP_bEUlT_E_NS1_11comp_targetILNS1_3genE10ELNS1_11target_archE1200ELNS1_3gpuE4ELNS1_3repE0EEENS1_30default_config_static_selectorELNS0_4arch9wavefront6targetE1EEEvT1_.num_vgpr, 0
	.set _ZN7rocprim17ROCPRIM_400000_NS6detail17trampoline_kernelINS0_14default_configENS1_25transform_config_selectorIyLb0EEEZNS1_14transform_implILb0ES3_S5_NS0_18transform_iteratorINS0_17counting_iteratorImlEEZNS1_24adjacent_difference_implIS3_Lb1ELb0EPKyPyN6thrust23THRUST_200600_302600_NS4plusIyEEEE10hipError_tPvRmT2_T3_mT4_P12ihipStream_tbEUlmE_yEESD_NS0_8identityIvEEEESI_SL_SM_mSN_SP_bEUlT_E_NS1_11comp_targetILNS1_3genE10ELNS1_11target_archE1200ELNS1_3gpuE4ELNS1_3repE0EEENS1_30default_config_static_selectorELNS0_4arch9wavefront6targetE1EEEvT1_.num_agpr, 0
	.set _ZN7rocprim17ROCPRIM_400000_NS6detail17trampoline_kernelINS0_14default_configENS1_25transform_config_selectorIyLb0EEEZNS1_14transform_implILb0ES3_S5_NS0_18transform_iteratorINS0_17counting_iteratorImlEEZNS1_24adjacent_difference_implIS3_Lb1ELb0EPKyPyN6thrust23THRUST_200600_302600_NS4plusIyEEEE10hipError_tPvRmT2_T3_mT4_P12ihipStream_tbEUlmE_yEESD_NS0_8identityIvEEEESI_SL_SM_mSN_SP_bEUlT_E_NS1_11comp_targetILNS1_3genE10ELNS1_11target_archE1200ELNS1_3gpuE4ELNS1_3repE0EEENS1_30default_config_static_selectorELNS0_4arch9wavefront6targetE1EEEvT1_.numbered_sgpr, 0
	.set _ZN7rocprim17ROCPRIM_400000_NS6detail17trampoline_kernelINS0_14default_configENS1_25transform_config_selectorIyLb0EEEZNS1_14transform_implILb0ES3_S5_NS0_18transform_iteratorINS0_17counting_iteratorImlEEZNS1_24adjacent_difference_implIS3_Lb1ELb0EPKyPyN6thrust23THRUST_200600_302600_NS4plusIyEEEE10hipError_tPvRmT2_T3_mT4_P12ihipStream_tbEUlmE_yEESD_NS0_8identityIvEEEESI_SL_SM_mSN_SP_bEUlT_E_NS1_11comp_targetILNS1_3genE10ELNS1_11target_archE1200ELNS1_3gpuE4ELNS1_3repE0EEENS1_30default_config_static_selectorELNS0_4arch9wavefront6targetE1EEEvT1_.num_named_barrier, 0
	.set _ZN7rocprim17ROCPRIM_400000_NS6detail17trampoline_kernelINS0_14default_configENS1_25transform_config_selectorIyLb0EEEZNS1_14transform_implILb0ES3_S5_NS0_18transform_iteratorINS0_17counting_iteratorImlEEZNS1_24adjacent_difference_implIS3_Lb1ELb0EPKyPyN6thrust23THRUST_200600_302600_NS4plusIyEEEE10hipError_tPvRmT2_T3_mT4_P12ihipStream_tbEUlmE_yEESD_NS0_8identityIvEEEESI_SL_SM_mSN_SP_bEUlT_E_NS1_11comp_targetILNS1_3genE10ELNS1_11target_archE1200ELNS1_3gpuE4ELNS1_3repE0EEENS1_30default_config_static_selectorELNS0_4arch9wavefront6targetE1EEEvT1_.private_seg_size, 0
	.set _ZN7rocprim17ROCPRIM_400000_NS6detail17trampoline_kernelINS0_14default_configENS1_25transform_config_selectorIyLb0EEEZNS1_14transform_implILb0ES3_S5_NS0_18transform_iteratorINS0_17counting_iteratorImlEEZNS1_24adjacent_difference_implIS3_Lb1ELb0EPKyPyN6thrust23THRUST_200600_302600_NS4plusIyEEEE10hipError_tPvRmT2_T3_mT4_P12ihipStream_tbEUlmE_yEESD_NS0_8identityIvEEEESI_SL_SM_mSN_SP_bEUlT_E_NS1_11comp_targetILNS1_3genE10ELNS1_11target_archE1200ELNS1_3gpuE4ELNS1_3repE0EEENS1_30default_config_static_selectorELNS0_4arch9wavefront6targetE1EEEvT1_.uses_vcc, 0
	.set _ZN7rocprim17ROCPRIM_400000_NS6detail17trampoline_kernelINS0_14default_configENS1_25transform_config_selectorIyLb0EEEZNS1_14transform_implILb0ES3_S5_NS0_18transform_iteratorINS0_17counting_iteratorImlEEZNS1_24adjacent_difference_implIS3_Lb1ELb0EPKyPyN6thrust23THRUST_200600_302600_NS4plusIyEEEE10hipError_tPvRmT2_T3_mT4_P12ihipStream_tbEUlmE_yEESD_NS0_8identityIvEEEESI_SL_SM_mSN_SP_bEUlT_E_NS1_11comp_targetILNS1_3genE10ELNS1_11target_archE1200ELNS1_3gpuE4ELNS1_3repE0EEENS1_30default_config_static_selectorELNS0_4arch9wavefront6targetE1EEEvT1_.uses_flat_scratch, 0
	.set _ZN7rocprim17ROCPRIM_400000_NS6detail17trampoline_kernelINS0_14default_configENS1_25transform_config_selectorIyLb0EEEZNS1_14transform_implILb0ES3_S5_NS0_18transform_iteratorINS0_17counting_iteratorImlEEZNS1_24adjacent_difference_implIS3_Lb1ELb0EPKyPyN6thrust23THRUST_200600_302600_NS4plusIyEEEE10hipError_tPvRmT2_T3_mT4_P12ihipStream_tbEUlmE_yEESD_NS0_8identityIvEEEESI_SL_SM_mSN_SP_bEUlT_E_NS1_11comp_targetILNS1_3genE10ELNS1_11target_archE1200ELNS1_3gpuE4ELNS1_3repE0EEENS1_30default_config_static_selectorELNS0_4arch9wavefront6targetE1EEEvT1_.has_dyn_sized_stack, 0
	.set _ZN7rocprim17ROCPRIM_400000_NS6detail17trampoline_kernelINS0_14default_configENS1_25transform_config_selectorIyLb0EEEZNS1_14transform_implILb0ES3_S5_NS0_18transform_iteratorINS0_17counting_iteratorImlEEZNS1_24adjacent_difference_implIS3_Lb1ELb0EPKyPyN6thrust23THRUST_200600_302600_NS4plusIyEEEE10hipError_tPvRmT2_T3_mT4_P12ihipStream_tbEUlmE_yEESD_NS0_8identityIvEEEESI_SL_SM_mSN_SP_bEUlT_E_NS1_11comp_targetILNS1_3genE10ELNS1_11target_archE1200ELNS1_3gpuE4ELNS1_3repE0EEENS1_30default_config_static_selectorELNS0_4arch9wavefront6targetE1EEEvT1_.has_recursion, 0
	.set _ZN7rocprim17ROCPRIM_400000_NS6detail17trampoline_kernelINS0_14default_configENS1_25transform_config_selectorIyLb0EEEZNS1_14transform_implILb0ES3_S5_NS0_18transform_iteratorINS0_17counting_iteratorImlEEZNS1_24adjacent_difference_implIS3_Lb1ELb0EPKyPyN6thrust23THRUST_200600_302600_NS4plusIyEEEE10hipError_tPvRmT2_T3_mT4_P12ihipStream_tbEUlmE_yEESD_NS0_8identityIvEEEESI_SL_SM_mSN_SP_bEUlT_E_NS1_11comp_targetILNS1_3genE10ELNS1_11target_archE1200ELNS1_3gpuE4ELNS1_3repE0EEENS1_30default_config_static_selectorELNS0_4arch9wavefront6targetE1EEEvT1_.has_indirect_call, 0
	.section	.AMDGPU.csdata,"",@progbits
; Kernel info:
; codeLenInByte = 0
; TotalNumSgprs: 4
; NumVgprs: 0
; ScratchSize: 0
; MemoryBound: 0
; FloatMode: 240
; IeeeMode: 1
; LDSByteSize: 0 bytes/workgroup (compile time only)
; SGPRBlocks: 0
; VGPRBlocks: 0
; NumSGPRsForWavesPerEU: 4
; NumVGPRsForWavesPerEU: 1
; Occupancy: 10
; WaveLimiterHint : 0
; COMPUTE_PGM_RSRC2:SCRATCH_EN: 0
; COMPUTE_PGM_RSRC2:USER_SGPR: 6
; COMPUTE_PGM_RSRC2:TRAP_HANDLER: 0
; COMPUTE_PGM_RSRC2:TGID_X_EN: 1
; COMPUTE_PGM_RSRC2:TGID_Y_EN: 0
; COMPUTE_PGM_RSRC2:TGID_Z_EN: 0
; COMPUTE_PGM_RSRC2:TIDIG_COMP_CNT: 0
	.section	.text._ZN7rocprim17ROCPRIM_400000_NS6detail17trampoline_kernelINS0_14default_configENS1_25transform_config_selectorIyLb0EEEZNS1_14transform_implILb0ES3_S5_NS0_18transform_iteratorINS0_17counting_iteratorImlEEZNS1_24adjacent_difference_implIS3_Lb1ELb0EPKyPyN6thrust23THRUST_200600_302600_NS4plusIyEEEE10hipError_tPvRmT2_T3_mT4_P12ihipStream_tbEUlmE_yEESD_NS0_8identityIvEEEESI_SL_SM_mSN_SP_bEUlT_E_NS1_11comp_targetILNS1_3genE9ELNS1_11target_archE1100ELNS1_3gpuE3ELNS1_3repE0EEENS1_30default_config_static_selectorELNS0_4arch9wavefront6targetE1EEEvT1_,"axG",@progbits,_ZN7rocprim17ROCPRIM_400000_NS6detail17trampoline_kernelINS0_14default_configENS1_25transform_config_selectorIyLb0EEEZNS1_14transform_implILb0ES3_S5_NS0_18transform_iteratorINS0_17counting_iteratorImlEEZNS1_24adjacent_difference_implIS3_Lb1ELb0EPKyPyN6thrust23THRUST_200600_302600_NS4plusIyEEEE10hipError_tPvRmT2_T3_mT4_P12ihipStream_tbEUlmE_yEESD_NS0_8identityIvEEEESI_SL_SM_mSN_SP_bEUlT_E_NS1_11comp_targetILNS1_3genE9ELNS1_11target_archE1100ELNS1_3gpuE3ELNS1_3repE0EEENS1_30default_config_static_selectorELNS0_4arch9wavefront6targetE1EEEvT1_,comdat
	.protected	_ZN7rocprim17ROCPRIM_400000_NS6detail17trampoline_kernelINS0_14default_configENS1_25transform_config_selectorIyLb0EEEZNS1_14transform_implILb0ES3_S5_NS0_18transform_iteratorINS0_17counting_iteratorImlEEZNS1_24adjacent_difference_implIS3_Lb1ELb0EPKyPyN6thrust23THRUST_200600_302600_NS4plusIyEEEE10hipError_tPvRmT2_T3_mT4_P12ihipStream_tbEUlmE_yEESD_NS0_8identityIvEEEESI_SL_SM_mSN_SP_bEUlT_E_NS1_11comp_targetILNS1_3genE9ELNS1_11target_archE1100ELNS1_3gpuE3ELNS1_3repE0EEENS1_30default_config_static_selectorELNS0_4arch9wavefront6targetE1EEEvT1_ ; -- Begin function _ZN7rocprim17ROCPRIM_400000_NS6detail17trampoline_kernelINS0_14default_configENS1_25transform_config_selectorIyLb0EEEZNS1_14transform_implILb0ES3_S5_NS0_18transform_iteratorINS0_17counting_iteratorImlEEZNS1_24adjacent_difference_implIS3_Lb1ELb0EPKyPyN6thrust23THRUST_200600_302600_NS4plusIyEEEE10hipError_tPvRmT2_T3_mT4_P12ihipStream_tbEUlmE_yEESD_NS0_8identityIvEEEESI_SL_SM_mSN_SP_bEUlT_E_NS1_11comp_targetILNS1_3genE9ELNS1_11target_archE1100ELNS1_3gpuE3ELNS1_3repE0EEENS1_30default_config_static_selectorELNS0_4arch9wavefront6targetE1EEEvT1_
	.globl	_ZN7rocprim17ROCPRIM_400000_NS6detail17trampoline_kernelINS0_14default_configENS1_25transform_config_selectorIyLb0EEEZNS1_14transform_implILb0ES3_S5_NS0_18transform_iteratorINS0_17counting_iteratorImlEEZNS1_24adjacent_difference_implIS3_Lb1ELb0EPKyPyN6thrust23THRUST_200600_302600_NS4plusIyEEEE10hipError_tPvRmT2_T3_mT4_P12ihipStream_tbEUlmE_yEESD_NS0_8identityIvEEEESI_SL_SM_mSN_SP_bEUlT_E_NS1_11comp_targetILNS1_3genE9ELNS1_11target_archE1100ELNS1_3gpuE3ELNS1_3repE0EEENS1_30default_config_static_selectorELNS0_4arch9wavefront6targetE1EEEvT1_
	.p2align	8
	.type	_ZN7rocprim17ROCPRIM_400000_NS6detail17trampoline_kernelINS0_14default_configENS1_25transform_config_selectorIyLb0EEEZNS1_14transform_implILb0ES3_S5_NS0_18transform_iteratorINS0_17counting_iteratorImlEEZNS1_24adjacent_difference_implIS3_Lb1ELb0EPKyPyN6thrust23THRUST_200600_302600_NS4plusIyEEEE10hipError_tPvRmT2_T3_mT4_P12ihipStream_tbEUlmE_yEESD_NS0_8identityIvEEEESI_SL_SM_mSN_SP_bEUlT_E_NS1_11comp_targetILNS1_3genE9ELNS1_11target_archE1100ELNS1_3gpuE3ELNS1_3repE0EEENS1_30default_config_static_selectorELNS0_4arch9wavefront6targetE1EEEvT1_,@function
_ZN7rocprim17ROCPRIM_400000_NS6detail17trampoline_kernelINS0_14default_configENS1_25transform_config_selectorIyLb0EEEZNS1_14transform_implILb0ES3_S5_NS0_18transform_iteratorINS0_17counting_iteratorImlEEZNS1_24adjacent_difference_implIS3_Lb1ELb0EPKyPyN6thrust23THRUST_200600_302600_NS4plusIyEEEE10hipError_tPvRmT2_T3_mT4_P12ihipStream_tbEUlmE_yEESD_NS0_8identityIvEEEESI_SL_SM_mSN_SP_bEUlT_E_NS1_11comp_targetILNS1_3genE9ELNS1_11target_archE1100ELNS1_3gpuE3ELNS1_3repE0EEENS1_30default_config_static_selectorELNS0_4arch9wavefront6targetE1EEEvT1_: ; @_ZN7rocprim17ROCPRIM_400000_NS6detail17trampoline_kernelINS0_14default_configENS1_25transform_config_selectorIyLb0EEEZNS1_14transform_implILb0ES3_S5_NS0_18transform_iteratorINS0_17counting_iteratorImlEEZNS1_24adjacent_difference_implIS3_Lb1ELb0EPKyPyN6thrust23THRUST_200600_302600_NS4plusIyEEEE10hipError_tPvRmT2_T3_mT4_P12ihipStream_tbEUlmE_yEESD_NS0_8identityIvEEEESI_SL_SM_mSN_SP_bEUlT_E_NS1_11comp_targetILNS1_3genE9ELNS1_11target_archE1100ELNS1_3gpuE3ELNS1_3repE0EEENS1_30default_config_static_selectorELNS0_4arch9wavefront6targetE1EEEvT1_
; %bb.0:
	.section	.rodata,"a",@progbits
	.p2align	6, 0x0
	.amdhsa_kernel _ZN7rocprim17ROCPRIM_400000_NS6detail17trampoline_kernelINS0_14default_configENS1_25transform_config_selectorIyLb0EEEZNS1_14transform_implILb0ES3_S5_NS0_18transform_iteratorINS0_17counting_iteratorImlEEZNS1_24adjacent_difference_implIS3_Lb1ELb0EPKyPyN6thrust23THRUST_200600_302600_NS4plusIyEEEE10hipError_tPvRmT2_T3_mT4_P12ihipStream_tbEUlmE_yEESD_NS0_8identityIvEEEESI_SL_SM_mSN_SP_bEUlT_E_NS1_11comp_targetILNS1_3genE9ELNS1_11target_archE1100ELNS1_3gpuE3ELNS1_3repE0EEENS1_30default_config_static_selectorELNS0_4arch9wavefront6targetE1EEEvT1_
		.amdhsa_group_segment_fixed_size 0
		.amdhsa_private_segment_fixed_size 0
		.amdhsa_kernarg_size 56
		.amdhsa_user_sgpr_count 6
		.amdhsa_user_sgpr_private_segment_buffer 1
		.amdhsa_user_sgpr_dispatch_ptr 0
		.amdhsa_user_sgpr_queue_ptr 0
		.amdhsa_user_sgpr_kernarg_segment_ptr 1
		.amdhsa_user_sgpr_dispatch_id 0
		.amdhsa_user_sgpr_flat_scratch_init 0
		.amdhsa_user_sgpr_private_segment_size 0
		.amdhsa_uses_dynamic_stack 0
		.amdhsa_system_sgpr_private_segment_wavefront_offset 0
		.amdhsa_system_sgpr_workgroup_id_x 1
		.amdhsa_system_sgpr_workgroup_id_y 0
		.amdhsa_system_sgpr_workgroup_id_z 0
		.amdhsa_system_sgpr_workgroup_info 0
		.amdhsa_system_vgpr_workitem_id 0
		.amdhsa_next_free_vgpr 1
		.amdhsa_next_free_sgpr 0
		.amdhsa_reserve_vcc 0
		.amdhsa_reserve_flat_scratch 0
		.amdhsa_float_round_mode_32 0
		.amdhsa_float_round_mode_16_64 0
		.amdhsa_float_denorm_mode_32 3
		.amdhsa_float_denorm_mode_16_64 3
		.amdhsa_dx10_clamp 1
		.amdhsa_ieee_mode 1
		.amdhsa_fp16_overflow 0
		.amdhsa_exception_fp_ieee_invalid_op 0
		.amdhsa_exception_fp_denorm_src 0
		.amdhsa_exception_fp_ieee_div_zero 0
		.amdhsa_exception_fp_ieee_overflow 0
		.amdhsa_exception_fp_ieee_underflow 0
		.amdhsa_exception_fp_ieee_inexact 0
		.amdhsa_exception_int_div_zero 0
	.end_amdhsa_kernel
	.section	.text._ZN7rocprim17ROCPRIM_400000_NS6detail17trampoline_kernelINS0_14default_configENS1_25transform_config_selectorIyLb0EEEZNS1_14transform_implILb0ES3_S5_NS0_18transform_iteratorINS0_17counting_iteratorImlEEZNS1_24adjacent_difference_implIS3_Lb1ELb0EPKyPyN6thrust23THRUST_200600_302600_NS4plusIyEEEE10hipError_tPvRmT2_T3_mT4_P12ihipStream_tbEUlmE_yEESD_NS0_8identityIvEEEESI_SL_SM_mSN_SP_bEUlT_E_NS1_11comp_targetILNS1_3genE9ELNS1_11target_archE1100ELNS1_3gpuE3ELNS1_3repE0EEENS1_30default_config_static_selectorELNS0_4arch9wavefront6targetE1EEEvT1_,"axG",@progbits,_ZN7rocprim17ROCPRIM_400000_NS6detail17trampoline_kernelINS0_14default_configENS1_25transform_config_selectorIyLb0EEEZNS1_14transform_implILb0ES3_S5_NS0_18transform_iteratorINS0_17counting_iteratorImlEEZNS1_24adjacent_difference_implIS3_Lb1ELb0EPKyPyN6thrust23THRUST_200600_302600_NS4plusIyEEEE10hipError_tPvRmT2_T3_mT4_P12ihipStream_tbEUlmE_yEESD_NS0_8identityIvEEEESI_SL_SM_mSN_SP_bEUlT_E_NS1_11comp_targetILNS1_3genE9ELNS1_11target_archE1100ELNS1_3gpuE3ELNS1_3repE0EEENS1_30default_config_static_selectorELNS0_4arch9wavefront6targetE1EEEvT1_,comdat
.Lfunc_end638:
	.size	_ZN7rocprim17ROCPRIM_400000_NS6detail17trampoline_kernelINS0_14default_configENS1_25transform_config_selectorIyLb0EEEZNS1_14transform_implILb0ES3_S5_NS0_18transform_iteratorINS0_17counting_iteratorImlEEZNS1_24adjacent_difference_implIS3_Lb1ELb0EPKyPyN6thrust23THRUST_200600_302600_NS4plusIyEEEE10hipError_tPvRmT2_T3_mT4_P12ihipStream_tbEUlmE_yEESD_NS0_8identityIvEEEESI_SL_SM_mSN_SP_bEUlT_E_NS1_11comp_targetILNS1_3genE9ELNS1_11target_archE1100ELNS1_3gpuE3ELNS1_3repE0EEENS1_30default_config_static_selectorELNS0_4arch9wavefront6targetE1EEEvT1_, .Lfunc_end638-_ZN7rocprim17ROCPRIM_400000_NS6detail17trampoline_kernelINS0_14default_configENS1_25transform_config_selectorIyLb0EEEZNS1_14transform_implILb0ES3_S5_NS0_18transform_iteratorINS0_17counting_iteratorImlEEZNS1_24adjacent_difference_implIS3_Lb1ELb0EPKyPyN6thrust23THRUST_200600_302600_NS4plusIyEEEE10hipError_tPvRmT2_T3_mT4_P12ihipStream_tbEUlmE_yEESD_NS0_8identityIvEEEESI_SL_SM_mSN_SP_bEUlT_E_NS1_11comp_targetILNS1_3genE9ELNS1_11target_archE1100ELNS1_3gpuE3ELNS1_3repE0EEENS1_30default_config_static_selectorELNS0_4arch9wavefront6targetE1EEEvT1_
                                        ; -- End function
	.set _ZN7rocprim17ROCPRIM_400000_NS6detail17trampoline_kernelINS0_14default_configENS1_25transform_config_selectorIyLb0EEEZNS1_14transform_implILb0ES3_S5_NS0_18transform_iteratorINS0_17counting_iteratorImlEEZNS1_24adjacent_difference_implIS3_Lb1ELb0EPKyPyN6thrust23THRUST_200600_302600_NS4plusIyEEEE10hipError_tPvRmT2_T3_mT4_P12ihipStream_tbEUlmE_yEESD_NS0_8identityIvEEEESI_SL_SM_mSN_SP_bEUlT_E_NS1_11comp_targetILNS1_3genE9ELNS1_11target_archE1100ELNS1_3gpuE3ELNS1_3repE0EEENS1_30default_config_static_selectorELNS0_4arch9wavefront6targetE1EEEvT1_.num_vgpr, 0
	.set _ZN7rocprim17ROCPRIM_400000_NS6detail17trampoline_kernelINS0_14default_configENS1_25transform_config_selectorIyLb0EEEZNS1_14transform_implILb0ES3_S5_NS0_18transform_iteratorINS0_17counting_iteratorImlEEZNS1_24adjacent_difference_implIS3_Lb1ELb0EPKyPyN6thrust23THRUST_200600_302600_NS4plusIyEEEE10hipError_tPvRmT2_T3_mT4_P12ihipStream_tbEUlmE_yEESD_NS0_8identityIvEEEESI_SL_SM_mSN_SP_bEUlT_E_NS1_11comp_targetILNS1_3genE9ELNS1_11target_archE1100ELNS1_3gpuE3ELNS1_3repE0EEENS1_30default_config_static_selectorELNS0_4arch9wavefront6targetE1EEEvT1_.num_agpr, 0
	.set _ZN7rocprim17ROCPRIM_400000_NS6detail17trampoline_kernelINS0_14default_configENS1_25transform_config_selectorIyLb0EEEZNS1_14transform_implILb0ES3_S5_NS0_18transform_iteratorINS0_17counting_iteratorImlEEZNS1_24adjacent_difference_implIS3_Lb1ELb0EPKyPyN6thrust23THRUST_200600_302600_NS4plusIyEEEE10hipError_tPvRmT2_T3_mT4_P12ihipStream_tbEUlmE_yEESD_NS0_8identityIvEEEESI_SL_SM_mSN_SP_bEUlT_E_NS1_11comp_targetILNS1_3genE9ELNS1_11target_archE1100ELNS1_3gpuE3ELNS1_3repE0EEENS1_30default_config_static_selectorELNS0_4arch9wavefront6targetE1EEEvT1_.numbered_sgpr, 0
	.set _ZN7rocprim17ROCPRIM_400000_NS6detail17trampoline_kernelINS0_14default_configENS1_25transform_config_selectorIyLb0EEEZNS1_14transform_implILb0ES3_S5_NS0_18transform_iteratorINS0_17counting_iteratorImlEEZNS1_24adjacent_difference_implIS3_Lb1ELb0EPKyPyN6thrust23THRUST_200600_302600_NS4plusIyEEEE10hipError_tPvRmT2_T3_mT4_P12ihipStream_tbEUlmE_yEESD_NS0_8identityIvEEEESI_SL_SM_mSN_SP_bEUlT_E_NS1_11comp_targetILNS1_3genE9ELNS1_11target_archE1100ELNS1_3gpuE3ELNS1_3repE0EEENS1_30default_config_static_selectorELNS0_4arch9wavefront6targetE1EEEvT1_.num_named_barrier, 0
	.set _ZN7rocprim17ROCPRIM_400000_NS6detail17trampoline_kernelINS0_14default_configENS1_25transform_config_selectorIyLb0EEEZNS1_14transform_implILb0ES3_S5_NS0_18transform_iteratorINS0_17counting_iteratorImlEEZNS1_24adjacent_difference_implIS3_Lb1ELb0EPKyPyN6thrust23THRUST_200600_302600_NS4plusIyEEEE10hipError_tPvRmT2_T3_mT4_P12ihipStream_tbEUlmE_yEESD_NS0_8identityIvEEEESI_SL_SM_mSN_SP_bEUlT_E_NS1_11comp_targetILNS1_3genE9ELNS1_11target_archE1100ELNS1_3gpuE3ELNS1_3repE0EEENS1_30default_config_static_selectorELNS0_4arch9wavefront6targetE1EEEvT1_.private_seg_size, 0
	.set _ZN7rocprim17ROCPRIM_400000_NS6detail17trampoline_kernelINS0_14default_configENS1_25transform_config_selectorIyLb0EEEZNS1_14transform_implILb0ES3_S5_NS0_18transform_iteratorINS0_17counting_iteratorImlEEZNS1_24adjacent_difference_implIS3_Lb1ELb0EPKyPyN6thrust23THRUST_200600_302600_NS4plusIyEEEE10hipError_tPvRmT2_T3_mT4_P12ihipStream_tbEUlmE_yEESD_NS0_8identityIvEEEESI_SL_SM_mSN_SP_bEUlT_E_NS1_11comp_targetILNS1_3genE9ELNS1_11target_archE1100ELNS1_3gpuE3ELNS1_3repE0EEENS1_30default_config_static_selectorELNS0_4arch9wavefront6targetE1EEEvT1_.uses_vcc, 0
	.set _ZN7rocprim17ROCPRIM_400000_NS6detail17trampoline_kernelINS0_14default_configENS1_25transform_config_selectorIyLb0EEEZNS1_14transform_implILb0ES3_S5_NS0_18transform_iteratorINS0_17counting_iteratorImlEEZNS1_24adjacent_difference_implIS3_Lb1ELb0EPKyPyN6thrust23THRUST_200600_302600_NS4plusIyEEEE10hipError_tPvRmT2_T3_mT4_P12ihipStream_tbEUlmE_yEESD_NS0_8identityIvEEEESI_SL_SM_mSN_SP_bEUlT_E_NS1_11comp_targetILNS1_3genE9ELNS1_11target_archE1100ELNS1_3gpuE3ELNS1_3repE0EEENS1_30default_config_static_selectorELNS0_4arch9wavefront6targetE1EEEvT1_.uses_flat_scratch, 0
	.set _ZN7rocprim17ROCPRIM_400000_NS6detail17trampoline_kernelINS0_14default_configENS1_25transform_config_selectorIyLb0EEEZNS1_14transform_implILb0ES3_S5_NS0_18transform_iteratorINS0_17counting_iteratorImlEEZNS1_24adjacent_difference_implIS3_Lb1ELb0EPKyPyN6thrust23THRUST_200600_302600_NS4plusIyEEEE10hipError_tPvRmT2_T3_mT4_P12ihipStream_tbEUlmE_yEESD_NS0_8identityIvEEEESI_SL_SM_mSN_SP_bEUlT_E_NS1_11comp_targetILNS1_3genE9ELNS1_11target_archE1100ELNS1_3gpuE3ELNS1_3repE0EEENS1_30default_config_static_selectorELNS0_4arch9wavefront6targetE1EEEvT1_.has_dyn_sized_stack, 0
	.set _ZN7rocprim17ROCPRIM_400000_NS6detail17trampoline_kernelINS0_14default_configENS1_25transform_config_selectorIyLb0EEEZNS1_14transform_implILb0ES3_S5_NS0_18transform_iteratorINS0_17counting_iteratorImlEEZNS1_24adjacent_difference_implIS3_Lb1ELb0EPKyPyN6thrust23THRUST_200600_302600_NS4plusIyEEEE10hipError_tPvRmT2_T3_mT4_P12ihipStream_tbEUlmE_yEESD_NS0_8identityIvEEEESI_SL_SM_mSN_SP_bEUlT_E_NS1_11comp_targetILNS1_3genE9ELNS1_11target_archE1100ELNS1_3gpuE3ELNS1_3repE0EEENS1_30default_config_static_selectorELNS0_4arch9wavefront6targetE1EEEvT1_.has_recursion, 0
	.set _ZN7rocprim17ROCPRIM_400000_NS6detail17trampoline_kernelINS0_14default_configENS1_25transform_config_selectorIyLb0EEEZNS1_14transform_implILb0ES3_S5_NS0_18transform_iteratorINS0_17counting_iteratorImlEEZNS1_24adjacent_difference_implIS3_Lb1ELb0EPKyPyN6thrust23THRUST_200600_302600_NS4plusIyEEEE10hipError_tPvRmT2_T3_mT4_P12ihipStream_tbEUlmE_yEESD_NS0_8identityIvEEEESI_SL_SM_mSN_SP_bEUlT_E_NS1_11comp_targetILNS1_3genE9ELNS1_11target_archE1100ELNS1_3gpuE3ELNS1_3repE0EEENS1_30default_config_static_selectorELNS0_4arch9wavefront6targetE1EEEvT1_.has_indirect_call, 0
	.section	.AMDGPU.csdata,"",@progbits
; Kernel info:
; codeLenInByte = 0
; TotalNumSgprs: 4
; NumVgprs: 0
; ScratchSize: 0
; MemoryBound: 0
; FloatMode: 240
; IeeeMode: 1
; LDSByteSize: 0 bytes/workgroup (compile time only)
; SGPRBlocks: 0
; VGPRBlocks: 0
; NumSGPRsForWavesPerEU: 4
; NumVGPRsForWavesPerEU: 1
; Occupancy: 10
; WaveLimiterHint : 0
; COMPUTE_PGM_RSRC2:SCRATCH_EN: 0
; COMPUTE_PGM_RSRC2:USER_SGPR: 6
; COMPUTE_PGM_RSRC2:TRAP_HANDLER: 0
; COMPUTE_PGM_RSRC2:TGID_X_EN: 1
; COMPUTE_PGM_RSRC2:TGID_Y_EN: 0
; COMPUTE_PGM_RSRC2:TGID_Z_EN: 0
; COMPUTE_PGM_RSRC2:TIDIG_COMP_CNT: 0
	.section	.text._ZN7rocprim17ROCPRIM_400000_NS6detail17trampoline_kernelINS0_14default_configENS1_25transform_config_selectorIyLb0EEEZNS1_14transform_implILb0ES3_S5_NS0_18transform_iteratorINS0_17counting_iteratorImlEEZNS1_24adjacent_difference_implIS3_Lb1ELb0EPKyPyN6thrust23THRUST_200600_302600_NS4plusIyEEEE10hipError_tPvRmT2_T3_mT4_P12ihipStream_tbEUlmE_yEESD_NS0_8identityIvEEEESI_SL_SM_mSN_SP_bEUlT_E_NS1_11comp_targetILNS1_3genE8ELNS1_11target_archE1030ELNS1_3gpuE2ELNS1_3repE0EEENS1_30default_config_static_selectorELNS0_4arch9wavefront6targetE1EEEvT1_,"axG",@progbits,_ZN7rocprim17ROCPRIM_400000_NS6detail17trampoline_kernelINS0_14default_configENS1_25transform_config_selectorIyLb0EEEZNS1_14transform_implILb0ES3_S5_NS0_18transform_iteratorINS0_17counting_iteratorImlEEZNS1_24adjacent_difference_implIS3_Lb1ELb0EPKyPyN6thrust23THRUST_200600_302600_NS4plusIyEEEE10hipError_tPvRmT2_T3_mT4_P12ihipStream_tbEUlmE_yEESD_NS0_8identityIvEEEESI_SL_SM_mSN_SP_bEUlT_E_NS1_11comp_targetILNS1_3genE8ELNS1_11target_archE1030ELNS1_3gpuE2ELNS1_3repE0EEENS1_30default_config_static_selectorELNS0_4arch9wavefront6targetE1EEEvT1_,comdat
	.protected	_ZN7rocprim17ROCPRIM_400000_NS6detail17trampoline_kernelINS0_14default_configENS1_25transform_config_selectorIyLb0EEEZNS1_14transform_implILb0ES3_S5_NS0_18transform_iteratorINS0_17counting_iteratorImlEEZNS1_24adjacent_difference_implIS3_Lb1ELb0EPKyPyN6thrust23THRUST_200600_302600_NS4plusIyEEEE10hipError_tPvRmT2_T3_mT4_P12ihipStream_tbEUlmE_yEESD_NS0_8identityIvEEEESI_SL_SM_mSN_SP_bEUlT_E_NS1_11comp_targetILNS1_3genE8ELNS1_11target_archE1030ELNS1_3gpuE2ELNS1_3repE0EEENS1_30default_config_static_selectorELNS0_4arch9wavefront6targetE1EEEvT1_ ; -- Begin function _ZN7rocprim17ROCPRIM_400000_NS6detail17trampoline_kernelINS0_14default_configENS1_25transform_config_selectorIyLb0EEEZNS1_14transform_implILb0ES3_S5_NS0_18transform_iteratorINS0_17counting_iteratorImlEEZNS1_24adjacent_difference_implIS3_Lb1ELb0EPKyPyN6thrust23THRUST_200600_302600_NS4plusIyEEEE10hipError_tPvRmT2_T3_mT4_P12ihipStream_tbEUlmE_yEESD_NS0_8identityIvEEEESI_SL_SM_mSN_SP_bEUlT_E_NS1_11comp_targetILNS1_3genE8ELNS1_11target_archE1030ELNS1_3gpuE2ELNS1_3repE0EEENS1_30default_config_static_selectorELNS0_4arch9wavefront6targetE1EEEvT1_
	.globl	_ZN7rocprim17ROCPRIM_400000_NS6detail17trampoline_kernelINS0_14default_configENS1_25transform_config_selectorIyLb0EEEZNS1_14transform_implILb0ES3_S5_NS0_18transform_iteratorINS0_17counting_iteratorImlEEZNS1_24adjacent_difference_implIS3_Lb1ELb0EPKyPyN6thrust23THRUST_200600_302600_NS4plusIyEEEE10hipError_tPvRmT2_T3_mT4_P12ihipStream_tbEUlmE_yEESD_NS0_8identityIvEEEESI_SL_SM_mSN_SP_bEUlT_E_NS1_11comp_targetILNS1_3genE8ELNS1_11target_archE1030ELNS1_3gpuE2ELNS1_3repE0EEENS1_30default_config_static_selectorELNS0_4arch9wavefront6targetE1EEEvT1_
	.p2align	8
	.type	_ZN7rocprim17ROCPRIM_400000_NS6detail17trampoline_kernelINS0_14default_configENS1_25transform_config_selectorIyLb0EEEZNS1_14transform_implILb0ES3_S5_NS0_18transform_iteratorINS0_17counting_iteratorImlEEZNS1_24adjacent_difference_implIS3_Lb1ELb0EPKyPyN6thrust23THRUST_200600_302600_NS4plusIyEEEE10hipError_tPvRmT2_T3_mT4_P12ihipStream_tbEUlmE_yEESD_NS0_8identityIvEEEESI_SL_SM_mSN_SP_bEUlT_E_NS1_11comp_targetILNS1_3genE8ELNS1_11target_archE1030ELNS1_3gpuE2ELNS1_3repE0EEENS1_30default_config_static_selectorELNS0_4arch9wavefront6targetE1EEEvT1_,@function
_ZN7rocprim17ROCPRIM_400000_NS6detail17trampoline_kernelINS0_14default_configENS1_25transform_config_selectorIyLb0EEEZNS1_14transform_implILb0ES3_S5_NS0_18transform_iteratorINS0_17counting_iteratorImlEEZNS1_24adjacent_difference_implIS3_Lb1ELb0EPKyPyN6thrust23THRUST_200600_302600_NS4plusIyEEEE10hipError_tPvRmT2_T3_mT4_P12ihipStream_tbEUlmE_yEESD_NS0_8identityIvEEEESI_SL_SM_mSN_SP_bEUlT_E_NS1_11comp_targetILNS1_3genE8ELNS1_11target_archE1030ELNS1_3gpuE2ELNS1_3repE0EEENS1_30default_config_static_selectorELNS0_4arch9wavefront6targetE1EEEvT1_: ; @_ZN7rocprim17ROCPRIM_400000_NS6detail17trampoline_kernelINS0_14default_configENS1_25transform_config_selectorIyLb0EEEZNS1_14transform_implILb0ES3_S5_NS0_18transform_iteratorINS0_17counting_iteratorImlEEZNS1_24adjacent_difference_implIS3_Lb1ELb0EPKyPyN6thrust23THRUST_200600_302600_NS4plusIyEEEE10hipError_tPvRmT2_T3_mT4_P12ihipStream_tbEUlmE_yEESD_NS0_8identityIvEEEESI_SL_SM_mSN_SP_bEUlT_E_NS1_11comp_targetILNS1_3genE8ELNS1_11target_archE1030ELNS1_3gpuE2ELNS1_3repE0EEENS1_30default_config_static_selectorELNS0_4arch9wavefront6targetE1EEEvT1_
; %bb.0:
	.section	.rodata,"a",@progbits
	.p2align	6, 0x0
	.amdhsa_kernel _ZN7rocprim17ROCPRIM_400000_NS6detail17trampoline_kernelINS0_14default_configENS1_25transform_config_selectorIyLb0EEEZNS1_14transform_implILb0ES3_S5_NS0_18transform_iteratorINS0_17counting_iteratorImlEEZNS1_24adjacent_difference_implIS3_Lb1ELb0EPKyPyN6thrust23THRUST_200600_302600_NS4plusIyEEEE10hipError_tPvRmT2_T3_mT4_P12ihipStream_tbEUlmE_yEESD_NS0_8identityIvEEEESI_SL_SM_mSN_SP_bEUlT_E_NS1_11comp_targetILNS1_3genE8ELNS1_11target_archE1030ELNS1_3gpuE2ELNS1_3repE0EEENS1_30default_config_static_selectorELNS0_4arch9wavefront6targetE1EEEvT1_
		.amdhsa_group_segment_fixed_size 0
		.amdhsa_private_segment_fixed_size 0
		.amdhsa_kernarg_size 56
		.amdhsa_user_sgpr_count 6
		.amdhsa_user_sgpr_private_segment_buffer 1
		.amdhsa_user_sgpr_dispatch_ptr 0
		.amdhsa_user_sgpr_queue_ptr 0
		.amdhsa_user_sgpr_kernarg_segment_ptr 1
		.amdhsa_user_sgpr_dispatch_id 0
		.amdhsa_user_sgpr_flat_scratch_init 0
		.amdhsa_user_sgpr_private_segment_size 0
		.amdhsa_uses_dynamic_stack 0
		.amdhsa_system_sgpr_private_segment_wavefront_offset 0
		.amdhsa_system_sgpr_workgroup_id_x 1
		.amdhsa_system_sgpr_workgroup_id_y 0
		.amdhsa_system_sgpr_workgroup_id_z 0
		.amdhsa_system_sgpr_workgroup_info 0
		.amdhsa_system_vgpr_workitem_id 0
		.amdhsa_next_free_vgpr 1
		.amdhsa_next_free_sgpr 0
		.amdhsa_reserve_vcc 0
		.amdhsa_reserve_flat_scratch 0
		.amdhsa_float_round_mode_32 0
		.amdhsa_float_round_mode_16_64 0
		.amdhsa_float_denorm_mode_32 3
		.amdhsa_float_denorm_mode_16_64 3
		.amdhsa_dx10_clamp 1
		.amdhsa_ieee_mode 1
		.amdhsa_fp16_overflow 0
		.amdhsa_exception_fp_ieee_invalid_op 0
		.amdhsa_exception_fp_denorm_src 0
		.amdhsa_exception_fp_ieee_div_zero 0
		.amdhsa_exception_fp_ieee_overflow 0
		.amdhsa_exception_fp_ieee_underflow 0
		.amdhsa_exception_fp_ieee_inexact 0
		.amdhsa_exception_int_div_zero 0
	.end_amdhsa_kernel
	.section	.text._ZN7rocprim17ROCPRIM_400000_NS6detail17trampoline_kernelINS0_14default_configENS1_25transform_config_selectorIyLb0EEEZNS1_14transform_implILb0ES3_S5_NS0_18transform_iteratorINS0_17counting_iteratorImlEEZNS1_24adjacent_difference_implIS3_Lb1ELb0EPKyPyN6thrust23THRUST_200600_302600_NS4plusIyEEEE10hipError_tPvRmT2_T3_mT4_P12ihipStream_tbEUlmE_yEESD_NS0_8identityIvEEEESI_SL_SM_mSN_SP_bEUlT_E_NS1_11comp_targetILNS1_3genE8ELNS1_11target_archE1030ELNS1_3gpuE2ELNS1_3repE0EEENS1_30default_config_static_selectorELNS0_4arch9wavefront6targetE1EEEvT1_,"axG",@progbits,_ZN7rocprim17ROCPRIM_400000_NS6detail17trampoline_kernelINS0_14default_configENS1_25transform_config_selectorIyLb0EEEZNS1_14transform_implILb0ES3_S5_NS0_18transform_iteratorINS0_17counting_iteratorImlEEZNS1_24adjacent_difference_implIS3_Lb1ELb0EPKyPyN6thrust23THRUST_200600_302600_NS4plusIyEEEE10hipError_tPvRmT2_T3_mT4_P12ihipStream_tbEUlmE_yEESD_NS0_8identityIvEEEESI_SL_SM_mSN_SP_bEUlT_E_NS1_11comp_targetILNS1_3genE8ELNS1_11target_archE1030ELNS1_3gpuE2ELNS1_3repE0EEENS1_30default_config_static_selectorELNS0_4arch9wavefront6targetE1EEEvT1_,comdat
.Lfunc_end639:
	.size	_ZN7rocprim17ROCPRIM_400000_NS6detail17trampoline_kernelINS0_14default_configENS1_25transform_config_selectorIyLb0EEEZNS1_14transform_implILb0ES3_S5_NS0_18transform_iteratorINS0_17counting_iteratorImlEEZNS1_24adjacent_difference_implIS3_Lb1ELb0EPKyPyN6thrust23THRUST_200600_302600_NS4plusIyEEEE10hipError_tPvRmT2_T3_mT4_P12ihipStream_tbEUlmE_yEESD_NS0_8identityIvEEEESI_SL_SM_mSN_SP_bEUlT_E_NS1_11comp_targetILNS1_3genE8ELNS1_11target_archE1030ELNS1_3gpuE2ELNS1_3repE0EEENS1_30default_config_static_selectorELNS0_4arch9wavefront6targetE1EEEvT1_, .Lfunc_end639-_ZN7rocprim17ROCPRIM_400000_NS6detail17trampoline_kernelINS0_14default_configENS1_25transform_config_selectorIyLb0EEEZNS1_14transform_implILb0ES3_S5_NS0_18transform_iteratorINS0_17counting_iteratorImlEEZNS1_24adjacent_difference_implIS3_Lb1ELb0EPKyPyN6thrust23THRUST_200600_302600_NS4plusIyEEEE10hipError_tPvRmT2_T3_mT4_P12ihipStream_tbEUlmE_yEESD_NS0_8identityIvEEEESI_SL_SM_mSN_SP_bEUlT_E_NS1_11comp_targetILNS1_3genE8ELNS1_11target_archE1030ELNS1_3gpuE2ELNS1_3repE0EEENS1_30default_config_static_selectorELNS0_4arch9wavefront6targetE1EEEvT1_
                                        ; -- End function
	.set _ZN7rocprim17ROCPRIM_400000_NS6detail17trampoline_kernelINS0_14default_configENS1_25transform_config_selectorIyLb0EEEZNS1_14transform_implILb0ES3_S5_NS0_18transform_iteratorINS0_17counting_iteratorImlEEZNS1_24adjacent_difference_implIS3_Lb1ELb0EPKyPyN6thrust23THRUST_200600_302600_NS4plusIyEEEE10hipError_tPvRmT2_T3_mT4_P12ihipStream_tbEUlmE_yEESD_NS0_8identityIvEEEESI_SL_SM_mSN_SP_bEUlT_E_NS1_11comp_targetILNS1_3genE8ELNS1_11target_archE1030ELNS1_3gpuE2ELNS1_3repE0EEENS1_30default_config_static_selectorELNS0_4arch9wavefront6targetE1EEEvT1_.num_vgpr, 0
	.set _ZN7rocprim17ROCPRIM_400000_NS6detail17trampoline_kernelINS0_14default_configENS1_25transform_config_selectorIyLb0EEEZNS1_14transform_implILb0ES3_S5_NS0_18transform_iteratorINS0_17counting_iteratorImlEEZNS1_24adjacent_difference_implIS3_Lb1ELb0EPKyPyN6thrust23THRUST_200600_302600_NS4plusIyEEEE10hipError_tPvRmT2_T3_mT4_P12ihipStream_tbEUlmE_yEESD_NS0_8identityIvEEEESI_SL_SM_mSN_SP_bEUlT_E_NS1_11comp_targetILNS1_3genE8ELNS1_11target_archE1030ELNS1_3gpuE2ELNS1_3repE0EEENS1_30default_config_static_selectorELNS0_4arch9wavefront6targetE1EEEvT1_.num_agpr, 0
	.set _ZN7rocprim17ROCPRIM_400000_NS6detail17trampoline_kernelINS0_14default_configENS1_25transform_config_selectorIyLb0EEEZNS1_14transform_implILb0ES3_S5_NS0_18transform_iteratorINS0_17counting_iteratorImlEEZNS1_24adjacent_difference_implIS3_Lb1ELb0EPKyPyN6thrust23THRUST_200600_302600_NS4plusIyEEEE10hipError_tPvRmT2_T3_mT4_P12ihipStream_tbEUlmE_yEESD_NS0_8identityIvEEEESI_SL_SM_mSN_SP_bEUlT_E_NS1_11comp_targetILNS1_3genE8ELNS1_11target_archE1030ELNS1_3gpuE2ELNS1_3repE0EEENS1_30default_config_static_selectorELNS0_4arch9wavefront6targetE1EEEvT1_.numbered_sgpr, 0
	.set _ZN7rocprim17ROCPRIM_400000_NS6detail17trampoline_kernelINS0_14default_configENS1_25transform_config_selectorIyLb0EEEZNS1_14transform_implILb0ES3_S5_NS0_18transform_iteratorINS0_17counting_iteratorImlEEZNS1_24adjacent_difference_implIS3_Lb1ELb0EPKyPyN6thrust23THRUST_200600_302600_NS4plusIyEEEE10hipError_tPvRmT2_T3_mT4_P12ihipStream_tbEUlmE_yEESD_NS0_8identityIvEEEESI_SL_SM_mSN_SP_bEUlT_E_NS1_11comp_targetILNS1_3genE8ELNS1_11target_archE1030ELNS1_3gpuE2ELNS1_3repE0EEENS1_30default_config_static_selectorELNS0_4arch9wavefront6targetE1EEEvT1_.num_named_barrier, 0
	.set _ZN7rocprim17ROCPRIM_400000_NS6detail17trampoline_kernelINS0_14default_configENS1_25transform_config_selectorIyLb0EEEZNS1_14transform_implILb0ES3_S5_NS0_18transform_iteratorINS0_17counting_iteratorImlEEZNS1_24adjacent_difference_implIS3_Lb1ELb0EPKyPyN6thrust23THRUST_200600_302600_NS4plusIyEEEE10hipError_tPvRmT2_T3_mT4_P12ihipStream_tbEUlmE_yEESD_NS0_8identityIvEEEESI_SL_SM_mSN_SP_bEUlT_E_NS1_11comp_targetILNS1_3genE8ELNS1_11target_archE1030ELNS1_3gpuE2ELNS1_3repE0EEENS1_30default_config_static_selectorELNS0_4arch9wavefront6targetE1EEEvT1_.private_seg_size, 0
	.set _ZN7rocprim17ROCPRIM_400000_NS6detail17trampoline_kernelINS0_14default_configENS1_25transform_config_selectorIyLb0EEEZNS1_14transform_implILb0ES3_S5_NS0_18transform_iteratorINS0_17counting_iteratorImlEEZNS1_24adjacent_difference_implIS3_Lb1ELb0EPKyPyN6thrust23THRUST_200600_302600_NS4plusIyEEEE10hipError_tPvRmT2_T3_mT4_P12ihipStream_tbEUlmE_yEESD_NS0_8identityIvEEEESI_SL_SM_mSN_SP_bEUlT_E_NS1_11comp_targetILNS1_3genE8ELNS1_11target_archE1030ELNS1_3gpuE2ELNS1_3repE0EEENS1_30default_config_static_selectorELNS0_4arch9wavefront6targetE1EEEvT1_.uses_vcc, 0
	.set _ZN7rocprim17ROCPRIM_400000_NS6detail17trampoline_kernelINS0_14default_configENS1_25transform_config_selectorIyLb0EEEZNS1_14transform_implILb0ES3_S5_NS0_18transform_iteratorINS0_17counting_iteratorImlEEZNS1_24adjacent_difference_implIS3_Lb1ELb0EPKyPyN6thrust23THRUST_200600_302600_NS4plusIyEEEE10hipError_tPvRmT2_T3_mT4_P12ihipStream_tbEUlmE_yEESD_NS0_8identityIvEEEESI_SL_SM_mSN_SP_bEUlT_E_NS1_11comp_targetILNS1_3genE8ELNS1_11target_archE1030ELNS1_3gpuE2ELNS1_3repE0EEENS1_30default_config_static_selectorELNS0_4arch9wavefront6targetE1EEEvT1_.uses_flat_scratch, 0
	.set _ZN7rocprim17ROCPRIM_400000_NS6detail17trampoline_kernelINS0_14default_configENS1_25transform_config_selectorIyLb0EEEZNS1_14transform_implILb0ES3_S5_NS0_18transform_iteratorINS0_17counting_iteratorImlEEZNS1_24adjacent_difference_implIS3_Lb1ELb0EPKyPyN6thrust23THRUST_200600_302600_NS4plusIyEEEE10hipError_tPvRmT2_T3_mT4_P12ihipStream_tbEUlmE_yEESD_NS0_8identityIvEEEESI_SL_SM_mSN_SP_bEUlT_E_NS1_11comp_targetILNS1_3genE8ELNS1_11target_archE1030ELNS1_3gpuE2ELNS1_3repE0EEENS1_30default_config_static_selectorELNS0_4arch9wavefront6targetE1EEEvT1_.has_dyn_sized_stack, 0
	.set _ZN7rocprim17ROCPRIM_400000_NS6detail17trampoline_kernelINS0_14default_configENS1_25transform_config_selectorIyLb0EEEZNS1_14transform_implILb0ES3_S5_NS0_18transform_iteratorINS0_17counting_iteratorImlEEZNS1_24adjacent_difference_implIS3_Lb1ELb0EPKyPyN6thrust23THRUST_200600_302600_NS4plusIyEEEE10hipError_tPvRmT2_T3_mT4_P12ihipStream_tbEUlmE_yEESD_NS0_8identityIvEEEESI_SL_SM_mSN_SP_bEUlT_E_NS1_11comp_targetILNS1_3genE8ELNS1_11target_archE1030ELNS1_3gpuE2ELNS1_3repE0EEENS1_30default_config_static_selectorELNS0_4arch9wavefront6targetE1EEEvT1_.has_recursion, 0
	.set _ZN7rocprim17ROCPRIM_400000_NS6detail17trampoline_kernelINS0_14default_configENS1_25transform_config_selectorIyLb0EEEZNS1_14transform_implILb0ES3_S5_NS0_18transform_iteratorINS0_17counting_iteratorImlEEZNS1_24adjacent_difference_implIS3_Lb1ELb0EPKyPyN6thrust23THRUST_200600_302600_NS4plusIyEEEE10hipError_tPvRmT2_T3_mT4_P12ihipStream_tbEUlmE_yEESD_NS0_8identityIvEEEESI_SL_SM_mSN_SP_bEUlT_E_NS1_11comp_targetILNS1_3genE8ELNS1_11target_archE1030ELNS1_3gpuE2ELNS1_3repE0EEENS1_30default_config_static_selectorELNS0_4arch9wavefront6targetE1EEEvT1_.has_indirect_call, 0
	.section	.AMDGPU.csdata,"",@progbits
; Kernel info:
; codeLenInByte = 0
; TotalNumSgprs: 4
; NumVgprs: 0
; ScratchSize: 0
; MemoryBound: 0
; FloatMode: 240
; IeeeMode: 1
; LDSByteSize: 0 bytes/workgroup (compile time only)
; SGPRBlocks: 0
; VGPRBlocks: 0
; NumSGPRsForWavesPerEU: 4
; NumVGPRsForWavesPerEU: 1
; Occupancy: 10
; WaveLimiterHint : 0
; COMPUTE_PGM_RSRC2:SCRATCH_EN: 0
; COMPUTE_PGM_RSRC2:USER_SGPR: 6
; COMPUTE_PGM_RSRC2:TRAP_HANDLER: 0
; COMPUTE_PGM_RSRC2:TGID_X_EN: 1
; COMPUTE_PGM_RSRC2:TGID_Y_EN: 0
; COMPUTE_PGM_RSRC2:TGID_Z_EN: 0
; COMPUTE_PGM_RSRC2:TIDIG_COMP_CNT: 0
	.section	.text._ZN7rocprim17ROCPRIM_400000_NS6detail17trampoline_kernelINS0_14default_configENS1_35adjacent_difference_config_selectorILb1EyEEZNS1_24adjacent_difference_implIS3_Lb1ELb0EPKyPyN6thrust23THRUST_200600_302600_NS4plusIyEEEE10hipError_tPvRmT2_T3_mT4_P12ihipStream_tbEUlT_E_NS1_11comp_targetILNS1_3genE0ELNS1_11target_archE4294967295ELNS1_3gpuE0ELNS1_3repE0EEENS1_30default_config_static_selectorELNS0_4arch9wavefront6targetE1EEEvT1_,"axG",@progbits,_ZN7rocprim17ROCPRIM_400000_NS6detail17trampoline_kernelINS0_14default_configENS1_35adjacent_difference_config_selectorILb1EyEEZNS1_24adjacent_difference_implIS3_Lb1ELb0EPKyPyN6thrust23THRUST_200600_302600_NS4plusIyEEEE10hipError_tPvRmT2_T3_mT4_P12ihipStream_tbEUlT_E_NS1_11comp_targetILNS1_3genE0ELNS1_11target_archE4294967295ELNS1_3gpuE0ELNS1_3repE0EEENS1_30default_config_static_selectorELNS0_4arch9wavefront6targetE1EEEvT1_,comdat
	.protected	_ZN7rocprim17ROCPRIM_400000_NS6detail17trampoline_kernelINS0_14default_configENS1_35adjacent_difference_config_selectorILb1EyEEZNS1_24adjacent_difference_implIS3_Lb1ELb0EPKyPyN6thrust23THRUST_200600_302600_NS4plusIyEEEE10hipError_tPvRmT2_T3_mT4_P12ihipStream_tbEUlT_E_NS1_11comp_targetILNS1_3genE0ELNS1_11target_archE4294967295ELNS1_3gpuE0ELNS1_3repE0EEENS1_30default_config_static_selectorELNS0_4arch9wavefront6targetE1EEEvT1_ ; -- Begin function _ZN7rocprim17ROCPRIM_400000_NS6detail17trampoline_kernelINS0_14default_configENS1_35adjacent_difference_config_selectorILb1EyEEZNS1_24adjacent_difference_implIS3_Lb1ELb0EPKyPyN6thrust23THRUST_200600_302600_NS4plusIyEEEE10hipError_tPvRmT2_T3_mT4_P12ihipStream_tbEUlT_E_NS1_11comp_targetILNS1_3genE0ELNS1_11target_archE4294967295ELNS1_3gpuE0ELNS1_3repE0EEENS1_30default_config_static_selectorELNS0_4arch9wavefront6targetE1EEEvT1_
	.globl	_ZN7rocprim17ROCPRIM_400000_NS6detail17trampoline_kernelINS0_14default_configENS1_35adjacent_difference_config_selectorILb1EyEEZNS1_24adjacent_difference_implIS3_Lb1ELb0EPKyPyN6thrust23THRUST_200600_302600_NS4plusIyEEEE10hipError_tPvRmT2_T3_mT4_P12ihipStream_tbEUlT_E_NS1_11comp_targetILNS1_3genE0ELNS1_11target_archE4294967295ELNS1_3gpuE0ELNS1_3repE0EEENS1_30default_config_static_selectorELNS0_4arch9wavefront6targetE1EEEvT1_
	.p2align	8
	.type	_ZN7rocprim17ROCPRIM_400000_NS6detail17trampoline_kernelINS0_14default_configENS1_35adjacent_difference_config_selectorILb1EyEEZNS1_24adjacent_difference_implIS3_Lb1ELb0EPKyPyN6thrust23THRUST_200600_302600_NS4plusIyEEEE10hipError_tPvRmT2_T3_mT4_P12ihipStream_tbEUlT_E_NS1_11comp_targetILNS1_3genE0ELNS1_11target_archE4294967295ELNS1_3gpuE0ELNS1_3repE0EEENS1_30default_config_static_selectorELNS0_4arch9wavefront6targetE1EEEvT1_,@function
_ZN7rocprim17ROCPRIM_400000_NS6detail17trampoline_kernelINS0_14default_configENS1_35adjacent_difference_config_selectorILb1EyEEZNS1_24adjacent_difference_implIS3_Lb1ELb0EPKyPyN6thrust23THRUST_200600_302600_NS4plusIyEEEE10hipError_tPvRmT2_T3_mT4_P12ihipStream_tbEUlT_E_NS1_11comp_targetILNS1_3genE0ELNS1_11target_archE4294967295ELNS1_3gpuE0ELNS1_3repE0EEENS1_30default_config_static_selectorELNS0_4arch9wavefront6targetE1EEEvT1_: ; @_ZN7rocprim17ROCPRIM_400000_NS6detail17trampoline_kernelINS0_14default_configENS1_35adjacent_difference_config_selectorILb1EyEEZNS1_24adjacent_difference_implIS3_Lb1ELb0EPKyPyN6thrust23THRUST_200600_302600_NS4plusIyEEEE10hipError_tPvRmT2_T3_mT4_P12ihipStream_tbEUlT_E_NS1_11comp_targetILNS1_3genE0ELNS1_11target_archE4294967295ELNS1_3gpuE0ELNS1_3repE0EEENS1_30default_config_static_selectorELNS0_4arch9wavefront6targetE1EEEvT1_
; %bb.0:
	.section	.rodata,"a",@progbits
	.p2align	6, 0x0
	.amdhsa_kernel _ZN7rocprim17ROCPRIM_400000_NS6detail17trampoline_kernelINS0_14default_configENS1_35adjacent_difference_config_selectorILb1EyEEZNS1_24adjacent_difference_implIS3_Lb1ELb0EPKyPyN6thrust23THRUST_200600_302600_NS4plusIyEEEE10hipError_tPvRmT2_T3_mT4_P12ihipStream_tbEUlT_E_NS1_11comp_targetILNS1_3genE0ELNS1_11target_archE4294967295ELNS1_3gpuE0ELNS1_3repE0EEENS1_30default_config_static_selectorELNS0_4arch9wavefront6targetE1EEEvT1_
		.amdhsa_group_segment_fixed_size 0
		.amdhsa_private_segment_fixed_size 0
		.amdhsa_kernarg_size 56
		.amdhsa_user_sgpr_count 6
		.amdhsa_user_sgpr_private_segment_buffer 1
		.amdhsa_user_sgpr_dispatch_ptr 0
		.amdhsa_user_sgpr_queue_ptr 0
		.amdhsa_user_sgpr_kernarg_segment_ptr 1
		.amdhsa_user_sgpr_dispatch_id 0
		.amdhsa_user_sgpr_flat_scratch_init 0
		.amdhsa_user_sgpr_private_segment_size 0
		.amdhsa_uses_dynamic_stack 0
		.amdhsa_system_sgpr_private_segment_wavefront_offset 0
		.amdhsa_system_sgpr_workgroup_id_x 1
		.amdhsa_system_sgpr_workgroup_id_y 0
		.amdhsa_system_sgpr_workgroup_id_z 0
		.amdhsa_system_sgpr_workgroup_info 0
		.amdhsa_system_vgpr_workitem_id 0
		.amdhsa_next_free_vgpr 1
		.amdhsa_next_free_sgpr 0
		.amdhsa_reserve_vcc 0
		.amdhsa_reserve_flat_scratch 0
		.amdhsa_float_round_mode_32 0
		.amdhsa_float_round_mode_16_64 0
		.amdhsa_float_denorm_mode_32 3
		.amdhsa_float_denorm_mode_16_64 3
		.amdhsa_dx10_clamp 1
		.amdhsa_ieee_mode 1
		.amdhsa_fp16_overflow 0
		.amdhsa_exception_fp_ieee_invalid_op 0
		.amdhsa_exception_fp_denorm_src 0
		.amdhsa_exception_fp_ieee_div_zero 0
		.amdhsa_exception_fp_ieee_overflow 0
		.amdhsa_exception_fp_ieee_underflow 0
		.amdhsa_exception_fp_ieee_inexact 0
		.amdhsa_exception_int_div_zero 0
	.end_amdhsa_kernel
	.section	.text._ZN7rocprim17ROCPRIM_400000_NS6detail17trampoline_kernelINS0_14default_configENS1_35adjacent_difference_config_selectorILb1EyEEZNS1_24adjacent_difference_implIS3_Lb1ELb0EPKyPyN6thrust23THRUST_200600_302600_NS4plusIyEEEE10hipError_tPvRmT2_T3_mT4_P12ihipStream_tbEUlT_E_NS1_11comp_targetILNS1_3genE0ELNS1_11target_archE4294967295ELNS1_3gpuE0ELNS1_3repE0EEENS1_30default_config_static_selectorELNS0_4arch9wavefront6targetE1EEEvT1_,"axG",@progbits,_ZN7rocprim17ROCPRIM_400000_NS6detail17trampoline_kernelINS0_14default_configENS1_35adjacent_difference_config_selectorILb1EyEEZNS1_24adjacent_difference_implIS3_Lb1ELb0EPKyPyN6thrust23THRUST_200600_302600_NS4plusIyEEEE10hipError_tPvRmT2_T3_mT4_P12ihipStream_tbEUlT_E_NS1_11comp_targetILNS1_3genE0ELNS1_11target_archE4294967295ELNS1_3gpuE0ELNS1_3repE0EEENS1_30default_config_static_selectorELNS0_4arch9wavefront6targetE1EEEvT1_,comdat
.Lfunc_end640:
	.size	_ZN7rocprim17ROCPRIM_400000_NS6detail17trampoline_kernelINS0_14default_configENS1_35adjacent_difference_config_selectorILb1EyEEZNS1_24adjacent_difference_implIS3_Lb1ELb0EPKyPyN6thrust23THRUST_200600_302600_NS4plusIyEEEE10hipError_tPvRmT2_T3_mT4_P12ihipStream_tbEUlT_E_NS1_11comp_targetILNS1_3genE0ELNS1_11target_archE4294967295ELNS1_3gpuE0ELNS1_3repE0EEENS1_30default_config_static_selectorELNS0_4arch9wavefront6targetE1EEEvT1_, .Lfunc_end640-_ZN7rocprim17ROCPRIM_400000_NS6detail17trampoline_kernelINS0_14default_configENS1_35adjacent_difference_config_selectorILb1EyEEZNS1_24adjacent_difference_implIS3_Lb1ELb0EPKyPyN6thrust23THRUST_200600_302600_NS4plusIyEEEE10hipError_tPvRmT2_T3_mT4_P12ihipStream_tbEUlT_E_NS1_11comp_targetILNS1_3genE0ELNS1_11target_archE4294967295ELNS1_3gpuE0ELNS1_3repE0EEENS1_30default_config_static_selectorELNS0_4arch9wavefront6targetE1EEEvT1_
                                        ; -- End function
	.set _ZN7rocprim17ROCPRIM_400000_NS6detail17trampoline_kernelINS0_14default_configENS1_35adjacent_difference_config_selectorILb1EyEEZNS1_24adjacent_difference_implIS3_Lb1ELb0EPKyPyN6thrust23THRUST_200600_302600_NS4plusIyEEEE10hipError_tPvRmT2_T3_mT4_P12ihipStream_tbEUlT_E_NS1_11comp_targetILNS1_3genE0ELNS1_11target_archE4294967295ELNS1_3gpuE0ELNS1_3repE0EEENS1_30default_config_static_selectorELNS0_4arch9wavefront6targetE1EEEvT1_.num_vgpr, 0
	.set _ZN7rocprim17ROCPRIM_400000_NS6detail17trampoline_kernelINS0_14default_configENS1_35adjacent_difference_config_selectorILb1EyEEZNS1_24adjacent_difference_implIS3_Lb1ELb0EPKyPyN6thrust23THRUST_200600_302600_NS4plusIyEEEE10hipError_tPvRmT2_T3_mT4_P12ihipStream_tbEUlT_E_NS1_11comp_targetILNS1_3genE0ELNS1_11target_archE4294967295ELNS1_3gpuE0ELNS1_3repE0EEENS1_30default_config_static_selectorELNS0_4arch9wavefront6targetE1EEEvT1_.num_agpr, 0
	.set _ZN7rocprim17ROCPRIM_400000_NS6detail17trampoline_kernelINS0_14default_configENS1_35adjacent_difference_config_selectorILb1EyEEZNS1_24adjacent_difference_implIS3_Lb1ELb0EPKyPyN6thrust23THRUST_200600_302600_NS4plusIyEEEE10hipError_tPvRmT2_T3_mT4_P12ihipStream_tbEUlT_E_NS1_11comp_targetILNS1_3genE0ELNS1_11target_archE4294967295ELNS1_3gpuE0ELNS1_3repE0EEENS1_30default_config_static_selectorELNS0_4arch9wavefront6targetE1EEEvT1_.numbered_sgpr, 0
	.set _ZN7rocprim17ROCPRIM_400000_NS6detail17trampoline_kernelINS0_14default_configENS1_35adjacent_difference_config_selectorILb1EyEEZNS1_24adjacent_difference_implIS3_Lb1ELb0EPKyPyN6thrust23THRUST_200600_302600_NS4plusIyEEEE10hipError_tPvRmT2_T3_mT4_P12ihipStream_tbEUlT_E_NS1_11comp_targetILNS1_3genE0ELNS1_11target_archE4294967295ELNS1_3gpuE0ELNS1_3repE0EEENS1_30default_config_static_selectorELNS0_4arch9wavefront6targetE1EEEvT1_.num_named_barrier, 0
	.set _ZN7rocprim17ROCPRIM_400000_NS6detail17trampoline_kernelINS0_14default_configENS1_35adjacent_difference_config_selectorILb1EyEEZNS1_24adjacent_difference_implIS3_Lb1ELb0EPKyPyN6thrust23THRUST_200600_302600_NS4plusIyEEEE10hipError_tPvRmT2_T3_mT4_P12ihipStream_tbEUlT_E_NS1_11comp_targetILNS1_3genE0ELNS1_11target_archE4294967295ELNS1_3gpuE0ELNS1_3repE0EEENS1_30default_config_static_selectorELNS0_4arch9wavefront6targetE1EEEvT1_.private_seg_size, 0
	.set _ZN7rocprim17ROCPRIM_400000_NS6detail17trampoline_kernelINS0_14default_configENS1_35adjacent_difference_config_selectorILb1EyEEZNS1_24adjacent_difference_implIS3_Lb1ELb0EPKyPyN6thrust23THRUST_200600_302600_NS4plusIyEEEE10hipError_tPvRmT2_T3_mT4_P12ihipStream_tbEUlT_E_NS1_11comp_targetILNS1_3genE0ELNS1_11target_archE4294967295ELNS1_3gpuE0ELNS1_3repE0EEENS1_30default_config_static_selectorELNS0_4arch9wavefront6targetE1EEEvT1_.uses_vcc, 0
	.set _ZN7rocprim17ROCPRIM_400000_NS6detail17trampoline_kernelINS0_14default_configENS1_35adjacent_difference_config_selectorILb1EyEEZNS1_24adjacent_difference_implIS3_Lb1ELb0EPKyPyN6thrust23THRUST_200600_302600_NS4plusIyEEEE10hipError_tPvRmT2_T3_mT4_P12ihipStream_tbEUlT_E_NS1_11comp_targetILNS1_3genE0ELNS1_11target_archE4294967295ELNS1_3gpuE0ELNS1_3repE0EEENS1_30default_config_static_selectorELNS0_4arch9wavefront6targetE1EEEvT1_.uses_flat_scratch, 0
	.set _ZN7rocprim17ROCPRIM_400000_NS6detail17trampoline_kernelINS0_14default_configENS1_35adjacent_difference_config_selectorILb1EyEEZNS1_24adjacent_difference_implIS3_Lb1ELb0EPKyPyN6thrust23THRUST_200600_302600_NS4plusIyEEEE10hipError_tPvRmT2_T3_mT4_P12ihipStream_tbEUlT_E_NS1_11comp_targetILNS1_3genE0ELNS1_11target_archE4294967295ELNS1_3gpuE0ELNS1_3repE0EEENS1_30default_config_static_selectorELNS0_4arch9wavefront6targetE1EEEvT1_.has_dyn_sized_stack, 0
	.set _ZN7rocprim17ROCPRIM_400000_NS6detail17trampoline_kernelINS0_14default_configENS1_35adjacent_difference_config_selectorILb1EyEEZNS1_24adjacent_difference_implIS3_Lb1ELb0EPKyPyN6thrust23THRUST_200600_302600_NS4plusIyEEEE10hipError_tPvRmT2_T3_mT4_P12ihipStream_tbEUlT_E_NS1_11comp_targetILNS1_3genE0ELNS1_11target_archE4294967295ELNS1_3gpuE0ELNS1_3repE0EEENS1_30default_config_static_selectorELNS0_4arch9wavefront6targetE1EEEvT1_.has_recursion, 0
	.set _ZN7rocprim17ROCPRIM_400000_NS6detail17trampoline_kernelINS0_14default_configENS1_35adjacent_difference_config_selectorILb1EyEEZNS1_24adjacent_difference_implIS3_Lb1ELb0EPKyPyN6thrust23THRUST_200600_302600_NS4plusIyEEEE10hipError_tPvRmT2_T3_mT4_P12ihipStream_tbEUlT_E_NS1_11comp_targetILNS1_3genE0ELNS1_11target_archE4294967295ELNS1_3gpuE0ELNS1_3repE0EEENS1_30default_config_static_selectorELNS0_4arch9wavefront6targetE1EEEvT1_.has_indirect_call, 0
	.section	.AMDGPU.csdata,"",@progbits
; Kernel info:
; codeLenInByte = 0
; TotalNumSgprs: 4
; NumVgprs: 0
; ScratchSize: 0
; MemoryBound: 0
; FloatMode: 240
; IeeeMode: 1
; LDSByteSize: 0 bytes/workgroup (compile time only)
; SGPRBlocks: 0
; VGPRBlocks: 0
; NumSGPRsForWavesPerEU: 4
; NumVGPRsForWavesPerEU: 1
; Occupancy: 10
; WaveLimiterHint : 0
; COMPUTE_PGM_RSRC2:SCRATCH_EN: 0
; COMPUTE_PGM_RSRC2:USER_SGPR: 6
; COMPUTE_PGM_RSRC2:TRAP_HANDLER: 0
; COMPUTE_PGM_RSRC2:TGID_X_EN: 1
; COMPUTE_PGM_RSRC2:TGID_Y_EN: 0
; COMPUTE_PGM_RSRC2:TGID_Z_EN: 0
; COMPUTE_PGM_RSRC2:TIDIG_COMP_CNT: 0
	.section	.text._ZN7rocprim17ROCPRIM_400000_NS6detail17trampoline_kernelINS0_14default_configENS1_35adjacent_difference_config_selectorILb1EyEEZNS1_24adjacent_difference_implIS3_Lb1ELb0EPKyPyN6thrust23THRUST_200600_302600_NS4plusIyEEEE10hipError_tPvRmT2_T3_mT4_P12ihipStream_tbEUlT_E_NS1_11comp_targetILNS1_3genE10ELNS1_11target_archE1201ELNS1_3gpuE5ELNS1_3repE0EEENS1_30default_config_static_selectorELNS0_4arch9wavefront6targetE1EEEvT1_,"axG",@progbits,_ZN7rocprim17ROCPRIM_400000_NS6detail17trampoline_kernelINS0_14default_configENS1_35adjacent_difference_config_selectorILb1EyEEZNS1_24adjacent_difference_implIS3_Lb1ELb0EPKyPyN6thrust23THRUST_200600_302600_NS4plusIyEEEE10hipError_tPvRmT2_T3_mT4_P12ihipStream_tbEUlT_E_NS1_11comp_targetILNS1_3genE10ELNS1_11target_archE1201ELNS1_3gpuE5ELNS1_3repE0EEENS1_30default_config_static_selectorELNS0_4arch9wavefront6targetE1EEEvT1_,comdat
	.protected	_ZN7rocprim17ROCPRIM_400000_NS6detail17trampoline_kernelINS0_14default_configENS1_35adjacent_difference_config_selectorILb1EyEEZNS1_24adjacent_difference_implIS3_Lb1ELb0EPKyPyN6thrust23THRUST_200600_302600_NS4plusIyEEEE10hipError_tPvRmT2_T3_mT4_P12ihipStream_tbEUlT_E_NS1_11comp_targetILNS1_3genE10ELNS1_11target_archE1201ELNS1_3gpuE5ELNS1_3repE0EEENS1_30default_config_static_selectorELNS0_4arch9wavefront6targetE1EEEvT1_ ; -- Begin function _ZN7rocprim17ROCPRIM_400000_NS6detail17trampoline_kernelINS0_14default_configENS1_35adjacent_difference_config_selectorILb1EyEEZNS1_24adjacent_difference_implIS3_Lb1ELb0EPKyPyN6thrust23THRUST_200600_302600_NS4plusIyEEEE10hipError_tPvRmT2_T3_mT4_P12ihipStream_tbEUlT_E_NS1_11comp_targetILNS1_3genE10ELNS1_11target_archE1201ELNS1_3gpuE5ELNS1_3repE0EEENS1_30default_config_static_selectorELNS0_4arch9wavefront6targetE1EEEvT1_
	.globl	_ZN7rocprim17ROCPRIM_400000_NS6detail17trampoline_kernelINS0_14default_configENS1_35adjacent_difference_config_selectorILb1EyEEZNS1_24adjacent_difference_implIS3_Lb1ELb0EPKyPyN6thrust23THRUST_200600_302600_NS4plusIyEEEE10hipError_tPvRmT2_T3_mT4_P12ihipStream_tbEUlT_E_NS1_11comp_targetILNS1_3genE10ELNS1_11target_archE1201ELNS1_3gpuE5ELNS1_3repE0EEENS1_30default_config_static_selectorELNS0_4arch9wavefront6targetE1EEEvT1_
	.p2align	8
	.type	_ZN7rocprim17ROCPRIM_400000_NS6detail17trampoline_kernelINS0_14default_configENS1_35adjacent_difference_config_selectorILb1EyEEZNS1_24adjacent_difference_implIS3_Lb1ELb0EPKyPyN6thrust23THRUST_200600_302600_NS4plusIyEEEE10hipError_tPvRmT2_T3_mT4_P12ihipStream_tbEUlT_E_NS1_11comp_targetILNS1_3genE10ELNS1_11target_archE1201ELNS1_3gpuE5ELNS1_3repE0EEENS1_30default_config_static_selectorELNS0_4arch9wavefront6targetE1EEEvT1_,@function
_ZN7rocprim17ROCPRIM_400000_NS6detail17trampoline_kernelINS0_14default_configENS1_35adjacent_difference_config_selectorILb1EyEEZNS1_24adjacent_difference_implIS3_Lb1ELb0EPKyPyN6thrust23THRUST_200600_302600_NS4plusIyEEEE10hipError_tPvRmT2_T3_mT4_P12ihipStream_tbEUlT_E_NS1_11comp_targetILNS1_3genE10ELNS1_11target_archE1201ELNS1_3gpuE5ELNS1_3repE0EEENS1_30default_config_static_selectorELNS0_4arch9wavefront6targetE1EEEvT1_: ; @_ZN7rocprim17ROCPRIM_400000_NS6detail17trampoline_kernelINS0_14default_configENS1_35adjacent_difference_config_selectorILb1EyEEZNS1_24adjacent_difference_implIS3_Lb1ELb0EPKyPyN6thrust23THRUST_200600_302600_NS4plusIyEEEE10hipError_tPvRmT2_T3_mT4_P12ihipStream_tbEUlT_E_NS1_11comp_targetILNS1_3genE10ELNS1_11target_archE1201ELNS1_3gpuE5ELNS1_3repE0EEENS1_30default_config_static_selectorELNS0_4arch9wavefront6targetE1EEEvT1_
; %bb.0:
	.section	.rodata,"a",@progbits
	.p2align	6, 0x0
	.amdhsa_kernel _ZN7rocprim17ROCPRIM_400000_NS6detail17trampoline_kernelINS0_14default_configENS1_35adjacent_difference_config_selectorILb1EyEEZNS1_24adjacent_difference_implIS3_Lb1ELb0EPKyPyN6thrust23THRUST_200600_302600_NS4plusIyEEEE10hipError_tPvRmT2_T3_mT4_P12ihipStream_tbEUlT_E_NS1_11comp_targetILNS1_3genE10ELNS1_11target_archE1201ELNS1_3gpuE5ELNS1_3repE0EEENS1_30default_config_static_selectorELNS0_4arch9wavefront6targetE1EEEvT1_
		.amdhsa_group_segment_fixed_size 0
		.amdhsa_private_segment_fixed_size 0
		.amdhsa_kernarg_size 56
		.amdhsa_user_sgpr_count 6
		.amdhsa_user_sgpr_private_segment_buffer 1
		.amdhsa_user_sgpr_dispatch_ptr 0
		.amdhsa_user_sgpr_queue_ptr 0
		.amdhsa_user_sgpr_kernarg_segment_ptr 1
		.amdhsa_user_sgpr_dispatch_id 0
		.amdhsa_user_sgpr_flat_scratch_init 0
		.amdhsa_user_sgpr_private_segment_size 0
		.amdhsa_uses_dynamic_stack 0
		.amdhsa_system_sgpr_private_segment_wavefront_offset 0
		.amdhsa_system_sgpr_workgroup_id_x 1
		.amdhsa_system_sgpr_workgroup_id_y 0
		.amdhsa_system_sgpr_workgroup_id_z 0
		.amdhsa_system_sgpr_workgroup_info 0
		.amdhsa_system_vgpr_workitem_id 0
		.amdhsa_next_free_vgpr 1
		.amdhsa_next_free_sgpr 0
		.amdhsa_reserve_vcc 0
		.amdhsa_reserve_flat_scratch 0
		.amdhsa_float_round_mode_32 0
		.amdhsa_float_round_mode_16_64 0
		.amdhsa_float_denorm_mode_32 3
		.amdhsa_float_denorm_mode_16_64 3
		.amdhsa_dx10_clamp 1
		.amdhsa_ieee_mode 1
		.amdhsa_fp16_overflow 0
		.amdhsa_exception_fp_ieee_invalid_op 0
		.amdhsa_exception_fp_denorm_src 0
		.amdhsa_exception_fp_ieee_div_zero 0
		.amdhsa_exception_fp_ieee_overflow 0
		.amdhsa_exception_fp_ieee_underflow 0
		.amdhsa_exception_fp_ieee_inexact 0
		.amdhsa_exception_int_div_zero 0
	.end_amdhsa_kernel
	.section	.text._ZN7rocprim17ROCPRIM_400000_NS6detail17trampoline_kernelINS0_14default_configENS1_35adjacent_difference_config_selectorILb1EyEEZNS1_24adjacent_difference_implIS3_Lb1ELb0EPKyPyN6thrust23THRUST_200600_302600_NS4plusIyEEEE10hipError_tPvRmT2_T3_mT4_P12ihipStream_tbEUlT_E_NS1_11comp_targetILNS1_3genE10ELNS1_11target_archE1201ELNS1_3gpuE5ELNS1_3repE0EEENS1_30default_config_static_selectorELNS0_4arch9wavefront6targetE1EEEvT1_,"axG",@progbits,_ZN7rocprim17ROCPRIM_400000_NS6detail17trampoline_kernelINS0_14default_configENS1_35adjacent_difference_config_selectorILb1EyEEZNS1_24adjacent_difference_implIS3_Lb1ELb0EPKyPyN6thrust23THRUST_200600_302600_NS4plusIyEEEE10hipError_tPvRmT2_T3_mT4_P12ihipStream_tbEUlT_E_NS1_11comp_targetILNS1_3genE10ELNS1_11target_archE1201ELNS1_3gpuE5ELNS1_3repE0EEENS1_30default_config_static_selectorELNS0_4arch9wavefront6targetE1EEEvT1_,comdat
.Lfunc_end641:
	.size	_ZN7rocprim17ROCPRIM_400000_NS6detail17trampoline_kernelINS0_14default_configENS1_35adjacent_difference_config_selectorILb1EyEEZNS1_24adjacent_difference_implIS3_Lb1ELb0EPKyPyN6thrust23THRUST_200600_302600_NS4plusIyEEEE10hipError_tPvRmT2_T3_mT4_P12ihipStream_tbEUlT_E_NS1_11comp_targetILNS1_3genE10ELNS1_11target_archE1201ELNS1_3gpuE5ELNS1_3repE0EEENS1_30default_config_static_selectorELNS0_4arch9wavefront6targetE1EEEvT1_, .Lfunc_end641-_ZN7rocprim17ROCPRIM_400000_NS6detail17trampoline_kernelINS0_14default_configENS1_35adjacent_difference_config_selectorILb1EyEEZNS1_24adjacent_difference_implIS3_Lb1ELb0EPKyPyN6thrust23THRUST_200600_302600_NS4plusIyEEEE10hipError_tPvRmT2_T3_mT4_P12ihipStream_tbEUlT_E_NS1_11comp_targetILNS1_3genE10ELNS1_11target_archE1201ELNS1_3gpuE5ELNS1_3repE0EEENS1_30default_config_static_selectorELNS0_4arch9wavefront6targetE1EEEvT1_
                                        ; -- End function
	.set _ZN7rocprim17ROCPRIM_400000_NS6detail17trampoline_kernelINS0_14default_configENS1_35adjacent_difference_config_selectorILb1EyEEZNS1_24adjacent_difference_implIS3_Lb1ELb0EPKyPyN6thrust23THRUST_200600_302600_NS4plusIyEEEE10hipError_tPvRmT2_T3_mT4_P12ihipStream_tbEUlT_E_NS1_11comp_targetILNS1_3genE10ELNS1_11target_archE1201ELNS1_3gpuE5ELNS1_3repE0EEENS1_30default_config_static_selectorELNS0_4arch9wavefront6targetE1EEEvT1_.num_vgpr, 0
	.set _ZN7rocprim17ROCPRIM_400000_NS6detail17trampoline_kernelINS0_14default_configENS1_35adjacent_difference_config_selectorILb1EyEEZNS1_24adjacent_difference_implIS3_Lb1ELb0EPKyPyN6thrust23THRUST_200600_302600_NS4plusIyEEEE10hipError_tPvRmT2_T3_mT4_P12ihipStream_tbEUlT_E_NS1_11comp_targetILNS1_3genE10ELNS1_11target_archE1201ELNS1_3gpuE5ELNS1_3repE0EEENS1_30default_config_static_selectorELNS0_4arch9wavefront6targetE1EEEvT1_.num_agpr, 0
	.set _ZN7rocprim17ROCPRIM_400000_NS6detail17trampoline_kernelINS0_14default_configENS1_35adjacent_difference_config_selectorILb1EyEEZNS1_24adjacent_difference_implIS3_Lb1ELb0EPKyPyN6thrust23THRUST_200600_302600_NS4plusIyEEEE10hipError_tPvRmT2_T3_mT4_P12ihipStream_tbEUlT_E_NS1_11comp_targetILNS1_3genE10ELNS1_11target_archE1201ELNS1_3gpuE5ELNS1_3repE0EEENS1_30default_config_static_selectorELNS0_4arch9wavefront6targetE1EEEvT1_.numbered_sgpr, 0
	.set _ZN7rocprim17ROCPRIM_400000_NS6detail17trampoline_kernelINS0_14default_configENS1_35adjacent_difference_config_selectorILb1EyEEZNS1_24adjacent_difference_implIS3_Lb1ELb0EPKyPyN6thrust23THRUST_200600_302600_NS4plusIyEEEE10hipError_tPvRmT2_T3_mT4_P12ihipStream_tbEUlT_E_NS1_11comp_targetILNS1_3genE10ELNS1_11target_archE1201ELNS1_3gpuE5ELNS1_3repE0EEENS1_30default_config_static_selectorELNS0_4arch9wavefront6targetE1EEEvT1_.num_named_barrier, 0
	.set _ZN7rocprim17ROCPRIM_400000_NS6detail17trampoline_kernelINS0_14default_configENS1_35adjacent_difference_config_selectorILb1EyEEZNS1_24adjacent_difference_implIS3_Lb1ELb0EPKyPyN6thrust23THRUST_200600_302600_NS4plusIyEEEE10hipError_tPvRmT2_T3_mT4_P12ihipStream_tbEUlT_E_NS1_11comp_targetILNS1_3genE10ELNS1_11target_archE1201ELNS1_3gpuE5ELNS1_3repE0EEENS1_30default_config_static_selectorELNS0_4arch9wavefront6targetE1EEEvT1_.private_seg_size, 0
	.set _ZN7rocprim17ROCPRIM_400000_NS6detail17trampoline_kernelINS0_14default_configENS1_35adjacent_difference_config_selectorILb1EyEEZNS1_24adjacent_difference_implIS3_Lb1ELb0EPKyPyN6thrust23THRUST_200600_302600_NS4plusIyEEEE10hipError_tPvRmT2_T3_mT4_P12ihipStream_tbEUlT_E_NS1_11comp_targetILNS1_3genE10ELNS1_11target_archE1201ELNS1_3gpuE5ELNS1_3repE0EEENS1_30default_config_static_selectorELNS0_4arch9wavefront6targetE1EEEvT1_.uses_vcc, 0
	.set _ZN7rocprim17ROCPRIM_400000_NS6detail17trampoline_kernelINS0_14default_configENS1_35adjacent_difference_config_selectorILb1EyEEZNS1_24adjacent_difference_implIS3_Lb1ELb0EPKyPyN6thrust23THRUST_200600_302600_NS4plusIyEEEE10hipError_tPvRmT2_T3_mT4_P12ihipStream_tbEUlT_E_NS1_11comp_targetILNS1_3genE10ELNS1_11target_archE1201ELNS1_3gpuE5ELNS1_3repE0EEENS1_30default_config_static_selectorELNS0_4arch9wavefront6targetE1EEEvT1_.uses_flat_scratch, 0
	.set _ZN7rocprim17ROCPRIM_400000_NS6detail17trampoline_kernelINS0_14default_configENS1_35adjacent_difference_config_selectorILb1EyEEZNS1_24adjacent_difference_implIS3_Lb1ELb0EPKyPyN6thrust23THRUST_200600_302600_NS4plusIyEEEE10hipError_tPvRmT2_T3_mT4_P12ihipStream_tbEUlT_E_NS1_11comp_targetILNS1_3genE10ELNS1_11target_archE1201ELNS1_3gpuE5ELNS1_3repE0EEENS1_30default_config_static_selectorELNS0_4arch9wavefront6targetE1EEEvT1_.has_dyn_sized_stack, 0
	.set _ZN7rocprim17ROCPRIM_400000_NS6detail17trampoline_kernelINS0_14default_configENS1_35adjacent_difference_config_selectorILb1EyEEZNS1_24adjacent_difference_implIS3_Lb1ELb0EPKyPyN6thrust23THRUST_200600_302600_NS4plusIyEEEE10hipError_tPvRmT2_T3_mT4_P12ihipStream_tbEUlT_E_NS1_11comp_targetILNS1_3genE10ELNS1_11target_archE1201ELNS1_3gpuE5ELNS1_3repE0EEENS1_30default_config_static_selectorELNS0_4arch9wavefront6targetE1EEEvT1_.has_recursion, 0
	.set _ZN7rocprim17ROCPRIM_400000_NS6detail17trampoline_kernelINS0_14default_configENS1_35adjacent_difference_config_selectorILb1EyEEZNS1_24adjacent_difference_implIS3_Lb1ELb0EPKyPyN6thrust23THRUST_200600_302600_NS4plusIyEEEE10hipError_tPvRmT2_T3_mT4_P12ihipStream_tbEUlT_E_NS1_11comp_targetILNS1_3genE10ELNS1_11target_archE1201ELNS1_3gpuE5ELNS1_3repE0EEENS1_30default_config_static_selectorELNS0_4arch9wavefront6targetE1EEEvT1_.has_indirect_call, 0
	.section	.AMDGPU.csdata,"",@progbits
; Kernel info:
; codeLenInByte = 0
; TotalNumSgprs: 4
; NumVgprs: 0
; ScratchSize: 0
; MemoryBound: 0
; FloatMode: 240
; IeeeMode: 1
; LDSByteSize: 0 bytes/workgroup (compile time only)
; SGPRBlocks: 0
; VGPRBlocks: 0
; NumSGPRsForWavesPerEU: 4
; NumVGPRsForWavesPerEU: 1
; Occupancy: 10
; WaveLimiterHint : 0
; COMPUTE_PGM_RSRC2:SCRATCH_EN: 0
; COMPUTE_PGM_RSRC2:USER_SGPR: 6
; COMPUTE_PGM_RSRC2:TRAP_HANDLER: 0
; COMPUTE_PGM_RSRC2:TGID_X_EN: 1
; COMPUTE_PGM_RSRC2:TGID_Y_EN: 0
; COMPUTE_PGM_RSRC2:TGID_Z_EN: 0
; COMPUTE_PGM_RSRC2:TIDIG_COMP_CNT: 0
	.section	.text._ZN7rocprim17ROCPRIM_400000_NS6detail17trampoline_kernelINS0_14default_configENS1_35adjacent_difference_config_selectorILb1EyEEZNS1_24adjacent_difference_implIS3_Lb1ELb0EPKyPyN6thrust23THRUST_200600_302600_NS4plusIyEEEE10hipError_tPvRmT2_T3_mT4_P12ihipStream_tbEUlT_E_NS1_11comp_targetILNS1_3genE5ELNS1_11target_archE942ELNS1_3gpuE9ELNS1_3repE0EEENS1_30default_config_static_selectorELNS0_4arch9wavefront6targetE1EEEvT1_,"axG",@progbits,_ZN7rocprim17ROCPRIM_400000_NS6detail17trampoline_kernelINS0_14default_configENS1_35adjacent_difference_config_selectorILb1EyEEZNS1_24adjacent_difference_implIS3_Lb1ELb0EPKyPyN6thrust23THRUST_200600_302600_NS4plusIyEEEE10hipError_tPvRmT2_T3_mT4_P12ihipStream_tbEUlT_E_NS1_11comp_targetILNS1_3genE5ELNS1_11target_archE942ELNS1_3gpuE9ELNS1_3repE0EEENS1_30default_config_static_selectorELNS0_4arch9wavefront6targetE1EEEvT1_,comdat
	.protected	_ZN7rocprim17ROCPRIM_400000_NS6detail17trampoline_kernelINS0_14default_configENS1_35adjacent_difference_config_selectorILb1EyEEZNS1_24adjacent_difference_implIS3_Lb1ELb0EPKyPyN6thrust23THRUST_200600_302600_NS4plusIyEEEE10hipError_tPvRmT2_T3_mT4_P12ihipStream_tbEUlT_E_NS1_11comp_targetILNS1_3genE5ELNS1_11target_archE942ELNS1_3gpuE9ELNS1_3repE0EEENS1_30default_config_static_selectorELNS0_4arch9wavefront6targetE1EEEvT1_ ; -- Begin function _ZN7rocprim17ROCPRIM_400000_NS6detail17trampoline_kernelINS0_14default_configENS1_35adjacent_difference_config_selectorILb1EyEEZNS1_24adjacent_difference_implIS3_Lb1ELb0EPKyPyN6thrust23THRUST_200600_302600_NS4plusIyEEEE10hipError_tPvRmT2_T3_mT4_P12ihipStream_tbEUlT_E_NS1_11comp_targetILNS1_3genE5ELNS1_11target_archE942ELNS1_3gpuE9ELNS1_3repE0EEENS1_30default_config_static_selectorELNS0_4arch9wavefront6targetE1EEEvT1_
	.globl	_ZN7rocprim17ROCPRIM_400000_NS6detail17trampoline_kernelINS0_14default_configENS1_35adjacent_difference_config_selectorILb1EyEEZNS1_24adjacent_difference_implIS3_Lb1ELb0EPKyPyN6thrust23THRUST_200600_302600_NS4plusIyEEEE10hipError_tPvRmT2_T3_mT4_P12ihipStream_tbEUlT_E_NS1_11comp_targetILNS1_3genE5ELNS1_11target_archE942ELNS1_3gpuE9ELNS1_3repE0EEENS1_30default_config_static_selectorELNS0_4arch9wavefront6targetE1EEEvT1_
	.p2align	8
	.type	_ZN7rocprim17ROCPRIM_400000_NS6detail17trampoline_kernelINS0_14default_configENS1_35adjacent_difference_config_selectorILb1EyEEZNS1_24adjacent_difference_implIS3_Lb1ELb0EPKyPyN6thrust23THRUST_200600_302600_NS4plusIyEEEE10hipError_tPvRmT2_T3_mT4_P12ihipStream_tbEUlT_E_NS1_11comp_targetILNS1_3genE5ELNS1_11target_archE942ELNS1_3gpuE9ELNS1_3repE0EEENS1_30default_config_static_selectorELNS0_4arch9wavefront6targetE1EEEvT1_,@function
_ZN7rocprim17ROCPRIM_400000_NS6detail17trampoline_kernelINS0_14default_configENS1_35adjacent_difference_config_selectorILb1EyEEZNS1_24adjacent_difference_implIS3_Lb1ELb0EPKyPyN6thrust23THRUST_200600_302600_NS4plusIyEEEE10hipError_tPvRmT2_T3_mT4_P12ihipStream_tbEUlT_E_NS1_11comp_targetILNS1_3genE5ELNS1_11target_archE942ELNS1_3gpuE9ELNS1_3repE0EEENS1_30default_config_static_selectorELNS0_4arch9wavefront6targetE1EEEvT1_: ; @_ZN7rocprim17ROCPRIM_400000_NS6detail17trampoline_kernelINS0_14default_configENS1_35adjacent_difference_config_selectorILb1EyEEZNS1_24adjacent_difference_implIS3_Lb1ELb0EPKyPyN6thrust23THRUST_200600_302600_NS4plusIyEEEE10hipError_tPvRmT2_T3_mT4_P12ihipStream_tbEUlT_E_NS1_11comp_targetILNS1_3genE5ELNS1_11target_archE942ELNS1_3gpuE9ELNS1_3repE0EEENS1_30default_config_static_selectorELNS0_4arch9wavefront6targetE1EEEvT1_
; %bb.0:
	.section	.rodata,"a",@progbits
	.p2align	6, 0x0
	.amdhsa_kernel _ZN7rocprim17ROCPRIM_400000_NS6detail17trampoline_kernelINS0_14default_configENS1_35adjacent_difference_config_selectorILb1EyEEZNS1_24adjacent_difference_implIS3_Lb1ELb0EPKyPyN6thrust23THRUST_200600_302600_NS4plusIyEEEE10hipError_tPvRmT2_T3_mT4_P12ihipStream_tbEUlT_E_NS1_11comp_targetILNS1_3genE5ELNS1_11target_archE942ELNS1_3gpuE9ELNS1_3repE0EEENS1_30default_config_static_selectorELNS0_4arch9wavefront6targetE1EEEvT1_
		.amdhsa_group_segment_fixed_size 0
		.amdhsa_private_segment_fixed_size 0
		.amdhsa_kernarg_size 56
		.amdhsa_user_sgpr_count 6
		.amdhsa_user_sgpr_private_segment_buffer 1
		.amdhsa_user_sgpr_dispatch_ptr 0
		.amdhsa_user_sgpr_queue_ptr 0
		.amdhsa_user_sgpr_kernarg_segment_ptr 1
		.amdhsa_user_sgpr_dispatch_id 0
		.amdhsa_user_sgpr_flat_scratch_init 0
		.amdhsa_user_sgpr_private_segment_size 0
		.amdhsa_uses_dynamic_stack 0
		.amdhsa_system_sgpr_private_segment_wavefront_offset 0
		.amdhsa_system_sgpr_workgroup_id_x 1
		.amdhsa_system_sgpr_workgroup_id_y 0
		.amdhsa_system_sgpr_workgroup_id_z 0
		.amdhsa_system_sgpr_workgroup_info 0
		.amdhsa_system_vgpr_workitem_id 0
		.amdhsa_next_free_vgpr 1
		.amdhsa_next_free_sgpr 0
		.amdhsa_reserve_vcc 0
		.amdhsa_reserve_flat_scratch 0
		.amdhsa_float_round_mode_32 0
		.amdhsa_float_round_mode_16_64 0
		.amdhsa_float_denorm_mode_32 3
		.amdhsa_float_denorm_mode_16_64 3
		.amdhsa_dx10_clamp 1
		.amdhsa_ieee_mode 1
		.amdhsa_fp16_overflow 0
		.amdhsa_exception_fp_ieee_invalid_op 0
		.amdhsa_exception_fp_denorm_src 0
		.amdhsa_exception_fp_ieee_div_zero 0
		.amdhsa_exception_fp_ieee_overflow 0
		.amdhsa_exception_fp_ieee_underflow 0
		.amdhsa_exception_fp_ieee_inexact 0
		.amdhsa_exception_int_div_zero 0
	.end_amdhsa_kernel
	.section	.text._ZN7rocprim17ROCPRIM_400000_NS6detail17trampoline_kernelINS0_14default_configENS1_35adjacent_difference_config_selectorILb1EyEEZNS1_24adjacent_difference_implIS3_Lb1ELb0EPKyPyN6thrust23THRUST_200600_302600_NS4plusIyEEEE10hipError_tPvRmT2_T3_mT4_P12ihipStream_tbEUlT_E_NS1_11comp_targetILNS1_3genE5ELNS1_11target_archE942ELNS1_3gpuE9ELNS1_3repE0EEENS1_30default_config_static_selectorELNS0_4arch9wavefront6targetE1EEEvT1_,"axG",@progbits,_ZN7rocprim17ROCPRIM_400000_NS6detail17trampoline_kernelINS0_14default_configENS1_35adjacent_difference_config_selectorILb1EyEEZNS1_24adjacent_difference_implIS3_Lb1ELb0EPKyPyN6thrust23THRUST_200600_302600_NS4plusIyEEEE10hipError_tPvRmT2_T3_mT4_P12ihipStream_tbEUlT_E_NS1_11comp_targetILNS1_3genE5ELNS1_11target_archE942ELNS1_3gpuE9ELNS1_3repE0EEENS1_30default_config_static_selectorELNS0_4arch9wavefront6targetE1EEEvT1_,comdat
.Lfunc_end642:
	.size	_ZN7rocprim17ROCPRIM_400000_NS6detail17trampoline_kernelINS0_14default_configENS1_35adjacent_difference_config_selectorILb1EyEEZNS1_24adjacent_difference_implIS3_Lb1ELb0EPKyPyN6thrust23THRUST_200600_302600_NS4plusIyEEEE10hipError_tPvRmT2_T3_mT4_P12ihipStream_tbEUlT_E_NS1_11comp_targetILNS1_3genE5ELNS1_11target_archE942ELNS1_3gpuE9ELNS1_3repE0EEENS1_30default_config_static_selectorELNS0_4arch9wavefront6targetE1EEEvT1_, .Lfunc_end642-_ZN7rocprim17ROCPRIM_400000_NS6detail17trampoline_kernelINS0_14default_configENS1_35adjacent_difference_config_selectorILb1EyEEZNS1_24adjacent_difference_implIS3_Lb1ELb0EPKyPyN6thrust23THRUST_200600_302600_NS4plusIyEEEE10hipError_tPvRmT2_T3_mT4_P12ihipStream_tbEUlT_E_NS1_11comp_targetILNS1_3genE5ELNS1_11target_archE942ELNS1_3gpuE9ELNS1_3repE0EEENS1_30default_config_static_selectorELNS0_4arch9wavefront6targetE1EEEvT1_
                                        ; -- End function
	.set _ZN7rocprim17ROCPRIM_400000_NS6detail17trampoline_kernelINS0_14default_configENS1_35adjacent_difference_config_selectorILb1EyEEZNS1_24adjacent_difference_implIS3_Lb1ELb0EPKyPyN6thrust23THRUST_200600_302600_NS4plusIyEEEE10hipError_tPvRmT2_T3_mT4_P12ihipStream_tbEUlT_E_NS1_11comp_targetILNS1_3genE5ELNS1_11target_archE942ELNS1_3gpuE9ELNS1_3repE0EEENS1_30default_config_static_selectorELNS0_4arch9wavefront6targetE1EEEvT1_.num_vgpr, 0
	.set _ZN7rocprim17ROCPRIM_400000_NS6detail17trampoline_kernelINS0_14default_configENS1_35adjacent_difference_config_selectorILb1EyEEZNS1_24adjacent_difference_implIS3_Lb1ELb0EPKyPyN6thrust23THRUST_200600_302600_NS4plusIyEEEE10hipError_tPvRmT2_T3_mT4_P12ihipStream_tbEUlT_E_NS1_11comp_targetILNS1_3genE5ELNS1_11target_archE942ELNS1_3gpuE9ELNS1_3repE0EEENS1_30default_config_static_selectorELNS0_4arch9wavefront6targetE1EEEvT1_.num_agpr, 0
	.set _ZN7rocprim17ROCPRIM_400000_NS6detail17trampoline_kernelINS0_14default_configENS1_35adjacent_difference_config_selectorILb1EyEEZNS1_24adjacent_difference_implIS3_Lb1ELb0EPKyPyN6thrust23THRUST_200600_302600_NS4plusIyEEEE10hipError_tPvRmT2_T3_mT4_P12ihipStream_tbEUlT_E_NS1_11comp_targetILNS1_3genE5ELNS1_11target_archE942ELNS1_3gpuE9ELNS1_3repE0EEENS1_30default_config_static_selectorELNS0_4arch9wavefront6targetE1EEEvT1_.numbered_sgpr, 0
	.set _ZN7rocprim17ROCPRIM_400000_NS6detail17trampoline_kernelINS0_14default_configENS1_35adjacent_difference_config_selectorILb1EyEEZNS1_24adjacent_difference_implIS3_Lb1ELb0EPKyPyN6thrust23THRUST_200600_302600_NS4plusIyEEEE10hipError_tPvRmT2_T3_mT4_P12ihipStream_tbEUlT_E_NS1_11comp_targetILNS1_3genE5ELNS1_11target_archE942ELNS1_3gpuE9ELNS1_3repE0EEENS1_30default_config_static_selectorELNS0_4arch9wavefront6targetE1EEEvT1_.num_named_barrier, 0
	.set _ZN7rocprim17ROCPRIM_400000_NS6detail17trampoline_kernelINS0_14default_configENS1_35adjacent_difference_config_selectorILb1EyEEZNS1_24adjacent_difference_implIS3_Lb1ELb0EPKyPyN6thrust23THRUST_200600_302600_NS4plusIyEEEE10hipError_tPvRmT2_T3_mT4_P12ihipStream_tbEUlT_E_NS1_11comp_targetILNS1_3genE5ELNS1_11target_archE942ELNS1_3gpuE9ELNS1_3repE0EEENS1_30default_config_static_selectorELNS0_4arch9wavefront6targetE1EEEvT1_.private_seg_size, 0
	.set _ZN7rocprim17ROCPRIM_400000_NS6detail17trampoline_kernelINS0_14default_configENS1_35adjacent_difference_config_selectorILb1EyEEZNS1_24adjacent_difference_implIS3_Lb1ELb0EPKyPyN6thrust23THRUST_200600_302600_NS4plusIyEEEE10hipError_tPvRmT2_T3_mT4_P12ihipStream_tbEUlT_E_NS1_11comp_targetILNS1_3genE5ELNS1_11target_archE942ELNS1_3gpuE9ELNS1_3repE0EEENS1_30default_config_static_selectorELNS0_4arch9wavefront6targetE1EEEvT1_.uses_vcc, 0
	.set _ZN7rocprim17ROCPRIM_400000_NS6detail17trampoline_kernelINS0_14default_configENS1_35adjacent_difference_config_selectorILb1EyEEZNS1_24adjacent_difference_implIS3_Lb1ELb0EPKyPyN6thrust23THRUST_200600_302600_NS4plusIyEEEE10hipError_tPvRmT2_T3_mT4_P12ihipStream_tbEUlT_E_NS1_11comp_targetILNS1_3genE5ELNS1_11target_archE942ELNS1_3gpuE9ELNS1_3repE0EEENS1_30default_config_static_selectorELNS0_4arch9wavefront6targetE1EEEvT1_.uses_flat_scratch, 0
	.set _ZN7rocprim17ROCPRIM_400000_NS6detail17trampoline_kernelINS0_14default_configENS1_35adjacent_difference_config_selectorILb1EyEEZNS1_24adjacent_difference_implIS3_Lb1ELb0EPKyPyN6thrust23THRUST_200600_302600_NS4plusIyEEEE10hipError_tPvRmT2_T3_mT4_P12ihipStream_tbEUlT_E_NS1_11comp_targetILNS1_3genE5ELNS1_11target_archE942ELNS1_3gpuE9ELNS1_3repE0EEENS1_30default_config_static_selectorELNS0_4arch9wavefront6targetE1EEEvT1_.has_dyn_sized_stack, 0
	.set _ZN7rocprim17ROCPRIM_400000_NS6detail17trampoline_kernelINS0_14default_configENS1_35adjacent_difference_config_selectorILb1EyEEZNS1_24adjacent_difference_implIS3_Lb1ELb0EPKyPyN6thrust23THRUST_200600_302600_NS4plusIyEEEE10hipError_tPvRmT2_T3_mT4_P12ihipStream_tbEUlT_E_NS1_11comp_targetILNS1_3genE5ELNS1_11target_archE942ELNS1_3gpuE9ELNS1_3repE0EEENS1_30default_config_static_selectorELNS0_4arch9wavefront6targetE1EEEvT1_.has_recursion, 0
	.set _ZN7rocprim17ROCPRIM_400000_NS6detail17trampoline_kernelINS0_14default_configENS1_35adjacent_difference_config_selectorILb1EyEEZNS1_24adjacent_difference_implIS3_Lb1ELb0EPKyPyN6thrust23THRUST_200600_302600_NS4plusIyEEEE10hipError_tPvRmT2_T3_mT4_P12ihipStream_tbEUlT_E_NS1_11comp_targetILNS1_3genE5ELNS1_11target_archE942ELNS1_3gpuE9ELNS1_3repE0EEENS1_30default_config_static_selectorELNS0_4arch9wavefront6targetE1EEEvT1_.has_indirect_call, 0
	.section	.AMDGPU.csdata,"",@progbits
; Kernel info:
; codeLenInByte = 0
; TotalNumSgprs: 4
; NumVgprs: 0
; ScratchSize: 0
; MemoryBound: 0
; FloatMode: 240
; IeeeMode: 1
; LDSByteSize: 0 bytes/workgroup (compile time only)
; SGPRBlocks: 0
; VGPRBlocks: 0
; NumSGPRsForWavesPerEU: 4
; NumVGPRsForWavesPerEU: 1
; Occupancy: 10
; WaveLimiterHint : 0
; COMPUTE_PGM_RSRC2:SCRATCH_EN: 0
; COMPUTE_PGM_RSRC2:USER_SGPR: 6
; COMPUTE_PGM_RSRC2:TRAP_HANDLER: 0
; COMPUTE_PGM_RSRC2:TGID_X_EN: 1
; COMPUTE_PGM_RSRC2:TGID_Y_EN: 0
; COMPUTE_PGM_RSRC2:TGID_Z_EN: 0
; COMPUTE_PGM_RSRC2:TIDIG_COMP_CNT: 0
	.section	.text._ZN7rocprim17ROCPRIM_400000_NS6detail17trampoline_kernelINS0_14default_configENS1_35adjacent_difference_config_selectorILb1EyEEZNS1_24adjacent_difference_implIS3_Lb1ELb0EPKyPyN6thrust23THRUST_200600_302600_NS4plusIyEEEE10hipError_tPvRmT2_T3_mT4_P12ihipStream_tbEUlT_E_NS1_11comp_targetILNS1_3genE4ELNS1_11target_archE910ELNS1_3gpuE8ELNS1_3repE0EEENS1_30default_config_static_selectorELNS0_4arch9wavefront6targetE1EEEvT1_,"axG",@progbits,_ZN7rocprim17ROCPRIM_400000_NS6detail17trampoline_kernelINS0_14default_configENS1_35adjacent_difference_config_selectorILb1EyEEZNS1_24adjacent_difference_implIS3_Lb1ELb0EPKyPyN6thrust23THRUST_200600_302600_NS4plusIyEEEE10hipError_tPvRmT2_T3_mT4_P12ihipStream_tbEUlT_E_NS1_11comp_targetILNS1_3genE4ELNS1_11target_archE910ELNS1_3gpuE8ELNS1_3repE0EEENS1_30default_config_static_selectorELNS0_4arch9wavefront6targetE1EEEvT1_,comdat
	.protected	_ZN7rocprim17ROCPRIM_400000_NS6detail17trampoline_kernelINS0_14default_configENS1_35adjacent_difference_config_selectorILb1EyEEZNS1_24adjacent_difference_implIS3_Lb1ELb0EPKyPyN6thrust23THRUST_200600_302600_NS4plusIyEEEE10hipError_tPvRmT2_T3_mT4_P12ihipStream_tbEUlT_E_NS1_11comp_targetILNS1_3genE4ELNS1_11target_archE910ELNS1_3gpuE8ELNS1_3repE0EEENS1_30default_config_static_selectorELNS0_4arch9wavefront6targetE1EEEvT1_ ; -- Begin function _ZN7rocprim17ROCPRIM_400000_NS6detail17trampoline_kernelINS0_14default_configENS1_35adjacent_difference_config_selectorILb1EyEEZNS1_24adjacent_difference_implIS3_Lb1ELb0EPKyPyN6thrust23THRUST_200600_302600_NS4plusIyEEEE10hipError_tPvRmT2_T3_mT4_P12ihipStream_tbEUlT_E_NS1_11comp_targetILNS1_3genE4ELNS1_11target_archE910ELNS1_3gpuE8ELNS1_3repE0EEENS1_30default_config_static_selectorELNS0_4arch9wavefront6targetE1EEEvT1_
	.globl	_ZN7rocprim17ROCPRIM_400000_NS6detail17trampoline_kernelINS0_14default_configENS1_35adjacent_difference_config_selectorILb1EyEEZNS1_24adjacent_difference_implIS3_Lb1ELb0EPKyPyN6thrust23THRUST_200600_302600_NS4plusIyEEEE10hipError_tPvRmT2_T3_mT4_P12ihipStream_tbEUlT_E_NS1_11comp_targetILNS1_3genE4ELNS1_11target_archE910ELNS1_3gpuE8ELNS1_3repE0EEENS1_30default_config_static_selectorELNS0_4arch9wavefront6targetE1EEEvT1_
	.p2align	8
	.type	_ZN7rocprim17ROCPRIM_400000_NS6detail17trampoline_kernelINS0_14default_configENS1_35adjacent_difference_config_selectorILb1EyEEZNS1_24adjacent_difference_implIS3_Lb1ELb0EPKyPyN6thrust23THRUST_200600_302600_NS4plusIyEEEE10hipError_tPvRmT2_T3_mT4_P12ihipStream_tbEUlT_E_NS1_11comp_targetILNS1_3genE4ELNS1_11target_archE910ELNS1_3gpuE8ELNS1_3repE0EEENS1_30default_config_static_selectorELNS0_4arch9wavefront6targetE1EEEvT1_,@function
_ZN7rocprim17ROCPRIM_400000_NS6detail17trampoline_kernelINS0_14default_configENS1_35adjacent_difference_config_selectorILb1EyEEZNS1_24adjacent_difference_implIS3_Lb1ELb0EPKyPyN6thrust23THRUST_200600_302600_NS4plusIyEEEE10hipError_tPvRmT2_T3_mT4_P12ihipStream_tbEUlT_E_NS1_11comp_targetILNS1_3genE4ELNS1_11target_archE910ELNS1_3gpuE8ELNS1_3repE0EEENS1_30default_config_static_selectorELNS0_4arch9wavefront6targetE1EEEvT1_: ; @_ZN7rocprim17ROCPRIM_400000_NS6detail17trampoline_kernelINS0_14default_configENS1_35adjacent_difference_config_selectorILb1EyEEZNS1_24adjacent_difference_implIS3_Lb1ELb0EPKyPyN6thrust23THRUST_200600_302600_NS4plusIyEEEE10hipError_tPvRmT2_T3_mT4_P12ihipStream_tbEUlT_E_NS1_11comp_targetILNS1_3genE4ELNS1_11target_archE910ELNS1_3gpuE8ELNS1_3repE0EEENS1_30default_config_static_selectorELNS0_4arch9wavefront6targetE1EEEvT1_
; %bb.0:
	.section	.rodata,"a",@progbits
	.p2align	6, 0x0
	.amdhsa_kernel _ZN7rocprim17ROCPRIM_400000_NS6detail17trampoline_kernelINS0_14default_configENS1_35adjacent_difference_config_selectorILb1EyEEZNS1_24adjacent_difference_implIS3_Lb1ELb0EPKyPyN6thrust23THRUST_200600_302600_NS4plusIyEEEE10hipError_tPvRmT2_T3_mT4_P12ihipStream_tbEUlT_E_NS1_11comp_targetILNS1_3genE4ELNS1_11target_archE910ELNS1_3gpuE8ELNS1_3repE0EEENS1_30default_config_static_selectorELNS0_4arch9wavefront6targetE1EEEvT1_
		.amdhsa_group_segment_fixed_size 0
		.amdhsa_private_segment_fixed_size 0
		.amdhsa_kernarg_size 56
		.amdhsa_user_sgpr_count 6
		.amdhsa_user_sgpr_private_segment_buffer 1
		.amdhsa_user_sgpr_dispatch_ptr 0
		.amdhsa_user_sgpr_queue_ptr 0
		.amdhsa_user_sgpr_kernarg_segment_ptr 1
		.amdhsa_user_sgpr_dispatch_id 0
		.amdhsa_user_sgpr_flat_scratch_init 0
		.amdhsa_user_sgpr_private_segment_size 0
		.amdhsa_uses_dynamic_stack 0
		.amdhsa_system_sgpr_private_segment_wavefront_offset 0
		.amdhsa_system_sgpr_workgroup_id_x 1
		.amdhsa_system_sgpr_workgroup_id_y 0
		.amdhsa_system_sgpr_workgroup_id_z 0
		.amdhsa_system_sgpr_workgroup_info 0
		.amdhsa_system_vgpr_workitem_id 0
		.amdhsa_next_free_vgpr 1
		.amdhsa_next_free_sgpr 0
		.amdhsa_reserve_vcc 0
		.amdhsa_reserve_flat_scratch 0
		.amdhsa_float_round_mode_32 0
		.amdhsa_float_round_mode_16_64 0
		.amdhsa_float_denorm_mode_32 3
		.amdhsa_float_denorm_mode_16_64 3
		.amdhsa_dx10_clamp 1
		.amdhsa_ieee_mode 1
		.amdhsa_fp16_overflow 0
		.amdhsa_exception_fp_ieee_invalid_op 0
		.amdhsa_exception_fp_denorm_src 0
		.amdhsa_exception_fp_ieee_div_zero 0
		.amdhsa_exception_fp_ieee_overflow 0
		.amdhsa_exception_fp_ieee_underflow 0
		.amdhsa_exception_fp_ieee_inexact 0
		.amdhsa_exception_int_div_zero 0
	.end_amdhsa_kernel
	.section	.text._ZN7rocprim17ROCPRIM_400000_NS6detail17trampoline_kernelINS0_14default_configENS1_35adjacent_difference_config_selectorILb1EyEEZNS1_24adjacent_difference_implIS3_Lb1ELb0EPKyPyN6thrust23THRUST_200600_302600_NS4plusIyEEEE10hipError_tPvRmT2_T3_mT4_P12ihipStream_tbEUlT_E_NS1_11comp_targetILNS1_3genE4ELNS1_11target_archE910ELNS1_3gpuE8ELNS1_3repE0EEENS1_30default_config_static_selectorELNS0_4arch9wavefront6targetE1EEEvT1_,"axG",@progbits,_ZN7rocprim17ROCPRIM_400000_NS6detail17trampoline_kernelINS0_14default_configENS1_35adjacent_difference_config_selectorILb1EyEEZNS1_24adjacent_difference_implIS3_Lb1ELb0EPKyPyN6thrust23THRUST_200600_302600_NS4plusIyEEEE10hipError_tPvRmT2_T3_mT4_P12ihipStream_tbEUlT_E_NS1_11comp_targetILNS1_3genE4ELNS1_11target_archE910ELNS1_3gpuE8ELNS1_3repE0EEENS1_30default_config_static_selectorELNS0_4arch9wavefront6targetE1EEEvT1_,comdat
.Lfunc_end643:
	.size	_ZN7rocprim17ROCPRIM_400000_NS6detail17trampoline_kernelINS0_14default_configENS1_35adjacent_difference_config_selectorILb1EyEEZNS1_24adjacent_difference_implIS3_Lb1ELb0EPKyPyN6thrust23THRUST_200600_302600_NS4plusIyEEEE10hipError_tPvRmT2_T3_mT4_P12ihipStream_tbEUlT_E_NS1_11comp_targetILNS1_3genE4ELNS1_11target_archE910ELNS1_3gpuE8ELNS1_3repE0EEENS1_30default_config_static_selectorELNS0_4arch9wavefront6targetE1EEEvT1_, .Lfunc_end643-_ZN7rocprim17ROCPRIM_400000_NS6detail17trampoline_kernelINS0_14default_configENS1_35adjacent_difference_config_selectorILb1EyEEZNS1_24adjacent_difference_implIS3_Lb1ELb0EPKyPyN6thrust23THRUST_200600_302600_NS4plusIyEEEE10hipError_tPvRmT2_T3_mT4_P12ihipStream_tbEUlT_E_NS1_11comp_targetILNS1_3genE4ELNS1_11target_archE910ELNS1_3gpuE8ELNS1_3repE0EEENS1_30default_config_static_selectorELNS0_4arch9wavefront6targetE1EEEvT1_
                                        ; -- End function
	.set _ZN7rocprim17ROCPRIM_400000_NS6detail17trampoline_kernelINS0_14default_configENS1_35adjacent_difference_config_selectorILb1EyEEZNS1_24adjacent_difference_implIS3_Lb1ELb0EPKyPyN6thrust23THRUST_200600_302600_NS4plusIyEEEE10hipError_tPvRmT2_T3_mT4_P12ihipStream_tbEUlT_E_NS1_11comp_targetILNS1_3genE4ELNS1_11target_archE910ELNS1_3gpuE8ELNS1_3repE0EEENS1_30default_config_static_selectorELNS0_4arch9wavefront6targetE1EEEvT1_.num_vgpr, 0
	.set _ZN7rocprim17ROCPRIM_400000_NS6detail17trampoline_kernelINS0_14default_configENS1_35adjacent_difference_config_selectorILb1EyEEZNS1_24adjacent_difference_implIS3_Lb1ELb0EPKyPyN6thrust23THRUST_200600_302600_NS4plusIyEEEE10hipError_tPvRmT2_T3_mT4_P12ihipStream_tbEUlT_E_NS1_11comp_targetILNS1_3genE4ELNS1_11target_archE910ELNS1_3gpuE8ELNS1_3repE0EEENS1_30default_config_static_selectorELNS0_4arch9wavefront6targetE1EEEvT1_.num_agpr, 0
	.set _ZN7rocprim17ROCPRIM_400000_NS6detail17trampoline_kernelINS0_14default_configENS1_35adjacent_difference_config_selectorILb1EyEEZNS1_24adjacent_difference_implIS3_Lb1ELb0EPKyPyN6thrust23THRUST_200600_302600_NS4plusIyEEEE10hipError_tPvRmT2_T3_mT4_P12ihipStream_tbEUlT_E_NS1_11comp_targetILNS1_3genE4ELNS1_11target_archE910ELNS1_3gpuE8ELNS1_3repE0EEENS1_30default_config_static_selectorELNS0_4arch9wavefront6targetE1EEEvT1_.numbered_sgpr, 0
	.set _ZN7rocprim17ROCPRIM_400000_NS6detail17trampoline_kernelINS0_14default_configENS1_35adjacent_difference_config_selectorILb1EyEEZNS1_24adjacent_difference_implIS3_Lb1ELb0EPKyPyN6thrust23THRUST_200600_302600_NS4plusIyEEEE10hipError_tPvRmT2_T3_mT4_P12ihipStream_tbEUlT_E_NS1_11comp_targetILNS1_3genE4ELNS1_11target_archE910ELNS1_3gpuE8ELNS1_3repE0EEENS1_30default_config_static_selectorELNS0_4arch9wavefront6targetE1EEEvT1_.num_named_barrier, 0
	.set _ZN7rocprim17ROCPRIM_400000_NS6detail17trampoline_kernelINS0_14default_configENS1_35adjacent_difference_config_selectorILb1EyEEZNS1_24adjacent_difference_implIS3_Lb1ELb0EPKyPyN6thrust23THRUST_200600_302600_NS4plusIyEEEE10hipError_tPvRmT2_T3_mT4_P12ihipStream_tbEUlT_E_NS1_11comp_targetILNS1_3genE4ELNS1_11target_archE910ELNS1_3gpuE8ELNS1_3repE0EEENS1_30default_config_static_selectorELNS0_4arch9wavefront6targetE1EEEvT1_.private_seg_size, 0
	.set _ZN7rocprim17ROCPRIM_400000_NS6detail17trampoline_kernelINS0_14default_configENS1_35adjacent_difference_config_selectorILb1EyEEZNS1_24adjacent_difference_implIS3_Lb1ELb0EPKyPyN6thrust23THRUST_200600_302600_NS4plusIyEEEE10hipError_tPvRmT2_T3_mT4_P12ihipStream_tbEUlT_E_NS1_11comp_targetILNS1_3genE4ELNS1_11target_archE910ELNS1_3gpuE8ELNS1_3repE0EEENS1_30default_config_static_selectorELNS0_4arch9wavefront6targetE1EEEvT1_.uses_vcc, 0
	.set _ZN7rocprim17ROCPRIM_400000_NS6detail17trampoline_kernelINS0_14default_configENS1_35adjacent_difference_config_selectorILb1EyEEZNS1_24adjacent_difference_implIS3_Lb1ELb0EPKyPyN6thrust23THRUST_200600_302600_NS4plusIyEEEE10hipError_tPvRmT2_T3_mT4_P12ihipStream_tbEUlT_E_NS1_11comp_targetILNS1_3genE4ELNS1_11target_archE910ELNS1_3gpuE8ELNS1_3repE0EEENS1_30default_config_static_selectorELNS0_4arch9wavefront6targetE1EEEvT1_.uses_flat_scratch, 0
	.set _ZN7rocprim17ROCPRIM_400000_NS6detail17trampoline_kernelINS0_14default_configENS1_35adjacent_difference_config_selectorILb1EyEEZNS1_24adjacent_difference_implIS3_Lb1ELb0EPKyPyN6thrust23THRUST_200600_302600_NS4plusIyEEEE10hipError_tPvRmT2_T3_mT4_P12ihipStream_tbEUlT_E_NS1_11comp_targetILNS1_3genE4ELNS1_11target_archE910ELNS1_3gpuE8ELNS1_3repE0EEENS1_30default_config_static_selectorELNS0_4arch9wavefront6targetE1EEEvT1_.has_dyn_sized_stack, 0
	.set _ZN7rocprim17ROCPRIM_400000_NS6detail17trampoline_kernelINS0_14default_configENS1_35adjacent_difference_config_selectorILb1EyEEZNS1_24adjacent_difference_implIS3_Lb1ELb0EPKyPyN6thrust23THRUST_200600_302600_NS4plusIyEEEE10hipError_tPvRmT2_T3_mT4_P12ihipStream_tbEUlT_E_NS1_11comp_targetILNS1_3genE4ELNS1_11target_archE910ELNS1_3gpuE8ELNS1_3repE0EEENS1_30default_config_static_selectorELNS0_4arch9wavefront6targetE1EEEvT1_.has_recursion, 0
	.set _ZN7rocprim17ROCPRIM_400000_NS6detail17trampoline_kernelINS0_14default_configENS1_35adjacent_difference_config_selectorILb1EyEEZNS1_24adjacent_difference_implIS3_Lb1ELb0EPKyPyN6thrust23THRUST_200600_302600_NS4plusIyEEEE10hipError_tPvRmT2_T3_mT4_P12ihipStream_tbEUlT_E_NS1_11comp_targetILNS1_3genE4ELNS1_11target_archE910ELNS1_3gpuE8ELNS1_3repE0EEENS1_30default_config_static_selectorELNS0_4arch9wavefront6targetE1EEEvT1_.has_indirect_call, 0
	.section	.AMDGPU.csdata,"",@progbits
; Kernel info:
; codeLenInByte = 0
; TotalNumSgprs: 4
; NumVgprs: 0
; ScratchSize: 0
; MemoryBound: 0
; FloatMode: 240
; IeeeMode: 1
; LDSByteSize: 0 bytes/workgroup (compile time only)
; SGPRBlocks: 0
; VGPRBlocks: 0
; NumSGPRsForWavesPerEU: 4
; NumVGPRsForWavesPerEU: 1
; Occupancy: 10
; WaveLimiterHint : 0
; COMPUTE_PGM_RSRC2:SCRATCH_EN: 0
; COMPUTE_PGM_RSRC2:USER_SGPR: 6
; COMPUTE_PGM_RSRC2:TRAP_HANDLER: 0
; COMPUTE_PGM_RSRC2:TGID_X_EN: 1
; COMPUTE_PGM_RSRC2:TGID_Y_EN: 0
; COMPUTE_PGM_RSRC2:TGID_Z_EN: 0
; COMPUTE_PGM_RSRC2:TIDIG_COMP_CNT: 0
	.section	.text._ZN7rocprim17ROCPRIM_400000_NS6detail17trampoline_kernelINS0_14default_configENS1_35adjacent_difference_config_selectorILb1EyEEZNS1_24adjacent_difference_implIS3_Lb1ELb0EPKyPyN6thrust23THRUST_200600_302600_NS4plusIyEEEE10hipError_tPvRmT2_T3_mT4_P12ihipStream_tbEUlT_E_NS1_11comp_targetILNS1_3genE3ELNS1_11target_archE908ELNS1_3gpuE7ELNS1_3repE0EEENS1_30default_config_static_selectorELNS0_4arch9wavefront6targetE1EEEvT1_,"axG",@progbits,_ZN7rocprim17ROCPRIM_400000_NS6detail17trampoline_kernelINS0_14default_configENS1_35adjacent_difference_config_selectorILb1EyEEZNS1_24adjacent_difference_implIS3_Lb1ELb0EPKyPyN6thrust23THRUST_200600_302600_NS4plusIyEEEE10hipError_tPvRmT2_T3_mT4_P12ihipStream_tbEUlT_E_NS1_11comp_targetILNS1_3genE3ELNS1_11target_archE908ELNS1_3gpuE7ELNS1_3repE0EEENS1_30default_config_static_selectorELNS0_4arch9wavefront6targetE1EEEvT1_,comdat
	.protected	_ZN7rocprim17ROCPRIM_400000_NS6detail17trampoline_kernelINS0_14default_configENS1_35adjacent_difference_config_selectorILb1EyEEZNS1_24adjacent_difference_implIS3_Lb1ELb0EPKyPyN6thrust23THRUST_200600_302600_NS4plusIyEEEE10hipError_tPvRmT2_T3_mT4_P12ihipStream_tbEUlT_E_NS1_11comp_targetILNS1_3genE3ELNS1_11target_archE908ELNS1_3gpuE7ELNS1_3repE0EEENS1_30default_config_static_selectorELNS0_4arch9wavefront6targetE1EEEvT1_ ; -- Begin function _ZN7rocprim17ROCPRIM_400000_NS6detail17trampoline_kernelINS0_14default_configENS1_35adjacent_difference_config_selectorILb1EyEEZNS1_24adjacent_difference_implIS3_Lb1ELb0EPKyPyN6thrust23THRUST_200600_302600_NS4plusIyEEEE10hipError_tPvRmT2_T3_mT4_P12ihipStream_tbEUlT_E_NS1_11comp_targetILNS1_3genE3ELNS1_11target_archE908ELNS1_3gpuE7ELNS1_3repE0EEENS1_30default_config_static_selectorELNS0_4arch9wavefront6targetE1EEEvT1_
	.globl	_ZN7rocprim17ROCPRIM_400000_NS6detail17trampoline_kernelINS0_14default_configENS1_35adjacent_difference_config_selectorILb1EyEEZNS1_24adjacent_difference_implIS3_Lb1ELb0EPKyPyN6thrust23THRUST_200600_302600_NS4plusIyEEEE10hipError_tPvRmT2_T3_mT4_P12ihipStream_tbEUlT_E_NS1_11comp_targetILNS1_3genE3ELNS1_11target_archE908ELNS1_3gpuE7ELNS1_3repE0EEENS1_30default_config_static_selectorELNS0_4arch9wavefront6targetE1EEEvT1_
	.p2align	8
	.type	_ZN7rocprim17ROCPRIM_400000_NS6detail17trampoline_kernelINS0_14default_configENS1_35adjacent_difference_config_selectorILb1EyEEZNS1_24adjacent_difference_implIS3_Lb1ELb0EPKyPyN6thrust23THRUST_200600_302600_NS4plusIyEEEE10hipError_tPvRmT2_T3_mT4_P12ihipStream_tbEUlT_E_NS1_11comp_targetILNS1_3genE3ELNS1_11target_archE908ELNS1_3gpuE7ELNS1_3repE0EEENS1_30default_config_static_selectorELNS0_4arch9wavefront6targetE1EEEvT1_,@function
_ZN7rocprim17ROCPRIM_400000_NS6detail17trampoline_kernelINS0_14default_configENS1_35adjacent_difference_config_selectorILb1EyEEZNS1_24adjacent_difference_implIS3_Lb1ELb0EPKyPyN6thrust23THRUST_200600_302600_NS4plusIyEEEE10hipError_tPvRmT2_T3_mT4_P12ihipStream_tbEUlT_E_NS1_11comp_targetILNS1_3genE3ELNS1_11target_archE908ELNS1_3gpuE7ELNS1_3repE0EEENS1_30default_config_static_selectorELNS0_4arch9wavefront6targetE1EEEvT1_: ; @_ZN7rocprim17ROCPRIM_400000_NS6detail17trampoline_kernelINS0_14default_configENS1_35adjacent_difference_config_selectorILb1EyEEZNS1_24adjacent_difference_implIS3_Lb1ELb0EPKyPyN6thrust23THRUST_200600_302600_NS4plusIyEEEE10hipError_tPvRmT2_T3_mT4_P12ihipStream_tbEUlT_E_NS1_11comp_targetILNS1_3genE3ELNS1_11target_archE908ELNS1_3gpuE7ELNS1_3repE0EEENS1_30default_config_static_selectorELNS0_4arch9wavefront6targetE1EEEvT1_
; %bb.0:
	.section	.rodata,"a",@progbits
	.p2align	6, 0x0
	.amdhsa_kernel _ZN7rocprim17ROCPRIM_400000_NS6detail17trampoline_kernelINS0_14default_configENS1_35adjacent_difference_config_selectorILb1EyEEZNS1_24adjacent_difference_implIS3_Lb1ELb0EPKyPyN6thrust23THRUST_200600_302600_NS4plusIyEEEE10hipError_tPvRmT2_T3_mT4_P12ihipStream_tbEUlT_E_NS1_11comp_targetILNS1_3genE3ELNS1_11target_archE908ELNS1_3gpuE7ELNS1_3repE0EEENS1_30default_config_static_selectorELNS0_4arch9wavefront6targetE1EEEvT1_
		.amdhsa_group_segment_fixed_size 0
		.amdhsa_private_segment_fixed_size 0
		.amdhsa_kernarg_size 56
		.amdhsa_user_sgpr_count 6
		.amdhsa_user_sgpr_private_segment_buffer 1
		.amdhsa_user_sgpr_dispatch_ptr 0
		.amdhsa_user_sgpr_queue_ptr 0
		.amdhsa_user_sgpr_kernarg_segment_ptr 1
		.amdhsa_user_sgpr_dispatch_id 0
		.amdhsa_user_sgpr_flat_scratch_init 0
		.amdhsa_user_sgpr_private_segment_size 0
		.amdhsa_uses_dynamic_stack 0
		.amdhsa_system_sgpr_private_segment_wavefront_offset 0
		.amdhsa_system_sgpr_workgroup_id_x 1
		.amdhsa_system_sgpr_workgroup_id_y 0
		.amdhsa_system_sgpr_workgroup_id_z 0
		.amdhsa_system_sgpr_workgroup_info 0
		.amdhsa_system_vgpr_workitem_id 0
		.amdhsa_next_free_vgpr 1
		.amdhsa_next_free_sgpr 0
		.amdhsa_reserve_vcc 0
		.amdhsa_reserve_flat_scratch 0
		.amdhsa_float_round_mode_32 0
		.amdhsa_float_round_mode_16_64 0
		.amdhsa_float_denorm_mode_32 3
		.amdhsa_float_denorm_mode_16_64 3
		.amdhsa_dx10_clamp 1
		.amdhsa_ieee_mode 1
		.amdhsa_fp16_overflow 0
		.amdhsa_exception_fp_ieee_invalid_op 0
		.amdhsa_exception_fp_denorm_src 0
		.amdhsa_exception_fp_ieee_div_zero 0
		.amdhsa_exception_fp_ieee_overflow 0
		.amdhsa_exception_fp_ieee_underflow 0
		.amdhsa_exception_fp_ieee_inexact 0
		.amdhsa_exception_int_div_zero 0
	.end_amdhsa_kernel
	.section	.text._ZN7rocprim17ROCPRIM_400000_NS6detail17trampoline_kernelINS0_14default_configENS1_35adjacent_difference_config_selectorILb1EyEEZNS1_24adjacent_difference_implIS3_Lb1ELb0EPKyPyN6thrust23THRUST_200600_302600_NS4plusIyEEEE10hipError_tPvRmT2_T3_mT4_P12ihipStream_tbEUlT_E_NS1_11comp_targetILNS1_3genE3ELNS1_11target_archE908ELNS1_3gpuE7ELNS1_3repE0EEENS1_30default_config_static_selectorELNS0_4arch9wavefront6targetE1EEEvT1_,"axG",@progbits,_ZN7rocprim17ROCPRIM_400000_NS6detail17trampoline_kernelINS0_14default_configENS1_35adjacent_difference_config_selectorILb1EyEEZNS1_24adjacent_difference_implIS3_Lb1ELb0EPKyPyN6thrust23THRUST_200600_302600_NS4plusIyEEEE10hipError_tPvRmT2_T3_mT4_P12ihipStream_tbEUlT_E_NS1_11comp_targetILNS1_3genE3ELNS1_11target_archE908ELNS1_3gpuE7ELNS1_3repE0EEENS1_30default_config_static_selectorELNS0_4arch9wavefront6targetE1EEEvT1_,comdat
.Lfunc_end644:
	.size	_ZN7rocprim17ROCPRIM_400000_NS6detail17trampoline_kernelINS0_14default_configENS1_35adjacent_difference_config_selectorILb1EyEEZNS1_24adjacent_difference_implIS3_Lb1ELb0EPKyPyN6thrust23THRUST_200600_302600_NS4plusIyEEEE10hipError_tPvRmT2_T3_mT4_P12ihipStream_tbEUlT_E_NS1_11comp_targetILNS1_3genE3ELNS1_11target_archE908ELNS1_3gpuE7ELNS1_3repE0EEENS1_30default_config_static_selectorELNS0_4arch9wavefront6targetE1EEEvT1_, .Lfunc_end644-_ZN7rocprim17ROCPRIM_400000_NS6detail17trampoline_kernelINS0_14default_configENS1_35adjacent_difference_config_selectorILb1EyEEZNS1_24adjacent_difference_implIS3_Lb1ELb0EPKyPyN6thrust23THRUST_200600_302600_NS4plusIyEEEE10hipError_tPvRmT2_T3_mT4_P12ihipStream_tbEUlT_E_NS1_11comp_targetILNS1_3genE3ELNS1_11target_archE908ELNS1_3gpuE7ELNS1_3repE0EEENS1_30default_config_static_selectorELNS0_4arch9wavefront6targetE1EEEvT1_
                                        ; -- End function
	.set _ZN7rocprim17ROCPRIM_400000_NS6detail17trampoline_kernelINS0_14default_configENS1_35adjacent_difference_config_selectorILb1EyEEZNS1_24adjacent_difference_implIS3_Lb1ELb0EPKyPyN6thrust23THRUST_200600_302600_NS4plusIyEEEE10hipError_tPvRmT2_T3_mT4_P12ihipStream_tbEUlT_E_NS1_11comp_targetILNS1_3genE3ELNS1_11target_archE908ELNS1_3gpuE7ELNS1_3repE0EEENS1_30default_config_static_selectorELNS0_4arch9wavefront6targetE1EEEvT1_.num_vgpr, 0
	.set _ZN7rocprim17ROCPRIM_400000_NS6detail17trampoline_kernelINS0_14default_configENS1_35adjacent_difference_config_selectorILb1EyEEZNS1_24adjacent_difference_implIS3_Lb1ELb0EPKyPyN6thrust23THRUST_200600_302600_NS4plusIyEEEE10hipError_tPvRmT2_T3_mT4_P12ihipStream_tbEUlT_E_NS1_11comp_targetILNS1_3genE3ELNS1_11target_archE908ELNS1_3gpuE7ELNS1_3repE0EEENS1_30default_config_static_selectorELNS0_4arch9wavefront6targetE1EEEvT1_.num_agpr, 0
	.set _ZN7rocprim17ROCPRIM_400000_NS6detail17trampoline_kernelINS0_14default_configENS1_35adjacent_difference_config_selectorILb1EyEEZNS1_24adjacent_difference_implIS3_Lb1ELb0EPKyPyN6thrust23THRUST_200600_302600_NS4plusIyEEEE10hipError_tPvRmT2_T3_mT4_P12ihipStream_tbEUlT_E_NS1_11comp_targetILNS1_3genE3ELNS1_11target_archE908ELNS1_3gpuE7ELNS1_3repE0EEENS1_30default_config_static_selectorELNS0_4arch9wavefront6targetE1EEEvT1_.numbered_sgpr, 0
	.set _ZN7rocprim17ROCPRIM_400000_NS6detail17trampoline_kernelINS0_14default_configENS1_35adjacent_difference_config_selectorILb1EyEEZNS1_24adjacent_difference_implIS3_Lb1ELb0EPKyPyN6thrust23THRUST_200600_302600_NS4plusIyEEEE10hipError_tPvRmT2_T3_mT4_P12ihipStream_tbEUlT_E_NS1_11comp_targetILNS1_3genE3ELNS1_11target_archE908ELNS1_3gpuE7ELNS1_3repE0EEENS1_30default_config_static_selectorELNS0_4arch9wavefront6targetE1EEEvT1_.num_named_barrier, 0
	.set _ZN7rocprim17ROCPRIM_400000_NS6detail17trampoline_kernelINS0_14default_configENS1_35adjacent_difference_config_selectorILb1EyEEZNS1_24adjacent_difference_implIS3_Lb1ELb0EPKyPyN6thrust23THRUST_200600_302600_NS4plusIyEEEE10hipError_tPvRmT2_T3_mT4_P12ihipStream_tbEUlT_E_NS1_11comp_targetILNS1_3genE3ELNS1_11target_archE908ELNS1_3gpuE7ELNS1_3repE0EEENS1_30default_config_static_selectorELNS0_4arch9wavefront6targetE1EEEvT1_.private_seg_size, 0
	.set _ZN7rocprim17ROCPRIM_400000_NS6detail17trampoline_kernelINS0_14default_configENS1_35adjacent_difference_config_selectorILb1EyEEZNS1_24adjacent_difference_implIS3_Lb1ELb0EPKyPyN6thrust23THRUST_200600_302600_NS4plusIyEEEE10hipError_tPvRmT2_T3_mT4_P12ihipStream_tbEUlT_E_NS1_11comp_targetILNS1_3genE3ELNS1_11target_archE908ELNS1_3gpuE7ELNS1_3repE0EEENS1_30default_config_static_selectorELNS0_4arch9wavefront6targetE1EEEvT1_.uses_vcc, 0
	.set _ZN7rocprim17ROCPRIM_400000_NS6detail17trampoline_kernelINS0_14default_configENS1_35adjacent_difference_config_selectorILb1EyEEZNS1_24adjacent_difference_implIS3_Lb1ELb0EPKyPyN6thrust23THRUST_200600_302600_NS4plusIyEEEE10hipError_tPvRmT2_T3_mT4_P12ihipStream_tbEUlT_E_NS1_11comp_targetILNS1_3genE3ELNS1_11target_archE908ELNS1_3gpuE7ELNS1_3repE0EEENS1_30default_config_static_selectorELNS0_4arch9wavefront6targetE1EEEvT1_.uses_flat_scratch, 0
	.set _ZN7rocprim17ROCPRIM_400000_NS6detail17trampoline_kernelINS0_14default_configENS1_35adjacent_difference_config_selectorILb1EyEEZNS1_24adjacent_difference_implIS3_Lb1ELb0EPKyPyN6thrust23THRUST_200600_302600_NS4plusIyEEEE10hipError_tPvRmT2_T3_mT4_P12ihipStream_tbEUlT_E_NS1_11comp_targetILNS1_3genE3ELNS1_11target_archE908ELNS1_3gpuE7ELNS1_3repE0EEENS1_30default_config_static_selectorELNS0_4arch9wavefront6targetE1EEEvT1_.has_dyn_sized_stack, 0
	.set _ZN7rocprim17ROCPRIM_400000_NS6detail17trampoline_kernelINS0_14default_configENS1_35adjacent_difference_config_selectorILb1EyEEZNS1_24adjacent_difference_implIS3_Lb1ELb0EPKyPyN6thrust23THRUST_200600_302600_NS4plusIyEEEE10hipError_tPvRmT2_T3_mT4_P12ihipStream_tbEUlT_E_NS1_11comp_targetILNS1_3genE3ELNS1_11target_archE908ELNS1_3gpuE7ELNS1_3repE0EEENS1_30default_config_static_selectorELNS0_4arch9wavefront6targetE1EEEvT1_.has_recursion, 0
	.set _ZN7rocprim17ROCPRIM_400000_NS6detail17trampoline_kernelINS0_14default_configENS1_35adjacent_difference_config_selectorILb1EyEEZNS1_24adjacent_difference_implIS3_Lb1ELb0EPKyPyN6thrust23THRUST_200600_302600_NS4plusIyEEEE10hipError_tPvRmT2_T3_mT4_P12ihipStream_tbEUlT_E_NS1_11comp_targetILNS1_3genE3ELNS1_11target_archE908ELNS1_3gpuE7ELNS1_3repE0EEENS1_30default_config_static_selectorELNS0_4arch9wavefront6targetE1EEEvT1_.has_indirect_call, 0
	.section	.AMDGPU.csdata,"",@progbits
; Kernel info:
; codeLenInByte = 0
; TotalNumSgprs: 4
; NumVgprs: 0
; ScratchSize: 0
; MemoryBound: 0
; FloatMode: 240
; IeeeMode: 1
; LDSByteSize: 0 bytes/workgroup (compile time only)
; SGPRBlocks: 0
; VGPRBlocks: 0
; NumSGPRsForWavesPerEU: 4
; NumVGPRsForWavesPerEU: 1
; Occupancy: 10
; WaveLimiterHint : 0
; COMPUTE_PGM_RSRC2:SCRATCH_EN: 0
; COMPUTE_PGM_RSRC2:USER_SGPR: 6
; COMPUTE_PGM_RSRC2:TRAP_HANDLER: 0
; COMPUTE_PGM_RSRC2:TGID_X_EN: 1
; COMPUTE_PGM_RSRC2:TGID_Y_EN: 0
; COMPUTE_PGM_RSRC2:TGID_Z_EN: 0
; COMPUTE_PGM_RSRC2:TIDIG_COMP_CNT: 0
	.section	.text._ZN7rocprim17ROCPRIM_400000_NS6detail17trampoline_kernelINS0_14default_configENS1_35adjacent_difference_config_selectorILb1EyEEZNS1_24adjacent_difference_implIS3_Lb1ELb0EPKyPyN6thrust23THRUST_200600_302600_NS4plusIyEEEE10hipError_tPvRmT2_T3_mT4_P12ihipStream_tbEUlT_E_NS1_11comp_targetILNS1_3genE2ELNS1_11target_archE906ELNS1_3gpuE6ELNS1_3repE0EEENS1_30default_config_static_selectorELNS0_4arch9wavefront6targetE1EEEvT1_,"axG",@progbits,_ZN7rocprim17ROCPRIM_400000_NS6detail17trampoline_kernelINS0_14default_configENS1_35adjacent_difference_config_selectorILb1EyEEZNS1_24adjacent_difference_implIS3_Lb1ELb0EPKyPyN6thrust23THRUST_200600_302600_NS4plusIyEEEE10hipError_tPvRmT2_T3_mT4_P12ihipStream_tbEUlT_E_NS1_11comp_targetILNS1_3genE2ELNS1_11target_archE906ELNS1_3gpuE6ELNS1_3repE0EEENS1_30default_config_static_selectorELNS0_4arch9wavefront6targetE1EEEvT1_,comdat
	.protected	_ZN7rocprim17ROCPRIM_400000_NS6detail17trampoline_kernelINS0_14default_configENS1_35adjacent_difference_config_selectorILb1EyEEZNS1_24adjacent_difference_implIS3_Lb1ELb0EPKyPyN6thrust23THRUST_200600_302600_NS4plusIyEEEE10hipError_tPvRmT2_T3_mT4_P12ihipStream_tbEUlT_E_NS1_11comp_targetILNS1_3genE2ELNS1_11target_archE906ELNS1_3gpuE6ELNS1_3repE0EEENS1_30default_config_static_selectorELNS0_4arch9wavefront6targetE1EEEvT1_ ; -- Begin function _ZN7rocprim17ROCPRIM_400000_NS6detail17trampoline_kernelINS0_14default_configENS1_35adjacent_difference_config_selectorILb1EyEEZNS1_24adjacent_difference_implIS3_Lb1ELb0EPKyPyN6thrust23THRUST_200600_302600_NS4plusIyEEEE10hipError_tPvRmT2_T3_mT4_P12ihipStream_tbEUlT_E_NS1_11comp_targetILNS1_3genE2ELNS1_11target_archE906ELNS1_3gpuE6ELNS1_3repE0EEENS1_30default_config_static_selectorELNS0_4arch9wavefront6targetE1EEEvT1_
	.globl	_ZN7rocprim17ROCPRIM_400000_NS6detail17trampoline_kernelINS0_14default_configENS1_35adjacent_difference_config_selectorILb1EyEEZNS1_24adjacent_difference_implIS3_Lb1ELb0EPKyPyN6thrust23THRUST_200600_302600_NS4plusIyEEEE10hipError_tPvRmT2_T3_mT4_P12ihipStream_tbEUlT_E_NS1_11comp_targetILNS1_3genE2ELNS1_11target_archE906ELNS1_3gpuE6ELNS1_3repE0EEENS1_30default_config_static_selectorELNS0_4arch9wavefront6targetE1EEEvT1_
	.p2align	8
	.type	_ZN7rocprim17ROCPRIM_400000_NS6detail17trampoline_kernelINS0_14default_configENS1_35adjacent_difference_config_selectorILb1EyEEZNS1_24adjacent_difference_implIS3_Lb1ELb0EPKyPyN6thrust23THRUST_200600_302600_NS4plusIyEEEE10hipError_tPvRmT2_T3_mT4_P12ihipStream_tbEUlT_E_NS1_11comp_targetILNS1_3genE2ELNS1_11target_archE906ELNS1_3gpuE6ELNS1_3repE0EEENS1_30default_config_static_selectorELNS0_4arch9wavefront6targetE1EEEvT1_,@function
_ZN7rocprim17ROCPRIM_400000_NS6detail17trampoline_kernelINS0_14default_configENS1_35adjacent_difference_config_selectorILb1EyEEZNS1_24adjacent_difference_implIS3_Lb1ELb0EPKyPyN6thrust23THRUST_200600_302600_NS4plusIyEEEE10hipError_tPvRmT2_T3_mT4_P12ihipStream_tbEUlT_E_NS1_11comp_targetILNS1_3genE2ELNS1_11target_archE906ELNS1_3gpuE6ELNS1_3repE0EEENS1_30default_config_static_selectorELNS0_4arch9wavefront6targetE1EEEvT1_: ; @_ZN7rocprim17ROCPRIM_400000_NS6detail17trampoline_kernelINS0_14default_configENS1_35adjacent_difference_config_selectorILb1EyEEZNS1_24adjacent_difference_implIS3_Lb1ELb0EPKyPyN6thrust23THRUST_200600_302600_NS4plusIyEEEE10hipError_tPvRmT2_T3_mT4_P12ihipStream_tbEUlT_E_NS1_11comp_targetILNS1_3genE2ELNS1_11target_archE906ELNS1_3gpuE6ELNS1_3repE0EEENS1_30default_config_static_selectorELNS0_4arch9wavefront6targetE1EEEvT1_
; %bb.0:
	s_load_dwordx8 s[8:15], s[4:5], 0x0
	s_load_dwordx4 s[16:19], s[4:5], 0x28
	s_mul_i32 s4, s6, 0x580
	s_mov_b32 s7, 0
	s_mov_b64 s[22:23], -1
	s_waitcnt lgkmcnt(0)
	s_lshl_b64 s[10:11], s[10:11], 3
	s_add_u32 s26, s8, s10
	s_addc_u32 s27, s9, s11
	s_mul_i32 s3, s15, 0xba2e8ba3
	s_mul_hi_u32 s5, s14, 0xba2e8ba3
	s_mul_hi_u32 s2, s15, 0xba2e8ba3
	s_add_u32 s3, s3, s5
	s_mul_i32 s1, s14, 0x2e8ba2e8
	s_addc_u32 s2, s2, 0
	s_mul_hi_u32 s0, s14, 0x2e8ba2e8
	s_add_u32 s1, s1, s3
	s_addc_u32 s0, s0, 0
	s_add_u32 s0, s2, s0
	s_addc_u32 s1, 0, 0
	s_mul_i32 s3, s15, 0x2e8ba2e8
	s_mul_hi_u32 s2, s15, 0x2e8ba2e8
	s_add_u32 s0, s3, s0
	s_addc_u32 s1, s2, s1
	s_lshr_b64 s[2:3], s[0:1], 8
	s_lshr_b32 s0, s1, 8
	s_mulk_i32 s0, 0x580
	s_mul_hi_u32 s1, s2, 0x580
	s_add_i32 s1, s1, s0
	s_mul_i32 s0, s2, 0x580
	s_sub_u32 s0, s14, s0
	s_subb_u32 s1, s15, s1
	s_cmp_lg_u64 s[0:1], 0
	s_cselect_b64 s[0:1], -1, 0
	v_cndmask_b32_e64 v1, 0, 1, s[0:1]
	v_readfirstlane_b32 s0, v1
	s_add_u32 s2, s2, s0
	s_addc_u32 s3, s3, 0
	s_add_u32 s8, s18, s6
	s_addc_u32 s9, s19, 0
	s_add_u32 s20, s2, -1
	s_addc_u32 s21, s3, -1
	v_mov_b32_e32 v1, s20
	v_mov_b32_e32 v2, s21
	v_cmp_ge_u64_e64 s[0:1], s[8:9], v[1:2]
	s_mul_i32 s15, s20, 0xfffffa80
	s_and_b64 vcc, exec, s[0:1]
	s_cbranch_vccz .LBB645_24
; %bb.1:
	s_mov_b32 s5, s7
	s_add_i32 s28, s15, s14
	s_lshl_b64 s[22:23], s[4:5], 3
	s_add_u32 s22, s26, s22
	s_addc_u32 s23, s27, s23
	v_cmp_gt_u32_e32 vcc, s28, v0
                                        ; implicit-def: $vgpr1_vgpr2
	s_and_saveexec_b64 s[24:25], vcc
	s_cbranch_execz .LBB645_3
; %bb.2:
	v_lshlrev_b32_e32 v1, 3, v0
	global_load_dwordx2 v[1:2], v1, s[22:23]
.LBB645_3:
	s_or_b64 exec, exec, s[24:25]
	v_or_b32_e32 v3, 0x80, v0
	v_cmp_gt_u32_e32 vcc, s28, v3
                                        ; implicit-def: $vgpr3_vgpr4
	s_and_saveexec_b64 s[24:25], vcc
	s_cbranch_execz .LBB645_5
; %bb.4:
	v_lshlrev_b32_e32 v3, 3, v0
	global_load_dwordx2 v[3:4], v3, s[22:23] offset:1024
.LBB645_5:
	s_or_b64 exec, exec, s[24:25]
	v_or_b32_e32 v5, 0x100, v0
	v_cmp_gt_u32_e32 vcc, s28, v5
                                        ; implicit-def: $vgpr5_vgpr6
	s_and_saveexec_b64 s[24:25], vcc
	s_cbranch_execz .LBB645_7
; %bb.6:
	v_lshlrev_b32_e32 v5, 3, v0
	global_load_dwordx2 v[5:6], v5, s[22:23] offset:2048
.LBB645_7:
	s_or_b64 exec, exec, s[24:25]
	v_or_b32_e32 v7, 0x180, v0
	v_cmp_gt_u32_e32 vcc, s28, v7
                                        ; implicit-def: $vgpr7_vgpr8
	s_and_saveexec_b64 s[24:25], vcc
	s_cbranch_execz .LBB645_9
; %bb.8:
	v_lshlrev_b32_e32 v7, 3, v0
	global_load_dwordx2 v[7:8], v7, s[22:23] offset:3072
.LBB645_9:
	s_or_b64 exec, exec, s[24:25]
	v_or_b32_e32 v11, 0x200, v0
	v_cmp_gt_u32_e32 vcc, s28, v11
                                        ; implicit-def: $vgpr9_vgpr10
	s_and_saveexec_b64 s[24:25], vcc
	s_cbranch_execz .LBB645_11
; %bb.10:
	v_lshlrev_b32_e32 v9, 3, v11
	global_load_dwordx2 v[9:10], v9, s[22:23]
.LBB645_11:
	s_or_b64 exec, exec, s[24:25]
	v_or_b32_e32 v13, 0x280, v0
	v_cmp_gt_u32_e32 vcc, s28, v13
                                        ; implicit-def: $vgpr11_vgpr12
	s_and_saveexec_b64 s[24:25], vcc
	s_cbranch_execz .LBB645_13
; %bb.12:
	v_lshlrev_b32_e32 v11, 3, v13
	global_load_dwordx2 v[11:12], v11, s[22:23]
.LBB645_13:
	s_or_b64 exec, exec, s[24:25]
	v_or_b32_e32 v15, 0x300, v0
	v_cmp_gt_u32_e32 vcc, s28, v15
                                        ; implicit-def: $vgpr13_vgpr14
	s_and_saveexec_b64 s[24:25], vcc
	s_cbranch_execz .LBB645_15
; %bb.14:
	v_lshlrev_b32_e32 v13, 3, v15
	global_load_dwordx2 v[13:14], v13, s[22:23]
.LBB645_15:
	s_or_b64 exec, exec, s[24:25]
	v_or_b32_e32 v17, 0x380, v0
	v_cmp_gt_u32_e32 vcc, s28, v17
                                        ; implicit-def: $vgpr15_vgpr16
	s_and_saveexec_b64 s[24:25], vcc
	s_cbranch_execz .LBB645_17
; %bb.16:
	v_lshlrev_b32_e32 v15, 3, v17
	global_load_dwordx2 v[15:16], v15, s[22:23]
.LBB645_17:
	s_or_b64 exec, exec, s[24:25]
	v_or_b32_e32 v19, 0x400, v0
	v_cmp_gt_u32_e32 vcc, s28, v19
                                        ; implicit-def: $vgpr17_vgpr18
	s_and_saveexec_b64 s[24:25], vcc
	s_cbranch_execz .LBB645_19
; %bb.18:
	v_lshlrev_b32_e32 v17, 3, v19
	global_load_dwordx2 v[17:18], v17, s[22:23]
.LBB645_19:
	s_or_b64 exec, exec, s[24:25]
	v_or_b32_e32 v21, 0x480, v0
	v_cmp_gt_u32_e32 vcc, s28, v21
                                        ; implicit-def: $vgpr19_vgpr20
	s_and_saveexec_b64 s[24:25], vcc
	s_cbranch_execz .LBB645_21
; %bb.20:
	v_lshlrev_b32_e32 v19, 3, v21
	global_load_dwordx2 v[19:20], v19, s[22:23]
.LBB645_21:
	s_or_b64 exec, exec, s[24:25]
	v_or_b32_e32 v23, 0x500, v0
	v_cmp_gt_u32_e32 vcc, s28, v23
                                        ; implicit-def: $vgpr21_vgpr22
	s_and_saveexec_b64 s[24:25], vcc
	s_cbranch_execz .LBB645_23
; %bb.22:
	v_lshlrev_b32_e32 v21, 3, v23
	global_load_dwordx2 v[21:22], v21, s[22:23]
.LBB645_23:
	s_or_b64 exec, exec, s[24:25]
	v_lshlrev_b32_e32 v23, 3, v0
	s_mov_b64 s[22:23], 0
	s_waitcnt vmcnt(0)
	ds_write2st64_b64 v23, v[1:2], v[3:4] offset1:2
	ds_write2st64_b64 v23, v[5:6], v[7:8] offset0:4 offset1:6
	ds_write2st64_b64 v23, v[9:10], v[11:12] offset0:8 offset1:10
	;; [unrolled: 1-line block ×4, first 2 shown]
	ds_write_b64 v23, v[21:22] offset:10240
	s_waitcnt lgkmcnt(0)
	s_barrier
.LBB645_24:
	s_and_b64 vcc, exec, s[22:23]
	v_lshlrev_b32_e32 v45, 3, v0
	s_cbranch_vccz .LBB645_26
; %bb.25:
	s_mov_b32 s5, 0
	s_lshl_b64 s[22:23], s[4:5], 3
	s_add_u32 s22, s26, s22
	s_addc_u32 s23, s27, s23
	v_mov_b32_e32 v1, s23
	v_add_co_u32_e32 v19, vcc, s22, v45
	v_addc_co_u32_e32 v20, vcc, 0, v1, vcc
	v_add_co_u32_e32 v9, vcc, 0x1000, v19
	v_addc_co_u32_e32 v10, vcc, 0, v20, vcc
	global_load_dwordx2 v[1:2], v45, s[22:23]
	global_load_dwordx2 v[3:4], v45, s[22:23] offset:1024
	global_load_dwordx2 v[5:6], v45, s[22:23] offset:2048
	;; [unrolled: 1-line block ×3, first 2 shown]
	global_load_dwordx2 v[11:12], v[9:10], off
	global_load_dwordx2 v[13:14], v[9:10], off offset:1024
	global_load_dwordx2 v[15:16], v[9:10], off offset:2048
	;; [unrolled: 1-line block ×3, first 2 shown]
	v_add_co_u32_e32 v9, vcc, 0x2000, v19
	v_addc_co_u32_e32 v10, vcc, 0, v20, vcc
	global_load_dwordx2 v[19:20], v[9:10], off
	global_load_dwordx2 v[21:22], v[9:10], off offset:1024
	global_load_dwordx2 v[23:24], v[9:10], off offset:2048
	s_waitcnt vmcnt(9)
	ds_write2st64_b64 v45, v[1:2], v[3:4] offset1:2
	s_waitcnt vmcnt(7)
	ds_write2st64_b64 v45, v[5:6], v[7:8] offset0:4 offset1:6
	s_waitcnt vmcnt(5)
	ds_write2st64_b64 v45, v[11:12], v[13:14] offset0:8 offset1:10
	;; [unrolled: 2-line block ×4, first 2 shown]
	s_waitcnt vmcnt(0)
	ds_write_b64 v45, v[23:24] offset:10240
	s_waitcnt lgkmcnt(0)
	s_barrier
.LBB645_26:
	v_mul_u32_u24_e32 v17, 0x58, v0
	ds_read_b64 v[21:22], v17 offset:80
	ds_read2_b64 v[1:4], v17 offset0:8 offset1:9
	ds_read2_b64 v[9:12], v17 offset1:1
	ds_read2_b64 v[13:16], v17 offset0:2 offset1:3
	ds_read2_b64 v[5:8], v17 offset0:6 offset1:7
	;; [unrolled: 1-line block ×3, first 2 shown]
	s_cmp_eq_u64 s[8:9], 0
	s_waitcnt lgkmcnt(0)
	s_barrier
	s_cbranch_scc1 .LBB645_31
; %bb.27:
	s_lshl_b64 s[18:19], s[18:19], 3
	s_add_u32 s5, s16, s18
	s_addc_u32 s16, s17, s19
	s_lshl_b64 s[6:7], s[6:7], 3
	s_add_u32 s5, s5, s6
	s_addc_u32 s7, s16, s7
	s_add_u32 s6, s5, -8
	s_addc_u32 s7, s7, -1
	s_load_dwordx2 s[6:7], s[6:7], 0x0
	s_cmp_eq_u64 s[8:9], s[20:21]
	s_cbranch_scc1 .LBB645_32
; %bb.28:
	s_waitcnt lgkmcnt(0)
	v_mov_b32_e32 v24, s7
	v_cmp_ne_u32_e32 vcc, 0, v0
	v_mov_b32_e32 v23, s6
	ds_write_b64 v45, v[21:22]
	s_waitcnt lgkmcnt(0)
	s_barrier
	s_and_saveexec_b64 s[16:17], vcc
; %bb.29:
	v_add_u32_e32 v23, -8, v45
	ds_read_b64 v[23:24], v23
; %bb.30:
	s_or_b64 exec, exec, s[16:17]
	s_waitcnt lgkmcnt(0)
	v_add_co_u32_e32 v23, vcc, v23, v9
	v_addc_co_u32_e32 v24, vcc, v24, v10, vcc
	s_mov_b64 s[16:17], 0
	s_branch .LBB645_33
.LBB645_31:
                                        ; implicit-def: $vgpr23_vgpr24
                                        ; implicit-def: $vgpr41_vgpr42
                                        ; implicit-def: $vgpr35_vgpr36
                                        ; implicit-def: $vgpr39_vgpr40
                                        ; implicit-def: $vgpr33_vgpr34
                                        ; implicit-def: $vgpr37_vgpr38
                                        ; implicit-def: $vgpr43_vgpr44
                                        ; implicit-def: $vgpr31_vgpr32
                                        ; implicit-def: $vgpr27_vgpr28
                                        ; implicit-def: $vgpr25_vgpr26
                                        ; implicit-def: $vgpr29_vgpr30
	s_branch .LBB645_38
.LBB645_32:
	s_mov_b64 s[16:17], -1
                                        ; implicit-def: $vgpr23_vgpr24
.LBB645_33:
	v_mov_b32_e32 v42, v10
	v_mov_b32_e32 v36, v12
	;; [unrolled: 1-line block ×10, first 2 shown]
	s_and_b64 vcc, exec, s[16:17]
	v_mov_b32_e32 v41, v9
	v_mov_b32_e32 v35, v11
	;; [unrolled: 1-line block ×10, first 2 shown]
	s_cbranch_vccz .LBB645_37
; %bb.34:
	s_waitcnt lgkmcnt(0)
	v_mov_b32_e32 v24, s7
	v_mul_u32_u24_e32 v46, 11, v0
	v_cmp_ne_u32_e32 vcc, 0, v0
	v_mov_b32_e32 v23, s6
	ds_write_b64 v45, v[21:22]
	s_waitcnt lgkmcnt(0)
	s_barrier
	s_and_saveexec_b64 s[6:7], vcc
; %bb.35:
	v_add_u32_e32 v23, -8, v45
	ds_read_b64 v[23:24], v23
; %bb.36:
	s_or_b64 exec, exec, s[6:7]
	s_mul_i32 s5, s8, 0xfffffa80
	s_add_i32 s5, s5, s14
	v_add_u32_e32 v25, 10, v46
	v_cmp_gt_u32_e32 vcc, s5, v25
	v_add_u32_e32 v25, 9, v46
	v_cndmask_b32_e32 v30, 0, v4, vcc
	v_cndmask_b32_e32 v29, 0, v3, vcc
	v_cmp_gt_u32_e32 vcc, s5, v25
	v_add_u32_e32 v27, 8, v46
	v_cndmask_b32_e32 v26, 0, v2, vcc
	v_cndmask_b32_e32 v25, 0, v1, vcc
	;; [unrolled: 4-line block ×9, first 2 shown]
	v_cmp_gt_u32_e32 vcc, s5, v41
	v_cndmask_b32_e32 v42, 0, v10, vcc
	v_cndmask_b32_e32 v41, 0, v9, vcc
	v_cmp_gt_u32_e32 vcc, s5, v46
	s_waitcnt lgkmcnt(0)
	v_cndmask_b32_e32 v23, 0, v23, vcc
	v_cndmask_b32_e32 v24, 0, v24, vcc
	v_add_co_u32_e32 v23, vcc, v23, v9
	v_addc_co_u32_e32 v24, vcc, v24, v10, vcc
.LBB645_37:
	s_waitcnt lgkmcnt(0)
	s_cbranch_execnz .LBB645_48
.LBB645_38:
	s_cmp_eq_u64 s[2:3], 1
	v_cmp_ne_u32_e32 vcc, 0, v0
	s_cbranch_scc1 .LBB645_43
; %bb.39:
	v_mov_b32_e32 v24, v10
	v_mov_b32_e32 v23, v9
	ds_write_b64 v45, v[21:22]
	s_waitcnt lgkmcnt(0)
	s_barrier
	s_and_saveexec_b64 s[2:3], vcc
	s_cbranch_execz .LBB645_41
; %bb.40:
	v_add_u32_e32 v23, -8, v45
	ds_read_b64 v[23:24], v23
	s_waitcnt lgkmcnt(0)
	v_add_co_u32_e32 v23, vcc, v23, v9
	v_addc_co_u32_e32 v24, vcc, v24, v10, vcc
.LBB645_41:
	s_or_b64 exec, exec, s[2:3]
	s_cbranch_execz .LBB645_44
; %bb.42:
	v_mov_b32_e32 v36, v12
	v_mov_b32_e32 v40, v14
	;; [unrolled: 1-line block ×18, first 2 shown]
	s_branch .LBB645_47
.LBB645_43:
                                        ; implicit-def: $vgpr23_vgpr24
.LBB645_44:
	v_mul_u32_u24_e32 v23, 11, v0
	v_add_u32_e32 v24, 10, v23
	v_cmp_gt_u32_e32 vcc, s14, v24
	v_add_u32_e32 v24, 9, v23
	v_cndmask_b32_e32 v30, 0, v4, vcc
	v_cndmask_b32_e32 v29, 0, v3, vcc
	v_cmp_gt_u32_e32 vcc, s14, v24
	v_add_u32_e32 v24, 8, v23
	v_cndmask_b32_e32 v26, 0, v2, vcc
	v_cndmask_b32_e32 v25, 0, v1, vcc
	;; [unrolled: 4-line block ×9, first 2 shown]
	v_cmp_gt_u32_e32 vcc, s14, v24
	v_cndmask_b32_e32 v42, 0, v10, vcc
	v_cndmask_b32_e32 v41, 0, v9, vcc
	v_cmp_ne_u32_e32 vcc, 0, v0
	v_cmp_gt_u32_e64 s[2:3], s14, v23
	s_and_b64 s[6:7], vcc, s[2:3]
	ds_write_b64 v45, v[21:22]
	s_waitcnt lgkmcnt(0)
	s_barrier
	s_and_saveexec_b64 s[2:3], s[6:7]
	s_cbranch_execz .LBB645_46
; %bb.45:
	v_add_u32_e32 v23, -8, v45
	ds_read_b64 v[23:24], v23
	s_waitcnt lgkmcnt(0)
	v_add_co_u32_e32 v9, vcc, v23, v9
	v_addc_co_u32_e32 v10, vcc, v24, v10, vcc
.LBB645_46:
	s_or_b64 exec, exec, s[2:3]
	v_mov_b32_e32 v24, v10
	v_mov_b32_e32 v23, v9
	;; [unrolled: 1-line block ×4, first 2 shown]
.LBB645_47:
	v_mov_b32_e32 v42, v10
	v_mov_b32_e32 v41, v9
.LBB645_48:
	v_add_co_u32_e32 v21, vcc, v29, v21
	v_addc_co_u32_e32 v22, vcc, v30, v22, vcc
	v_add_co_u32_e32 v41, vcc, v41, v11
	v_addc_co_u32_e32 v42, vcc, v42, v12, vcc
	;; [unrolled: 2-line block ×9, first 2 shown]
	v_add_co_u32_e32 v25, vcc, v25, v3
	s_add_u32 s6, s12, s10
	v_addc_co_u32_e32 v26, vcc, v26, v4, vcc
	s_addc_u32 s7, s13, s11
	s_and_b64 vcc, exec, s[0:1]
	s_barrier
	s_cbranch_vccz .LBB645_70
; %bb.49:
	s_movk_i32 s2, 0x58
	v_mul_i32_i24_e32 v47, 0xffffffb0, v0
	v_mul_u32_u24_e32 v46, 0x58, v0
	v_mad_u32_u24 v1, v0, s2, v47
	ds_write2_b64 v46, v[23:24], v[41:42] offset1:1
	ds_write2_b64 v46, v[35:36], v[39:40] offset0:2 offset1:3
	ds_write2_b64 v46, v[33:34], v[37:38] offset0:4 offset1:5
	;; [unrolled: 1-line block ×4, first 2 shown]
	ds_write_b64 v46, v[21:22] offset:80
	s_waitcnt lgkmcnt(0)
	s_barrier
	ds_read2st64_b64 v[17:20], v1 offset0:2 offset1:4
	ds_read2st64_b64 v[13:16], v1 offset0:6 offset1:8
	;; [unrolled: 1-line block ×5, first 2 shown]
	s_mov_b32 s5, 0
	s_add_i32 s15, s15, s14
	s_lshl_b64 s[0:1], s[4:5], 3
	s_add_u32 s0, s6, s0
	s_addc_u32 s1, s7, s1
	v_mov_b32_e32 v44, s1
	v_add_co_u32_e32 v43, vcc, s0, v45
	v_addc_co_u32_e32 v44, vcc, 0, v44, vcc
	v_cmp_gt_u32_e32 vcc, s15, v0
	s_and_saveexec_b64 s[0:1], vcc
	s_cbranch_execz .LBB645_51
; %bb.50:
	v_add_u32_e32 v46, v46, v47
	ds_read_b64 v[46:47], v46
	s_waitcnt lgkmcnt(0)
	global_store_dwordx2 v[43:44], v[46:47], off
.LBB645_51:
	s_or_b64 exec, exec, s[0:1]
	v_or_b32_e32 v46, 0x80, v0
	v_cmp_gt_u32_e32 vcc, s15, v46
	s_and_saveexec_b64 s[0:1], vcc
	s_cbranch_execz .LBB645_53
; %bb.52:
	s_waitcnt lgkmcnt(4)
	global_store_dwordx2 v[43:44], v[17:18], off offset:1024
.LBB645_53:
	s_or_b64 exec, exec, s[0:1]
	s_waitcnt lgkmcnt(4)
	v_or_b32_e32 v17, 0x100, v0
	v_cmp_gt_u32_e32 vcc, s15, v17
	s_and_saveexec_b64 s[0:1], vcc
	s_cbranch_execz .LBB645_55
; %bb.54:
	global_store_dwordx2 v[43:44], v[19:20], off offset:2048
.LBB645_55:
	s_or_b64 exec, exec, s[0:1]
	v_or_b32_e32 v17, 0x180, v0
	v_cmp_gt_u32_e32 vcc, s15, v17
	s_and_saveexec_b64 s[0:1], vcc
	s_cbranch_execz .LBB645_57
; %bb.56:
	s_waitcnt lgkmcnt(3)
	global_store_dwordx2 v[43:44], v[13:14], off offset:3072
.LBB645_57:
	s_or_b64 exec, exec, s[0:1]
	s_waitcnt lgkmcnt(3)
	v_or_b32_e32 v13, 0x200, v0
	v_cmp_gt_u32_e32 vcc, s15, v13
	s_and_saveexec_b64 s[0:1], vcc
	s_cbranch_execz .LBB645_59
; %bb.58:
	v_add_co_u32_e32 v13, vcc, 0x1000, v43
	v_addc_co_u32_e32 v14, vcc, 0, v44, vcc
	global_store_dwordx2 v[13:14], v[15:16], off
.LBB645_59:
	s_or_b64 exec, exec, s[0:1]
	v_or_b32_e32 v13, 0x280, v0
	v_cmp_gt_u32_e32 vcc, s15, v13
	s_and_saveexec_b64 s[0:1], vcc
	s_cbranch_execz .LBB645_61
; %bb.60:
	v_add_co_u32_e32 v13, vcc, 0x1000, v43
	v_addc_co_u32_e32 v14, vcc, 0, v44, vcc
	s_waitcnt lgkmcnt(2)
	global_store_dwordx2 v[13:14], v[9:10], off offset:1024
.LBB645_61:
	s_or_b64 exec, exec, s[0:1]
	s_waitcnt lgkmcnt(2)
	v_or_b32_e32 v9, 0x300, v0
	v_cmp_gt_u32_e32 vcc, s15, v9
	s_and_saveexec_b64 s[0:1], vcc
	s_cbranch_execz .LBB645_63
; %bb.62:
	v_add_co_u32_e32 v9, vcc, 0x1000, v43
	v_addc_co_u32_e32 v10, vcc, 0, v44, vcc
	global_store_dwordx2 v[9:10], v[11:12], off offset:2048
.LBB645_63:
	s_or_b64 exec, exec, s[0:1]
	v_or_b32_e32 v9, 0x380, v0
	v_cmp_gt_u32_e32 vcc, s15, v9
	s_and_saveexec_b64 s[0:1], vcc
	s_cbranch_execz .LBB645_65
; %bb.64:
	v_add_co_u32_e32 v9, vcc, 0x1000, v43
	v_addc_co_u32_e32 v10, vcc, 0, v44, vcc
	s_waitcnt lgkmcnt(1)
	global_store_dwordx2 v[9:10], v[5:6], off offset:3072
.LBB645_65:
	s_or_b64 exec, exec, s[0:1]
	s_waitcnt lgkmcnt(1)
	v_or_b32_e32 v5, 0x400, v0
	v_cmp_gt_u32_e32 vcc, s15, v5
	s_and_saveexec_b64 s[0:1], vcc
	s_cbranch_execz .LBB645_67
; %bb.66:
	v_add_co_u32_e32 v5, vcc, 0x2000, v43
	v_addc_co_u32_e32 v6, vcc, 0, v44, vcc
	global_store_dwordx2 v[5:6], v[7:8], off
.LBB645_67:
	s_or_b64 exec, exec, s[0:1]
	v_or_b32_e32 v5, 0x480, v0
	v_cmp_gt_u32_e32 vcc, s15, v5
	s_and_saveexec_b64 s[0:1], vcc
	s_cbranch_execz .LBB645_69
; %bb.68:
	v_add_co_u32_e32 v5, vcc, 0x2000, v43
	v_addc_co_u32_e32 v6, vcc, 0, v44, vcc
	s_waitcnt lgkmcnt(0)
	global_store_dwordx2 v[5:6], v[1:2], off offset:1024
.LBB645_69:
	s_or_b64 exec, exec, s[0:1]
	s_waitcnt lgkmcnt(0)
	v_or_b32_e32 v1, 0x500, v0
	v_cmp_gt_u32_e64 s[0:1], s15, v1
	s_branch .LBB645_72
.LBB645_70:
	s_mov_b64 s[0:1], 0
                                        ; implicit-def: $vgpr3_vgpr4
                                        ; implicit-def: $vgpr43_vgpr44
	s_cbranch_execz .LBB645_72
; %bb.71:
	s_mov_b32 s5, 0
	s_lshl_b64 s[2:3], s[4:5], 3
	v_mul_u32_u24_e32 v1, 0x58, v0
	s_add_u32 s2, s6, s2
	s_movk_i32 s4, 0x58
	ds_write2_b64 v1, v[23:24], v[41:42] offset1:1
	ds_write2_b64 v1, v[35:36], v[39:40] offset0:2 offset1:3
	ds_write2_b64 v1, v[33:34], v[37:38] offset0:4 offset1:5
	;; [unrolled: 1-line block ×4, first 2 shown]
	ds_write_b64 v1, v[21:22] offset:80
	v_mul_i32_i24_e32 v1, 0xffffffb0, v0
	s_addc_u32 s3, s7, s3
	v_mad_u32_u24 v0, v0, s4, v1
	s_waitcnt vmcnt(0) lgkmcnt(0)
	s_barrier
	ds_read2st64_b64 v[5:8], v0 offset1:2
	ds_read2st64_b64 v[9:12], v0 offset0:4 offset1:6
	ds_read2st64_b64 v[13:16], v0 offset0:8 offset1:10
	;; [unrolled: 1-line block ×4, first 2 shown]
	ds_read_b64 v[3:4], v0 offset:10240
	v_mov_b32_e32 v0, s3
	v_add_co_u32_e32 v43, vcc, s2, v45
	v_addc_co_u32_e32 v44, vcc, 0, v0, vcc
	s_waitcnt lgkmcnt(5)
	global_store_dwordx2 v45, v[5:6], s[2:3]
	global_store_dwordx2 v45, v[7:8], s[2:3] offset:1024
	s_waitcnt lgkmcnt(4)
	global_store_dwordx2 v45, v[9:10], s[2:3] offset:2048
	global_store_dwordx2 v45, v[11:12], s[2:3] offset:3072
	s_movk_i32 s2, 0x1000
	v_add_co_u32_e32 v0, vcc, s2, v43
	v_addc_co_u32_e32 v1, vcc, 0, v44, vcc
	s_waitcnt lgkmcnt(3)
	global_store_dwordx2 v[0:1], v[13:14], off
	global_store_dwordx2 v[0:1], v[15:16], off offset:1024
	s_waitcnt lgkmcnt(2)
	global_store_dwordx2 v[0:1], v[17:18], off offset:2048
	global_store_dwordx2 v[0:1], v[19:20], off offset:3072
	v_add_co_u32_e32 v0, vcc, 0x2000, v43
	v_addc_co_u32_e32 v1, vcc, 0, v44, vcc
	s_or_b64 s[0:1], s[0:1], exec
	s_waitcnt lgkmcnt(1)
	global_store_dwordx2 v[0:1], v[21:22], off
	global_store_dwordx2 v[0:1], v[23:24], off offset:1024
.LBB645_72:
	s_and_saveexec_b64 s[2:3], s[0:1]
	s_cbranch_execnz .LBB645_74
; %bb.73:
	s_endpgm
.LBB645_74:
	v_add_co_u32_e32 v0, vcc, 0x2000, v43
	v_addc_co_u32_e32 v1, vcc, 0, v44, vcc
	s_waitcnt lgkmcnt(0)
	global_store_dwordx2 v[0:1], v[3:4], off offset:2048
	s_endpgm
	.section	.rodata,"a",@progbits
	.p2align	6, 0x0
	.amdhsa_kernel _ZN7rocprim17ROCPRIM_400000_NS6detail17trampoline_kernelINS0_14default_configENS1_35adjacent_difference_config_selectorILb1EyEEZNS1_24adjacent_difference_implIS3_Lb1ELb0EPKyPyN6thrust23THRUST_200600_302600_NS4plusIyEEEE10hipError_tPvRmT2_T3_mT4_P12ihipStream_tbEUlT_E_NS1_11comp_targetILNS1_3genE2ELNS1_11target_archE906ELNS1_3gpuE6ELNS1_3repE0EEENS1_30default_config_static_selectorELNS0_4arch9wavefront6targetE1EEEvT1_
		.amdhsa_group_segment_fixed_size 11264
		.amdhsa_private_segment_fixed_size 0
		.amdhsa_kernarg_size 56
		.amdhsa_user_sgpr_count 6
		.amdhsa_user_sgpr_private_segment_buffer 1
		.amdhsa_user_sgpr_dispatch_ptr 0
		.amdhsa_user_sgpr_queue_ptr 0
		.amdhsa_user_sgpr_kernarg_segment_ptr 1
		.amdhsa_user_sgpr_dispatch_id 0
		.amdhsa_user_sgpr_flat_scratch_init 0
		.amdhsa_user_sgpr_private_segment_size 0
		.amdhsa_uses_dynamic_stack 0
		.amdhsa_system_sgpr_private_segment_wavefront_offset 0
		.amdhsa_system_sgpr_workgroup_id_x 1
		.amdhsa_system_sgpr_workgroup_id_y 0
		.amdhsa_system_sgpr_workgroup_id_z 0
		.amdhsa_system_sgpr_workgroup_info 0
		.amdhsa_system_vgpr_workitem_id 0
		.amdhsa_next_free_vgpr 65
		.amdhsa_next_free_sgpr 98
		.amdhsa_reserve_vcc 1
		.amdhsa_reserve_flat_scratch 0
		.amdhsa_float_round_mode_32 0
		.amdhsa_float_round_mode_16_64 0
		.amdhsa_float_denorm_mode_32 3
		.amdhsa_float_denorm_mode_16_64 3
		.amdhsa_dx10_clamp 1
		.amdhsa_ieee_mode 1
		.amdhsa_fp16_overflow 0
		.amdhsa_exception_fp_ieee_invalid_op 0
		.amdhsa_exception_fp_denorm_src 0
		.amdhsa_exception_fp_ieee_div_zero 0
		.amdhsa_exception_fp_ieee_overflow 0
		.amdhsa_exception_fp_ieee_underflow 0
		.amdhsa_exception_fp_ieee_inexact 0
		.amdhsa_exception_int_div_zero 0
	.end_amdhsa_kernel
	.section	.text._ZN7rocprim17ROCPRIM_400000_NS6detail17trampoline_kernelINS0_14default_configENS1_35adjacent_difference_config_selectorILb1EyEEZNS1_24adjacent_difference_implIS3_Lb1ELb0EPKyPyN6thrust23THRUST_200600_302600_NS4plusIyEEEE10hipError_tPvRmT2_T3_mT4_P12ihipStream_tbEUlT_E_NS1_11comp_targetILNS1_3genE2ELNS1_11target_archE906ELNS1_3gpuE6ELNS1_3repE0EEENS1_30default_config_static_selectorELNS0_4arch9wavefront6targetE1EEEvT1_,"axG",@progbits,_ZN7rocprim17ROCPRIM_400000_NS6detail17trampoline_kernelINS0_14default_configENS1_35adjacent_difference_config_selectorILb1EyEEZNS1_24adjacent_difference_implIS3_Lb1ELb0EPKyPyN6thrust23THRUST_200600_302600_NS4plusIyEEEE10hipError_tPvRmT2_T3_mT4_P12ihipStream_tbEUlT_E_NS1_11comp_targetILNS1_3genE2ELNS1_11target_archE906ELNS1_3gpuE6ELNS1_3repE0EEENS1_30default_config_static_selectorELNS0_4arch9wavefront6targetE1EEEvT1_,comdat
.Lfunc_end645:
	.size	_ZN7rocprim17ROCPRIM_400000_NS6detail17trampoline_kernelINS0_14default_configENS1_35adjacent_difference_config_selectorILb1EyEEZNS1_24adjacent_difference_implIS3_Lb1ELb0EPKyPyN6thrust23THRUST_200600_302600_NS4plusIyEEEE10hipError_tPvRmT2_T3_mT4_P12ihipStream_tbEUlT_E_NS1_11comp_targetILNS1_3genE2ELNS1_11target_archE906ELNS1_3gpuE6ELNS1_3repE0EEENS1_30default_config_static_selectorELNS0_4arch9wavefront6targetE1EEEvT1_, .Lfunc_end645-_ZN7rocprim17ROCPRIM_400000_NS6detail17trampoline_kernelINS0_14default_configENS1_35adjacent_difference_config_selectorILb1EyEEZNS1_24adjacent_difference_implIS3_Lb1ELb0EPKyPyN6thrust23THRUST_200600_302600_NS4plusIyEEEE10hipError_tPvRmT2_T3_mT4_P12ihipStream_tbEUlT_E_NS1_11comp_targetILNS1_3genE2ELNS1_11target_archE906ELNS1_3gpuE6ELNS1_3repE0EEENS1_30default_config_static_selectorELNS0_4arch9wavefront6targetE1EEEvT1_
                                        ; -- End function
	.set _ZN7rocprim17ROCPRIM_400000_NS6detail17trampoline_kernelINS0_14default_configENS1_35adjacent_difference_config_selectorILb1EyEEZNS1_24adjacent_difference_implIS3_Lb1ELb0EPKyPyN6thrust23THRUST_200600_302600_NS4plusIyEEEE10hipError_tPvRmT2_T3_mT4_P12ihipStream_tbEUlT_E_NS1_11comp_targetILNS1_3genE2ELNS1_11target_archE906ELNS1_3gpuE6ELNS1_3repE0EEENS1_30default_config_static_selectorELNS0_4arch9wavefront6targetE1EEEvT1_.num_vgpr, 48
	.set _ZN7rocprim17ROCPRIM_400000_NS6detail17trampoline_kernelINS0_14default_configENS1_35adjacent_difference_config_selectorILb1EyEEZNS1_24adjacent_difference_implIS3_Lb1ELb0EPKyPyN6thrust23THRUST_200600_302600_NS4plusIyEEEE10hipError_tPvRmT2_T3_mT4_P12ihipStream_tbEUlT_E_NS1_11comp_targetILNS1_3genE2ELNS1_11target_archE906ELNS1_3gpuE6ELNS1_3repE0EEENS1_30default_config_static_selectorELNS0_4arch9wavefront6targetE1EEEvT1_.num_agpr, 0
	.set _ZN7rocprim17ROCPRIM_400000_NS6detail17trampoline_kernelINS0_14default_configENS1_35adjacent_difference_config_selectorILb1EyEEZNS1_24adjacent_difference_implIS3_Lb1ELb0EPKyPyN6thrust23THRUST_200600_302600_NS4plusIyEEEE10hipError_tPvRmT2_T3_mT4_P12ihipStream_tbEUlT_E_NS1_11comp_targetILNS1_3genE2ELNS1_11target_archE906ELNS1_3gpuE6ELNS1_3repE0EEENS1_30default_config_static_selectorELNS0_4arch9wavefront6targetE1EEEvT1_.numbered_sgpr, 29
	.set _ZN7rocprim17ROCPRIM_400000_NS6detail17trampoline_kernelINS0_14default_configENS1_35adjacent_difference_config_selectorILb1EyEEZNS1_24adjacent_difference_implIS3_Lb1ELb0EPKyPyN6thrust23THRUST_200600_302600_NS4plusIyEEEE10hipError_tPvRmT2_T3_mT4_P12ihipStream_tbEUlT_E_NS1_11comp_targetILNS1_3genE2ELNS1_11target_archE906ELNS1_3gpuE6ELNS1_3repE0EEENS1_30default_config_static_selectorELNS0_4arch9wavefront6targetE1EEEvT1_.num_named_barrier, 0
	.set _ZN7rocprim17ROCPRIM_400000_NS6detail17trampoline_kernelINS0_14default_configENS1_35adjacent_difference_config_selectorILb1EyEEZNS1_24adjacent_difference_implIS3_Lb1ELb0EPKyPyN6thrust23THRUST_200600_302600_NS4plusIyEEEE10hipError_tPvRmT2_T3_mT4_P12ihipStream_tbEUlT_E_NS1_11comp_targetILNS1_3genE2ELNS1_11target_archE906ELNS1_3gpuE6ELNS1_3repE0EEENS1_30default_config_static_selectorELNS0_4arch9wavefront6targetE1EEEvT1_.private_seg_size, 0
	.set _ZN7rocprim17ROCPRIM_400000_NS6detail17trampoline_kernelINS0_14default_configENS1_35adjacent_difference_config_selectorILb1EyEEZNS1_24adjacent_difference_implIS3_Lb1ELb0EPKyPyN6thrust23THRUST_200600_302600_NS4plusIyEEEE10hipError_tPvRmT2_T3_mT4_P12ihipStream_tbEUlT_E_NS1_11comp_targetILNS1_3genE2ELNS1_11target_archE906ELNS1_3gpuE6ELNS1_3repE0EEENS1_30default_config_static_selectorELNS0_4arch9wavefront6targetE1EEEvT1_.uses_vcc, 1
	.set _ZN7rocprim17ROCPRIM_400000_NS6detail17trampoline_kernelINS0_14default_configENS1_35adjacent_difference_config_selectorILb1EyEEZNS1_24adjacent_difference_implIS3_Lb1ELb0EPKyPyN6thrust23THRUST_200600_302600_NS4plusIyEEEE10hipError_tPvRmT2_T3_mT4_P12ihipStream_tbEUlT_E_NS1_11comp_targetILNS1_3genE2ELNS1_11target_archE906ELNS1_3gpuE6ELNS1_3repE0EEENS1_30default_config_static_selectorELNS0_4arch9wavefront6targetE1EEEvT1_.uses_flat_scratch, 0
	.set _ZN7rocprim17ROCPRIM_400000_NS6detail17trampoline_kernelINS0_14default_configENS1_35adjacent_difference_config_selectorILb1EyEEZNS1_24adjacent_difference_implIS3_Lb1ELb0EPKyPyN6thrust23THRUST_200600_302600_NS4plusIyEEEE10hipError_tPvRmT2_T3_mT4_P12ihipStream_tbEUlT_E_NS1_11comp_targetILNS1_3genE2ELNS1_11target_archE906ELNS1_3gpuE6ELNS1_3repE0EEENS1_30default_config_static_selectorELNS0_4arch9wavefront6targetE1EEEvT1_.has_dyn_sized_stack, 0
	.set _ZN7rocprim17ROCPRIM_400000_NS6detail17trampoline_kernelINS0_14default_configENS1_35adjacent_difference_config_selectorILb1EyEEZNS1_24adjacent_difference_implIS3_Lb1ELb0EPKyPyN6thrust23THRUST_200600_302600_NS4plusIyEEEE10hipError_tPvRmT2_T3_mT4_P12ihipStream_tbEUlT_E_NS1_11comp_targetILNS1_3genE2ELNS1_11target_archE906ELNS1_3gpuE6ELNS1_3repE0EEENS1_30default_config_static_selectorELNS0_4arch9wavefront6targetE1EEEvT1_.has_recursion, 0
	.set _ZN7rocprim17ROCPRIM_400000_NS6detail17trampoline_kernelINS0_14default_configENS1_35adjacent_difference_config_selectorILb1EyEEZNS1_24adjacent_difference_implIS3_Lb1ELb0EPKyPyN6thrust23THRUST_200600_302600_NS4plusIyEEEE10hipError_tPvRmT2_T3_mT4_P12ihipStream_tbEUlT_E_NS1_11comp_targetILNS1_3genE2ELNS1_11target_archE906ELNS1_3gpuE6ELNS1_3repE0EEENS1_30default_config_static_selectorELNS0_4arch9wavefront6targetE1EEEvT1_.has_indirect_call, 0
	.section	.AMDGPU.csdata,"",@progbits
; Kernel info:
; codeLenInByte = 2968
; TotalNumSgprs: 33
; NumVgprs: 48
; ScratchSize: 0
; MemoryBound: 0
; FloatMode: 240
; IeeeMode: 1
; LDSByteSize: 11264 bytes/workgroup (compile time only)
; SGPRBlocks: 12
; VGPRBlocks: 16
; NumSGPRsForWavesPerEU: 102
; NumVGPRsForWavesPerEU: 65
; Occupancy: 3
; WaveLimiterHint : 1
; COMPUTE_PGM_RSRC2:SCRATCH_EN: 0
; COMPUTE_PGM_RSRC2:USER_SGPR: 6
; COMPUTE_PGM_RSRC2:TRAP_HANDLER: 0
; COMPUTE_PGM_RSRC2:TGID_X_EN: 1
; COMPUTE_PGM_RSRC2:TGID_Y_EN: 0
; COMPUTE_PGM_RSRC2:TGID_Z_EN: 0
; COMPUTE_PGM_RSRC2:TIDIG_COMP_CNT: 0
	.section	.text._ZN7rocprim17ROCPRIM_400000_NS6detail17trampoline_kernelINS0_14default_configENS1_35adjacent_difference_config_selectorILb1EyEEZNS1_24adjacent_difference_implIS3_Lb1ELb0EPKyPyN6thrust23THRUST_200600_302600_NS4plusIyEEEE10hipError_tPvRmT2_T3_mT4_P12ihipStream_tbEUlT_E_NS1_11comp_targetILNS1_3genE9ELNS1_11target_archE1100ELNS1_3gpuE3ELNS1_3repE0EEENS1_30default_config_static_selectorELNS0_4arch9wavefront6targetE1EEEvT1_,"axG",@progbits,_ZN7rocprim17ROCPRIM_400000_NS6detail17trampoline_kernelINS0_14default_configENS1_35adjacent_difference_config_selectorILb1EyEEZNS1_24adjacent_difference_implIS3_Lb1ELb0EPKyPyN6thrust23THRUST_200600_302600_NS4plusIyEEEE10hipError_tPvRmT2_T3_mT4_P12ihipStream_tbEUlT_E_NS1_11comp_targetILNS1_3genE9ELNS1_11target_archE1100ELNS1_3gpuE3ELNS1_3repE0EEENS1_30default_config_static_selectorELNS0_4arch9wavefront6targetE1EEEvT1_,comdat
	.protected	_ZN7rocprim17ROCPRIM_400000_NS6detail17trampoline_kernelINS0_14default_configENS1_35adjacent_difference_config_selectorILb1EyEEZNS1_24adjacent_difference_implIS3_Lb1ELb0EPKyPyN6thrust23THRUST_200600_302600_NS4plusIyEEEE10hipError_tPvRmT2_T3_mT4_P12ihipStream_tbEUlT_E_NS1_11comp_targetILNS1_3genE9ELNS1_11target_archE1100ELNS1_3gpuE3ELNS1_3repE0EEENS1_30default_config_static_selectorELNS0_4arch9wavefront6targetE1EEEvT1_ ; -- Begin function _ZN7rocprim17ROCPRIM_400000_NS6detail17trampoline_kernelINS0_14default_configENS1_35adjacent_difference_config_selectorILb1EyEEZNS1_24adjacent_difference_implIS3_Lb1ELb0EPKyPyN6thrust23THRUST_200600_302600_NS4plusIyEEEE10hipError_tPvRmT2_T3_mT4_P12ihipStream_tbEUlT_E_NS1_11comp_targetILNS1_3genE9ELNS1_11target_archE1100ELNS1_3gpuE3ELNS1_3repE0EEENS1_30default_config_static_selectorELNS0_4arch9wavefront6targetE1EEEvT1_
	.globl	_ZN7rocprim17ROCPRIM_400000_NS6detail17trampoline_kernelINS0_14default_configENS1_35adjacent_difference_config_selectorILb1EyEEZNS1_24adjacent_difference_implIS3_Lb1ELb0EPKyPyN6thrust23THRUST_200600_302600_NS4plusIyEEEE10hipError_tPvRmT2_T3_mT4_P12ihipStream_tbEUlT_E_NS1_11comp_targetILNS1_3genE9ELNS1_11target_archE1100ELNS1_3gpuE3ELNS1_3repE0EEENS1_30default_config_static_selectorELNS0_4arch9wavefront6targetE1EEEvT1_
	.p2align	8
	.type	_ZN7rocprim17ROCPRIM_400000_NS6detail17trampoline_kernelINS0_14default_configENS1_35adjacent_difference_config_selectorILb1EyEEZNS1_24adjacent_difference_implIS3_Lb1ELb0EPKyPyN6thrust23THRUST_200600_302600_NS4plusIyEEEE10hipError_tPvRmT2_T3_mT4_P12ihipStream_tbEUlT_E_NS1_11comp_targetILNS1_3genE9ELNS1_11target_archE1100ELNS1_3gpuE3ELNS1_3repE0EEENS1_30default_config_static_selectorELNS0_4arch9wavefront6targetE1EEEvT1_,@function
_ZN7rocprim17ROCPRIM_400000_NS6detail17trampoline_kernelINS0_14default_configENS1_35adjacent_difference_config_selectorILb1EyEEZNS1_24adjacent_difference_implIS3_Lb1ELb0EPKyPyN6thrust23THRUST_200600_302600_NS4plusIyEEEE10hipError_tPvRmT2_T3_mT4_P12ihipStream_tbEUlT_E_NS1_11comp_targetILNS1_3genE9ELNS1_11target_archE1100ELNS1_3gpuE3ELNS1_3repE0EEENS1_30default_config_static_selectorELNS0_4arch9wavefront6targetE1EEEvT1_: ; @_ZN7rocprim17ROCPRIM_400000_NS6detail17trampoline_kernelINS0_14default_configENS1_35adjacent_difference_config_selectorILb1EyEEZNS1_24adjacent_difference_implIS3_Lb1ELb0EPKyPyN6thrust23THRUST_200600_302600_NS4plusIyEEEE10hipError_tPvRmT2_T3_mT4_P12ihipStream_tbEUlT_E_NS1_11comp_targetILNS1_3genE9ELNS1_11target_archE1100ELNS1_3gpuE3ELNS1_3repE0EEENS1_30default_config_static_selectorELNS0_4arch9wavefront6targetE1EEEvT1_
; %bb.0:
	.section	.rodata,"a",@progbits
	.p2align	6, 0x0
	.amdhsa_kernel _ZN7rocprim17ROCPRIM_400000_NS6detail17trampoline_kernelINS0_14default_configENS1_35adjacent_difference_config_selectorILb1EyEEZNS1_24adjacent_difference_implIS3_Lb1ELb0EPKyPyN6thrust23THRUST_200600_302600_NS4plusIyEEEE10hipError_tPvRmT2_T3_mT4_P12ihipStream_tbEUlT_E_NS1_11comp_targetILNS1_3genE9ELNS1_11target_archE1100ELNS1_3gpuE3ELNS1_3repE0EEENS1_30default_config_static_selectorELNS0_4arch9wavefront6targetE1EEEvT1_
		.amdhsa_group_segment_fixed_size 0
		.amdhsa_private_segment_fixed_size 0
		.amdhsa_kernarg_size 56
		.amdhsa_user_sgpr_count 6
		.amdhsa_user_sgpr_private_segment_buffer 1
		.amdhsa_user_sgpr_dispatch_ptr 0
		.amdhsa_user_sgpr_queue_ptr 0
		.amdhsa_user_sgpr_kernarg_segment_ptr 1
		.amdhsa_user_sgpr_dispatch_id 0
		.amdhsa_user_sgpr_flat_scratch_init 0
		.amdhsa_user_sgpr_private_segment_size 0
		.amdhsa_uses_dynamic_stack 0
		.amdhsa_system_sgpr_private_segment_wavefront_offset 0
		.amdhsa_system_sgpr_workgroup_id_x 1
		.amdhsa_system_sgpr_workgroup_id_y 0
		.amdhsa_system_sgpr_workgroup_id_z 0
		.amdhsa_system_sgpr_workgroup_info 0
		.amdhsa_system_vgpr_workitem_id 0
		.amdhsa_next_free_vgpr 1
		.amdhsa_next_free_sgpr 0
		.amdhsa_reserve_vcc 0
		.amdhsa_reserve_flat_scratch 0
		.amdhsa_float_round_mode_32 0
		.amdhsa_float_round_mode_16_64 0
		.amdhsa_float_denorm_mode_32 3
		.amdhsa_float_denorm_mode_16_64 3
		.amdhsa_dx10_clamp 1
		.amdhsa_ieee_mode 1
		.amdhsa_fp16_overflow 0
		.amdhsa_exception_fp_ieee_invalid_op 0
		.amdhsa_exception_fp_denorm_src 0
		.amdhsa_exception_fp_ieee_div_zero 0
		.amdhsa_exception_fp_ieee_overflow 0
		.amdhsa_exception_fp_ieee_underflow 0
		.amdhsa_exception_fp_ieee_inexact 0
		.amdhsa_exception_int_div_zero 0
	.end_amdhsa_kernel
	.section	.text._ZN7rocprim17ROCPRIM_400000_NS6detail17trampoline_kernelINS0_14default_configENS1_35adjacent_difference_config_selectorILb1EyEEZNS1_24adjacent_difference_implIS3_Lb1ELb0EPKyPyN6thrust23THRUST_200600_302600_NS4plusIyEEEE10hipError_tPvRmT2_T3_mT4_P12ihipStream_tbEUlT_E_NS1_11comp_targetILNS1_3genE9ELNS1_11target_archE1100ELNS1_3gpuE3ELNS1_3repE0EEENS1_30default_config_static_selectorELNS0_4arch9wavefront6targetE1EEEvT1_,"axG",@progbits,_ZN7rocprim17ROCPRIM_400000_NS6detail17trampoline_kernelINS0_14default_configENS1_35adjacent_difference_config_selectorILb1EyEEZNS1_24adjacent_difference_implIS3_Lb1ELb0EPKyPyN6thrust23THRUST_200600_302600_NS4plusIyEEEE10hipError_tPvRmT2_T3_mT4_P12ihipStream_tbEUlT_E_NS1_11comp_targetILNS1_3genE9ELNS1_11target_archE1100ELNS1_3gpuE3ELNS1_3repE0EEENS1_30default_config_static_selectorELNS0_4arch9wavefront6targetE1EEEvT1_,comdat
.Lfunc_end646:
	.size	_ZN7rocprim17ROCPRIM_400000_NS6detail17trampoline_kernelINS0_14default_configENS1_35adjacent_difference_config_selectorILb1EyEEZNS1_24adjacent_difference_implIS3_Lb1ELb0EPKyPyN6thrust23THRUST_200600_302600_NS4plusIyEEEE10hipError_tPvRmT2_T3_mT4_P12ihipStream_tbEUlT_E_NS1_11comp_targetILNS1_3genE9ELNS1_11target_archE1100ELNS1_3gpuE3ELNS1_3repE0EEENS1_30default_config_static_selectorELNS0_4arch9wavefront6targetE1EEEvT1_, .Lfunc_end646-_ZN7rocprim17ROCPRIM_400000_NS6detail17trampoline_kernelINS0_14default_configENS1_35adjacent_difference_config_selectorILb1EyEEZNS1_24adjacent_difference_implIS3_Lb1ELb0EPKyPyN6thrust23THRUST_200600_302600_NS4plusIyEEEE10hipError_tPvRmT2_T3_mT4_P12ihipStream_tbEUlT_E_NS1_11comp_targetILNS1_3genE9ELNS1_11target_archE1100ELNS1_3gpuE3ELNS1_3repE0EEENS1_30default_config_static_selectorELNS0_4arch9wavefront6targetE1EEEvT1_
                                        ; -- End function
	.set _ZN7rocprim17ROCPRIM_400000_NS6detail17trampoline_kernelINS0_14default_configENS1_35adjacent_difference_config_selectorILb1EyEEZNS1_24adjacent_difference_implIS3_Lb1ELb0EPKyPyN6thrust23THRUST_200600_302600_NS4plusIyEEEE10hipError_tPvRmT2_T3_mT4_P12ihipStream_tbEUlT_E_NS1_11comp_targetILNS1_3genE9ELNS1_11target_archE1100ELNS1_3gpuE3ELNS1_3repE0EEENS1_30default_config_static_selectorELNS0_4arch9wavefront6targetE1EEEvT1_.num_vgpr, 0
	.set _ZN7rocprim17ROCPRIM_400000_NS6detail17trampoline_kernelINS0_14default_configENS1_35adjacent_difference_config_selectorILb1EyEEZNS1_24adjacent_difference_implIS3_Lb1ELb0EPKyPyN6thrust23THRUST_200600_302600_NS4plusIyEEEE10hipError_tPvRmT2_T3_mT4_P12ihipStream_tbEUlT_E_NS1_11comp_targetILNS1_3genE9ELNS1_11target_archE1100ELNS1_3gpuE3ELNS1_3repE0EEENS1_30default_config_static_selectorELNS0_4arch9wavefront6targetE1EEEvT1_.num_agpr, 0
	.set _ZN7rocprim17ROCPRIM_400000_NS6detail17trampoline_kernelINS0_14default_configENS1_35adjacent_difference_config_selectorILb1EyEEZNS1_24adjacent_difference_implIS3_Lb1ELb0EPKyPyN6thrust23THRUST_200600_302600_NS4plusIyEEEE10hipError_tPvRmT2_T3_mT4_P12ihipStream_tbEUlT_E_NS1_11comp_targetILNS1_3genE9ELNS1_11target_archE1100ELNS1_3gpuE3ELNS1_3repE0EEENS1_30default_config_static_selectorELNS0_4arch9wavefront6targetE1EEEvT1_.numbered_sgpr, 0
	.set _ZN7rocprim17ROCPRIM_400000_NS6detail17trampoline_kernelINS0_14default_configENS1_35adjacent_difference_config_selectorILb1EyEEZNS1_24adjacent_difference_implIS3_Lb1ELb0EPKyPyN6thrust23THRUST_200600_302600_NS4plusIyEEEE10hipError_tPvRmT2_T3_mT4_P12ihipStream_tbEUlT_E_NS1_11comp_targetILNS1_3genE9ELNS1_11target_archE1100ELNS1_3gpuE3ELNS1_3repE0EEENS1_30default_config_static_selectorELNS0_4arch9wavefront6targetE1EEEvT1_.num_named_barrier, 0
	.set _ZN7rocprim17ROCPRIM_400000_NS6detail17trampoline_kernelINS0_14default_configENS1_35adjacent_difference_config_selectorILb1EyEEZNS1_24adjacent_difference_implIS3_Lb1ELb0EPKyPyN6thrust23THRUST_200600_302600_NS4plusIyEEEE10hipError_tPvRmT2_T3_mT4_P12ihipStream_tbEUlT_E_NS1_11comp_targetILNS1_3genE9ELNS1_11target_archE1100ELNS1_3gpuE3ELNS1_3repE0EEENS1_30default_config_static_selectorELNS0_4arch9wavefront6targetE1EEEvT1_.private_seg_size, 0
	.set _ZN7rocprim17ROCPRIM_400000_NS6detail17trampoline_kernelINS0_14default_configENS1_35adjacent_difference_config_selectorILb1EyEEZNS1_24adjacent_difference_implIS3_Lb1ELb0EPKyPyN6thrust23THRUST_200600_302600_NS4plusIyEEEE10hipError_tPvRmT2_T3_mT4_P12ihipStream_tbEUlT_E_NS1_11comp_targetILNS1_3genE9ELNS1_11target_archE1100ELNS1_3gpuE3ELNS1_3repE0EEENS1_30default_config_static_selectorELNS0_4arch9wavefront6targetE1EEEvT1_.uses_vcc, 0
	.set _ZN7rocprim17ROCPRIM_400000_NS6detail17trampoline_kernelINS0_14default_configENS1_35adjacent_difference_config_selectorILb1EyEEZNS1_24adjacent_difference_implIS3_Lb1ELb0EPKyPyN6thrust23THRUST_200600_302600_NS4plusIyEEEE10hipError_tPvRmT2_T3_mT4_P12ihipStream_tbEUlT_E_NS1_11comp_targetILNS1_3genE9ELNS1_11target_archE1100ELNS1_3gpuE3ELNS1_3repE0EEENS1_30default_config_static_selectorELNS0_4arch9wavefront6targetE1EEEvT1_.uses_flat_scratch, 0
	.set _ZN7rocprim17ROCPRIM_400000_NS6detail17trampoline_kernelINS0_14default_configENS1_35adjacent_difference_config_selectorILb1EyEEZNS1_24adjacent_difference_implIS3_Lb1ELb0EPKyPyN6thrust23THRUST_200600_302600_NS4plusIyEEEE10hipError_tPvRmT2_T3_mT4_P12ihipStream_tbEUlT_E_NS1_11comp_targetILNS1_3genE9ELNS1_11target_archE1100ELNS1_3gpuE3ELNS1_3repE0EEENS1_30default_config_static_selectorELNS0_4arch9wavefront6targetE1EEEvT1_.has_dyn_sized_stack, 0
	.set _ZN7rocprim17ROCPRIM_400000_NS6detail17trampoline_kernelINS0_14default_configENS1_35adjacent_difference_config_selectorILb1EyEEZNS1_24adjacent_difference_implIS3_Lb1ELb0EPKyPyN6thrust23THRUST_200600_302600_NS4plusIyEEEE10hipError_tPvRmT2_T3_mT4_P12ihipStream_tbEUlT_E_NS1_11comp_targetILNS1_3genE9ELNS1_11target_archE1100ELNS1_3gpuE3ELNS1_3repE0EEENS1_30default_config_static_selectorELNS0_4arch9wavefront6targetE1EEEvT1_.has_recursion, 0
	.set _ZN7rocprim17ROCPRIM_400000_NS6detail17trampoline_kernelINS0_14default_configENS1_35adjacent_difference_config_selectorILb1EyEEZNS1_24adjacent_difference_implIS3_Lb1ELb0EPKyPyN6thrust23THRUST_200600_302600_NS4plusIyEEEE10hipError_tPvRmT2_T3_mT4_P12ihipStream_tbEUlT_E_NS1_11comp_targetILNS1_3genE9ELNS1_11target_archE1100ELNS1_3gpuE3ELNS1_3repE0EEENS1_30default_config_static_selectorELNS0_4arch9wavefront6targetE1EEEvT1_.has_indirect_call, 0
	.section	.AMDGPU.csdata,"",@progbits
; Kernel info:
; codeLenInByte = 0
; TotalNumSgprs: 4
; NumVgprs: 0
; ScratchSize: 0
; MemoryBound: 0
; FloatMode: 240
; IeeeMode: 1
; LDSByteSize: 0 bytes/workgroup (compile time only)
; SGPRBlocks: 0
; VGPRBlocks: 0
; NumSGPRsForWavesPerEU: 4
; NumVGPRsForWavesPerEU: 1
; Occupancy: 10
; WaveLimiterHint : 0
; COMPUTE_PGM_RSRC2:SCRATCH_EN: 0
; COMPUTE_PGM_RSRC2:USER_SGPR: 6
; COMPUTE_PGM_RSRC2:TRAP_HANDLER: 0
; COMPUTE_PGM_RSRC2:TGID_X_EN: 1
; COMPUTE_PGM_RSRC2:TGID_Y_EN: 0
; COMPUTE_PGM_RSRC2:TGID_Z_EN: 0
; COMPUTE_PGM_RSRC2:TIDIG_COMP_CNT: 0
	.section	.text._ZN7rocprim17ROCPRIM_400000_NS6detail17trampoline_kernelINS0_14default_configENS1_35adjacent_difference_config_selectorILb1EyEEZNS1_24adjacent_difference_implIS3_Lb1ELb0EPKyPyN6thrust23THRUST_200600_302600_NS4plusIyEEEE10hipError_tPvRmT2_T3_mT4_P12ihipStream_tbEUlT_E_NS1_11comp_targetILNS1_3genE8ELNS1_11target_archE1030ELNS1_3gpuE2ELNS1_3repE0EEENS1_30default_config_static_selectorELNS0_4arch9wavefront6targetE1EEEvT1_,"axG",@progbits,_ZN7rocprim17ROCPRIM_400000_NS6detail17trampoline_kernelINS0_14default_configENS1_35adjacent_difference_config_selectorILb1EyEEZNS1_24adjacent_difference_implIS3_Lb1ELb0EPKyPyN6thrust23THRUST_200600_302600_NS4plusIyEEEE10hipError_tPvRmT2_T3_mT4_P12ihipStream_tbEUlT_E_NS1_11comp_targetILNS1_3genE8ELNS1_11target_archE1030ELNS1_3gpuE2ELNS1_3repE0EEENS1_30default_config_static_selectorELNS0_4arch9wavefront6targetE1EEEvT1_,comdat
	.protected	_ZN7rocprim17ROCPRIM_400000_NS6detail17trampoline_kernelINS0_14default_configENS1_35adjacent_difference_config_selectorILb1EyEEZNS1_24adjacent_difference_implIS3_Lb1ELb0EPKyPyN6thrust23THRUST_200600_302600_NS4plusIyEEEE10hipError_tPvRmT2_T3_mT4_P12ihipStream_tbEUlT_E_NS1_11comp_targetILNS1_3genE8ELNS1_11target_archE1030ELNS1_3gpuE2ELNS1_3repE0EEENS1_30default_config_static_selectorELNS0_4arch9wavefront6targetE1EEEvT1_ ; -- Begin function _ZN7rocprim17ROCPRIM_400000_NS6detail17trampoline_kernelINS0_14default_configENS1_35adjacent_difference_config_selectorILb1EyEEZNS1_24adjacent_difference_implIS3_Lb1ELb0EPKyPyN6thrust23THRUST_200600_302600_NS4plusIyEEEE10hipError_tPvRmT2_T3_mT4_P12ihipStream_tbEUlT_E_NS1_11comp_targetILNS1_3genE8ELNS1_11target_archE1030ELNS1_3gpuE2ELNS1_3repE0EEENS1_30default_config_static_selectorELNS0_4arch9wavefront6targetE1EEEvT1_
	.globl	_ZN7rocprim17ROCPRIM_400000_NS6detail17trampoline_kernelINS0_14default_configENS1_35adjacent_difference_config_selectorILb1EyEEZNS1_24adjacent_difference_implIS3_Lb1ELb0EPKyPyN6thrust23THRUST_200600_302600_NS4plusIyEEEE10hipError_tPvRmT2_T3_mT4_P12ihipStream_tbEUlT_E_NS1_11comp_targetILNS1_3genE8ELNS1_11target_archE1030ELNS1_3gpuE2ELNS1_3repE0EEENS1_30default_config_static_selectorELNS0_4arch9wavefront6targetE1EEEvT1_
	.p2align	8
	.type	_ZN7rocprim17ROCPRIM_400000_NS6detail17trampoline_kernelINS0_14default_configENS1_35adjacent_difference_config_selectorILb1EyEEZNS1_24adjacent_difference_implIS3_Lb1ELb0EPKyPyN6thrust23THRUST_200600_302600_NS4plusIyEEEE10hipError_tPvRmT2_T3_mT4_P12ihipStream_tbEUlT_E_NS1_11comp_targetILNS1_3genE8ELNS1_11target_archE1030ELNS1_3gpuE2ELNS1_3repE0EEENS1_30default_config_static_selectorELNS0_4arch9wavefront6targetE1EEEvT1_,@function
_ZN7rocprim17ROCPRIM_400000_NS6detail17trampoline_kernelINS0_14default_configENS1_35adjacent_difference_config_selectorILb1EyEEZNS1_24adjacent_difference_implIS3_Lb1ELb0EPKyPyN6thrust23THRUST_200600_302600_NS4plusIyEEEE10hipError_tPvRmT2_T3_mT4_P12ihipStream_tbEUlT_E_NS1_11comp_targetILNS1_3genE8ELNS1_11target_archE1030ELNS1_3gpuE2ELNS1_3repE0EEENS1_30default_config_static_selectorELNS0_4arch9wavefront6targetE1EEEvT1_: ; @_ZN7rocprim17ROCPRIM_400000_NS6detail17trampoline_kernelINS0_14default_configENS1_35adjacent_difference_config_selectorILb1EyEEZNS1_24adjacent_difference_implIS3_Lb1ELb0EPKyPyN6thrust23THRUST_200600_302600_NS4plusIyEEEE10hipError_tPvRmT2_T3_mT4_P12ihipStream_tbEUlT_E_NS1_11comp_targetILNS1_3genE8ELNS1_11target_archE1030ELNS1_3gpuE2ELNS1_3repE0EEENS1_30default_config_static_selectorELNS0_4arch9wavefront6targetE1EEEvT1_
; %bb.0:
	.section	.rodata,"a",@progbits
	.p2align	6, 0x0
	.amdhsa_kernel _ZN7rocprim17ROCPRIM_400000_NS6detail17trampoline_kernelINS0_14default_configENS1_35adjacent_difference_config_selectorILb1EyEEZNS1_24adjacent_difference_implIS3_Lb1ELb0EPKyPyN6thrust23THRUST_200600_302600_NS4plusIyEEEE10hipError_tPvRmT2_T3_mT4_P12ihipStream_tbEUlT_E_NS1_11comp_targetILNS1_3genE8ELNS1_11target_archE1030ELNS1_3gpuE2ELNS1_3repE0EEENS1_30default_config_static_selectorELNS0_4arch9wavefront6targetE1EEEvT1_
		.amdhsa_group_segment_fixed_size 0
		.amdhsa_private_segment_fixed_size 0
		.amdhsa_kernarg_size 56
		.amdhsa_user_sgpr_count 6
		.amdhsa_user_sgpr_private_segment_buffer 1
		.amdhsa_user_sgpr_dispatch_ptr 0
		.amdhsa_user_sgpr_queue_ptr 0
		.amdhsa_user_sgpr_kernarg_segment_ptr 1
		.amdhsa_user_sgpr_dispatch_id 0
		.amdhsa_user_sgpr_flat_scratch_init 0
		.amdhsa_user_sgpr_private_segment_size 0
		.amdhsa_uses_dynamic_stack 0
		.amdhsa_system_sgpr_private_segment_wavefront_offset 0
		.amdhsa_system_sgpr_workgroup_id_x 1
		.amdhsa_system_sgpr_workgroup_id_y 0
		.amdhsa_system_sgpr_workgroup_id_z 0
		.amdhsa_system_sgpr_workgroup_info 0
		.amdhsa_system_vgpr_workitem_id 0
		.amdhsa_next_free_vgpr 1
		.amdhsa_next_free_sgpr 0
		.amdhsa_reserve_vcc 0
		.amdhsa_reserve_flat_scratch 0
		.amdhsa_float_round_mode_32 0
		.amdhsa_float_round_mode_16_64 0
		.amdhsa_float_denorm_mode_32 3
		.amdhsa_float_denorm_mode_16_64 3
		.amdhsa_dx10_clamp 1
		.amdhsa_ieee_mode 1
		.amdhsa_fp16_overflow 0
		.amdhsa_exception_fp_ieee_invalid_op 0
		.amdhsa_exception_fp_denorm_src 0
		.amdhsa_exception_fp_ieee_div_zero 0
		.amdhsa_exception_fp_ieee_overflow 0
		.amdhsa_exception_fp_ieee_underflow 0
		.amdhsa_exception_fp_ieee_inexact 0
		.amdhsa_exception_int_div_zero 0
	.end_amdhsa_kernel
	.section	.text._ZN7rocprim17ROCPRIM_400000_NS6detail17trampoline_kernelINS0_14default_configENS1_35adjacent_difference_config_selectorILb1EyEEZNS1_24adjacent_difference_implIS3_Lb1ELb0EPKyPyN6thrust23THRUST_200600_302600_NS4plusIyEEEE10hipError_tPvRmT2_T3_mT4_P12ihipStream_tbEUlT_E_NS1_11comp_targetILNS1_3genE8ELNS1_11target_archE1030ELNS1_3gpuE2ELNS1_3repE0EEENS1_30default_config_static_selectorELNS0_4arch9wavefront6targetE1EEEvT1_,"axG",@progbits,_ZN7rocprim17ROCPRIM_400000_NS6detail17trampoline_kernelINS0_14default_configENS1_35adjacent_difference_config_selectorILb1EyEEZNS1_24adjacent_difference_implIS3_Lb1ELb0EPKyPyN6thrust23THRUST_200600_302600_NS4plusIyEEEE10hipError_tPvRmT2_T3_mT4_P12ihipStream_tbEUlT_E_NS1_11comp_targetILNS1_3genE8ELNS1_11target_archE1030ELNS1_3gpuE2ELNS1_3repE0EEENS1_30default_config_static_selectorELNS0_4arch9wavefront6targetE1EEEvT1_,comdat
.Lfunc_end647:
	.size	_ZN7rocprim17ROCPRIM_400000_NS6detail17trampoline_kernelINS0_14default_configENS1_35adjacent_difference_config_selectorILb1EyEEZNS1_24adjacent_difference_implIS3_Lb1ELb0EPKyPyN6thrust23THRUST_200600_302600_NS4plusIyEEEE10hipError_tPvRmT2_T3_mT4_P12ihipStream_tbEUlT_E_NS1_11comp_targetILNS1_3genE8ELNS1_11target_archE1030ELNS1_3gpuE2ELNS1_3repE0EEENS1_30default_config_static_selectorELNS0_4arch9wavefront6targetE1EEEvT1_, .Lfunc_end647-_ZN7rocprim17ROCPRIM_400000_NS6detail17trampoline_kernelINS0_14default_configENS1_35adjacent_difference_config_selectorILb1EyEEZNS1_24adjacent_difference_implIS3_Lb1ELb0EPKyPyN6thrust23THRUST_200600_302600_NS4plusIyEEEE10hipError_tPvRmT2_T3_mT4_P12ihipStream_tbEUlT_E_NS1_11comp_targetILNS1_3genE8ELNS1_11target_archE1030ELNS1_3gpuE2ELNS1_3repE0EEENS1_30default_config_static_selectorELNS0_4arch9wavefront6targetE1EEEvT1_
                                        ; -- End function
	.set _ZN7rocprim17ROCPRIM_400000_NS6detail17trampoline_kernelINS0_14default_configENS1_35adjacent_difference_config_selectorILb1EyEEZNS1_24adjacent_difference_implIS3_Lb1ELb0EPKyPyN6thrust23THRUST_200600_302600_NS4plusIyEEEE10hipError_tPvRmT2_T3_mT4_P12ihipStream_tbEUlT_E_NS1_11comp_targetILNS1_3genE8ELNS1_11target_archE1030ELNS1_3gpuE2ELNS1_3repE0EEENS1_30default_config_static_selectorELNS0_4arch9wavefront6targetE1EEEvT1_.num_vgpr, 0
	.set _ZN7rocprim17ROCPRIM_400000_NS6detail17trampoline_kernelINS0_14default_configENS1_35adjacent_difference_config_selectorILb1EyEEZNS1_24adjacent_difference_implIS3_Lb1ELb0EPKyPyN6thrust23THRUST_200600_302600_NS4plusIyEEEE10hipError_tPvRmT2_T3_mT4_P12ihipStream_tbEUlT_E_NS1_11comp_targetILNS1_3genE8ELNS1_11target_archE1030ELNS1_3gpuE2ELNS1_3repE0EEENS1_30default_config_static_selectorELNS0_4arch9wavefront6targetE1EEEvT1_.num_agpr, 0
	.set _ZN7rocprim17ROCPRIM_400000_NS6detail17trampoline_kernelINS0_14default_configENS1_35adjacent_difference_config_selectorILb1EyEEZNS1_24adjacent_difference_implIS3_Lb1ELb0EPKyPyN6thrust23THRUST_200600_302600_NS4plusIyEEEE10hipError_tPvRmT2_T3_mT4_P12ihipStream_tbEUlT_E_NS1_11comp_targetILNS1_3genE8ELNS1_11target_archE1030ELNS1_3gpuE2ELNS1_3repE0EEENS1_30default_config_static_selectorELNS0_4arch9wavefront6targetE1EEEvT1_.numbered_sgpr, 0
	.set _ZN7rocprim17ROCPRIM_400000_NS6detail17trampoline_kernelINS0_14default_configENS1_35adjacent_difference_config_selectorILb1EyEEZNS1_24adjacent_difference_implIS3_Lb1ELb0EPKyPyN6thrust23THRUST_200600_302600_NS4plusIyEEEE10hipError_tPvRmT2_T3_mT4_P12ihipStream_tbEUlT_E_NS1_11comp_targetILNS1_3genE8ELNS1_11target_archE1030ELNS1_3gpuE2ELNS1_3repE0EEENS1_30default_config_static_selectorELNS0_4arch9wavefront6targetE1EEEvT1_.num_named_barrier, 0
	.set _ZN7rocprim17ROCPRIM_400000_NS6detail17trampoline_kernelINS0_14default_configENS1_35adjacent_difference_config_selectorILb1EyEEZNS1_24adjacent_difference_implIS3_Lb1ELb0EPKyPyN6thrust23THRUST_200600_302600_NS4plusIyEEEE10hipError_tPvRmT2_T3_mT4_P12ihipStream_tbEUlT_E_NS1_11comp_targetILNS1_3genE8ELNS1_11target_archE1030ELNS1_3gpuE2ELNS1_3repE0EEENS1_30default_config_static_selectorELNS0_4arch9wavefront6targetE1EEEvT1_.private_seg_size, 0
	.set _ZN7rocprim17ROCPRIM_400000_NS6detail17trampoline_kernelINS0_14default_configENS1_35adjacent_difference_config_selectorILb1EyEEZNS1_24adjacent_difference_implIS3_Lb1ELb0EPKyPyN6thrust23THRUST_200600_302600_NS4plusIyEEEE10hipError_tPvRmT2_T3_mT4_P12ihipStream_tbEUlT_E_NS1_11comp_targetILNS1_3genE8ELNS1_11target_archE1030ELNS1_3gpuE2ELNS1_3repE0EEENS1_30default_config_static_selectorELNS0_4arch9wavefront6targetE1EEEvT1_.uses_vcc, 0
	.set _ZN7rocprim17ROCPRIM_400000_NS6detail17trampoline_kernelINS0_14default_configENS1_35adjacent_difference_config_selectorILb1EyEEZNS1_24adjacent_difference_implIS3_Lb1ELb0EPKyPyN6thrust23THRUST_200600_302600_NS4plusIyEEEE10hipError_tPvRmT2_T3_mT4_P12ihipStream_tbEUlT_E_NS1_11comp_targetILNS1_3genE8ELNS1_11target_archE1030ELNS1_3gpuE2ELNS1_3repE0EEENS1_30default_config_static_selectorELNS0_4arch9wavefront6targetE1EEEvT1_.uses_flat_scratch, 0
	.set _ZN7rocprim17ROCPRIM_400000_NS6detail17trampoline_kernelINS0_14default_configENS1_35adjacent_difference_config_selectorILb1EyEEZNS1_24adjacent_difference_implIS3_Lb1ELb0EPKyPyN6thrust23THRUST_200600_302600_NS4plusIyEEEE10hipError_tPvRmT2_T3_mT4_P12ihipStream_tbEUlT_E_NS1_11comp_targetILNS1_3genE8ELNS1_11target_archE1030ELNS1_3gpuE2ELNS1_3repE0EEENS1_30default_config_static_selectorELNS0_4arch9wavefront6targetE1EEEvT1_.has_dyn_sized_stack, 0
	.set _ZN7rocprim17ROCPRIM_400000_NS6detail17trampoline_kernelINS0_14default_configENS1_35adjacent_difference_config_selectorILb1EyEEZNS1_24adjacent_difference_implIS3_Lb1ELb0EPKyPyN6thrust23THRUST_200600_302600_NS4plusIyEEEE10hipError_tPvRmT2_T3_mT4_P12ihipStream_tbEUlT_E_NS1_11comp_targetILNS1_3genE8ELNS1_11target_archE1030ELNS1_3gpuE2ELNS1_3repE0EEENS1_30default_config_static_selectorELNS0_4arch9wavefront6targetE1EEEvT1_.has_recursion, 0
	.set _ZN7rocprim17ROCPRIM_400000_NS6detail17trampoline_kernelINS0_14default_configENS1_35adjacent_difference_config_selectorILb1EyEEZNS1_24adjacent_difference_implIS3_Lb1ELb0EPKyPyN6thrust23THRUST_200600_302600_NS4plusIyEEEE10hipError_tPvRmT2_T3_mT4_P12ihipStream_tbEUlT_E_NS1_11comp_targetILNS1_3genE8ELNS1_11target_archE1030ELNS1_3gpuE2ELNS1_3repE0EEENS1_30default_config_static_selectorELNS0_4arch9wavefront6targetE1EEEvT1_.has_indirect_call, 0
	.section	.AMDGPU.csdata,"",@progbits
; Kernel info:
; codeLenInByte = 0
; TotalNumSgprs: 4
; NumVgprs: 0
; ScratchSize: 0
; MemoryBound: 0
; FloatMode: 240
; IeeeMode: 1
; LDSByteSize: 0 bytes/workgroup (compile time only)
; SGPRBlocks: 0
; VGPRBlocks: 0
; NumSGPRsForWavesPerEU: 4
; NumVGPRsForWavesPerEU: 1
; Occupancy: 10
; WaveLimiterHint : 0
; COMPUTE_PGM_RSRC2:SCRATCH_EN: 0
; COMPUTE_PGM_RSRC2:USER_SGPR: 6
; COMPUTE_PGM_RSRC2:TRAP_HANDLER: 0
; COMPUTE_PGM_RSRC2:TGID_X_EN: 1
; COMPUTE_PGM_RSRC2:TGID_Y_EN: 0
; COMPUTE_PGM_RSRC2:TGID_Z_EN: 0
; COMPUTE_PGM_RSRC2:TIDIG_COMP_CNT: 0
	.section	.text._ZN7rocprim17ROCPRIM_400000_NS6detail17trampoline_kernelINS0_14default_configENS1_35adjacent_difference_config_selectorILb0EjEEZNS1_24adjacent_difference_implIS3_Lb0ELb0EPKjPjN6thrust23THRUST_200600_302600_NS4plusIjEEEE10hipError_tPvRmT2_T3_mT4_P12ihipStream_tbEUlT_E_NS1_11comp_targetILNS1_3genE0ELNS1_11target_archE4294967295ELNS1_3gpuE0ELNS1_3repE0EEENS1_30default_config_static_selectorELNS0_4arch9wavefront6targetE1EEEvT1_,"axG",@progbits,_ZN7rocprim17ROCPRIM_400000_NS6detail17trampoline_kernelINS0_14default_configENS1_35adjacent_difference_config_selectorILb0EjEEZNS1_24adjacent_difference_implIS3_Lb0ELb0EPKjPjN6thrust23THRUST_200600_302600_NS4plusIjEEEE10hipError_tPvRmT2_T3_mT4_P12ihipStream_tbEUlT_E_NS1_11comp_targetILNS1_3genE0ELNS1_11target_archE4294967295ELNS1_3gpuE0ELNS1_3repE0EEENS1_30default_config_static_selectorELNS0_4arch9wavefront6targetE1EEEvT1_,comdat
	.protected	_ZN7rocprim17ROCPRIM_400000_NS6detail17trampoline_kernelINS0_14default_configENS1_35adjacent_difference_config_selectorILb0EjEEZNS1_24adjacent_difference_implIS3_Lb0ELb0EPKjPjN6thrust23THRUST_200600_302600_NS4plusIjEEEE10hipError_tPvRmT2_T3_mT4_P12ihipStream_tbEUlT_E_NS1_11comp_targetILNS1_3genE0ELNS1_11target_archE4294967295ELNS1_3gpuE0ELNS1_3repE0EEENS1_30default_config_static_selectorELNS0_4arch9wavefront6targetE1EEEvT1_ ; -- Begin function _ZN7rocprim17ROCPRIM_400000_NS6detail17trampoline_kernelINS0_14default_configENS1_35adjacent_difference_config_selectorILb0EjEEZNS1_24adjacent_difference_implIS3_Lb0ELb0EPKjPjN6thrust23THRUST_200600_302600_NS4plusIjEEEE10hipError_tPvRmT2_T3_mT4_P12ihipStream_tbEUlT_E_NS1_11comp_targetILNS1_3genE0ELNS1_11target_archE4294967295ELNS1_3gpuE0ELNS1_3repE0EEENS1_30default_config_static_selectorELNS0_4arch9wavefront6targetE1EEEvT1_
	.globl	_ZN7rocprim17ROCPRIM_400000_NS6detail17trampoline_kernelINS0_14default_configENS1_35adjacent_difference_config_selectorILb0EjEEZNS1_24adjacent_difference_implIS3_Lb0ELb0EPKjPjN6thrust23THRUST_200600_302600_NS4plusIjEEEE10hipError_tPvRmT2_T3_mT4_P12ihipStream_tbEUlT_E_NS1_11comp_targetILNS1_3genE0ELNS1_11target_archE4294967295ELNS1_3gpuE0ELNS1_3repE0EEENS1_30default_config_static_selectorELNS0_4arch9wavefront6targetE1EEEvT1_
	.p2align	8
	.type	_ZN7rocprim17ROCPRIM_400000_NS6detail17trampoline_kernelINS0_14default_configENS1_35adjacent_difference_config_selectorILb0EjEEZNS1_24adjacent_difference_implIS3_Lb0ELb0EPKjPjN6thrust23THRUST_200600_302600_NS4plusIjEEEE10hipError_tPvRmT2_T3_mT4_P12ihipStream_tbEUlT_E_NS1_11comp_targetILNS1_3genE0ELNS1_11target_archE4294967295ELNS1_3gpuE0ELNS1_3repE0EEENS1_30default_config_static_selectorELNS0_4arch9wavefront6targetE1EEEvT1_,@function
_ZN7rocprim17ROCPRIM_400000_NS6detail17trampoline_kernelINS0_14default_configENS1_35adjacent_difference_config_selectorILb0EjEEZNS1_24adjacent_difference_implIS3_Lb0ELb0EPKjPjN6thrust23THRUST_200600_302600_NS4plusIjEEEE10hipError_tPvRmT2_T3_mT4_P12ihipStream_tbEUlT_E_NS1_11comp_targetILNS1_3genE0ELNS1_11target_archE4294967295ELNS1_3gpuE0ELNS1_3repE0EEENS1_30default_config_static_selectorELNS0_4arch9wavefront6targetE1EEEvT1_: ; @_ZN7rocprim17ROCPRIM_400000_NS6detail17trampoline_kernelINS0_14default_configENS1_35adjacent_difference_config_selectorILb0EjEEZNS1_24adjacent_difference_implIS3_Lb0ELb0EPKjPjN6thrust23THRUST_200600_302600_NS4plusIjEEEE10hipError_tPvRmT2_T3_mT4_P12ihipStream_tbEUlT_E_NS1_11comp_targetILNS1_3genE0ELNS1_11target_archE4294967295ELNS1_3gpuE0ELNS1_3repE0EEENS1_30default_config_static_selectorELNS0_4arch9wavefront6targetE1EEEvT1_
; %bb.0:
	.section	.rodata,"a",@progbits
	.p2align	6, 0x0
	.amdhsa_kernel _ZN7rocprim17ROCPRIM_400000_NS6detail17trampoline_kernelINS0_14default_configENS1_35adjacent_difference_config_selectorILb0EjEEZNS1_24adjacent_difference_implIS3_Lb0ELb0EPKjPjN6thrust23THRUST_200600_302600_NS4plusIjEEEE10hipError_tPvRmT2_T3_mT4_P12ihipStream_tbEUlT_E_NS1_11comp_targetILNS1_3genE0ELNS1_11target_archE4294967295ELNS1_3gpuE0ELNS1_3repE0EEENS1_30default_config_static_selectorELNS0_4arch9wavefront6targetE1EEEvT1_
		.amdhsa_group_segment_fixed_size 0
		.amdhsa_private_segment_fixed_size 0
		.amdhsa_kernarg_size 56
		.amdhsa_user_sgpr_count 6
		.amdhsa_user_sgpr_private_segment_buffer 1
		.amdhsa_user_sgpr_dispatch_ptr 0
		.amdhsa_user_sgpr_queue_ptr 0
		.amdhsa_user_sgpr_kernarg_segment_ptr 1
		.amdhsa_user_sgpr_dispatch_id 0
		.amdhsa_user_sgpr_flat_scratch_init 0
		.amdhsa_user_sgpr_private_segment_size 0
		.amdhsa_uses_dynamic_stack 0
		.amdhsa_system_sgpr_private_segment_wavefront_offset 0
		.amdhsa_system_sgpr_workgroup_id_x 1
		.amdhsa_system_sgpr_workgroup_id_y 0
		.amdhsa_system_sgpr_workgroup_id_z 0
		.amdhsa_system_sgpr_workgroup_info 0
		.amdhsa_system_vgpr_workitem_id 0
		.amdhsa_next_free_vgpr 1
		.amdhsa_next_free_sgpr 0
		.amdhsa_reserve_vcc 0
		.amdhsa_reserve_flat_scratch 0
		.amdhsa_float_round_mode_32 0
		.amdhsa_float_round_mode_16_64 0
		.amdhsa_float_denorm_mode_32 3
		.amdhsa_float_denorm_mode_16_64 3
		.amdhsa_dx10_clamp 1
		.amdhsa_ieee_mode 1
		.amdhsa_fp16_overflow 0
		.amdhsa_exception_fp_ieee_invalid_op 0
		.amdhsa_exception_fp_denorm_src 0
		.amdhsa_exception_fp_ieee_div_zero 0
		.amdhsa_exception_fp_ieee_overflow 0
		.amdhsa_exception_fp_ieee_underflow 0
		.amdhsa_exception_fp_ieee_inexact 0
		.amdhsa_exception_int_div_zero 0
	.end_amdhsa_kernel
	.section	.text._ZN7rocprim17ROCPRIM_400000_NS6detail17trampoline_kernelINS0_14default_configENS1_35adjacent_difference_config_selectorILb0EjEEZNS1_24adjacent_difference_implIS3_Lb0ELb0EPKjPjN6thrust23THRUST_200600_302600_NS4plusIjEEEE10hipError_tPvRmT2_T3_mT4_P12ihipStream_tbEUlT_E_NS1_11comp_targetILNS1_3genE0ELNS1_11target_archE4294967295ELNS1_3gpuE0ELNS1_3repE0EEENS1_30default_config_static_selectorELNS0_4arch9wavefront6targetE1EEEvT1_,"axG",@progbits,_ZN7rocprim17ROCPRIM_400000_NS6detail17trampoline_kernelINS0_14default_configENS1_35adjacent_difference_config_selectorILb0EjEEZNS1_24adjacent_difference_implIS3_Lb0ELb0EPKjPjN6thrust23THRUST_200600_302600_NS4plusIjEEEE10hipError_tPvRmT2_T3_mT4_P12ihipStream_tbEUlT_E_NS1_11comp_targetILNS1_3genE0ELNS1_11target_archE4294967295ELNS1_3gpuE0ELNS1_3repE0EEENS1_30default_config_static_selectorELNS0_4arch9wavefront6targetE1EEEvT1_,comdat
.Lfunc_end648:
	.size	_ZN7rocprim17ROCPRIM_400000_NS6detail17trampoline_kernelINS0_14default_configENS1_35adjacent_difference_config_selectorILb0EjEEZNS1_24adjacent_difference_implIS3_Lb0ELb0EPKjPjN6thrust23THRUST_200600_302600_NS4plusIjEEEE10hipError_tPvRmT2_T3_mT4_P12ihipStream_tbEUlT_E_NS1_11comp_targetILNS1_3genE0ELNS1_11target_archE4294967295ELNS1_3gpuE0ELNS1_3repE0EEENS1_30default_config_static_selectorELNS0_4arch9wavefront6targetE1EEEvT1_, .Lfunc_end648-_ZN7rocprim17ROCPRIM_400000_NS6detail17trampoline_kernelINS0_14default_configENS1_35adjacent_difference_config_selectorILb0EjEEZNS1_24adjacent_difference_implIS3_Lb0ELb0EPKjPjN6thrust23THRUST_200600_302600_NS4plusIjEEEE10hipError_tPvRmT2_T3_mT4_P12ihipStream_tbEUlT_E_NS1_11comp_targetILNS1_3genE0ELNS1_11target_archE4294967295ELNS1_3gpuE0ELNS1_3repE0EEENS1_30default_config_static_selectorELNS0_4arch9wavefront6targetE1EEEvT1_
                                        ; -- End function
	.set _ZN7rocprim17ROCPRIM_400000_NS6detail17trampoline_kernelINS0_14default_configENS1_35adjacent_difference_config_selectorILb0EjEEZNS1_24adjacent_difference_implIS3_Lb0ELb0EPKjPjN6thrust23THRUST_200600_302600_NS4plusIjEEEE10hipError_tPvRmT2_T3_mT4_P12ihipStream_tbEUlT_E_NS1_11comp_targetILNS1_3genE0ELNS1_11target_archE4294967295ELNS1_3gpuE0ELNS1_3repE0EEENS1_30default_config_static_selectorELNS0_4arch9wavefront6targetE1EEEvT1_.num_vgpr, 0
	.set _ZN7rocprim17ROCPRIM_400000_NS6detail17trampoline_kernelINS0_14default_configENS1_35adjacent_difference_config_selectorILb0EjEEZNS1_24adjacent_difference_implIS3_Lb0ELb0EPKjPjN6thrust23THRUST_200600_302600_NS4plusIjEEEE10hipError_tPvRmT2_T3_mT4_P12ihipStream_tbEUlT_E_NS1_11comp_targetILNS1_3genE0ELNS1_11target_archE4294967295ELNS1_3gpuE0ELNS1_3repE0EEENS1_30default_config_static_selectorELNS0_4arch9wavefront6targetE1EEEvT1_.num_agpr, 0
	.set _ZN7rocprim17ROCPRIM_400000_NS6detail17trampoline_kernelINS0_14default_configENS1_35adjacent_difference_config_selectorILb0EjEEZNS1_24adjacent_difference_implIS3_Lb0ELb0EPKjPjN6thrust23THRUST_200600_302600_NS4plusIjEEEE10hipError_tPvRmT2_T3_mT4_P12ihipStream_tbEUlT_E_NS1_11comp_targetILNS1_3genE0ELNS1_11target_archE4294967295ELNS1_3gpuE0ELNS1_3repE0EEENS1_30default_config_static_selectorELNS0_4arch9wavefront6targetE1EEEvT1_.numbered_sgpr, 0
	.set _ZN7rocprim17ROCPRIM_400000_NS6detail17trampoline_kernelINS0_14default_configENS1_35adjacent_difference_config_selectorILb0EjEEZNS1_24adjacent_difference_implIS3_Lb0ELb0EPKjPjN6thrust23THRUST_200600_302600_NS4plusIjEEEE10hipError_tPvRmT2_T3_mT4_P12ihipStream_tbEUlT_E_NS1_11comp_targetILNS1_3genE0ELNS1_11target_archE4294967295ELNS1_3gpuE0ELNS1_3repE0EEENS1_30default_config_static_selectorELNS0_4arch9wavefront6targetE1EEEvT1_.num_named_barrier, 0
	.set _ZN7rocprim17ROCPRIM_400000_NS6detail17trampoline_kernelINS0_14default_configENS1_35adjacent_difference_config_selectorILb0EjEEZNS1_24adjacent_difference_implIS3_Lb0ELb0EPKjPjN6thrust23THRUST_200600_302600_NS4plusIjEEEE10hipError_tPvRmT2_T3_mT4_P12ihipStream_tbEUlT_E_NS1_11comp_targetILNS1_3genE0ELNS1_11target_archE4294967295ELNS1_3gpuE0ELNS1_3repE0EEENS1_30default_config_static_selectorELNS0_4arch9wavefront6targetE1EEEvT1_.private_seg_size, 0
	.set _ZN7rocprim17ROCPRIM_400000_NS6detail17trampoline_kernelINS0_14default_configENS1_35adjacent_difference_config_selectorILb0EjEEZNS1_24adjacent_difference_implIS3_Lb0ELb0EPKjPjN6thrust23THRUST_200600_302600_NS4plusIjEEEE10hipError_tPvRmT2_T3_mT4_P12ihipStream_tbEUlT_E_NS1_11comp_targetILNS1_3genE0ELNS1_11target_archE4294967295ELNS1_3gpuE0ELNS1_3repE0EEENS1_30default_config_static_selectorELNS0_4arch9wavefront6targetE1EEEvT1_.uses_vcc, 0
	.set _ZN7rocprim17ROCPRIM_400000_NS6detail17trampoline_kernelINS0_14default_configENS1_35adjacent_difference_config_selectorILb0EjEEZNS1_24adjacent_difference_implIS3_Lb0ELb0EPKjPjN6thrust23THRUST_200600_302600_NS4plusIjEEEE10hipError_tPvRmT2_T3_mT4_P12ihipStream_tbEUlT_E_NS1_11comp_targetILNS1_3genE0ELNS1_11target_archE4294967295ELNS1_3gpuE0ELNS1_3repE0EEENS1_30default_config_static_selectorELNS0_4arch9wavefront6targetE1EEEvT1_.uses_flat_scratch, 0
	.set _ZN7rocprim17ROCPRIM_400000_NS6detail17trampoline_kernelINS0_14default_configENS1_35adjacent_difference_config_selectorILb0EjEEZNS1_24adjacent_difference_implIS3_Lb0ELb0EPKjPjN6thrust23THRUST_200600_302600_NS4plusIjEEEE10hipError_tPvRmT2_T3_mT4_P12ihipStream_tbEUlT_E_NS1_11comp_targetILNS1_3genE0ELNS1_11target_archE4294967295ELNS1_3gpuE0ELNS1_3repE0EEENS1_30default_config_static_selectorELNS0_4arch9wavefront6targetE1EEEvT1_.has_dyn_sized_stack, 0
	.set _ZN7rocprim17ROCPRIM_400000_NS6detail17trampoline_kernelINS0_14default_configENS1_35adjacent_difference_config_selectorILb0EjEEZNS1_24adjacent_difference_implIS3_Lb0ELb0EPKjPjN6thrust23THRUST_200600_302600_NS4plusIjEEEE10hipError_tPvRmT2_T3_mT4_P12ihipStream_tbEUlT_E_NS1_11comp_targetILNS1_3genE0ELNS1_11target_archE4294967295ELNS1_3gpuE0ELNS1_3repE0EEENS1_30default_config_static_selectorELNS0_4arch9wavefront6targetE1EEEvT1_.has_recursion, 0
	.set _ZN7rocprim17ROCPRIM_400000_NS6detail17trampoline_kernelINS0_14default_configENS1_35adjacent_difference_config_selectorILb0EjEEZNS1_24adjacent_difference_implIS3_Lb0ELb0EPKjPjN6thrust23THRUST_200600_302600_NS4plusIjEEEE10hipError_tPvRmT2_T3_mT4_P12ihipStream_tbEUlT_E_NS1_11comp_targetILNS1_3genE0ELNS1_11target_archE4294967295ELNS1_3gpuE0ELNS1_3repE0EEENS1_30default_config_static_selectorELNS0_4arch9wavefront6targetE1EEEvT1_.has_indirect_call, 0
	.section	.AMDGPU.csdata,"",@progbits
; Kernel info:
; codeLenInByte = 0
; TotalNumSgprs: 4
; NumVgprs: 0
; ScratchSize: 0
; MemoryBound: 0
; FloatMode: 240
; IeeeMode: 1
; LDSByteSize: 0 bytes/workgroup (compile time only)
; SGPRBlocks: 0
; VGPRBlocks: 0
; NumSGPRsForWavesPerEU: 4
; NumVGPRsForWavesPerEU: 1
; Occupancy: 10
; WaveLimiterHint : 0
; COMPUTE_PGM_RSRC2:SCRATCH_EN: 0
; COMPUTE_PGM_RSRC2:USER_SGPR: 6
; COMPUTE_PGM_RSRC2:TRAP_HANDLER: 0
; COMPUTE_PGM_RSRC2:TGID_X_EN: 1
; COMPUTE_PGM_RSRC2:TGID_Y_EN: 0
; COMPUTE_PGM_RSRC2:TGID_Z_EN: 0
; COMPUTE_PGM_RSRC2:TIDIG_COMP_CNT: 0
	.section	.text._ZN7rocprim17ROCPRIM_400000_NS6detail17trampoline_kernelINS0_14default_configENS1_35adjacent_difference_config_selectorILb0EjEEZNS1_24adjacent_difference_implIS3_Lb0ELb0EPKjPjN6thrust23THRUST_200600_302600_NS4plusIjEEEE10hipError_tPvRmT2_T3_mT4_P12ihipStream_tbEUlT_E_NS1_11comp_targetILNS1_3genE10ELNS1_11target_archE1201ELNS1_3gpuE5ELNS1_3repE0EEENS1_30default_config_static_selectorELNS0_4arch9wavefront6targetE1EEEvT1_,"axG",@progbits,_ZN7rocprim17ROCPRIM_400000_NS6detail17trampoline_kernelINS0_14default_configENS1_35adjacent_difference_config_selectorILb0EjEEZNS1_24adjacent_difference_implIS3_Lb0ELb0EPKjPjN6thrust23THRUST_200600_302600_NS4plusIjEEEE10hipError_tPvRmT2_T3_mT4_P12ihipStream_tbEUlT_E_NS1_11comp_targetILNS1_3genE10ELNS1_11target_archE1201ELNS1_3gpuE5ELNS1_3repE0EEENS1_30default_config_static_selectorELNS0_4arch9wavefront6targetE1EEEvT1_,comdat
	.protected	_ZN7rocprim17ROCPRIM_400000_NS6detail17trampoline_kernelINS0_14default_configENS1_35adjacent_difference_config_selectorILb0EjEEZNS1_24adjacent_difference_implIS3_Lb0ELb0EPKjPjN6thrust23THRUST_200600_302600_NS4plusIjEEEE10hipError_tPvRmT2_T3_mT4_P12ihipStream_tbEUlT_E_NS1_11comp_targetILNS1_3genE10ELNS1_11target_archE1201ELNS1_3gpuE5ELNS1_3repE0EEENS1_30default_config_static_selectorELNS0_4arch9wavefront6targetE1EEEvT1_ ; -- Begin function _ZN7rocprim17ROCPRIM_400000_NS6detail17trampoline_kernelINS0_14default_configENS1_35adjacent_difference_config_selectorILb0EjEEZNS1_24adjacent_difference_implIS3_Lb0ELb0EPKjPjN6thrust23THRUST_200600_302600_NS4plusIjEEEE10hipError_tPvRmT2_T3_mT4_P12ihipStream_tbEUlT_E_NS1_11comp_targetILNS1_3genE10ELNS1_11target_archE1201ELNS1_3gpuE5ELNS1_3repE0EEENS1_30default_config_static_selectorELNS0_4arch9wavefront6targetE1EEEvT1_
	.globl	_ZN7rocprim17ROCPRIM_400000_NS6detail17trampoline_kernelINS0_14default_configENS1_35adjacent_difference_config_selectorILb0EjEEZNS1_24adjacent_difference_implIS3_Lb0ELb0EPKjPjN6thrust23THRUST_200600_302600_NS4plusIjEEEE10hipError_tPvRmT2_T3_mT4_P12ihipStream_tbEUlT_E_NS1_11comp_targetILNS1_3genE10ELNS1_11target_archE1201ELNS1_3gpuE5ELNS1_3repE0EEENS1_30default_config_static_selectorELNS0_4arch9wavefront6targetE1EEEvT1_
	.p2align	8
	.type	_ZN7rocprim17ROCPRIM_400000_NS6detail17trampoline_kernelINS0_14default_configENS1_35adjacent_difference_config_selectorILb0EjEEZNS1_24adjacent_difference_implIS3_Lb0ELb0EPKjPjN6thrust23THRUST_200600_302600_NS4plusIjEEEE10hipError_tPvRmT2_T3_mT4_P12ihipStream_tbEUlT_E_NS1_11comp_targetILNS1_3genE10ELNS1_11target_archE1201ELNS1_3gpuE5ELNS1_3repE0EEENS1_30default_config_static_selectorELNS0_4arch9wavefront6targetE1EEEvT1_,@function
_ZN7rocprim17ROCPRIM_400000_NS6detail17trampoline_kernelINS0_14default_configENS1_35adjacent_difference_config_selectorILb0EjEEZNS1_24adjacent_difference_implIS3_Lb0ELb0EPKjPjN6thrust23THRUST_200600_302600_NS4plusIjEEEE10hipError_tPvRmT2_T3_mT4_P12ihipStream_tbEUlT_E_NS1_11comp_targetILNS1_3genE10ELNS1_11target_archE1201ELNS1_3gpuE5ELNS1_3repE0EEENS1_30default_config_static_selectorELNS0_4arch9wavefront6targetE1EEEvT1_: ; @_ZN7rocprim17ROCPRIM_400000_NS6detail17trampoline_kernelINS0_14default_configENS1_35adjacent_difference_config_selectorILb0EjEEZNS1_24adjacent_difference_implIS3_Lb0ELb0EPKjPjN6thrust23THRUST_200600_302600_NS4plusIjEEEE10hipError_tPvRmT2_T3_mT4_P12ihipStream_tbEUlT_E_NS1_11comp_targetILNS1_3genE10ELNS1_11target_archE1201ELNS1_3gpuE5ELNS1_3repE0EEENS1_30default_config_static_selectorELNS0_4arch9wavefront6targetE1EEEvT1_
; %bb.0:
	.section	.rodata,"a",@progbits
	.p2align	6, 0x0
	.amdhsa_kernel _ZN7rocprim17ROCPRIM_400000_NS6detail17trampoline_kernelINS0_14default_configENS1_35adjacent_difference_config_selectorILb0EjEEZNS1_24adjacent_difference_implIS3_Lb0ELb0EPKjPjN6thrust23THRUST_200600_302600_NS4plusIjEEEE10hipError_tPvRmT2_T3_mT4_P12ihipStream_tbEUlT_E_NS1_11comp_targetILNS1_3genE10ELNS1_11target_archE1201ELNS1_3gpuE5ELNS1_3repE0EEENS1_30default_config_static_selectorELNS0_4arch9wavefront6targetE1EEEvT1_
		.amdhsa_group_segment_fixed_size 0
		.amdhsa_private_segment_fixed_size 0
		.amdhsa_kernarg_size 56
		.amdhsa_user_sgpr_count 6
		.amdhsa_user_sgpr_private_segment_buffer 1
		.amdhsa_user_sgpr_dispatch_ptr 0
		.amdhsa_user_sgpr_queue_ptr 0
		.amdhsa_user_sgpr_kernarg_segment_ptr 1
		.amdhsa_user_sgpr_dispatch_id 0
		.amdhsa_user_sgpr_flat_scratch_init 0
		.amdhsa_user_sgpr_private_segment_size 0
		.amdhsa_uses_dynamic_stack 0
		.amdhsa_system_sgpr_private_segment_wavefront_offset 0
		.amdhsa_system_sgpr_workgroup_id_x 1
		.amdhsa_system_sgpr_workgroup_id_y 0
		.amdhsa_system_sgpr_workgroup_id_z 0
		.amdhsa_system_sgpr_workgroup_info 0
		.amdhsa_system_vgpr_workitem_id 0
		.amdhsa_next_free_vgpr 1
		.amdhsa_next_free_sgpr 0
		.amdhsa_reserve_vcc 0
		.amdhsa_reserve_flat_scratch 0
		.amdhsa_float_round_mode_32 0
		.amdhsa_float_round_mode_16_64 0
		.amdhsa_float_denorm_mode_32 3
		.amdhsa_float_denorm_mode_16_64 3
		.amdhsa_dx10_clamp 1
		.amdhsa_ieee_mode 1
		.amdhsa_fp16_overflow 0
		.amdhsa_exception_fp_ieee_invalid_op 0
		.amdhsa_exception_fp_denorm_src 0
		.amdhsa_exception_fp_ieee_div_zero 0
		.amdhsa_exception_fp_ieee_overflow 0
		.amdhsa_exception_fp_ieee_underflow 0
		.amdhsa_exception_fp_ieee_inexact 0
		.amdhsa_exception_int_div_zero 0
	.end_amdhsa_kernel
	.section	.text._ZN7rocprim17ROCPRIM_400000_NS6detail17trampoline_kernelINS0_14default_configENS1_35adjacent_difference_config_selectorILb0EjEEZNS1_24adjacent_difference_implIS3_Lb0ELb0EPKjPjN6thrust23THRUST_200600_302600_NS4plusIjEEEE10hipError_tPvRmT2_T3_mT4_P12ihipStream_tbEUlT_E_NS1_11comp_targetILNS1_3genE10ELNS1_11target_archE1201ELNS1_3gpuE5ELNS1_3repE0EEENS1_30default_config_static_selectorELNS0_4arch9wavefront6targetE1EEEvT1_,"axG",@progbits,_ZN7rocprim17ROCPRIM_400000_NS6detail17trampoline_kernelINS0_14default_configENS1_35adjacent_difference_config_selectorILb0EjEEZNS1_24adjacent_difference_implIS3_Lb0ELb0EPKjPjN6thrust23THRUST_200600_302600_NS4plusIjEEEE10hipError_tPvRmT2_T3_mT4_P12ihipStream_tbEUlT_E_NS1_11comp_targetILNS1_3genE10ELNS1_11target_archE1201ELNS1_3gpuE5ELNS1_3repE0EEENS1_30default_config_static_selectorELNS0_4arch9wavefront6targetE1EEEvT1_,comdat
.Lfunc_end649:
	.size	_ZN7rocprim17ROCPRIM_400000_NS6detail17trampoline_kernelINS0_14default_configENS1_35adjacent_difference_config_selectorILb0EjEEZNS1_24adjacent_difference_implIS3_Lb0ELb0EPKjPjN6thrust23THRUST_200600_302600_NS4plusIjEEEE10hipError_tPvRmT2_T3_mT4_P12ihipStream_tbEUlT_E_NS1_11comp_targetILNS1_3genE10ELNS1_11target_archE1201ELNS1_3gpuE5ELNS1_3repE0EEENS1_30default_config_static_selectorELNS0_4arch9wavefront6targetE1EEEvT1_, .Lfunc_end649-_ZN7rocprim17ROCPRIM_400000_NS6detail17trampoline_kernelINS0_14default_configENS1_35adjacent_difference_config_selectorILb0EjEEZNS1_24adjacent_difference_implIS3_Lb0ELb0EPKjPjN6thrust23THRUST_200600_302600_NS4plusIjEEEE10hipError_tPvRmT2_T3_mT4_P12ihipStream_tbEUlT_E_NS1_11comp_targetILNS1_3genE10ELNS1_11target_archE1201ELNS1_3gpuE5ELNS1_3repE0EEENS1_30default_config_static_selectorELNS0_4arch9wavefront6targetE1EEEvT1_
                                        ; -- End function
	.set _ZN7rocprim17ROCPRIM_400000_NS6detail17trampoline_kernelINS0_14default_configENS1_35adjacent_difference_config_selectorILb0EjEEZNS1_24adjacent_difference_implIS3_Lb0ELb0EPKjPjN6thrust23THRUST_200600_302600_NS4plusIjEEEE10hipError_tPvRmT2_T3_mT4_P12ihipStream_tbEUlT_E_NS1_11comp_targetILNS1_3genE10ELNS1_11target_archE1201ELNS1_3gpuE5ELNS1_3repE0EEENS1_30default_config_static_selectorELNS0_4arch9wavefront6targetE1EEEvT1_.num_vgpr, 0
	.set _ZN7rocprim17ROCPRIM_400000_NS6detail17trampoline_kernelINS0_14default_configENS1_35adjacent_difference_config_selectorILb0EjEEZNS1_24adjacent_difference_implIS3_Lb0ELb0EPKjPjN6thrust23THRUST_200600_302600_NS4plusIjEEEE10hipError_tPvRmT2_T3_mT4_P12ihipStream_tbEUlT_E_NS1_11comp_targetILNS1_3genE10ELNS1_11target_archE1201ELNS1_3gpuE5ELNS1_3repE0EEENS1_30default_config_static_selectorELNS0_4arch9wavefront6targetE1EEEvT1_.num_agpr, 0
	.set _ZN7rocprim17ROCPRIM_400000_NS6detail17trampoline_kernelINS0_14default_configENS1_35adjacent_difference_config_selectorILb0EjEEZNS1_24adjacent_difference_implIS3_Lb0ELb0EPKjPjN6thrust23THRUST_200600_302600_NS4plusIjEEEE10hipError_tPvRmT2_T3_mT4_P12ihipStream_tbEUlT_E_NS1_11comp_targetILNS1_3genE10ELNS1_11target_archE1201ELNS1_3gpuE5ELNS1_3repE0EEENS1_30default_config_static_selectorELNS0_4arch9wavefront6targetE1EEEvT1_.numbered_sgpr, 0
	.set _ZN7rocprim17ROCPRIM_400000_NS6detail17trampoline_kernelINS0_14default_configENS1_35adjacent_difference_config_selectorILb0EjEEZNS1_24adjacent_difference_implIS3_Lb0ELb0EPKjPjN6thrust23THRUST_200600_302600_NS4plusIjEEEE10hipError_tPvRmT2_T3_mT4_P12ihipStream_tbEUlT_E_NS1_11comp_targetILNS1_3genE10ELNS1_11target_archE1201ELNS1_3gpuE5ELNS1_3repE0EEENS1_30default_config_static_selectorELNS0_4arch9wavefront6targetE1EEEvT1_.num_named_barrier, 0
	.set _ZN7rocprim17ROCPRIM_400000_NS6detail17trampoline_kernelINS0_14default_configENS1_35adjacent_difference_config_selectorILb0EjEEZNS1_24adjacent_difference_implIS3_Lb0ELb0EPKjPjN6thrust23THRUST_200600_302600_NS4plusIjEEEE10hipError_tPvRmT2_T3_mT4_P12ihipStream_tbEUlT_E_NS1_11comp_targetILNS1_3genE10ELNS1_11target_archE1201ELNS1_3gpuE5ELNS1_3repE0EEENS1_30default_config_static_selectorELNS0_4arch9wavefront6targetE1EEEvT1_.private_seg_size, 0
	.set _ZN7rocprim17ROCPRIM_400000_NS6detail17trampoline_kernelINS0_14default_configENS1_35adjacent_difference_config_selectorILb0EjEEZNS1_24adjacent_difference_implIS3_Lb0ELb0EPKjPjN6thrust23THRUST_200600_302600_NS4plusIjEEEE10hipError_tPvRmT2_T3_mT4_P12ihipStream_tbEUlT_E_NS1_11comp_targetILNS1_3genE10ELNS1_11target_archE1201ELNS1_3gpuE5ELNS1_3repE0EEENS1_30default_config_static_selectorELNS0_4arch9wavefront6targetE1EEEvT1_.uses_vcc, 0
	.set _ZN7rocprim17ROCPRIM_400000_NS6detail17trampoline_kernelINS0_14default_configENS1_35adjacent_difference_config_selectorILb0EjEEZNS1_24adjacent_difference_implIS3_Lb0ELb0EPKjPjN6thrust23THRUST_200600_302600_NS4plusIjEEEE10hipError_tPvRmT2_T3_mT4_P12ihipStream_tbEUlT_E_NS1_11comp_targetILNS1_3genE10ELNS1_11target_archE1201ELNS1_3gpuE5ELNS1_3repE0EEENS1_30default_config_static_selectorELNS0_4arch9wavefront6targetE1EEEvT1_.uses_flat_scratch, 0
	.set _ZN7rocprim17ROCPRIM_400000_NS6detail17trampoline_kernelINS0_14default_configENS1_35adjacent_difference_config_selectorILb0EjEEZNS1_24adjacent_difference_implIS3_Lb0ELb0EPKjPjN6thrust23THRUST_200600_302600_NS4plusIjEEEE10hipError_tPvRmT2_T3_mT4_P12ihipStream_tbEUlT_E_NS1_11comp_targetILNS1_3genE10ELNS1_11target_archE1201ELNS1_3gpuE5ELNS1_3repE0EEENS1_30default_config_static_selectorELNS0_4arch9wavefront6targetE1EEEvT1_.has_dyn_sized_stack, 0
	.set _ZN7rocprim17ROCPRIM_400000_NS6detail17trampoline_kernelINS0_14default_configENS1_35adjacent_difference_config_selectorILb0EjEEZNS1_24adjacent_difference_implIS3_Lb0ELb0EPKjPjN6thrust23THRUST_200600_302600_NS4plusIjEEEE10hipError_tPvRmT2_T3_mT4_P12ihipStream_tbEUlT_E_NS1_11comp_targetILNS1_3genE10ELNS1_11target_archE1201ELNS1_3gpuE5ELNS1_3repE0EEENS1_30default_config_static_selectorELNS0_4arch9wavefront6targetE1EEEvT1_.has_recursion, 0
	.set _ZN7rocprim17ROCPRIM_400000_NS6detail17trampoline_kernelINS0_14default_configENS1_35adjacent_difference_config_selectorILb0EjEEZNS1_24adjacent_difference_implIS3_Lb0ELb0EPKjPjN6thrust23THRUST_200600_302600_NS4plusIjEEEE10hipError_tPvRmT2_T3_mT4_P12ihipStream_tbEUlT_E_NS1_11comp_targetILNS1_3genE10ELNS1_11target_archE1201ELNS1_3gpuE5ELNS1_3repE0EEENS1_30default_config_static_selectorELNS0_4arch9wavefront6targetE1EEEvT1_.has_indirect_call, 0
	.section	.AMDGPU.csdata,"",@progbits
; Kernel info:
; codeLenInByte = 0
; TotalNumSgprs: 4
; NumVgprs: 0
; ScratchSize: 0
; MemoryBound: 0
; FloatMode: 240
; IeeeMode: 1
; LDSByteSize: 0 bytes/workgroup (compile time only)
; SGPRBlocks: 0
; VGPRBlocks: 0
; NumSGPRsForWavesPerEU: 4
; NumVGPRsForWavesPerEU: 1
; Occupancy: 10
; WaveLimiterHint : 0
; COMPUTE_PGM_RSRC2:SCRATCH_EN: 0
; COMPUTE_PGM_RSRC2:USER_SGPR: 6
; COMPUTE_PGM_RSRC2:TRAP_HANDLER: 0
; COMPUTE_PGM_RSRC2:TGID_X_EN: 1
; COMPUTE_PGM_RSRC2:TGID_Y_EN: 0
; COMPUTE_PGM_RSRC2:TGID_Z_EN: 0
; COMPUTE_PGM_RSRC2:TIDIG_COMP_CNT: 0
	.section	.text._ZN7rocprim17ROCPRIM_400000_NS6detail17trampoline_kernelINS0_14default_configENS1_35adjacent_difference_config_selectorILb0EjEEZNS1_24adjacent_difference_implIS3_Lb0ELb0EPKjPjN6thrust23THRUST_200600_302600_NS4plusIjEEEE10hipError_tPvRmT2_T3_mT4_P12ihipStream_tbEUlT_E_NS1_11comp_targetILNS1_3genE5ELNS1_11target_archE942ELNS1_3gpuE9ELNS1_3repE0EEENS1_30default_config_static_selectorELNS0_4arch9wavefront6targetE1EEEvT1_,"axG",@progbits,_ZN7rocprim17ROCPRIM_400000_NS6detail17trampoline_kernelINS0_14default_configENS1_35adjacent_difference_config_selectorILb0EjEEZNS1_24adjacent_difference_implIS3_Lb0ELb0EPKjPjN6thrust23THRUST_200600_302600_NS4plusIjEEEE10hipError_tPvRmT2_T3_mT4_P12ihipStream_tbEUlT_E_NS1_11comp_targetILNS1_3genE5ELNS1_11target_archE942ELNS1_3gpuE9ELNS1_3repE0EEENS1_30default_config_static_selectorELNS0_4arch9wavefront6targetE1EEEvT1_,comdat
	.protected	_ZN7rocprim17ROCPRIM_400000_NS6detail17trampoline_kernelINS0_14default_configENS1_35adjacent_difference_config_selectorILb0EjEEZNS1_24adjacent_difference_implIS3_Lb0ELb0EPKjPjN6thrust23THRUST_200600_302600_NS4plusIjEEEE10hipError_tPvRmT2_T3_mT4_P12ihipStream_tbEUlT_E_NS1_11comp_targetILNS1_3genE5ELNS1_11target_archE942ELNS1_3gpuE9ELNS1_3repE0EEENS1_30default_config_static_selectorELNS0_4arch9wavefront6targetE1EEEvT1_ ; -- Begin function _ZN7rocprim17ROCPRIM_400000_NS6detail17trampoline_kernelINS0_14default_configENS1_35adjacent_difference_config_selectorILb0EjEEZNS1_24adjacent_difference_implIS3_Lb0ELb0EPKjPjN6thrust23THRUST_200600_302600_NS4plusIjEEEE10hipError_tPvRmT2_T3_mT4_P12ihipStream_tbEUlT_E_NS1_11comp_targetILNS1_3genE5ELNS1_11target_archE942ELNS1_3gpuE9ELNS1_3repE0EEENS1_30default_config_static_selectorELNS0_4arch9wavefront6targetE1EEEvT1_
	.globl	_ZN7rocprim17ROCPRIM_400000_NS6detail17trampoline_kernelINS0_14default_configENS1_35adjacent_difference_config_selectorILb0EjEEZNS1_24adjacent_difference_implIS3_Lb0ELb0EPKjPjN6thrust23THRUST_200600_302600_NS4plusIjEEEE10hipError_tPvRmT2_T3_mT4_P12ihipStream_tbEUlT_E_NS1_11comp_targetILNS1_3genE5ELNS1_11target_archE942ELNS1_3gpuE9ELNS1_3repE0EEENS1_30default_config_static_selectorELNS0_4arch9wavefront6targetE1EEEvT1_
	.p2align	8
	.type	_ZN7rocprim17ROCPRIM_400000_NS6detail17trampoline_kernelINS0_14default_configENS1_35adjacent_difference_config_selectorILb0EjEEZNS1_24adjacent_difference_implIS3_Lb0ELb0EPKjPjN6thrust23THRUST_200600_302600_NS4plusIjEEEE10hipError_tPvRmT2_T3_mT4_P12ihipStream_tbEUlT_E_NS1_11comp_targetILNS1_3genE5ELNS1_11target_archE942ELNS1_3gpuE9ELNS1_3repE0EEENS1_30default_config_static_selectorELNS0_4arch9wavefront6targetE1EEEvT1_,@function
_ZN7rocprim17ROCPRIM_400000_NS6detail17trampoline_kernelINS0_14default_configENS1_35adjacent_difference_config_selectorILb0EjEEZNS1_24adjacent_difference_implIS3_Lb0ELb0EPKjPjN6thrust23THRUST_200600_302600_NS4plusIjEEEE10hipError_tPvRmT2_T3_mT4_P12ihipStream_tbEUlT_E_NS1_11comp_targetILNS1_3genE5ELNS1_11target_archE942ELNS1_3gpuE9ELNS1_3repE0EEENS1_30default_config_static_selectorELNS0_4arch9wavefront6targetE1EEEvT1_: ; @_ZN7rocprim17ROCPRIM_400000_NS6detail17trampoline_kernelINS0_14default_configENS1_35adjacent_difference_config_selectorILb0EjEEZNS1_24adjacent_difference_implIS3_Lb0ELb0EPKjPjN6thrust23THRUST_200600_302600_NS4plusIjEEEE10hipError_tPvRmT2_T3_mT4_P12ihipStream_tbEUlT_E_NS1_11comp_targetILNS1_3genE5ELNS1_11target_archE942ELNS1_3gpuE9ELNS1_3repE0EEENS1_30default_config_static_selectorELNS0_4arch9wavefront6targetE1EEEvT1_
; %bb.0:
	.section	.rodata,"a",@progbits
	.p2align	6, 0x0
	.amdhsa_kernel _ZN7rocprim17ROCPRIM_400000_NS6detail17trampoline_kernelINS0_14default_configENS1_35adjacent_difference_config_selectorILb0EjEEZNS1_24adjacent_difference_implIS3_Lb0ELb0EPKjPjN6thrust23THRUST_200600_302600_NS4plusIjEEEE10hipError_tPvRmT2_T3_mT4_P12ihipStream_tbEUlT_E_NS1_11comp_targetILNS1_3genE5ELNS1_11target_archE942ELNS1_3gpuE9ELNS1_3repE0EEENS1_30default_config_static_selectorELNS0_4arch9wavefront6targetE1EEEvT1_
		.amdhsa_group_segment_fixed_size 0
		.amdhsa_private_segment_fixed_size 0
		.amdhsa_kernarg_size 56
		.amdhsa_user_sgpr_count 6
		.amdhsa_user_sgpr_private_segment_buffer 1
		.amdhsa_user_sgpr_dispatch_ptr 0
		.amdhsa_user_sgpr_queue_ptr 0
		.amdhsa_user_sgpr_kernarg_segment_ptr 1
		.amdhsa_user_sgpr_dispatch_id 0
		.amdhsa_user_sgpr_flat_scratch_init 0
		.amdhsa_user_sgpr_private_segment_size 0
		.amdhsa_uses_dynamic_stack 0
		.amdhsa_system_sgpr_private_segment_wavefront_offset 0
		.amdhsa_system_sgpr_workgroup_id_x 1
		.amdhsa_system_sgpr_workgroup_id_y 0
		.amdhsa_system_sgpr_workgroup_id_z 0
		.amdhsa_system_sgpr_workgroup_info 0
		.amdhsa_system_vgpr_workitem_id 0
		.amdhsa_next_free_vgpr 1
		.amdhsa_next_free_sgpr 0
		.amdhsa_reserve_vcc 0
		.amdhsa_reserve_flat_scratch 0
		.amdhsa_float_round_mode_32 0
		.amdhsa_float_round_mode_16_64 0
		.amdhsa_float_denorm_mode_32 3
		.amdhsa_float_denorm_mode_16_64 3
		.amdhsa_dx10_clamp 1
		.amdhsa_ieee_mode 1
		.amdhsa_fp16_overflow 0
		.amdhsa_exception_fp_ieee_invalid_op 0
		.amdhsa_exception_fp_denorm_src 0
		.amdhsa_exception_fp_ieee_div_zero 0
		.amdhsa_exception_fp_ieee_overflow 0
		.amdhsa_exception_fp_ieee_underflow 0
		.amdhsa_exception_fp_ieee_inexact 0
		.amdhsa_exception_int_div_zero 0
	.end_amdhsa_kernel
	.section	.text._ZN7rocprim17ROCPRIM_400000_NS6detail17trampoline_kernelINS0_14default_configENS1_35adjacent_difference_config_selectorILb0EjEEZNS1_24adjacent_difference_implIS3_Lb0ELb0EPKjPjN6thrust23THRUST_200600_302600_NS4plusIjEEEE10hipError_tPvRmT2_T3_mT4_P12ihipStream_tbEUlT_E_NS1_11comp_targetILNS1_3genE5ELNS1_11target_archE942ELNS1_3gpuE9ELNS1_3repE0EEENS1_30default_config_static_selectorELNS0_4arch9wavefront6targetE1EEEvT1_,"axG",@progbits,_ZN7rocprim17ROCPRIM_400000_NS6detail17trampoline_kernelINS0_14default_configENS1_35adjacent_difference_config_selectorILb0EjEEZNS1_24adjacent_difference_implIS3_Lb0ELb0EPKjPjN6thrust23THRUST_200600_302600_NS4plusIjEEEE10hipError_tPvRmT2_T3_mT4_P12ihipStream_tbEUlT_E_NS1_11comp_targetILNS1_3genE5ELNS1_11target_archE942ELNS1_3gpuE9ELNS1_3repE0EEENS1_30default_config_static_selectorELNS0_4arch9wavefront6targetE1EEEvT1_,comdat
.Lfunc_end650:
	.size	_ZN7rocprim17ROCPRIM_400000_NS6detail17trampoline_kernelINS0_14default_configENS1_35adjacent_difference_config_selectorILb0EjEEZNS1_24adjacent_difference_implIS3_Lb0ELb0EPKjPjN6thrust23THRUST_200600_302600_NS4plusIjEEEE10hipError_tPvRmT2_T3_mT4_P12ihipStream_tbEUlT_E_NS1_11comp_targetILNS1_3genE5ELNS1_11target_archE942ELNS1_3gpuE9ELNS1_3repE0EEENS1_30default_config_static_selectorELNS0_4arch9wavefront6targetE1EEEvT1_, .Lfunc_end650-_ZN7rocprim17ROCPRIM_400000_NS6detail17trampoline_kernelINS0_14default_configENS1_35adjacent_difference_config_selectorILb0EjEEZNS1_24adjacent_difference_implIS3_Lb0ELb0EPKjPjN6thrust23THRUST_200600_302600_NS4plusIjEEEE10hipError_tPvRmT2_T3_mT4_P12ihipStream_tbEUlT_E_NS1_11comp_targetILNS1_3genE5ELNS1_11target_archE942ELNS1_3gpuE9ELNS1_3repE0EEENS1_30default_config_static_selectorELNS0_4arch9wavefront6targetE1EEEvT1_
                                        ; -- End function
	.set _ZN7rocprim17ROCPRIM_400000_NS6detail17trampoline_kernelINS0_14default_configENS1_35adjacent_difference_config_selectorILb0EjEEZNS1_24adjacent_difference_implIS3_Lb0ELb0EPKjPjN6thrust23THRUST_200600_302600_NS4plusIjEEEE10hipError_tPvRmT2_T3_mT4_P12ihipStream_tbEUlT_E_NS1_11comp_targetILNS1_3genE5ELNS1_11target_archE942ELNS1_3gpuE9ELNS1_3repE0EEENS1_30default_config_static_selectorELNS0_4arch9wavefront6targetE1EEEvT1_.num_vgpr, 0
	.set _ZN7rocprim17ROCPRIM_400000_NS6detail17trampoline_kernelINS0_14default_configENS1_35adjacent_difference_config_selectorILb0EjEEZNS1_24adjacent_difference_implIS3_Lb0ELb0EPKjPjN6thrust23THRUST_200600_302600_NS4plusIjEEEE10hipError_tPvRmT2_T3_mT4_P12ihipStream_tbEUlT_E_NS1_11comp_targetILNS1_3genE5ELNS1_11target_archE942ELNS1_3gpuE9ELNS1_3repE0EEENS1_30default_config_static_selectorELNS0_4arch9wavefront6targetE1EEEvT1_.num_agpr, 0
	.set _ZN7rocprim17ROCPRIM_400000_NS6detail17trampoline_kernelINS0_14default_configENS1_35adjacent_difference_config_selectorILb0EjEEZNS1_24adjacent_difference_implIS3_Lb0ELb0EPKjPjN6thrust23THRUST_200600_302600_NS4plusIjEEEE10hipError_tPvRmT2_T3_mT4_P12ihipStream_tbEUlT_E_NS1_11comp_targetILNS1_3genE5ELNS1_11target_archE942ELNS1_3gpuE9ELNS1_3repE0EEENS1_30default_config_static_selectorELNS0_4arch9wavefront6targetE1EEEvT1_.numbered_sgpr, 0
	.set _ZN7rocprim17ROCPRIM_400000_NS6detail17trampoline_kernelINS0_14default_configENS1_35adjacent_difference_config_selectorILb0EjEEZNS1_24adjacent_difference_implIS3_Lb0ELb0EPKjPjN6thrust23THRUST_200600_302600_NS4plusIjEEEE10hipError_tPvRmT2_T3_mT4_P12ihipStream_tbEUlT_E_NS1_11comp_targetILNS1_3genE5ELNS1_11target_archE942ELNS1_3gpuE9ELNS1_3repE0EEENS1_30default_config_static_selectorELNS0_4arch9wavefront6targetE1EEEvT1_.num_named_barrier, 0
	.set _ZN7rocprim17ROCPRIM_400000_NS6detail17trampoline_kernelINS0_14default_configENS1_35adjacent_difference_config_selectorILb0EjEEZNS1_24adjacent_difference_implIS3_Lb0ELb0EPKjPjN6thrust23THRUST_200600_302600_NS4plusIjEEEE10hipError_tPvRmT2_T3_mT4_P12ihipStream_tbEUlT_E_NS1_11comp_targetILNS1_3genE5ELNS1_11target_archE942ELNS1_3gpuE9ELNS1_3repE0EEENS1_30default_config_static_selectorELNS0_4arch9wavefront6targetE1EEEvT1_.private_seg_size, 0
	.set _ZN7rocprim17ROCPRIM_400000_NS6detail17trampoline_kernelINS0_14default_configENS1_35adjacent_difference_config_selectorILb0EjEEZNS1_24adjacent_difference_implIS3_Lb0ELb0EPKjPjN6thrust23THRUST_200600_302600_NS4plusIjEEEE10hipError_tPvRmT2_T3_mT4_P12ihipStream_tbEUlT_E_NS1_11comp_targetILNS1_3genE5ELNS1_11target_archE942ELNS1_3gpuE9ELNS1_3repE0EEENS1_30default_config_static_selectorELNS0_4arch9wavefront6targetE1EEEvT1_.uses_vcc, 0
	.set _ZN7rocprim17ROCPRIM_400000_NS6detail17trampoline_kernelINS0_14default_configENS1_35adjacent_difference_config_selectorILb0EjEEZNS1_24adjacent_difference_implIS3_Lb0ELb0EPKjPjN6thrust23THRUST_200600_302600_NS4plusIjEEEE10hipError_tPvRmT2_T3_mT4_P12ihipStream_tbEUlT_E_NS1_11comp_targetILNS1_3genE5ELNS1_11target_archE942ELNS1_3gpuE9ELNS1_3repE0EEENS1_30default_config_static_selectorELNS0_4arch9wavefront6targetE1EEEvT1_.uses_flat_scratch, 0
	.set _ZN7rocprim17ROCPRIM_400000_NS6detail17trampoline_kernelINS0_14default_configENS1_35adjacent_difference_config_selectorILb0EjEEZNS1_24adjacent_difference_implIS3_Lb0ELb0EPKjPjN6thrust23THRUST_200600_302600_NS4plusIjEEEE10hipError_tPvRmT2_T3_mT4_P12ihipStream_tbEUlT_E_NS1_11comp_targetILNS1_3genE5ELNS1_11target_archE942ELNS1_3gpuE9ELNS1_3repE0EEENS1_30default_config_static_selectorELNS0_4arch9wavefront6targetE1EEEvT1_.has_dyn_sized_stack, 0
	.set _ZN7rocprim17ROCPRIM_400000_NS6detail17trampoline_kernelINS0_14default_configENS1_35adjacent_difference_config_selectorILb0EjEEZNS1_24adjacent_difference_implIS3_Lb0ELb0EPKjPjN6thrust23THRUST_200600_302600_NS4plusIjEEEE10hipError_tPvRmT2_T3_mT4_P12ihipStream_tbEUlT_E_NS1_11comp_targetILNS1_3genE5ELNS1_11target_archE942ELNS1_3gpuE9ELNS1_3repE0EEENS1_30default_config_static_selectorELNS0_4arch9wavefront6targetE1EEEvT1_.has_recursion, 0
	.set _ZN7rocprim17ROCPRIM_400000_NS6detail17trampoline_kernelINS0_14default_configENS1_35adjacent_difference_config_selectorILb0EjEEZNS1_24adjacent_difference_implIS3_Lb0ELb0EPKjPjN6thrust23THRUST_200600_302600_NS4plusIjEEEE10hipError_tPvRmT2_T3_mT4_P12ihipStream_tbEUlT_E_NS1_11comp_targetILNS1_3genE5ELNS1_11target_archE942ELNS1_3gpuE9ELNS1_3repE0EEENS1_30default_config_static_selectorELNS0_4arch9wavefront6targetE1EEEvT1_.has_indirect_call, 0
	.section	.AMDGPU.csdata,"",@progbits
; Kernel info:
; codeLenInByte = 0
; TotalNumSgprs: 4
; NumVgprs: 0
; ScratchSize: 0
; MemoryBound: 0
; FloatMode: 240
; IeeeMode: 1
; LDSByteSize: 0 bytes/workgroup (compile time only)
; SGPRBlocks: 0
; VGPRBlocks: 0
; NumSGPRsForWavesPerEU: 4
; NumVGPRsForWavesPerEU: 1
; Occupancy: 10
; WaveLimiterHint : 0
; COMPUTE_PGM_RSRC2:SCRATCH_EN: 0
; COMPUTE_PGM_RSRC2:USER_SGPR: 6
; COMPUTE_PGM_RSRC2:TRAP_HANDLER: 0
; COMPUTE_PGM_RSRC2:TGID_X_EN: 1
; COMPUTE_PGM_RSRC2:TGID_Y_EN: 0
; COMPUTE_PGM_RSRC2:TGID_Z_EN: 0
; COMPUTE_PGM_RSRC2:TIDIG_COMP_CNT: 0
	.section	.text._ZN7rocprim17ROCPRIM_400000_NS6detail17trampoline_kernelINS0_14default_configENS1_35adjacent_difference_config_selectorILb0EjEEZNS1_24adjacent_difference_implIS3_Lb0ELb0EPKjPjN6thrust23THRUST_200600_302600_NS4plusIjEEEE10hipError_tPvRmT2_T3_mT4_P12ihipStream_tbEUlT_E_NS1_11comp_targetILNS1_3genE4ELNS1_11target_archE910ELNS1_3gpuE8ELNS1_3repE0EEENS1_30default_config_static_selectorELNS0_4arch9wavefront6targetE1EEEvT1_,"axG",@progbits,_ZN7rocprim17ROCPRIM_400000_NS6detail17trampoline_kernelINS0_14default_configENS1_35adjacent_difference_config_selectorILb0EjEEZNS1_24adjacent_difference_implIS3_Lb0ELb0EPKjPjN6thrust23THRUST_200600_302600_NS4plusIjEEEE10hipError_tPvRmT2_T3_mT4_P12ihipStream_tbEUlT_E_NS1_11comp_targetILNS1_3genE4ELNS1_11target_archE910ELNS1_3gpuE8ELNS1_3repE0EEENS1_30default_config_static_selectorELNS0_4arch9wavefront6targetE1EEEvT1_,comdat
	.protected	_ZN7rocprim17ROCPRIM_400000_NS6detail17trampoline_kernelINS0_14default_configENS1_35adjacent_difference_config_selectorILb0EjEEZNS1_24adjacent_difference_implIS3_Lb0ELb0EPKjPjN6thrust23THRUST_200600_302600_NS4plusIjEEEE10hipError_tPvRmT2_T3_mT4_P12ihipStream_tbEUlT_E_NS1_11comp_targetILNS1_3genE4ELNS1_11target_archE910ELNS1_3gpuE8ELNS1_3repE0EEENS1_30default_config_static_selectorELNS0_4arch9wavefront6targetE1EEEvT1_ ; -- Begin function _ZN7rocprim17ROCPRIM_400000_NS6detail17trampoline_kernelINS0_14default_configENS1_35adjacent_difference_config_selectorILb0EjEEZNS1_24adjacent_difference_implIS3_Lb0ELb0EPKjPjN6thrust23THRUST_200600_302600_NS4plusIjEEEE10hipError_tPvRmT2_T3_mT4_P12ihipStream_tbEUlT_E_NS1_11comp_targetILNS1_3genE4ELNS1_11target_archE910ELNS1_3gpuE8ELNS1_3repE0EEENS1_30default_config_static_selectorELNS0_4arch9wavefront6targetE1EEEvT1_
	.globl	_ZN7rocprim17ROCPRIM_400000_NS6detail17trampoline_kernelINS0_14default_configENS1_35adjacent_difference_config_selectorILb0EjEEZNS1_24adjacent_difference_implIS3_Lb0ELb0EPKjPjN6thrust23THRUST_200600_302600_NS4plusIjEEEE10hipError_tPvRmT2_T3_mT4_P12ihipStream_tbEUlT_E_NS1_11comp_targetILNS1_3genE4ELNS1_11target_archE910ELNS1_3gpuE8ELNS1_3repE0EEENS1_30default_config_static_selectorELNS0_4arch9wavefront6targetE1EEEvT1_
	.p2align	8
	.type	_ZN7rocprim17ROCPRIM_400000_NS6detail17trampoline_kernelINS0_14default_configENS1_35adjacent_difference_config_selectorILb0EjEEZNS1_24adjacent_difference_implIS3_Lb0ELb0EPKjPjN6thrust23THRUST_200600_302600_NS4plusIjEEEE10hipError_tPvRmT2_T3_mT4_P12ihipStream_tbEUlT_E_NS1_11comp_targetILNS1_3genE4ELNS1_11target_archE910ELNS1_3gpuE8ELNS1_3repE0EEENS1_30default_config_static_selectorELNS0_4arch9wavefront6targetE1EEEvT1_,@function
_ZN7rocprim17ROCPRIM_400000_NS6detail17trampoline_kernelINS0_14default_configENS1_35adjacent_difference_config_selectorILb0EjEEZNS1_24adjacent_difference_implIS3_Lb0ELb0EPKjPjN6thrust23THRUST_200600_302600_NS4plusIjEEEE10hipError_tPvRmT2_T3_mT4_P12ihipStream_tbEUlT_E_NS1_11comp_targetILNS1_3genE4ELNS1_11target_archE910ELNS1_3gpuE8ELNS1_3repE0EEENS1_30default_config_static_selectorELNS0_4arch9wavefront6targetE1EEEvT1_: ; @_ZN7rocprim17ROCPRIM_400000_NS6detail17trampoline_kernelINS0_14default_configENS1_35adjacent_difference_config_selectorILb0EjEEZNS1_24adjacent_difference_implIS3_Lb0ELb0EPKjPjN6thrust23THRUST_200600_302600_NS4plusIjEEEE10hipError_tPvRmT2_T3_mT4_P12ihipStream_tbEUlT_E_NS1_11comp_targetILNS1_3genE4ELNS1_11target_archE910ELNS1_3gpuE8ELNS1_3repE0EEENS1_30default_config_static_selectorELNS0_4arch9wavefront6targetE1EEEvT1_
; %bb.0:
	.section	.rodata,"a",@progbits
	.p2align	6, 0x0
	.amdhsa_kernel _ZN7rocprim17ROCPRIM_400000_NS6detail17trampoline_kernelINS0_14default_configENS1_35adjacent_difference_config_selectorILb0EjEEZNS1_24adjacent_difference_implIS3_Lb0ELb0EPKjPjN6thrust23THRUST_200600_302600_NS4plusIjEEEE10hipError_tPvRmT2_T3_mT4_P12ihipStream_tbEUlT_E_NS1_11comp_targetILNS1_3genE4ELNS1_11target_archE910ELNS1_3gpuE8ELNS1_3repE0EEENS1_30default_config_static_selectorELNS0_4arch9wavefront6targetE1EEEvT1_
		.amdhsa_group_segment_fixed_size 0
		.amdhsa_private_segment_fixed_size 0
		.amdhsa_kernarg_size 56
		.amdhsa_user_sgpr_count 6
		.amdhsa_user_sgpr_private_segment_buffer 1
		.amdhsa_user_sgpr_dispatch_ptr 0
		.amdhsa_user_sgpr_queue_ptr 0
		.amdhsa_user_sgpr_kernarg_segment_ptr 1
		.amdhsa_user_sgpr_dispatch_id 0
		.amdhsa_user_sgpr_flat_scratch_init 0
		.amdhsa_user_sgpr_private_segment_size 0
		.amdhsa_uses_dynamic_stack 0
		.amdhsa_system_sgpr_private_segment_wavefront_offset 0
		.amdhsa_system_sgpr_workgroup_id_x 1
		.amdhsa_system_sgpr_workgroup_id_y 0
		.amdhsa_system_sgpr_workgroup_id_z 0
		.amdhsa_system_sgpr_workgroup_info 0
		.amdhsa_system_vgpr_workitem_id 0
		.amdhsa_next_free_vgpr 1
		.amdhsa_next_free_sgpr 0
		.amdhsa_reserve_vcc 0
		.amdhsa_reserve_flat_scratch 0
		.amdhsa_float_round_mode_32 0
		.amdhsa_float_round_mode_16_64 0
		.amdhsa_float_denorm_mode_32 3
		.amdhsa_float_denorm_mode_16_64 3
		.amdhsa_dx10_clamp 1
		.amdhsa_ieee_mode 1
		.amdhsa_fp16_overflow 0
		.amdhsa_exception_fp_ieee_invalid_op 0
		.amdhsa_exception_fp_denorm_src 0
		.amdhsa_exception_fp_ieee_div_zero 0
		.amdhsa_exception_fp_ieee_overflow 0
		.amdhsa_exception_fp_ieee_underflow 0
		.amdhsa_exception_fp_ieee_inexact 0
		.amdhsa_exception_int_div_zero 0
	.end_amdhsa_kernel
	.section	.text._ZN7rocprim17ROCPRIM_400000_NS6detail17trampoline_kernelINS0_14default_configENS1_35adjacent_difference_config_selectorILb0EjEEZNS1_24adjacent_difference_implIS3_Lb0ELb0EPKjPjN6thrust23THRUST_200600_302600_NS4plusIjEEEE10hipError_tPvRmT2_T3_mT4_P12ihipStream_tbEUlT_E_NS1_11comp_targetILNS1_3genE4ELNS1_11target_archE910ELNS1_3gpuE8ELNS1_3repE0EEENS1_30default_config_static_selectorELNS0_4arch9wavefront6targetE1EEEvT1_,"axG",@progbits,_ZN7rocprim17ROCPRIM_400000_NS6detail17trampoline_kernelINS0_14default_configENS1_35adjacent_difference_config_selectorILb0EjEEZNS1_24adjacent_difference_implIS3_Lb0ELb0EPKjPjN6thrust23THRUST_200600_302600_NS4plusIjEEEE10hipError_tPvRmT2_T3_mT4_P12ihipStream_tbEUlT_E_NS1_11comp_targetILNS1_3genE4ELNS1_11target_archE910ELNS1_3gpuE8ELNS1_3repE0EEENS1_30default_config_static_selectorELNS0_4arch9wavefront6targetE1EEEvT1_,comdat
.Lfunc_end651:
	.size	_ZN7rocprim17ROCPRIM_400000_NS6detail17trampoline_kernelINS0_14default_configENS1_35adjacent_difference_config_selectorILb0EjEEZNS1_24adjacent_difference_implIS3_Lb0ELb0EPKjPjN6thrust23THRUST_200600_302600_NS4plusIjEEEE10hipError_tPvRmT2_T3_mT4_P12ihipStream_tbEUlT_E_NS1_11comp_targetILNS1_3genE4ELNS1_11target_archE910ELNS1_3gpuE8ELNS1_3repE0EEENS1_30default_config_static_selectorELNS0_4arch9wavefront6targetE1EEEvT1_, .Lfunc_end651-_ZN7rocprim17ROCPRIM_400000_NS6detail17trampoline_kernelINS0_14default_configENS1_35adjacent_difference_config_selectorILb0EjEEZNS1_24adjacent_difference_implIS3_Lb0ELb0EPKjPjN6thrust23THRUST_200600_302600_NS4plusIjEEEE10hipError_tPvRmT2_T3_mT4_P12ihipStream_tbEUlT_E_NS1_11comp_targetILNS1_3genE4ELNS1_11target_archE910ELNS1_3gpuE8ELNS1_3repE0EEENS1_30default_config_static_selectorELNS0_4arch9wavefront6targetE1EEEvT1_
                                        ; -- End function
	.set _ZN7rocprim17ROCPRIM_400000_NS6detail17trampoline_kernelINS0_14default_configENS1_35adjacent_difference_config_selectorILb0EjEEZNS1_24adjacent_difference_implIS3_Lb0ELb0EPKjPjN6thrust23THRUST_200600_302600_NS4plusIjEEEE10hipError_tPvRmT2_T3_mT4_P12ihipStream_tbEUlT_E_NS1_11comp_targetILNS1_3genE4ELNS1_11target_archE910ELNS1_3gpuE8ELNS1_3repE0EEENS1_30default_config_static_selectorELNS0_4arch9wavefront6targetE1EEEvT1_.num_vgpr, 0
	.set _ZN7rocprim17ROCPRIM_400000_NS6detail17trampoline_kernelINS0_14default_configENS1_35adjacent_difference_config_selectorILb0EjEEZNS1_24adjacent_difference_implIS3_Lb0ELb0EPKjPjN6thrust23THRUST_200600_302600_NS4plusIjEEEE10hipError_tPvRmT2_T3_mT4_P12ihipStream_tbEUlT_E_NS1_11comp_targetILNS1_3genE4ELNS1_11target_archE910ELNS1_3gpuE8ELNS1_3repE0EEENS1_30default_config_static_selectorELNS0_4arch9wavefront6targetE1EEEvT1_.num_agpr, 0
	.set _ZN7rocprim17ROCPRIM_400000_NS6detail17trampoline_kernelINS0_14default_configENS1_35adjacent_difference_config_selectorILb0EjEEZNS1_24adjacent_difference_implIS3_Lb0ELb0EPKjPjN6thrust23THRUST_200600_302600_NS4plusIjEEEE10hipError_tPvRmT2_T3_mT4_P12ihipStream_tbEUlT_E_NS1_11comp_targetILNS1_3genE4ELNS1_11target_archE910ELNS1_3gpuE8ELNS1_3repE0EEENS1_30default_config_static_selectorELNS0_4arch9wavefront6targetE1EEEvT1_.numbered_sgpr, 0
	.set _ZN7rocprim17ROCPRIM_400000_NS6detail17trampoline_kernelINS0_14default_configENS1_35adjacent_difference_config_selectorILb0EjEEZNS1_24adjacent_difference_implIS3_Lb0ELb0EPKjPjN6thrust23THRUST_200600_302600_NS4plusIjEEEE10hipError_tPvRmT2_T3_mT4_P12ihipStream_tbEUlT_E_NS1_11comp_targetILNS1_3genE4ELNS1_11target_archE910ELNS1_3gpuE8ELNS1_3repE0EEENS1_30default_config_static_selectorELNS0_4arch9wavefront6targetE1EEEvT1_.num_named_barrier, 0
	.set _ZN7rocprim17ROCPRIM_400000_NS6detail17trampoline_kernelINS0_14default_configENS1_35adjacent_difference_config_selectorILb0EjEEZNS1_24adjacent_difference_implIS3_Lb0ELb0EPKjPjN6thrust23THRUST_200600_302600_NS4plusIjEEEE10hipError_tPvRmT2_T3_mT4_P12ihipStream_tbEUlT_E_NS1_11comp_targetILNS1_3genE4ELNS1_11target_archE910ELNS1_3gpuE8ELNS1_3repE0EEENS1_30default_config_static_selectorELNS0_4arch9wavefront6targetE1EEEvT1_.private_seg_size, 0
	.set _ZN7rocprim17ROCPRIM_400000_NS6detail17trampoline_kernelINS0_14default_configENS1_35adjacent_difference_config_selectorILb0EjEEZNS1_24adjacent_difference_implIS3_Lb0ELb0EPKjPjN6thrust23THRUST_200600_302600_NS4plusIjEEEE10hipError_tPvRmT2_T3_mT4_P12ihipStream_tbEUlT_E_NS1_11comp_targetILNS1_3genE4ELNS1_11target_archE910ELNS1_3gpuE8ELNS1_3repE0EEENS1_30default_config_static_selectorELNS0_4arch9wavefront6targetE1EEEvT1_.uses_vcc, 0
	.set _ZN7rocprim17ROCPRIM_400000_NS6detail17trampoline_kernelINS0_14default_configENS1_35adjacent_difference_config_selectorILb0EjEEZNS1_24adjacent_difference_implIS3_Lb0ELb0EPKjPjN6thrust23THRUST_200600_302600_NS4plusIjEEEE10hipError_tPvRmT2_T3_mT4_P12ihipStream_tbEUlT_E_NS1_11comp_targetILNS1_3genE4ELNS1_11target_archE910ELNS1_3gpuE8ELNS1_3repE0EEENS1_30default_config_static_selectorELNS0_4arch9wavefront6targetE1EEEvT1_.uses_flat_scratch, 0
	.set _ZN7rocprim17ROCPRIM_400000_NS6detail17trampoline_kernelINS0_14default_configENS1_35adjacent_difference_config_selectorILb0EjEEZNS1_24adjacent_difference_implIS3_Lb0ELb0EPKjPjN6thrust23THRUST_200600_302600_NS4plusIjEEEE10hipError_tPvRmT2_T3_mT4_P12ihipStream_tbEUlT_E_NS1_11comp_targetILNS1_3genE4ELNS1_11target_archE910ELNS1_3gpuE8ELNS1_3repE0EEENS1_30default_config_static_selectorELNS0_4arch9wavefront6targetE1EEEvT1_.has_dyn_sized_stack, 0
	.set _ZN7rocprim17ROCPRIM_400000_NS6detail17trampoline_kernelINS0_14default_configENS1_35adjacent_difference_config_selectorILb0EjEEZNS1_24adjacent_difference_implIS3_Lb0ELb0EPKjPjN6thrust23THRUST_200600_302600_NS4plusIjEEEE10hipError_tPvRmT2_T3_mT4_P12ihipStream_tbEUlT_E_NS1_11comp_targetILNS1_3genE4ELNS1_11target_archE910ELNS1_3gpuE8ELNS1_3repE0EEENS1_30default_config_static_selectorELNS0_4arch9wavefront6targetE1EEEvT1_.has_recursion, 0
	.set _ZN7rocprim17ROCPRIM_400000_NS6detail17trampoline_kernelINS0_14default_configENS1_35adjacent_difference_config_selectorILb0EjEEZNS1_24adjacent_difference_implIS3_Lb0ELb0EPKjPjN6thrust23THRUST_200600_302600_NS4plusIjEEEE10hipError_tPvRmT2_T3_mT4_P12ihipStream_tbEUlT_E_NS1_11comp_targetILNS1_3genE4ELNS1_11target_archE910ELNS1_3gpuE8ELNS1_3repE0EEENS1_30default_config_static_selectorELNS0_4arch9wavefront6targetE1EEEvT1_.has_indirect_call, 0
	.section	.AMDGPU.csdata,"",@progbits
; Kernel info:
; codeLenInByte = 0
; TotalNumSgprs: 4
; NumVgprs: 0
; ScratchSize: 0
; MemoryBound: 0
; FloatMode: 240
; IeeeMode: 1
; LDSByteSize: 0 bytes/workgroup (compile time only)
; SGPRBlocks: 0
; VGPRBlocks: 0
; NumSGPRsForWavesPerEU: 4
; NumVGPRsForWavesPerEU: 1
; Occupancy: 10
; WaveLimiterHint : 0
; COMPUTE_PGM_RSRC2:SCRATCH_EN: 0
; COMPUTE_PGM_RSRC2:USER_SGPR: 6
; COMPUTE_PGM_RSRC2:TRAP_HANDLER: 0
; COMPUTE_PGM_RSRC2:TGID_X_EN: 1
; COMPUTE_PGM_RSRC2:TGID_Y_EN: 0
; COMPUTE_PGM_RSRC2:TGID_Z_EN: 0
; COMPUTE_PGM_RSRC2:TIDIG_COMP_CNT: 0
	.section	.text._ZN7rocprim17ROCPRIM_400000_NS6detail17trampoline_kernelINS0_14default_configENS1_35adjacent_difference_config_selectorILb0EjEEZNS1_24adjacent_difference_implIS3_Lb0ELb0EPKjPjN6thrust23THRUST_200600_302600_NS4plusIjEEEE10hipError_tPvRmT2_T3_mT4_P12ihipStream_tbEUlT_E_NS1_11comp_targetILNS1_3genE3ELNS1_11target_archE908ELNS1_3gpuE7ELNS1_3repE0EEENS1_30default_config_static_selectorELNS0_4arch9wavefront6targetE1EEEvT1_,"axG",@progbits,_ZN7rocprim17ROCPRIM_400000_NS6detail17trampoline_kernelINS0_14default_configENS1_35adjacent_difference_config_selectorILb0EjEEZNS1_24adjacent_difference_implIS3_Lb0ELb0EPKjPjN6thrust23THRUST_200600_302600_NS4plusIjEEEE10hipError_tPvRmT2_T3_mT4_P12ihipStream_tbEUlT_E_NS1_11comp_targetILNS1_3genE3ELNS1_11target_archE908ELNS1_3gpuE7ELNS1_3repE0EEENS1_30default_config_static_selectorELNS0_4arch9wavefront6targetE1EEEvT1_,comdat
	.protected	_ZN7rocprim17ROCPRIM_400000_NS6detail17trampoline_kernelINS0_14default_configENS1_35adjacent_difference_config_selectorILb0EjEEZNS1_24adjacent_difference_implIS3_Lb0ELb0EPKjPjN6thrust23THRUST_200600_302600_NS4plusIjEEEE10hipError_tPvRmT2_T3_mT4_P12ihipStream_tbEUlT_E_NS1_11comp_targetILNS1_3genE3ELNS1_11target_archE908ELNS1_3gpuE7ELNS1_3repE0EEENS1_30default_config_static_selectorELNS0_4arch9wavefront6targetE1EEEvT1_ ; -- Begin function _ZN7rocprim17ROCPRIM_400000_NS6detail17trampoline_kernelINS0_14default_configENS1_35adjacent_difference_config_selectorILb0EjEEZNS1_24adjacent_difference_implIS3_Lb0ELb0EPKjPjN6thrust23THRUST_200600_302600_NS4plusIjEEEE10hipError_tPvRmT2_T3_mT4_P12ihipStream_tbEUlT_E_NS1_11comp_targetILNS1_3genE3ELNS1_11target_archE908ELNS1_3gpuE7ELNS1_3repE0EEENS1_30default_config_static_selectorELNS0_4arch9wavefront6targetE1EEEvT1_
	.globl	_ZN7rocprim17ROCPRIM_400000_NS6detail17trampoline_kernelINS0_14default_configENS1_35adjacent_difference_config_selectorILb0EjEEZNS1_24adjacent_difference_implIS3_Lb0ELb0EPKjPjN6thrust23THRUST_200600_302600_NS4plusIjEEEE10hipError_tPvRmT2_T3_mT4_P12ihipStream_tbEUlT_E_NS1_11comp_targetILNS1_3genE3ELNS1_11target_archE908ELNS1_3gpuE7ELNS1_3repE0EEENS1_30default_config_static_selectorELNS0_4arch9wavefront6targetE1EEEvT1_
	.p2align	8
	.type	_ZN7rocprim17ROCPRIM_400000_NS6detail17trampoline_kernelINS0_14default_configENS1_35adjacent_difference_config_selectorILb0EjEEZNS1_24adjacent_difference_implIS3_Lb0ELb0EPKjPjN6thrust23THRUST_200600_302600_NS4plusIjEEEE10hipError_tPvRmT2_T3_mT4_P12ihipStream_tbEUlT_E_NS1_11comp_targetILNS1_3genE3ELNS1_11target_archE908ELNS1_3gpuE7ELNS1_3repE0EEENS1_30default_config_static_selectorELNS0_4arch9wavefront6targetE1EEEvT1_,@function
_ZN7rocprim17ROCPRIM_400000_NS6detail17trampoline_kernelINS0_14default_configENS1_35adjacent_difference_config_selectorILb0EjEEZNS1_24adjacent_difference_implIS3_Lb0ELb0EPKjPjN6thrust23THRUST_200600_302600_NS4plusIjEEEE10hipError_tPvRmT2_T3_mT4_P12ihipStream_tbEUlT_E_NS1_11comp_targetILNS1_3genE3ELNS1_11target_archE908ELNS1_3gpuE7ELNS1_3repE0EEENS1_30default_config_static_selectorELNS0_4arch9wavefront6targetE1EEEvT1_: ; @_ZN7rocprim17ROCPRIM_400000_NS6detail17trampoline_kernelINS0_14default_configENS1_35adjacent_difference_config_selectorILb0EjEEZNS1_24adjacent_difference_implIS3_Lb0ELb0EPKjPjN6thrust23THRUST_200600_302600_NS4plusIjEEEE10hipError_tPvRmT2_T3_mT4_P12ihipStream_tbEUlT_E_NS1_11comp_targetILNS1_3genE3ELNS1_11target_archE908ELNS1_3gpuE7ELNS1_3repE0EEENS1_30default_config_static_selectorELNS0_4arch9wavefront6targetE1EEEvT1_
; %bb.0:
	.section	.rodata,"a",@progbits
	.p2align	6, 0x0
	.amdhsa_kernel _ZN7rocprim17ROCPRIM_400000_NS6detail17trampoline_kernelINS0_14default_configENS1_35adjacent_difference_config_selectorILb0EjEEZNS1_24adjacent_difference_implIS3_Lb0ELb0EPKjPjN6thrust23THRUST_200600_302600_NS4plusIjEEEE10hipError_tPvRmT2_T3_mT4_P12ihipStream_tbEUlT_E_NS1_11comp_targetILNS1_3genE3ELNS1_11target_archE908ELNS1_3gpuE7ELNS1_3repE0EEENS1_30default_config_static_selectorELNS0_4arch9wavefront6targetE1EEEvT1_
		.amdhsa_group_segment_fixed_size 0
		.amdhsa_private_segment_fixed_size 0
		.amdhsa_kernarg_size 56
		.amdhsa_user_sgpr_count 6
		.amdhsa_user_sgpr_private_segment_buffer 1
		.amdhsa_user_sgpr_dispatch_ptr 0
		.amdhsa_user_sgpr_queue_ptr 0
		.amdhsa_user_sgpr_kernarg_segment_ptr 1
		.amdhsa_user_sgpr_dispatch_id 0
		.amdhsa_user_sgpr_flat_scratch_init 0
		.amdhsa_user_sgpr_private_segment_size 0
		.amdhsa_uses_dynamic_stack 0
		.amdhsa_system_sgpr_private_segment_wavefront_offset 0
		.amdhsa_system_sgpr_workgroup_id_x 1
		.amdhsa_system_sgpr_workgroup_id_y 0
		.amdhsa_system_sgpr_workgroup_id_z 0
		.amdhsa_system_sgpr_workgroup_info 0
		.amdhsa_system_vgpr_workitem_id 0
		.amdhsa_next_free_vgpr 1
		.amdhsa_next_free_sgpr 0
		.amdhsa_reserve_vcc 0
		.amdhsa_reserve_flat_scratch 0
		.amdhsa_float_round_mode_32 0
		.amdhsa_float_round_mode_16_64 0
		.amdhsa_float_denorm_mode_32 3
		.amdhsa_float_denorm_mode_16_64 3
		.amdhsa_dx10_clamp 1
		.amdhsa_ieee_mode 1
		.amdhsa_fp16_overflow 0
		.amdhsa_exception_fp_ieee_invalid_op 0
		.amdhsa_exception_fp_denorm_src 0
		.amdhsa_exception_fp_ieee_div_zero 0
		.amdhsa_exception_fp_ieee_overflow 0
		.amdhsa_exception_fp_ieee_underflow 0
		.amdhsa_exception_fp_ieee_inexact 0
		.amdhsa_exception_int_div_zero 0
	.end_amdhsa_kernel
	.section	.text._ZN7rocprim17ROCPRIM_400000_NS6detail17trampoline_kernelINS0_14default_configENS1_35adjacent_difference_config_selectorILb0EjEEZNS1_24adjacent_difference_implIS3_Lb0ELb0EPKjPjN6thrust23THRUST_200600_302600_NS4plusIjEEEE10hipError_tPvRmT2_T3_mT4_P12ihipStream_tbEUlT_E_NS1_11comp_targetILNS1_3genE3ELNS1_11target_archE908ELNS1_3gpuE7ELNS1_3repE0EEENS1_30default_config_static_selectorELNS0_4arch9wavefront6targetE1EEEvT1_,"axG",@progbits,_ZN7rocprim17ROCPRIM_400000_NS6detail17trampoline_kernelINS0_14default_configENS1_35adjacent_difference_config_selectorILb0EjEEZNS1_24adjacent_difference_implIS3_Lb0ELb0EPKjPjN6thrust23THRUST_200600_302600_NS4plusIjEEEE10hipError_tPvRmT2_T3_mT4_P12ihipStream_tbEUlT_E_NS1_11comp_targetILNS1_3genE3ELNS1_11target_archE908ELNS1_3gpuE7ELNS1_3repE0EEENS1_30default_config_static_selectorELNS0_4arch9wavefront6targetE1EEEvT1_,comdat
.Lfunc_end652:
	.size	_ZN7rocprim17ROCPRIM_400000_NS6detail17trampoline_kernelINS0_14default_configENS1_35adjacent_difference_config_selectorILb0EjEEZNS1_24adjacent_difference_implIS3_Lb0ELb0EPKjPjN6thrust23THRUST_200600_302600_NS4plusIjEEEE10hipError_tPvRmT2_T3_mT4_P12ihipStream_tbEUlT_E_NS1_11comp_targetILNS1_3genE3ELNS1_11target_archE908ELNS1_3gpuE7ELNS1_3repE0EEENS1_30default_config_static_selectorELNS0_4arch9wavefront6targetE1EEEvT1_, .Lfunc_end652-_ZN7rocprim17ROCPRIM_400000_NS6detail17trampoline_kernelINS0_14default_configENS1_35adjacent_difference_config_selectorILb0EjEEZNS1_24adjacent_difference_implIS3_Lb0ELb0EPKjPjN6thrust23THRUST_200600_302600_NS4plusIjEEEE10hipError_tPvRmT2_T3_mT4_P12ihipStream_tbEUlT_E_NS1_11comp_targetILNS1_3genE3ELNS1_11target_archE908ELNS1_3gpuE7ELNS1_3repE0EEENS1_30default_config_static_selectorELNS0_4arch9wavefront6targetE1EEEvT1_
                                        ; -- End function
	.set _ZN7rocprim17ROCPRIM_400000_NS6detail17trampoline_kernelINS0_14default_configENS1_35adjacent_difference_config_selectorILb0EjEEZNS1_24adjacent_difference_implIS3_Lb0ELb0EPKjPjN6thrust23THRUST_200600_302600_NS4plusIjEEEE10hipError_tPvRmT2_T3_mT4_P12ihipStream_tbEUlT_E_NS1_11comp_targetILNS1_3genE3ELNS1_11target_archE908ELNS1_3gpuE7ELNS1_3repE0EEENS1_30default_config_static_selectorELNS0_4arch9wavefront6targetE1EEEvT1_.num_vgpr, 0
	.set _ZN7rocprim17ROCPRIM_400000_NS6detail17trampoline_kernelINS0_14default_configENS1_35adjacent_difference_config_selectorILb0EjEEZNS1_24adjacent_difference_implIS3_Lb0ELb0EPKjPjN6thrust23THRUST_200600_302600_NS4plusIjEEEE10hipError_tPvRmT2_T3_mT4_P12ihipStream_tbEUlT_E_NS1_11comp_targetILNS1_3genE3ELNS1_11target_archE908ELNS1_3gpuE7ELNS1_3repE0EEENS1_30default_config_static_selectorELNS0_4arch9wavefront6targetE1EEEvT1_.num_agpr, 0
	.set _ZN7rocprim17ROCPRIM_400000_NS6detail17trampoline_kernelINS0_14default_configENS1_35adjacent_difference_config_selectorILb0EjEEZNS1_24adjacent_difference_implIS3_Lb0ELb0EPKjPjN6thrust23THRUST_200600_302600_NS4plusIjEEEE10hipError_tPvRmT2_T3_mT4_P12ihipStream_tbEUlT_E_NS1_11comp_targetILNS1_3genE3ELNS1_11target_archE908ELNS1_3gpuE7ELNS1_3repE0EEENS1_30default_config_static_selectorELNS0_4arch9wavefront6targetE1EEEvT1_.numbered_sgpr, 0
	.set _ZN7rocprim17ROCPRIM_400000_NS6detail17trampoline_kernelINS0_14default_configENS1_35adjacent_difference_config_selectorILb0EjEEZNS1_24adjacent_difference_implIS3_Lb0ELb0EPKjPjN6thrust23THRUST_200600_302600_NS4plusIjEEEE10hipError_tPvRmT2_T3_mT4_P12ihipStream_tbEUlT_E_NS1_11comp_targetILNS1_3genE3ELNS1_11target_archE908ELNS1_3gpuE7ELNS1_3repE0EEENS1_30default_config_static_selectorELNS0_4arch9wavefront6targetE1EEEvT1_.num_named_barrier, 0
	.set _ZN7rocprim17ROCPRIM_400000_NS6detail17trampoline_kernelINS0_14default_configENS1_35adjacent_difference_config_selectorILb0EjEEZNS1_24adjacent_difference_implIS3_Lb0ELb0EPKjPjN6thrust23THRUST_200600_302600_NS4plusIjEEEE10hipError_tPvRmT2_T3_mT4_P12ihipStream_tbEUlT_E_NS1_11comp_targetILNS1_3genE3ELNS1_11target_archE908ELNS1_3gpuE7ELNS1_3repE0EEENS1_30default_config_static_selectorELNS0_4arch9wavefront6targetE1EEEvT1_.private_seg_size, 0
	.set _ZN7rocprim17ROCPRIM_400000_NS6detail17trampoline_kernelINS0_14default_configENS1_35adjacent_difference_config_selectorILb0EjEEZNS1_24adjacent_difference_implIS3_Lb0ELb0EPKjPjN6thrust23THRUST_200600_302600_NS4plusIjEEEE10hipError_tPvRmT2_T3_mT4_P12ihipStream_tbEUlT_E_NS1_11comp_targetILNS1_3genE3ELNS1_11target_archE908ELNS1_3gpuE7ELNS1_3repE0EEENS1_30default_config_static_selectorELNS0_4arch9wavefront6targetE1EEEvT1_.uses_vcc, 0
	.set _ZN7rocprim17ROCPRIM_400000_NS6detail17trampoline_kernelINS0_14default_configENS1_35adjacent_difference_config_selectorILb0EjEEZNS1_24adjacent_difference_implIS3_Lb0ELb0EPKjPjN6thrust23THRUST_200600_302600_NS4plusIjEEEE10hipError_tPvRmT2_T3_mT4_P12ihipStream_tbEUlT_E_NS1_11comp_targetILNS1_3genE3ELNS1_11target_archE908ELNS1_3gpuE7ELNS1_3repE0EEENS1_30default_config_static_selectorELNS0_4arch9wavefront6targetE1EEEvT1_.uses_flat_scratch, 0
	.set _ZN7rocprim17ROCPRIM_400000_NS6detail17trampoline_kernelINS0_14default_configENS1_35adjacent_difference_config_selectorILb0EjEEZNS1_24adjacent_difference_implIS3_Lb0ELb0EPKjPjN6thrust23THRUST_200600_302600_NS4plusIjEEEE10hipError_tPvRmT2_T3_mT4_P12ihipStream_tbEUlT_E_NS1_11comp_targetILNS1_3genE3ELNS1_11target_archE908ELNS1_3gpuE7ELNS1_3repE0EEENS1_30default_config_static_selectorELNS0_4arch9wavefront6targetE1EEEvT1_.has_dyn_sized_stack, 0
	.set _ZN7rocprim17ROCPRIM_400000_NS6detail17trampoline_kernelINS0_14default_configENS1_35adjacent_difference_config_selectorILb0EjEEZNS1_24adjacent_difference_implIS3_Lb0ELb0EPKjPjN6thrust23THRUST_200600_302600_NS4plusIjEEEE10hipError_tPvRmT2_T3_mT4_P12ihipStream_tbEUlT_E_NS1_11comp_targetILNS1_3genE3ELNS1_11target_archE908ELNS1_3gpuE7ELNS1_3repE0EEENS1_30default_config_static_selectorELNS0_4arch9wavefront6targetE1EEEvT1_.has_recursion, 0
	.set _ZN7rocprim17ROCPRIM_400000_NS6detail17trampoline_kernelINS0_14default_configENS1_35adjacent_difference_config_selectorILb0EjEEZNS1_24adjacent_difference_implIS3_Lb0ELb0EPKjPjN6thrust23THRUST_200600_302600_NS4plusIjEEEE10hipError_tPvRmT2_T3_mT4_P12ihipStream_tbEUlT_E_NS1_11comp_targetILNS1_3genE3ELNS1_11target_archE908ELNS1_3gpuE7ELNS1_3repE0EEENS1_30default_config_static_selectorELNS0_4arch9wavefront6targetE1EEEvT1_.has_indirect_call, 0
	.section	.AMDGPU.csdata,"",@progbits
; Kernel info:
; codeLenInByte = 0
; TotalNumSgprs: 4
; NumVgprs: 0
; ScratchSize: 0
; MemoryBound: 0
; FloatMode: 240
; IeeeMode: 1
; LDSByteSize: 0 bytes/workgroup (compile time only)
; SGPRBlocks: 0
; VGPRBlocks: 0
; NumSGPRsForWavesPerEU: 4
; NumVGPRsForWavesPerEU: 1
; Occupancy: 10
; WaveLimiterHint : 0
; COMPUTE_PGM_RSRC2:SCRATCH_EN: 0
; COMPUTE_PGM_RSRC2:USER_SGPR: 6
; COMPUTE_PGM_RSRC2:TRAP_HANDLER: 0
; COMPUTE_PGM_RSRC2:TGID_X_EN: 1
; COMPUTE_PGM_RSRC2:TGID_Y_EN: 0
; COMPUTE_PGM_RSRC2:TGID_Z_EN: 0
; COMPUTE_PGM_RSRC2:TIDIG_COMP_CNT: 0
	.section	.text._ZN7rocprim17ROCPRIM_400000_NS6detail17trampoline_kernelINS0_14default_configENS1_35adjacent_difference_config_selectorILb0EjEEZNS1_24adjacent_difference_implIS3_Lb0ELb0EPKjPjN6thrust23THRUST_200600_302600_NS4plusIjEEEE10hipError_tPvRmT2_T3_mT4_P12ihipStream_tbEUlT_E_NS1_11comp_targetILNS1_3genE2ELNS1_11target_archE906ELNS1_3gpuE6ELNS1_3repE0EEENS1_30default_config_static_selectorELNS0_4arch9wavefront6targetE1EEEvT1_,"axG",@progbits,_ZN7rocprim17ROCPRIM_400000_NS6detail17trampoline_kernelINS0_14default_configENS1_35adjacent_difference_config_selectorILb0EjEEZNS1_24adjacent_difference_implIS3_Lb0ELb0EPKjPjN6thrust23THRUST_200600_302600_NS4plusIjEEEE10hipError_tPvRmT2_T3_mT4_P12ihipStream_tbEUlT_E_NS1_11comp_targetILNS1_3genE2ELNS1_11target_archE906ELNS1_3gpuE6ELNS1_3repE0EEENS1_30default_config_static_selectorELNS0_4arch9wavefront6targetE1EEEvT1_,comdat
	.protected	_ZN7rocprim17ROCPRIM_400000_NS6detail17trampoline_kernelINS0_14default_configENS1_35adjacent_difference_config_selectorILb0EjEEZNS1_24adjacent_difference_implIS3_Lb0ELb0EPKjPjN6thrust23THRUST_200600_302600_NS4plusIjEEEE10hipError_tPvRmT2_T3_mT4_P12ihipStream_tbEUlT_E_NS1_11comp_targetILNS1_3genE2ELNS1_11target_archE906ELNS1_3gpuE6ELNS1_3repE0EEENS1_30default_config_static_selectorELNS0_4arch9wavefront6targetE1EEEvT1_ ; -- Begin function _ZN7rocprim17ROCPRIM_400000_NS6detail17trampoline_kernelINS0_14default_configENS1_35adjacent_difference_config_selectorILb0EjEEZNS1_24adjacent_difference_implIS3_Lb0ELb0EPKjPjN6thrust23THRUST_200600_302600_NS4plusIjEEEE10hipError_tPvRmT2_T3_mT4_P12ihipStream_tbEUlT_E_NS1_11comp_targetILNS1_3genE2ELNS1_11target_archE906ELNS1_3gpuE6ELNS1_3repE0EEENS1_30default_config_static_selectorELNS0_4arch9wavefront6targetE1EEEvT1_
	.globl	_ZN7rocprim17ROCPRIM_400000_NS6detail17trampoline_kernelINS0_14default_configENS1_35adjacent_difference_config_selectorILb0EjEEZNS1_24adjacent_difference_implIS3_Lb0ELb0EPKjPjN6thrust23THRUST_200600_302600_NS4plusIjEEEE10hipError_tPvRmT2_T3_mT4_P12ihipStream_tbEUlT_E_NS1_11comp_targetILNS1_3genE2ELNS1_11target_archE906ELNS1_3gpuE6ELNS1_3repE0EEENS1_30default_config_static_selectorELNS0_4arch9wavefront6targetE1EEEvT1_
	.p2align	8
	.type	_ZN7rocprim17ROCPRIM_400000_NS6detail17trampoline_kernelINS0_14default_configENS1_35adjacent_difference_config_selectorILb0EjEEZNS1_24adjacent_difference_implIS3_Lb0ELb0EPKjPjN6thrust23THRUST_200600_302600_NS4plusIjEEEE10hipError_tPvRmT2_T3_mT4_P12ihipStream_tbEUlT_E_NS1_11comp_targetILNS1_3genE2ELNS1_11target_archE906ELNS1_3gpuE6ELNS1_3repE0EEENS1_30default_config_static_selectorELNS0_4arch9wavefront6targetE1EEEvT1_,@function
_ZN7rocprim17ROCPRIM_400000_NS6detail17trampoline_kernelINS0_14default_configENS1_35adjacent_difference_config_selectorILb0EjEEZNS1_24adjacent_difference_implIS3_Lb0ELb0EPKjPjN6thrust23THRUST_200600_302600_NS4plusIjEEEE10hipError_tPvRmT2_T3_mT4_P12ihipStream_tbEUlT_E_NS1_11comp_targetILNS1_3genE2ELNS1_11target_archE906ELNS1_3gpuE6ELNS1_3repE0EEENS1_30default_config_static_selectorELNS0_4arch9wavefront6targetE1EEEvT1_: ; @_ZN7rocprim17ROCPRIM_400000_NS6detail17trampoline_kernelINS0_14default_configENS1_35adjacent_difference_config_selectorILb0EjEEZNS1_24adjacent_difference_implIS3_Lb0ELb0EPKjPjN6thrust23THRUST_200600_302600_NS4plusIjEEEE10hipError_tPvRmT2_T3_mT4_P12ihipStream_tbEUlT_E_NS1_11comp_targetILNS1_3genE2ELNS1_11target_archE906ELNS1_3gpuE6ELNS1_3repE0EEENS1_30default_config_static_selectorELNS0_4arch9wavefront6targetE1EEEvT1_
; %bb.0:
	s_load_dwordx8 s[8:15], s[4:5], 0x0
	s_load_dwordx2 s[0:1], s[4:5], 0x30
	s_mul_i32 s16, s6, 0x1400
	s_mov_b32 s17, 0
	s_waitcnt lgkmcnt(0)
	s_lshl_b64 s[18:19], s[10:11], 2
	s_add_u32 s20, s8, s18
	s_addc_u32 s21, s9, s19
	s_mul_i32 s5, s15, 0xcccccccd
	s_mul_hi_u32 s7, s14, 0xcccccccd
	s_mul_hi_u32 s4, s15, 0xcccccccd
	s_add_u32 s5, s5, s7
	s_mul_i32 s3, s14, 0xcccccccc
	s_addc_u32 s4, s4, 0
	s_mul_hi_u32 s2, s14, 0xcccccccc
	s_add_u32 s3, s3, s5
	s_addc_u32 s2, s2, 0
	s_add_u32 s2, s4, s2
	s_addc_u32 s3, 0, 0
	s_mul_i32 s5, s15, 0xcccccccc
	s_mul_hi_u32 s4, s15, 0xcccccccc
	s_add_u32 s2, s5, s2
	s_addc_u32 s3, s4, s3
	s_lshr_b64 s[4:5], s[2:3], 12
	s_lshr_b32 s2, s3, 12
	s_mulk_i32 s2, 0x1400
	s_mul_hi_u32 s3, s4, 0x1400
	s_add_i32 s3, s3, s2
	s_mul_i32 s2, s4, 0x1400
	s_sub_u32 s2, s14, s2
	s_subb_u32 s3, s15, s3
	s_cmp_lg_u64 s[2:3], 0
	s_cselect_b64 s[2:3], -1, 0
	v_cndmask_b32_e64 v1, 0, 1, s[2:3]
	v_readfirstlane_b32 s2, v1
	s_add_u32 s2, s4, s2
	s_addc_u32 s3, s5, 0
	s_add_u32 s4, s0, s6
	s_addc_u32 s5, s1, 0
	s_add_u32 s6, s2, -1
	s_addc_u32 s7, s3, -1
	v_mov_b32_e32 v1, s6
	v_mov_b32_e32 v2, s7
	v_cmp_ge_u64_e64 s[0:1], s[4:5], v[1:2]
	s_mov_b64 s[8:9], -1
	s_and_b64 vcc, exec, s[0:1]
	s_mul_i32 s15, s6, 0xffffec00
	s_cbranch_vccz .LBB653_12
; %bb.1:
	s_add_i32 s22, s15, s14
	s_lshl_b64 s[8:9], s[16:17], 2
	s_add_u32 s8, s20, s8
	v_mov_b32_e32 v1, 0
	s_addc_u32 s9, s21, s9
	v_cmp_gt_u32_e32 vcc, s22, v0
	v_mov_b32_e32 v2, v1
	v_mov_b32_e32 v3, v1
	;; [unrolled: 1-line block ×4, first 2 shown]
	s_and_saveexec_b64 s[10:11], vcc
	s_cbranch_execz .LBB653_3
; %bb.2:
	v_lshlrev_b32_e32 v2, 2, v0
	global_load_dword v2, v2, s[8:9]
	v_mov_b32_e32 v3, v1
	v_mov_b32_e32 v4, v1
	;; [unrolled: 1-line block ×4, first 2 shown]
	s_waitcnt vmcnt(0)
	v_mov_b32_e32 v1, v2
	v_mov_b32_e32 v2, v3
	;; [unrolled: 1-line block ×5, first 2 shown]
.LBB653_3:
	s_or_b64 exec, exec, s[10:11]
	v_or_b32_e32 v6, 0x400, v0
	v_cmp_gt_u32_e32 vcc, s22, v6
	s_and_saveexec_b64 s[10:11], vcc
	s_cbranch_execz .LBB653_5
; %bb.4:
	v_lshlrev_b32_e32 v2, 2, v6
	global_load_dword v2, v2, s[8:9]
.LBB653_5:
	s_or_b64 exec, exec, s[10:11]
	v_or_b32_e32 v6, 0x800, v0
	v_cmp_gt_u32_e32 vcc, s22, v6
	s_and_saveexec_b64 s[10:11], vcc
	s_cbranch_execz .LBB653_7
; %bb.6:
	v_lshlrev_b32_e32 v3, 2, v6
	global_load_dword v3, v3, s[8:9]
.LBB653_7:
	;; [unrolled: 9-line block ×4, first 2 shown]
	s_or_b64 exec, exec, s[10:11]
	v_lshlrev_b32_e32 v6, 2, v0
	s_mov_b64 s[8:9], 0
	s_waitcnt vmcnt(0)
	ds_write2st64_b32 v6, v1, v2 offset1:16
	ds_write2st64_b32 v6, v3, v4 offset0:32 offset1:48
	ds_write_b32 v6, v5 offset:16384
	s_waitcnt lgkmcnt(0)
	s_barrier
.LBB653_12:
	s_and_b64 vcc, exec, s[8:9]
	v_lshlrev_b32_e32 v8, 2, v0
	s_cbranch_vccz .LBB653_14
; %bb.13:
	s_lshl_b64 s[8:9], s[16:17], 2
	s_add_u32 s8, s20, s8
	s_addc_u32 s9, s21, s9
	v_mov_b32_e32 v1, s9
	v_add_co_u32_e32 v7, vcc, s8, v8
	v_addc_co_u32_e32 v10, vcc, 0, v1, vcc
	v_add_co_u32_e32 v1, vcc, 0x1000, v7
	v_addc_co_u32_e32 v2, vcc, 0, v10, vcc
	v_add_co_u32_e32 v3, vcc, 0x2000, v7
	v_addc_co_u32_e32 v4, vcc, 0, v10, vcc
	v_add_co_u32_e32 v5, vcc, 0x3000, v7
	v_addc_co_u32_e32 v6, vcc, 0, v10, vcc
	v_add_co_u32_e32 v9, vcc, 0x4000, v7
	v_addc_co_u32_e32 v10, vcc, 0, v10, vcc
	global_load_dword v7, v8, s[8:9]
	global_load_dword v11, v[1:2], off
	global_load_dword v12, v[3:4], off
	;; [unrolled: 1-line block ×4, first 2 shown]
	s_waitcnt vmcnt(3)
	ds_write2st64_b32 v8, v7, v11 offset1:16
	s_waitcnt vmcnt(1)
	ds_write2st64_b32 v8, v12, v13 offset0:32 offset1:48
	s_waitcnt vmcnt(0)
	ds_write_b32 v8, v14 offset:16384
	s_waitcnt lgkmcnt(0)
	s_barrier
.LBB653_14:
	v_mul_u32_u24_e32 v9, 20, v0
	ds_read2_b32 v[1:2], v9 offset1:1
	ds_read2_b32 v[3:4], v9 offset0:2 offset1:3
	ds_read_b32 v5, v9 offset:16
	s_cmp_eq_u64 s[4:5], 0
	s_waitcnt lgkmcnt(0)
	s_barrier
	s_cbranch_scc1 .LBB653_19
; %bb.15:
	s_lshl_b64 s[8:9], s[16:17], 2
	s_add_u32 s8, s20, s8
	s_addc_u32 s9, s21, s9
	s_add_u32 s8, s8, -4
	s_addc_u32 s9, s9, -1
	s_load_dword s8, s[8:9], 0x0
	s_cmp_eq_u64 s[4:5], s[6:7]
	s_cbranch_scc1 .LBB653_20
; %bb.16:
	v_cmp_ne_u32_e32 vcc, 0, v0
	s_waitcnt lgkmcnt(0)
	v_mov_b32_e32 v6, s8
	ds_write_b32 v8, v5
	s_waitcnt lgkmcnt(0)
	s_barrier
	s_and_saveexec_b64 s[6:7], vcc
; %bb.17:
	v_add_u32_e32 v6, -4, v8
	ds_read_b32 v6, v6
; %bb.18:
	s_or_b64 exec, exec, s[6:7]
	v_add_u32_e32 v10, v5, v4
	v_add_u32_e32 v11, v4, v3
	;; [unrolled: 1-line block ×4, first 2 shown]
	s_cbranch_execz .LBB653_21
	s_branch .LBB653_24
.LBB653_19:
	s_mov_b64 s[20:21], 0
                                        ; implicit-def: $vgpr6
                                        ; implicit-def: $vgpr10
                                        ; implicit-def: $vgpr11
                                        ; implicit-def: $vgpr12
                                        ; implicit-def: $vgpr13
	s_branch .LBB653_25
.LBB653_20:
                                        ; implicit-def: $vgpr10
                                        ; implicit-def: $vgpr11
                                        ; implicit-def: $vgpr12
                                        ; implicit-def: $vgpr13
                                        ; implicit-def: $vgpr6
.LBB653_21:
	s_waitcnt lgkmcnt(0)
	v_mul_u32_u24_e32 v6, 5, v0
	v_cmp_ne_u32_e32 vcc, 0, v0
	v_mov_b32_e32 v7, s8
	ds_write_b32 v8, v5
	s_waitcnt lgkmcnt(0)
	s_barrier
	s_and_saveexec_b64 s[6:7], vcc
; %bb.22:
	v_add_u32_e32 v7, -4, v8
	ds_read_b32 v7, v7
; %bb.23:
	s_or_b64 exec, exec, s[6:7]
	s_mulk_i32 s4, 0xec00
	s_add_i32 s4, s4, s14
	v_add_u32_e32 v10, 4, v6
	v_add_u32_e32 v11, v5, v4
	v_cmp_gt_u32_e32 vcc, s4, v10
	v_cndmask_b32_e32 v10, v5, v11, vcc
	v_add_u32_e32 v11, 3, v6
	v_add_u32_e32 v12, v4, v3
	v_cmp_gt_u32_e32 vcc, s4, v11
	v_cndmask_b32_e32 v11, v4, v12, vcc
	;; [unrolled: 4-line block ×4, first 2 shown]
	v_cmp_gt_u32_e32 vcc, s4, v6
	s_waitcnt lgkmcnt(0)
	v_cndmask_b32_e32 v6, 0, v7, vcc
.LBB653_24:
	s_mov_b64 s[20:21], -1
	s_cbranch_execnz .LBB653_33
.LBB653_25:
	s_cmp_lg_u64 s[2:3], 1
	v_add_u32_e32 v10, v5, v4
	v_add_u32_e32 v11, v4, v3
	;; [unrolled: 1-line block ×4, first 2 shown]
	v_cmp_ne_u32_e32 vcc, 0, v0
	s_cbranch_scc0 .LBB653_29
; %bb.26:
	ds_write_b32 v8, v5
	s_waitcnt lgkmcnt(0)
	s_barrier
                                        ; implicit-def: $vgpr6
	s_and_saveexec_b64 s[2:3], vcc
; %bb.27:
	v_add_u32_e32 v6, -4, v8
	ds_read_b32 v6, v6
	s_or_b64 s[20:21], s[20:21], exec
; %bb.28:
	s_or_b64 exec, exec, s[2:3]
	s_branch .LBB653_33
.LBB653_29:
                                        ; implicit-def: $vgpr6
	s_cbranch_execz .LBB653_33
; %bb.30:
	v_mad_u32_u24 v7, v0, 5, 4
	v_cmp_gt_u32_e32 vcc, s14, v7
	v_mad_u32_u24 v7, v0, 5, 3
	s_waitcnt lgkmcnt(0)
	v_mul_u32_u24_e32 v6, 5, v0
	v_cmp_gt_u32_e64 s[2:3], s14, v7
	v_mad_u32_u24 v7, v0, 5, 2
	v_cmp_gt_u32_e64 s[4:5], s14, v7
	v_mad_u32_u24 v7, v0, 5, 1
	v_cmp_ne_u32_e64 s[8:9], 0, v0
	v_cmp_gt_u32_e64 s[10:11], s14, v6
	v_cmp_gt_u32_e64 s[6:7], s14, v7
	s_and_b64 s[10:11], s[8:9], s[10:11]
	ds_write_b32 v8, v5
	s_waitcnt lgkmcnt(0)
	s_barrier
                                        ; implicit-def: $vgpr6
	s_and_saveexec_b64 s[8:9], s[10:11]
; %bb.31:
	v_add_u32_e32 v6, -4, v8
	ds_read_b32 v6, v6
	s_or_b64 s[20:21], s[20:21], exec
; %bb.32:
	s_or_b64 exec, exec, s[8:9]
	v_cndmask_b32_e32 v10, v5, v10, vcc
	v_cndmask_b32_e64 v11, v4, v11, s[2:3]
	v_cndmask_b32_e64 v12, v3, v12, s[4:5]
	;; [unrolled: 1-line block ×3, first 2 shown]
.LBB653_33:
	s_and_saveexec_b64 s[2:3], s[20:21]
	s_cbranch_execz .LBB653_35
; %bb.34:
	s_waitcnt lgkmcnt(0)
	v_add_u32_e32 v1, v6, v1
.LBB653_35:
	s_or_b64 exec, exec, s[2:3]
	s_add_u32 s4, s12, s18
	s_addc_u32 s5, s13, s19
	s_and_b64 vcc, exec, s[0:1]
	v_lshlrev_b32_e32 v14, 4, v0
	s_waitcnt lgkmcnt(0)
	s_barrier
	s_cbranch_vccz .LBB653_45
; %bb.36:
	s_add_i32 s15, s15, s14
	s_lshl_b64 s[0:1], s[16:17], 2
	v_sub_u32_e32 v2, v9, v14
	s_add_u32 s0, s4, s0
	ds_write2_b32 v9, v1, v13 offset1:1
	ds_write2_b32 v9, v12, v11 offset0:2 offset1:3
	ds_write_b32 v9, v10 offset:16
	s_waitcnt lgkmcnt(0)
	s_barrier
	ds_read2st64_b32 v[6:7], v2 offset0:16 offset1:32
	ds_read2st64_b32 v[2:3], v2 offset0:48 offset1:64
	s_addc_u32 s1, s5, s1
	v_mov_b32_e32 v5, s1
	v_add_co_u32_e32 v4, vcc, s0, v8
	v_addc_co_u32_e32 v5, vcc, 0, v5, vcc
	v_cmp_gt_u32_e32 vcc, s15, v0
	s_and_saveexec_b64 s[0:1], vcc
	s_cbranch_execz .LBB653_38
; %bb.37:
	v_sub_u32_e32 v15, 0, v14
	v_add_u32_e32 v15, v9, v15
	ds_read_b32 v15, v15
	s_waitcnt lgkmcnt(0)
	global_store_dword v[4:5], v15, off
.LBB653_38:
	s_or_b64 exec, exec, s[0:1]
	v_or_b32_e32 v15, 0x400, v0
	v_cmp_gt_u32_e32 vcc, s15, v15
	s_and_saveexec_b64 s[0:1], vcc
	s_cbranch_execz .LBB653_40
; %bb.39:
	v_add_co_u32_e32 v15, vcc, 0x1000, v4
	v_addc_co_u32_e32 v16, vcc, 0, v5, vcc
	s_waitcnt lgkmcnt(1)
	global_store_dword v[15:16], v6, off
.LBB653_40:
	s_or_b64 exec, exec, s[0:1]
	s_waitcnt lgkmcnt(1)
	v_or_b32_e32 v6, 0x800, v0
	v_cmp_gt_u32_e32 vcc, s15, v6
	s_and_saveexec_b64 s[0:1], vcc
	s_cbranch_execz .LBB653_42
; %bb.41:
	v_add_co_u32_e32 v15, vcc, 0x2000, v4
	v_addc_co_u32_e32 v16, vcc, 0, v5, vcc
	global_store_dword v[15:16], v7, off
.LBB653_42:
	s_or_b64 exec, exec, s[0:1]
	v_or_b32_e32 v6, 0xc00, v0
	v_cmp_gt_u32_e32 vcc, s15, v6
	s_and_saveexec_b64 s[0:1], vcc
	s_cbranch_execz .LBB653_44
; %bb.43:
	v_add_co_u32_e32 v6, vcc, 0x3000, v4
	v_addc_co_u32_e32 v7, vcc, 0, v5, vcc
	s_waitcnt lgkmcnt(0)
	global_store_dword v[6:7], v2, off
.LBB653_44:
	s_or_b64 exec, exec, s[0:1]
	v_or_b32_e32 v0, 0x1000, v0
	v_cmp_gt_u32_e64 s[0:1], s15, v0
	s_branch .LBB653_47
.LBB653_45:
	s_mov_b64 s[0:1], 0
                                        ; implicit-def: $vgpr3
                                        ; implicit-def: $vgpr4_vgpr5
	s_cbranch_execz .LBB653_47
; %bb.46:
	s_lshl_b64 s[2:3], s[16:17], 2
	s_waitcnt lgkmcnt(0)
	v_sub_u32_e32 v2, v9, v14
	s_add_u32 s2, s4, s2
	ds_write2_b32 v9, v1, v13 offset1:1
	ds_write2_b32 v9, v12, v11 offset0:2 offset1:3
	ds_write_b32 v9, v10 offset:16
	s_waitcnt vmcnt(0) lgkmcnt(0)
	s_barrier
	ds_read2st64_b32 v[0:1], v2 offset1:16
	ds_read2st64_b32 v[6:7], v2 offset0:32 offset1:48
	ds_read_b32 v3, v2 offset:16384
	s_addc_u32 s3, s5, s3
	v_mov_b32_e32 v2, s3
	v_add_co_u32_e32 v4, vcc, s2, v8
	v_addc_co_u32_e32 v5, vcc, 0, v2, vcc
	s_waitcnt lgkmcnt(2)
	global_store_dword v8, v0, s[2:3]
	s_movk_i32 s2, 0x1000
	v_add_co_u32_e32 v8, vcc, s2, v4
	v_addc_co_u32_e32 v9, vcc, 0, v5, vcc
	v_add_co_u32_e32 v0, vcc, 0x2000, v4
	global_store_dword v[8:9], v1, off
	v_addc_co_u32_e32 v1, vcc, 0, v5, vcc
	s_waitcnt lgkmcnt(1)
	global_store_dword v[0:1], v6, off
	v_add_co_u32_e32 v0, vcc, 0x3000, v4
	v_addc_co_u32_e32 v1, vcc, 0, v5, vcc
	s_or_b64 s[0:1], s[0:1], exec
	global_store_dword v[0:1], v7, off
.LBB653_47:
	s_and_saveexec_b64 s[2:3], s[0:1]
	s_cbranch_execnz .LBB653_49
; %bb.48:
	s_endpgm
.LBB653_49:
	v_add_co_u32_e32 v0, vcc, 0x4000, v4
	v_addc_co_u32_e32 v1, vcc, 0, v5, vcc
	s_waitcnt lgkmcnt(0)
	global_store_dword v[0:1], v3, off
	s_endpgm
	.section	.rodata,"a",@progbits
	.p2align	6, 0x0
	.amdhsa_kernel _ZN7rocprim17ROCPRIM_400000_NS6detail17trampoline_kernelINS0_14default_configENS1_35adjacent_difference_config_selectorILb0EjEEZNS1_24adjacent_difference_implIS3_Lb0ELb0EPKjPjN6thrust23THRUST_200600_302600_NS4plusIjEEEE10hipError_tPvRmT2_T3_mT4_P12ihipStream_tbEUlT_E_NS1_11comp_targetILNS1_3genE2ELNS1_11target_archE906ELNS1_3gpuE6ELNS1_3repE0EEENS1_30default_config_static_selectorELNS0_4arch9wavefront6targetE1EEEvT1_
		.amdhsa_group_segment_fixed_size 20480
		.amdhsa_private_segment_fixed_size 0
		.amdhsa_kernarg_size 56
		.amdhsa_user_sgpr_count 6
		.amdhsa_user_sgpr_private_segment_buffer 1
		.amdhsa_user_sgpr_dispatch_ptr 0
		.amdhsa_user_sgpr_queue_ptr 0
		.amdhsa_user_sgpr_kernarg_segment_ptr 1
		.amdhsa_user_sgpr_dispatch_id 0
		.amdhsa_user_sgpr_flat_scratch_init 0
		.amdhsa_user_sgpr_private_segment_size 0
		.amdhsa_uses_dynamic_stack 0
		.amdhsa_system_sgpr_private_segment_wavefront_offset 0
		.amdhsa_system_sgpr_workgroup_id_x 1
		.amdhsa_system_sgpr_workgroup_id_y 0
		.amdhsa_system_sgpr_workgroup_id_z 0
		.amdhsa_system_sgpr_workgroup_info 0
		.amdhsa_system_vgpr_workitem_id 0
		.amdhsa_next_free_vgpr 29
		.amdhsa_next_free_sgpr 61
		.amdhsa_reserve_vcc 1
		.amdhsa_reserve_flat_scratch 0
		.amdhsa_float_round_mode_32 0
		.amdhsa_float_round_mode_16_64 0
		.amdhsa_float_denorm_mode_32 3
		.amdhsa_float_denorm_mode_16_64 3
		.amdhsa_dx10_clamp 1
		.amdhsa_ieee_mode 1
		.amdhsa_fp16_overflow 0
		.amdhsa_exception_fp_ieee_invalid_op 0
		.amdhsa_exception_fp_denorm_src 0
		.amdhsa_exception_fp_ieee_div_zero 0
		.amdhsa_exception_fp_ieee_overflow 0
		.amdhsa_exception_fp_ieee_underflow 0
		.amdhsa_exception_fp_ieee_inexact 0
		.amdhsa_exception_int_div_zero 0
	.end_amdhsa_kernel
	.section	.text._ZN7rocprim17ROCPRIM_400000_NS6detail17trampoline_kernelINS0_14default_configENS1_35adjacent_difference_config_selectorILb0EjEEZNS1_24adjacent_difference_implIS3_Lb0ELb0EPKjPjN6thrust23THRUST_200600_302600_NS4plusIjEEEE10hipError_tPvRmT2_T3_mT4_P12ihipStream_tbEUlT_E_NS1_11comp_targetILNS1_3genE2ELNS1_11target_archE906ELNS1_3gpuE6ELNS1_3repE0EEENS1_30default_config_static_selectorELNS0_4arch9wavefront6targetE1EEEvT1_,"axG",@progbits,_ZN7rocprim17ROCPRIM_400000_NS6detail17trampoline_kernelINS0_14default_configENS1_35adjacent_difference_config_selectorILb0EjEEZNS1_24adjacent_difference_implIS3_Lb0ELb0EPKjPjN6thrust23THRUST_200600_302600_NS4plusIjEEEE10hipError_tPvRmT2_T3_mT4_P12ihipStream_tbEUlT_E_NS1_11comp_targetILNS1_3genE2ELNS1_11target_archE906ELNS1_3gpuE6ELNS1_3repE0EEENS1_30default_config_static_selectorELNS0_4arch9wavefront6targetE1EEEvT1_,comdat
.Lfunc_end653:
	.size	_ZN7rocprim17ROCPRIM_400000_NS6detail17trampoline_kernelINS0_14default_configENS1_35adjacent_difference_config_selectorILb0EjEEZNS1_24adjacent_difference_implIS3_Lb0ELb0EPKjPjN6thrust23THRUST_200600_302600_NS4plusIjEEEE10hipError_tPvRmT2_T3_mT4_P12ihipStream_tbEUlT_E_NS1_11comp_targetILNS1_3genE2ELNS1_11target_archE906ELNS1_3gpuE6ELNS1_3repE0EEENS1_30default_config_static_selectorELNS0_4arch9wavefront6targetE1EEEvT1_, .Lfunc_end653-_ZN7rocprim17ROCPRIM_400000_NS6detail17trampoline_kernelINS0_14default_configENS1_35adjacent_difference_config_selectorILb0EjEEZNS1_24adjacent_difference_implIS3_Lb0ELb0EPKjPjN6thrust23THRUST_200600_302600_NS4plusIjEEEE10hipError_tPvRmT2_T3_mT4_P12ihipStream_tbEUlT_E_NS1_11comp_targetILNS1_3genE2ELNS1_11target_archE906ELNS1_3gpuE6ELNS1_3repE0EEENS1_30default_config_static_selectorELNS0_4arch9wavefront6targetE1EEEvT1_
                                        ; -- End function
	.set _ZN7rocprim17ROCPRIM_400000_NS6detail17trampoline_kernelINS0_14default_configENS1_35adjacent_difference_config_selectorILb0EjEEZNS1_24adjacent_difference_implIS3_Lb0ELb0EPKjPjN6thrust23THRUST_200600_302600_NS4plusIjEEEE10hipError_tPvRmT2_T3_mT4_P12ihipStream_tbEUlT_E_NS1_11comp_targetILNS1_3genE2ELNS1_11target_archE906ELNS1_3gpuE6ELNS1_3repE0EEENS1_30default_config_static_selectorELNS0_4arch9wavefront6targetE1EEEvT1_.num_vgpr, 17
	.set _ZN7rocprim17ROCPRIM_400000_NS6detail17trampoline_kernelINS0_14default_configENS1_35adjacent_difference_config_selectorILb0EjEEZNS1_24adjacent_difference_implIS3_Lb0ELb0EPKjPjN6thrust23THRUST_200600_302600_NS4plusIjEEEE10hipError_tPvRmT2_T3_mT4_P12ihipStream_tbEUlT_E_NS1_11comp_targetILNS1_3genE2ELNS1_11target_archE906ELNS1_3gpuE6ELNS1_3repE0EEENS1_30default_config_static_selectorELNS0_4arch9wavefront6targetE1EEEvT1_.num_agpr, 0
	.set _ZN7rocprim17ROCPRIM_400000_NS6detail17trampoline_kernelINS0_14default_configENS1_35adjacent_difference_config_selectorILb0EjEEZNS1_24adjacent_difference_implIS3_Lb0ELb0EPKjPjN6thrust23THRUST_200600_302600_NS4plusIjEEEE10hipError_tPvRmT2_T3_mT4_P12ihipStream_tbEUlT_E_NS1_11comp_targetILNS1_3genE2ELNS1_11target_archE906ELNS1_3gpuE6ELNS1_3repE0EEENS1_30default_config_static_selectorELNS0_4arch9wavefront6targetE1EEEvT1_.numbered_sgpr, 23
	.set _ZN7rocprim17ROCPRIM_400000_NS6detail17trampoline_kernelINS0_14default_configENS1_35adjacent_difference_config_selectorILb0EjEEZNS1_24adjacent_difference_implIS3_Lb0ELb0EPKjPjN6thrust23THRUST_200600_302600_NS4plusIjEEEE10hipError_tPvRmT2_T3_mT4_P12ihipStream_tbEUlT_E_NS1_11comp_targetILNS1_3genE2ELNS1_11target_archE906ELNS1_3gpuE6ELNS1_3repE0EEENS1_30default_config_static_selectorELNS0_4arch9wavefront6targetE1EEEvT1_.num_named_barrier, 0
	.set _ZN7rocprim17ROCPRIM_400000_NS6detail17trampoline_kernelINS0_14default_configENS1_35adjacent_difference_config_selectorILb0EjEEZNS1_24adjacent_difference_implIS3_Lb0ELb0EPKjPjN6thrust23THRUST_200600_302600_NS4plusIjEEEE10hipError_tPvRmT2_T3_mT4_P12ihipStream_tbEUlT_E_NS1_11comp_targetILNS1_3genE2ELNS1_11target_archE906ELNS1_3gpuE6ELNS1_3repE0EEENS1_30default_config_static_selectorELNS0_4arch9wavefront6targetE1EEEvT1_.private_seg_size, 0
	.set _ZN7rocprim17ROCPRIM_400000_NS6detail17trampoline_kernelINS0_14default_configENS1_35adjacent_difference_config_selectorILb0EjEEZNS1_24adjacent_difference_implIS3_Lb0ELb0EPKjPjN6thrust23THRUST_200600_302600_NS4plusIjEEEE10hipError_tPvRmT2_T3_mT4_P12ihipStream_tbEUlT_E_NS1_11comp_targetILNS1_3genE2ELNS1_11target_archE906ELNS1_3gpuE6ELNS1_3repE0EEENS1_30default_config_static_selectorELNS0_4arch9wavefront6targetE1EEEvT1_.uses_vcc, 1
	.set _ZN7rocprim17ROCPRIM_400000_NS6detail17trampoline_kernelINS0_14default_configENS1_35adjacent_difference_config_selectorILb0EjEEZNS1_24adjacent_difference_implIS3_Lb0ELb0EPKjPjN6thrust23THRUST_200600_302600_NS4plusIjEEEE10hipError_tPvRmT2_T3_mT4_P12ihipStream_tbEUlT_E_NS1_11comp_targetILNS1_3genE2ELNS1_11target_archE906ELNS1_3gpuE6ELNS1_3repE0EEENS1_30default_config_static_selectorELNS0_4arch9wavefront6targetE1EEEvT1_.uses_flat_scratch, 0
	.set _ZN7rocprim17ROCPRIM_400000_NS6detail17trampoline_kernelINS0_14default_configENS1_35adjacent_difference_config_selectorILb0EjEEZNS1_24adjacent_difference_implIS3_Lb0ELb0EPKjPjN6thrust23THRUST_200600_302600_NS4plusIjEEEE10hipError_tPvRmT2_T3_mT4_P12ihipStream_tbEUlT_E_NS1_11comp_targetILNS1_3genE2ELNS1_11target_archE906ELNS1_3gpuE6ELNS1_3repE0EEENS1_30default_config_static_selectorELNS0_4arch9wavefront6targetE1EEEvT1_.has_dyn_sized_stack, 0
	.set _ZN7rocprim17ROCPRIM_400000_NS6detail17trampoline_kernelINS0_14default_configENS1_35adjacent_difference_config_selectorILb0EjEEZNS1_24adjacent_difference_implIS3_Lb0ELb0EPKjPjN6thrust23THRUST_200600_302600_NS4plusIjEEEE10hipError_tPvRmT2_T3_mT4_P12ihipStream_tbEUlT_E_NS1_11comp_targetILNS1_3genE2ELNS1_11target_archE906ELNS1_3gpuE6ELNS1_3repE0EEENS1_30default_config_static_selectorELNS0_4arch9wavefront6targetE1EEEvT1_.has_recursion, 0
	.set _ZN7rocprim17ROCPRIM_400000_NS6detail17trampoline_kernelINS0_14default_configENS1_35adjacent_difference_config_selectorILb0EjEEZNS1_24adjacent_difference_implIS3_Lb0ELb0EPKjPjN6thrust23THRUST_200600_302600_NS4plusIjEEEE10hipError_tPvRmT2_T3_mT4_P12ihipStream_tbEUlT_E_NS1_11comp_targetILNS1_3genE2ELNS1_11target_archE906ELNS1_3gpuE6ELNS1_3repE0EEENS1_30default_config_static_selectorELNS0_4arch9wavefront6targetE1EEEvT1_.has_indirect_call, 0
	.section	.AMDGPU.csdata,"",@progbits
; Kernel info:
; codeLenInByte = 1800
; TotalNumSgprs: 27
; NumVgprs: 17
; ScratchSize: 0
; MemoryBound: 0
; FloatMode: 240
; IeeeMode: 1
; LDSByteSize: 20480 bytes/workgroup (compile time only)
; SGPRBlocks: 8
; VGPRBlocks: 7
; NumSGPRsForWavesPerEU: 65
; NumVGPRsForWavesPerEU: 29
; Occupancy: 8
; WaveLimiterHint : 1
; COMPUTE_PGM_RSRC2:SCRATCH_EN: 0
; COMPUTE_PGM_RSRC2:USER_SGPR: 6
; COMPUTE_PGM_RSRC2:TRAP_HANDLER: 0
; COMPUTE_PGM_RSRC2:TGID_X_EN: 1
; COMPUTE_PGM_RSRC2:TGID_Y_EN: 0
; COMPUTE_PGM_RSRC2:TGID_Z_EN: 0
; COMPUTE_PGM_RSRC2:TIDIG_COMP_CNT: 0
	.section	.text._ZN7rocprim17ROCPRIM_400000_NS6detail17trampoline_kernelINS0_14default_configENS1_35adjacent_difference_config_selectorILb0EjEEZNS1_24adjacent_difference_implIS3_Lb0ELb0EPKjPjN6thrust23THRUST_200600_302600_NS4plusIjEEEE10hipError_tPvRmT2_T3_mT4_P12ihipStream_tbEUlT_E_NS1_11comp_targetILNS1_3genE9ELNS1_11target_archE1100ELNS1_3gpuE3ELNS1_3repE0EEENS1_30default_config_static_selectorELNS0_4arch9wavefront6targetE1EEEvT1_,"axG",@progbits,_ZN7rocprim17ROCPRIM_400000_NS6detail17trampoline_kernelINS0_14default_configENS1_35adjacent_difference_config_selectorILb0EjEEZNS1_24adjacent_difference_implIS3_Lb0ELb0EPKjPjN6thrust23THRUST_200600_302600_NS4plusIjEEEE10hipError_tPvRmT2_T3_mT4_P12ihipStream_tbEUlT_E_NS1_11comp_targetILNS1_3genE9ELNS1_11target_archE1100ELNS1_3gpuE3ELNS1_3repE0EEENS1_30default_config_static_selectorELNS0_4arch9wavefront6targetE1EEEvT1_,comdat
	.protected	_ZN7rocprim17ROCPRIM_400000_NS6detail17trampoline_kernelINS0_14default_configENS1_35adjacent_difference_config_selectorILb0EjEEZNS1_24adjacent_difference_implIS3_Lb0ELb0EPKjPjN6thrust23THRUST_200600_302600_NS4plusIjEEEE10hipError_tPvRmT2_T3_mT4_P12ihipStream_tbEUlT_E_NS1_11comp_targetILNS1_3genE9ELNS1_11target_archE1100ELNS1_3gpuE3ELNS1_3repE0EEENS1_30default_config_static_selectorELNS0_4arch9wavefront6targetE1EEEvT1_ ; -- Begin function _ZN7rocprim17ROCPRIM_400000_NS6detail17trampoline_kernelINS0_14default_configENS1_35adjacent_difference_config_selectorILb0EjEEZNS1_24adjacent_difference_implIS3_Lb0ELb0EPKjPjN6thrust23THRUST_200600_302600_NS4plusIjEEEE10hipError_tPvRmT2_T3_mT4_P12ihipStream_tbEUlT_E_NS1_11comp_targetILNS1_3genE9ELNS1_11target_archE1100ELNS1_3gpuE3ELNS1_3repE0EEENS1_30default_config_static_selectorELNS0_4arch9wavefront6targetE1EEEvT1_
	.globl	_ZN7rocprim17ROCPRIM_400000_NS6detail17trampoline_kernelINS0_14default_configENS1_35adjacent_difference_config_selectorILb0EjEEZNS1_24adjacent_difference_implIS3_Lb0ELb0EPKjPjN6thrust23THRUST_200600_302600_NS4plusIjEEEE10hipError_tPvRmT2_T3_mT4_P12ihipStream_tbEUlT_E_NS1_11comp_targetILNS1_3genE9ELNS1_11target_archE1100ELNS1_3gpuE3ELNS1_3repE0EEENS1_30default_config_static_selectorELNS0_4arch9wavefront6targetE1EEEvT1_
	.p2align	8
	.type	_ZN7rocprim17ROCPRIM_400000_NS6detail17trampoline_kernelINS0_14default_configENS1_35adjacent_difference_config_selectorILb0EjEEZNS1_24adjacent_difference_implIS3_Lb0ELb0EPKjPjN6thrust23THRUST_200600_302600_NS4plusIjEEEE10hipError_tPvRmT2_T3_mT4_P12ihipStream_tbEUlT_E_NS1_11comp_targetILNS1_3genE9ELNS1_11target_archE1100ELNS1_3gpuE3ELNS1_3repE0EEENS1_30default_config_static_selectorELNS0_4arch9wavefront6targetE1EEEvT1_,@function
_ZN7rocprim17ROCPRIM_400000_NS6detail17trampoline_kernelINS0_14default_configENS1_35adjacent_difference_config_selectorILb0EjEEZNS1_24adjacent_difference_implIS3_Lb0ELb0EPKjPjN6thrust23THRUST_200600_302600_NS4plusIjEEEE10hipError_tPvRmT2_T3_mT4_P12ihipStream_tbEUlT_E_NS1_11comp_targetILNS1_3genE9ELNS1_11target_archE1100ELNS1_3gpuE3ELNS1_3repE0EEENS1_30default_config_static_selectorELNS0_4arch9wavefront6targetE1EEEvT1_: ; @_ZN7rocprim17ROCPRIM_400000_NS6detail17trampoline_kernelINS0_14default_configENS1_35adjacent_difference_config_selectorILb0EjEEZNS1_24adjacent_difference_implIS3_Lb0ELb0EPKjPjN6thrust23THRUST_200600_302600_NS4plusIjEEEE10hipError_tPvRmT2_T3_mT4_P12ihipStream_tbEUlT_E_NS1_11comp_targetILNS1_3genE9ELNS1_11target_archE1100ELNS1_3gpuE3ELNS1_3repE0EEENS1_30default_config_static_selectorELNS0_4arch9wavefront6targetE1EEEvT1_
; %bb.0:
	.section	.rodata,"a",@progbits
	.p2align	6, 0x0
	.amdhsa_kernel _ZN7rocprim17ROCPRIM_400000_NS6detail17trampoline_kernelINS0_14default_configENS1_35adjacent_difference_config_selectorILb0EjEEZNS1_24adjacent_difference_implIS3_Lb0ELb0EPKjPjN6thrust23THRUST_200600_302600_NS4plusIjEEEE10hipError_tPvRmT2_T3_mT4_P12ihipStream_tbEUlT_E_NS1_11comp_targetILNS1_3genE9ELNS1_11target_archE1100ELNS1_3gpuE3ELNS1_3repE0EEENS1_30default_config_static_selectorELNS0_4arch9wavefront6targetE1EEEvT1_
		.amdhsa_group_segment_fixed_size 0
		.amdhsa_private_segment_fixed_size 0
		.amdhsa_kernarg_size 56
		.amdhsa_user_sgpr_count 6
		.amdhsa_user_sgpr_private_segment_buffer 1
		.amdhsa_user_sgpr_dispatch_ptr 0
		.amdhsa_user_sgpr_queue_ptr 0
		.amdhsa_user_sgpr_kernarg_segment_ptr 1
		.amdhsa_user_sgpr_dispatch_id 0
		.amdhsa_user_sgpr_flat_scratch_init 0
		.amdhsa_user_sgpr_private_segment_size 0
		.amdhsa_uses_dynamic_stack 0
		.amdhsa_system_sgpr_private_segment_wavefront_offset 0
		.amdhsa_system_sgpr_workgroup_id_x 1
		.amdhsa_system_sgpr_workgroup_id_y 0
		.amdhsa_system_sgpr_workgroup_id_z 0
		.amdhsa_system_sgpr_workgroup_info 0
		.amdhsa_system_vgpr_workitem_id 0
		.amdhsa_next_free_vgpr 1
		.amdhsa_next_free_sgpr 0
		.amdhsa_reserve_vcc 0
		.amdhsa_reserve_flat_scratch 0
		.amdhsa_float_round_mode_32 0
		.amdhsa_float_round_mode_16_64 0
		.amdhsa_float_denorm_mode_32 3
		.amdhsa_float_denorm_mode_16_64 3
		.amdhsa_dx10_clamp 1
		.amdhsa_ieee_mode 1
		.amdhsa_fp16_overflow 0
		.amdhsa_exception_fp_ieee_invalid_op 0
		.amdhsa_exception_fp_denorm_src 0
		.amdhsa_exception_fp_ieee_div_zero 0
		.amdhsa_exception_fp_ieee_overflow 0
		.amdhsa_exception_fp_ieee_underflow 0
		.amdhsa_exception_fp_ieee_inexact 0
		.amdhsa_exception_int_div_zero 0
	.end_amdhsa_kernel
	.section	.text._ZN7rocprim17ROCPRIM_400000_NS6detail17trampoline_kernelINS0_14default_configENS1_35adjacent_difference_config_selectorILb0EjEEZNS1_24adjacent_difference_implIS3_Lb0ELb0EPKjPjN6thrust23THRUST_200600_302600_NS4plusIjEEEE10hipError_tPvRmT2_T3_mT4_P12ihipStream_tbEUlT_E_NS1_11comp_targetILNS1_3genE9ELNS1_11target_archE1100ELNS1_3gpuE3ELNS1_3repE0EEENS1_30default_config_static_selectorELNS0_4arch9wavefront6targetE1EEEvT1_,"axG",@progbits,_ZN7rocprim17ROCPRIM_400000_NS6detail17trampoline_kernelINS0_14default_configENS1_35adjacent_difference_config_selectorILb0EjEEZNS1_24adjacent_difference_implIS3_Lb0ELb0EPKjPjN6thrust23THRUST_200600_302600_NS4plusIjEEEE10hipError_tPvRmT2_T3_mT4_P12ihipStream_tbEUlT_E_NS1_11comp_targetILNS1_3genE9ELNS1_11target_archE1100ELNS1_3gpuE3ELNS1_3repE0EEENS1_30default_config_static_selectorELNS0_4arch9wavefront6targetE1EEEvT1_,comdat
.Lfunc_end654:
	.size	_ZN7rocprim17ROCPRIM_400000_NS6detail17trampoline_kernelINS0_14default_configENS1_35adjacent_difference_config_selectorILb0EjEEZNS1_24adjacent_difference_implIS3_Lb0ELb0EPKjPjN6thrust23THRUST_200600_302600_NS4plusIjEEEE10hipError_tPvRmT2_T3_mT4_P12ihipStream_tbEUlT_E_NS1_11comp_targetILNS1_3genE9ELNS1_11target_archE1100ELNS1_3gpuE3ELNS1_3repE0EEENS1_30default_config_static_selectorELNS0_4arch9wavefront6targetE1EEEvT1_, .Lfunc_end654-_ZN7rocprim17ROCPRIM_400000_NS6detail17trampoline_kernelINS0_14default_configENS1_35adjacent_difference_config_selectorILb0EjEEZNS1_24adjacent_difference_implIS3_Lb0ELb0EPKjPjN6thrust23THRUST_200600_302600_NS4plusIjEEEE10hipError_tPvRmT2_T3_mT4_P12ihipStream_tbEUlT_E_NS1_11comp_targetILNS1_3genE9ELNS1_11target_archE1100ELNS1_3gpuE3ELNS1_3repE0EEENS1_30default_config_static_selectorELNS0_4arch9wavefront6targetE1EEEvT1_
                                        ; -- End function
	.set _ZN7rocprim17ROCPRIM_400000_NS6detail17trampoline_kernelINS0_14default_configENS1_35adjacent_difference_config_selectorILb0EjEEZNS1_24adjacent_difference_implIS3_Lb0ELb0EPKjPjN6thrust23THRUST_200600_302600_NS4plusIjEEEE10hipError_tPvRmT2_T3_mT4_P12ihipStream_tbEUlT_E_NS1_11comp_targetILNS1_3genE9ELNS1_11target_archE1100ELNS1_3gpuE3ELNS1_3repE0EEENS1_30default_config_static_selectorELNS0_4arch9wavefront6targetE1EEEvT1_.num_vgpr, 0
	.set _ZN7rocprim17ROCPRIM_400000_NS6detail17trampoline_kernelINS0_14default_configENS1_35adjacent_difference_config_selectorILb0EjEEZNS1_24adjacent_difference_implIS3_Lb0ELb0EPKjPjN6thrust23THRUST_200600_302600_NS4plusIjEEEE10hipError_tPvRmT2_T3_mT4_P12ihipStream_tbEUlT_E_NS1_11comp_targetILNS1_3genE9ELNS1_11target_archE1100ELNS1_3gpuE3ELNS1_3repE0EEENS1_30default_config_static_selectorELNS0_4arch9wavefront6targetE1EEEvT1_.num_agpr, 0
	.set _ZN7rocprim17ROCPRIM_400000_NS6detail17trampoline_kernelINS0_14default_configENS1_35adjacent_difference_config_selectorILb0EjEEZNS1_24adjacent_difference_implIS3_Lb0ELb0EPKjPjN6thrust23THRUST_200600_302600_NS4plusIjEEEE10hipError_tPvRmT2_T3_mT4_P12ihipStream_tbEUlT_E_NS1_11comp_targetILNS1_3genE9ELNS1_11target_archE1100ELNS1_3gpuE3ELNS1_3repE0EEENS1_30default_config_static_selectorELNS0_4arch9wavefront6targetE1EEEvT1_.numbered_sgpr, 0
	.set _ZN7rocprim17ROCPRIM_400000_NS6detail17trampoline_kernelINS0_14default_configENS1_35adjacent_difference_config_selectorILb0EjEEZNS1_24adjacent_difference_implIS3_Lb0ELb0EPKjPjN6thrust23THRUST_200600_302600_NS4plusIjEEEE10hipError_tPvRmT2_T3_mT4_P12ihipStream_tbEUlT_E_NS1_11comp_targetILNS1_3genE9ELNS1_11target_archE1100ELNS1_3gpuE3ELNS1_3repE0EEENS1_30default_config_static_selectorELNS0_4arch9wavefront6targetE1EEEvT1_.num_named_barrier, 0
	.set _ZN7rocprim17ROCPRIM_400000_NS6detail17trampoline_kernelINS0_14default_configENS1_35adjacent_difference_config_selectorILb0EjEEZNS1_24adjacent_difference_implIS3_Lb0ELb0EPKjPjN6thrust23THRUST_200600_302600_NS4plusIjEEEE10hipError_tPvRmT2_T3_mT4_P12ihipStream_tbEUlT_E_NS1_11comp_targetILNS1_3genE9ELNS1_11target_archE1100ELNS1_3gpuE3ELNS1_3repE0EEENS1_30default_config_static_selectorELNS0_4arch9wavefront6targetE1EEEvT1_.private_seg_size, 0
	.set _ZN7rocprim17ROCPRIM_400000_NS6detail17trampoline_kernelINS0_14default_configENS1_35adjacent_difference_config_selectorILb0EjEEZNS1_24adjacent_difference_implIS3_Lb0ELb0EPKjPjN6thrust23THRUST_200600_302600_NS4plusIjEEEE10hipError_tPvRmT2_T3_mT4_P12ihipStream_tbEUlT_E_NS1_11comp_targetILNS1_3genE9ELNS1_11target_archE1100ELNS1_3gpuE3ELNS1_3repE0EEENS1_30default_config_static_selectorELNS0_4arch9wavefront6targetE1EEEvT1_.uses_vcc, 0
	.set _ZN7rocprim17ROCPRIM_400000_NS6detail17trampoline_kernelINS0_14default_configENS1_35adjacent_difference_config_selectorILb0EjEEZNS1_24adjacent_difference_implIS3_Lb0ELb0EPKjPjN6thrust23THRUST_200600_302600_NS4plusIjEEEE10hipError_tPvRmT2_T3_mT4_P12ihipStream_tbEUlT_E_NS1_11comp_targetILNS1_3genE9ELNS1_11target_archE1100ELNS1_3gpuE3ELNS1_3repE0EEENS1_30default_config_static_selectorELNS0_4arch9wavefront6targetE1EEEvT1_.uses_flat_scratch, 0
	.set _ZN7rocprim17ROCPRIM_400000_NS6detail17trampoline_kernelINS0_14default_configENS1_35adjacent_difference_config_selectorILb0EjEEZNS1_24adjacent_difference_implIS3_Lb0ELb0EPKjPjN6thrust23THRUST_200600_302600_NS4plusIjEEEE10hipError_tPvRmT2_T3_mT4_P12ihipStream_tbEUlT_E_NS1_11comp_targetILNS1_3genE9ELNS1_11target_archE1100ELNS1_3gpuE3ELNS1_3repE0EEENS1_30default_config_static_selectorELNS0_4arch9wavefront6targetE1EEEvT1_.has_dyn_sized_stack, 0
	.set _ZN7rocprim17ROCPRIM_400000_NS6detail17trampoline_kernelINS0_14default_configENS1_35adjacent_difference_config_selectorILb0EjEEZNS1_24adjacent_difference_implIS3_Lb0ELb0EPKjPjN6thrust23THRUST_200600_302600_NS4plusIjEEEE10hipError_tPvRmT2_T3_mT4_P12ihipStream_tbEUlT_E_NS1_11comp_targetILNS1_3genE9ELNS1_11target_archE1100ELNS1_3gpuE3ELNS1_3repE0EEENS1_30default_config_static_selectorELNS0_4arch9wavefront6targetE1EEEvT1_.has_recursion, 0
	.set _ZN7rocprim17ROCPRIM_400000_NS6detail17trampoline_kernelINS0_14default_configENS1_35adjacent_difference_config_selectorILb0EjEEZNS1_24adjacent_difference_implIS3_Lb0ELb0EPKjPjN6thrust23THRUST_200600_302600_NS4plusIjEEEE10hipError_tPvRmT2_T3_mT4_P12ihipStream_tbEUlT_E_NS1_11comp_targetILNS1_3genE9ELNS1_11target_archE1100ELNS1_3gpuE3ELNS1_3repE0EEENS1_30default_config_static_selectorELNS0_4arch9wavefront6targetE1EEEvT1_.has_indirect_call, 0
	.section	.AMDGPU.csdata,"",@progbits
; Kernel info:
; codeLenInByte = 0
; TotalNumSgprs: 4
; NumVgprs: 0
; ScratchSize: 0
; MemoryBound: 0
; FloatMode: 240
; IeeeMode: 1
; LDSByteSize: 0 bytes/workgroup (compile time only)
; SGPRBlocks: 0
; VGPRBlocks: 0
; NumSGPRsForWavesPerEU: 4
; NumVGPRsForWavesPerEU: 1
; Occupancy: 10
; WaveLimiterHint : 0
; COMPUTE_PGM_RSRC2:SCRATCH_EN: 0
; COMPUTE_PGM_RSRC2:USER_SGPR: 6
; COMPUTE_PGM_RSRC2:TRAP_HANDLER: 0
; COMPUTE_PGM_RSRC2:TGID_X_EN: 1
; COMPUTE_PGM_RSRC2:TGID_Y_EN: 0
; COMPUTE_PGM_RSRC2:TGID_Z_EN: 0
; COMPUTE_PGM_RSRC2:TIDIG_COMP_CNT: 0
	.section	.text._ZN7rocprim17ROCPRIM_400000_NS6detail17trampoline_kernelINS0_14default_configENS1_35adjacent_difference_config_selectorILb0EjEEZNS1_24adjacent_difference_implIS3_Lb0ELb0EPKjPjN6thrust23THRUST_200600_302600_NS4plusIjEEEE10hipError_tPvRmT2_T3_mT4_P12ihipStream_tbEUlT_E_NS1_11comp_targetILNS1_3genE8ELNS1_11target_archE1030ELNS1_3gpuE2ELNS1_3repE0EEENS1_30default_config_static_selectorELNS0_4arch9wavefront6targetE1EEEvT1_,"axG",@progbits,_ZN7rocprim17ROCPRIM_400000_NS6detail17trampoline_kernelINS0_14default_configENS1_35adjacent_difference_config_selectorILb0EjEEZNS1_24adjacent_difference_implIS3_Lb0ELb0EPKjPjN6thrust23THRUST_200600_302600_NS4plusIjEEEE10hipError_tPvRmT2_T3_mT4_P12ihipStream_tbEUlT_E_NS1_11comp_targetILNS1_3genE8ELNS1_11target_archE1030ELNS1_3gpuE2ELNS1_3repE0EEENS1_30default_config_static_selectorELNS0_4arch9wavefront6targetE1EEEvT1_,comdat
	.protected	_ZN7rocprim17ROCPRIM_400000_NS6detail17trampoline_kernelINS0_14default_configENS1_35adjacent_difference_config_selectorILb0EjEEZNS1_24adjacent_difference_implIS3_Lb0ELb0EPKjPjN6thrust23THRUST_200600_302600_NS4plusIjEEEE10hipError_tPvRmT2_T3_mT4_P12ihipStream_tbEUlT_E_NS1_11comp_targetILNS1_3genE8ELNS1_11target_archE1030ELNS1_3gpuE2ELNS1_3repE0EEENS1_30default_config_static_selectorELNS0_4arch9wavefront6targetE1EEEvT1_ ; -- Begin function _ZN7rocprim17ROCPRIM_400000_NS6detail17trampoline_kernelINS0_14default_configENS1_35adjacent_difference_config_selectorILb0EjEEZNS1_24adjacent_difference_implIS3_Lb0ELb0EPKjPjN6thrust23THRUST_200600_302600_NS4plusIjEEEE10hipError_tPvRmT2_T3_mT4_P12ihipStream_tbEUlT_E_NS1_11comp_targetILNS1_3genE8ELNS1_11target_archE1030ELNS1_3gpuE2ELNS1_3repE0EEENS1_30default_config_static_selectorELNS0_4arch9wavefront6targetE1EEEvT1_
	.globl	_ZN7rocprim17ROCPRIM_400000_NS6detail17trampoline_kernelINS0_14default_configENS1_35adjacent_difference_config_selectorILb0EjEEZNS1_24adjacent_difference_implIS3_Lb0ELb0EPKjPjN6thrust23THRUST_200600_302600_NS4plusIjEEEE10hipError_tPvRmT2_T3_mT4_P12ihipStream_tbEUlT_E_NS1_11comp_targetILNS1_3genE8ELNS1_11target_archE1030ELNS1_3gpuE2ELNS1_3repE0EEENS1_30default_config_static_selectorELNS0_4arch9wavefront6targetE1EEEvT1_
	.p2align	8
	.type	_ZN7rocprim17ROCPRIM_400000_NS6detail17trampoline_kernelINS0_14default_configENS1_35adjacent_difference_config_selectorILb0EjEEZNS1_24adjacent_difference_implIS3_Lb0ELb0EPKjPjN6thrust23THRUST_200600_302600_NS4plusIjEEEE10hipError_tPvRmT2_T3_mT4_P12ihipStream_tbEUlT_E_NS1_11comp_targetILNS1_3genE8ELNS1_11target_archE1030ELNS1_3gpuE2ELNS1_3repE0EEENS1_30default_config_static_selectorELNS0_4arch9wavefront6targetE1EEEvT1_,@function
_ZN7rocprim17ROCPRIM_400000_NS6detail17trampoline_kernelINS0_14default_configENS1_35adjacent_difference_config_selectorILb0EjEEZNS1_24adjacent_difference_implIS3_Lb0ELb0EPKjPjN6thrust23THRUST_200600_302600_NS4plusIjEEEE10hipError_tPvRmT2_T3_mT4_P12ihipStream_tbEUlT_E_NS1_11comp_targetILNS1_3genE8ELNS1_11target_archE1030ELNS1_3gpuE2ELNS1_3repE0EEENS1_30default_config_static_selectorELNS0_4arch9wavefront6targetE1EEEvT1_: ; @_ZN7rocprim17ROCPRIM_400000_NS6detail17trampoline_kernelINS0_14default_configENS1_35adjacent_difference_config_selectorILb0EjEEZNS1_24adjacent_difference_implIS3_Lb0ELb0EPKjPjN6thrust23THRUST_200600_302600_NS4plusIjEEEE10hipError_tPvRmT2_T3_mT4_P12ihipStream_tbEUlT_E_NS1_11comp_targetILNS1_3genE8ELNS1_11target_archE1030ELNS1_3gpuE2ELNS1_3repE0EEENS1_30default_config_static_selectorELNS0_4arch9wavefront6targetE1EEEvT1_
; %bb.0:
	.section	.rodata,"a",@progbits
	.p2align	6, 0x0
	.amdhsa_kernel _ZN7rocprim17ROCPRIM_400000_NS6detail17trampoline_kernelINS0_14default_configENS1_35adjacent_difference_config_selectorILb0EjEEZNS1_24adjacent_difference_implIS3_Lb0ELb0EPKjPjN6thrust23THRUST_200600_302600_NS4plusIjEEEE10hipError_tPvRmT2_T3_mT4_P12ihipStream_tbEUlT_E_NS1_11comp_targetILNS1_3genE8ELNS1_11target_archE1030ELNS1_3gpuE2ELNS1_3repE0EEENS1_30default_config_static_selectorELNS0_4arch9wavefront6targetE1EEEvT1_
		.amdhsa_group_segment_fixed_size 0
		.amdhsa_private_segment_fixed_size 0
		.amdhsa_kernarg_size 56
		.amdhsa_user_sgpr_count 6
		.amdhsa_user_sgpr_private_segment_buffer 1
		.amdhsa_user_sgpr_dispatch_ptr 0
		.amdhsa_user_sgpr_queue_ptr 0
		.amdhsa_user_sgpr_kernarg_segment_ptr 1
		.amdhsa_user_sgpr_dispatch_id 0
		.amdhsa_user_sgpr_flat_scratch_init 0
		.amdhsa_user_sgpr_private_segment_size 0
		.amdhsa_uses_dynamic_stack 0
		.amdhsa_system_sgpr_private_segment_wavefront_offset 0
		.amdhsa_system_sgpr_workgroup_id_x 1
		.amdhsa_system_sgpr_workgroup_id_y 0
		.amdhsa_system_sgpr_workgroup_id_z 0
		.amdhsa_system_sgpr_workgroup_info 0
		.amdhsa_system_vgpr_workitem_id 0
		.amdhsa_next_free_vgpr 1
		.amdhsa_next_free_sgpr 0
		.amdhsa_reserve_vcc 0
		.amdhsa_reserve_flat_scratch 0
		.amdhsa_float_round_mode_32 0
		.amdhsa_float_round_mode_16_64 0
		.amdhsa_float_denorm_mode_32 3
		.amdhsa_float_denorm_mode_16_64 3
		.amdhsa_dx10_clamp 1
		.amdhsa_ieee_mode 1
		.amdhsa_fp16_overflow 0
		.amdhsa_exception_fp_ieee_invalid_op 0
		.amdhsa_exception_fp_denorm_src 0
		.amdhsa_exception_fp_ieee_div_zero 0
		.amdhsa_exception_fp_ieee_overflow 0
		.amdhsa_exception_fp_ieee_underflow 0
		.amdhsa_exception_fp_ieee_inexact 0
		.amdhsa_exception_int_div_zero 0
	.end_amdhsa_kernel
	.section	.text._ZN7rocprim17ROCPRIM_400000_NS6detail17trampoline_kernelINS0_14default_configENS1_35adjacent_difference_config_selectorILb0EjEEZNS1_24adjacent_difference_implIS3_Lb0ELb0EPKjPjN6thrust23THRUST_200600_302600_NS4plusIjEEEE10hipError_tPvRmT2_T3_mT4_P12ihipStream_tbEUlT_E_NS1_11comp_targetILNS1_3genE8ELNS1_11target_archE1030ELNS1_3gpuE2ELNS1_3repE0EEENS1_30default_config_static_selectorELNS0_4arch9wavefront6targetE1EEEvT1_,"axG",@progbits,_ZN7rocprim17ROCPRIM_400000_NS6detail17trampoline_kernelINS0_14default_configENS1_35adjacent_difference_config_selectorILb0EjEEZNS1_24adjacent_difference_implIS3_Lb0ELb0EPKjPjN6thrust23THRUST_200600_302600_NS4plusIjEEEE10hipError_tPvRmT2_T3_mT4_P12ihipStream_tbEUlT_E_NS1_11comp_targetILNS1_3genE8ELNS1_11target_archE1030ELNS1_3gpuE2ELNS1_3repE0EEENS1_30default_config_static_selectorELNS0_4arch9wavefront6targetE1EEEvT1_,comdat
.Lfunc_end655:
	.size	_ZN7rocprim17ROCPRIM_400000_NS6detail17trampoline_kernelINS0_14default_configENS1_35adjacent_difference_config_selectorILb0EjEEZNS1_24adjacent_difference_implIS3_Lb0ELb0EPKjPjN6thrust23THRUST_200600_302600_NS4plusIjEEEE10hipError_tPvRmT2_T3_mT4_P12ihipStream_tbEUlT_E_NS1_11comp_targetILNS1_3genE8ELNS1_11target_archE1030ELNS1_3gpuE2ELNS1_3repE0EEENS1_30default_config_static_selectorELNS0_4arch9wavefront6targetE1EEEvT1_, .Lfunc_end655-_ZN7rocprim17ROCPRIM_400000_NS6detail17trampoline_kernelINS0_14default_configENS1_35adjacent_difference_config_selectorILb0EjEEZNS1_24adjacent_difference_implIS3_Lb0ELb0EPKjPjN6thrust23THRUST_200600_302600_NS4plusIjEEEE10hipError_tPvRmT2_T3_mT4_P12ihipStream_tbEUlT_E_NS1_11comp_targetILNS1_3genE8ELNS1_11target_archE1030ELNS1_3gpuE2ELNS1_3repE0EEENS1_30default_config_static_selectorELNS0_4arch9wavefront6targetE1EEEvT1_
                                        ; -- End function
	.set _ZN7rocprim17ROCPRIM_400000_NS6detail17trampoline_kernelINS0_14default_configENS1_35adjacent_difference_config_selectorILb0EjEEZNS1_24adjacent_difference_implIS3_Lb0ELb0EPKjPjN6thrust23THRUST_200600_302600_NS4plusIjEEEE10hipError_tPvRmT2_T3_mT4_P12ihipStream_tbEUlT_E_NS1_11comp_targetILNS1_3genE8ELNS1_11target_archE1030ELNS1_3gpuE2ELNS1_3repE0EEENS1_30default_config_static_selectorELNS0_4arch9wavefront6targetE1EEEvT1_.num_vgpr, 0
	.set _ZN7rocprim17ROCPRIM_400000_NS6detail17trampoline_kernelINS0_14default_configENS1_35adjacent_difference_config_selectorILb0EjEEZNS1_24adjacent_difference_implIS3_Lb0ELb0EPKjPjN6thrust23THRUST_200600_302600_NS4plusIjEEEE10hipError_tPvRmT2_T3_mT4_P12ihipStream_tbEUlT_E_NS1_11comp_targetILNS1_3genE8ELNS1_11target_archE1030ELNS1_3gpuE2ELNS1_3repE0EEENS1_30default_config_static_selectorELNS0_4arch9wavefront6targetE1EEEvT1_.num_agpr, 0
	.set _ZN7rocprim17ROCPRIM_400000_NS6detail17trampoline_kernelINS0_14default_configENS1_35adjacent_difference_config_selectorILb0EjEEZNS1_24adjacent_difference_implIS3_Lb0ELb0EPKjPjN6thrust23THRUST_200600_302600_NS4plusIjEEEE10hipError_tPvRmT2_T3_mT4_P12ihipStream_tbEUlT_E_NS1_11comp_targetILNS1_3genE8ELNS1_11target_archE1030ELNS1_3gpuE2ELNS1_3repE0EEENS1_30default_config_static_selectorELNS0_4arch9wavefront6targetE1EEEvT1_.numbered_sgpr, 0
	.set _ZN7rocprim17ROCPRIM_400000_NS6detail17trampoline_kernelINS0_14default_configENS1_35adjacent_difference_config_selectorILb0EjEEZNS1_24adjacent_difference_implIS3_Lb0ELb0EPKjPjN6thrust23THRUST_200600_302600_NS4plusIjEEEE10hipError_tPvRmT2_T3_mT4_P12ihipStream_tbEUlT_E_NS1_11comp_targetILNS1_3genE8ELNS1_11target_archE1030ELNS1_3gpuE2ELNS1_3repE0EEENS1_30default_config_static_selectorELNS0_4arch9wavefront6targetE1EEEvT1_.num_named_barrier, 0
	.set _ZN7rocprim17ROCPRIM_400000_NS6detail17trampoline_kernelINS0_14default_configENS1_35adjacent_difference_config_selectorILb0EjEEZNS1_24adjacent_difference_implIS3_Lb0ELb0EPKjPjN6thrust23THRUST_200600_302600_NS4plusIjEEEE10hipError_tPvRmT2_T3_mT4_P12ihipStream_tbEUlT_E_NS1_11comp_targetILNS1_3genE8ELNS1_11target_archE1030ELNS1_3gpuE2ELNS1_3repE0EEENS1_30default_config_static_selectorELNS0_4arch9wavefront6targetE1EEEvT1_.private_seg_size, 0
	.set _ZN7rocprim17ROCPRIM_400000_NS6detail17trampoline_kernelINS0_14default_configENS1_35adjacent_difference_config_selectorILb0EjEEZNS1_24adjacent_difference_implIS3_Lb0ELb0EPKjPjN6thrust23THRUST_200600_302600_NS4plusIjEEEE10hipError_tPvRmT2_T3_mT4_P12ihipStream_tbEUlT_E_NS1_11comp_targetILNS1_3genE8ELNS1_11target_archE1030ELNS1_3gpuE2ELNS1_3repE0EEENS1_30default_config_static_selectorELNS0_4arch9wavefront6targetE1EEEvT1_.uses_vcc, 0
	.set _ZN7rocprim17ROCPRIM_400000_NS6detail17trampoline_kernelINS0_14default_configENS1_35adjacent_difference_config_selectorILb0EjEEZNS1_24adjacent_difference_implIS3_Lb0ELb0EPKjPjN6thrust23THRUST_200600_302600_NS4plusIjEEEE10hipError_tPvRmT2_T3_mT4_P12ihipStream_tbEUlT_E_NS1_11comp_targetILNS1_3genE8ELNS1_11target_archE1030ELNS1_3gpuE2ELNS1_3repE0EEENS1_30default_config_static_selectorELNS0_4arch9wavefront6targetE1EEEvT1_.uses_flat_scratch, 0
	.set _ZN7rocprim17ROCPRIM_400000_NS6detail17trampoline_kernelINS0_14default_configENS1_35adjacent_difference_config_selectorILb0EjEEZNS1_24adjacent_difference_implIS3_Lb0ELb0EPKjPjN6thrust23THRUST_200600_302600_NS4plusIjEEEE10hipError_tPvRmT2_T3_mT4_P12ihipStream_tbEUlT_E_NS1_11comp_targetILNS1_3genE8ELNS1_11target_archE1030ELNS1_3gpuE2ELNS1_3repE0EEENS1_30default_config_static_selectorELNS0_4arch9wavefront6targetE1EEEvT1_.has_dyn_sized_stack, 0
	.set _ZN7rocprim17ROCPRIM_400000_NS6detail17trampoline_kernelINS0_14default_configENS1_35adjacent_difference_config_selectorILb0EjEEZNS1_24adjacent_difference_implIS3_Lb0ELb0EPKjPjN6thrust23THRUST_200600_302600_NS4plusIjEEEE10hipError_tPvRmT2_T3_mT4_P12ihipStream_tbEUlT_E_NS1_11comp_targetILNS1_3genE8ELNS1_11target_archE1030ELNS1_3gpuE2ELNS1_3repE0EEENS1_30default_config_static_selectorELNS0_4arch9wavefront6targetE1EEEvT1_.has_recursion, 0
	.set _ZN7rocprim17ROCPRIM_400000_NS6detail17trampoline_kernelINS0_14default_configENS1_35adjacent_difference_config_selectorILb0EjEEZNS1_24adjacent_difference_implIS3_Lb0ELb0EPKjPjN6thrust23THRUST_200600_302600_NS4plusIjEEEE10hipError_tPvRmT2_T3_mT4_P12ihipStream_tbEUlT_E_NS1_11comp_targetILNS1_3genE8ELNS1_11target_archE1030ELNS1_3gpuE2ELNS1_3repE0EEENS1_30default_config_static_selectorELNS0_4arch9wavefront6targetE1EEEvT1_.has_indirect_call, 0
	.section	.AMDGPU.csdata,"",@progbits
; Kernel info:
; codeLenInByte = 0
; TotalNumSgprs: 4
; NumVgprs: 0
; ScratchSize: 0
; MemoryBound: 0
; FloatMode: 240
; IeeeMode: 1
; LDSByteSize: 0 bytes/workgroup (compile time only)
; SGPRBlocks: 0
; VGPRBlocks: 0
; NumSGPRsForWavesPerEU: 4
; NumVGPRsForWavesPerEU: 1
; Occupancy: 10
; WaveLimiterHint : 0
; COMPUTE_PGM_RSRC2:SCRATCH_EN: 0
; COMPUTE_PGM_RSRC2:USER_SGPR: 6
; COMPUTE_PGM_RSRC2:TRAP_HANDLER: 0
; COMPUTE_PGM_RSRC2:TGID_X_EN: 1
; COMPUTE_PGM_RSRC2:TGID_Y_EN: 0
; COMPUTE_PGM_RSRC2:TGID_Z_EN: 0
; COMPUTE_PGM_RSRC2:TIDIG_COMP_CNT: 0
	.section	.text._ZN7rocprim17ROCPRIM_400000_NS6detail17trampoline_kernelINS0_14default_configENS1_25transform_config_selectorIjLb0EEEZNS1_14transform_implILb0ES3_S5_NS0_18transform_iteratorINS0_17counting_iteratorImlEEZNS1_24adjacent_difference_implIS3_Lb1ELb0EPKjPjN6thrust23THRUST_200600_302600_NS4plusIjEEEE10hipError_tPvRmT2_T3_mT4_P12ihipStream_tbEUlmE_jEESD_NS0_8identityIvEEEESI_SL_SM_mSN_SP_bEUlT_E_NS1_11comp_targetILNS1_3genE0ELNS1_11target_archE4294967295ELNS1_3gpuE0ELNS1_3repE0EEENS1_30default_config_static_selectorELNS0_4arch9wavefront6targetE1EEEvT1_,"axG",@progbits,_ZN7rocprim17ROCPRIM_400000_NS6detail17trampoline_kernelINS0_14default_configENS1_25transform_config_selectorIjLb0EEEZNS1_14transform_implILb0ES3_S5_NS0_18transform_iteratorINS0_17counting_iteratorImlEEZNS1_24adjacent_difference_implIS3_Lb1ELb0EPKjPjN6thrust23THRUST_200600_302600_NS4plusIjEEEE10hipError_tPvRmT2_T3_mT4_P12ihipStream_tbEUlmE_jEESD_NS0_8identityIvEEEESI_SL_SM_mSN_SP_bEUlT_E_NS1_11comp_targetILNS1_3genE0ELNS1_11target_archE4294967295ELNS1_3gpuE0ELNS1_3repE0EEENS1_30default_config_static_selectorELNS0_4arch9wavefront6targetE1EEEvT1_,comdat
	.protected	_ZN7rocprim17ROCPRIM_400000_NS6detail17trampoline_kernelINS0_14default_configENS1_25transform_config_selectorIjLb0EEEZNS1_14transform_implILb0ES3_S5_NS0_18transform_iteratorINS0_17counting_iteratorImlEEZNS1_24adjacent_difference_implIS3_Lb1ELb0EPKjPjN6thrust23THRUST_200600_302600_NS4plusIjEEEE10hipError_tPvRmT2_T3_mT4_P12ihipStream_tbEUlmE_jEESD_NS0_8identityIvEEEESI_SL_SM_mSN_SP_bEUlT_E_NS1_11comp_targetILNS1_3genE0ELNS1_11target_archE4294967295ELNS1_3gpuE0ELNS1_3repE0EEENS1_30default_config_static_selectorELNS0_4arch9wavefront6targetE1EEEvT1_ ; -- Begin function _ZN7rocprim17ROCPRIM_400000_NS6detail17trampoline_kernelINS0_14default_configENS1_25transform_config_selectorIjLb0EEEZNS1_14transform_implILb0ES3_S5_NS0_18transform_iteratorINS0_17counting_iteratorImlEEZNS1_24adjacent_difference_implIS3_Lb1ELb0EPKjPjN6thrust23THRUST_200600_302600_NS4plusIjEEEE10hipError_tPvRmT2_T3_mT4_P12ihipStream_tbEUlmE_jEESD_NS0_8identityIvEEEESI_SL_SM_mSN_SP_bEUlT_E_NS1_11comp_targetILNS1_3genE0ELNS1_11target_archE4294967295ELNS1_3gpuE0ELNS1_3repE0EEENS1_30default_config_static_selectorELNS0_4arch9wavefront6targetE1EEEvT1_
	.globl	_ZN7rocprim17ROCPRIM_400000_NS6detail17trampoline_kernelINS0_14default_configENS1_25transform_config_selectorIjLb0EEEZNS1_14transform_implILb0ES3_S5_NS0_18transform_iteratorINS0_17counting_iteratorImlEEZNS1_24adjacent_difference_implIS3_Lb1ELb0EPKjPjN6thrust23THRUST_200600_302600_NS4plusIjEEEE10hipError_tPvRmT2_T3_mT4_P12ihipStream_tbEUlmE_jEESD_NS0_8identityIvEEEESI_SL_SM_mSN_SP_bEUlT_E_NS1_11comp_targetILNS1_3genE0ELNS1_11target_archE4294967295ELNS1_3gpuE0ELNS1_3repE0EEENS1_30default_config_static_selectorELNS0_4arch9wavefront6targetE1EEEvT1_
	.p2align	8
	.type	_ZN7rocprim17ROCPRIM_400000_NS6detail17trampoline_kernelINS0_14default_configENS1_25transform_config_selectorIjLb0EEEZNS1_14transform_implILb0ES3_S5_NS0_18transform_iteratorINS0_17counting_iteratorImlEEZNS1_24adjacent_difference_implIS3_Lb1ELb0EPKjPjN6thrust23THRUST_200600_302600_NS4plusIjEEEE10hipError_tPvRmT2_T3_mT4_P12ihipStream_tbEUlmE_jEESD_NS0_8identityIvEEEESI_SL_SM_mSN_SP_bEUlT_E_NS1_11comp_targetILNS1_3genE0ELNS1_11target_archE4294967295ELNS1_3gpuE0ELNS1_3repE0EEENS1_30default_config_static_selectorELNS0_4arch9wavefront6targetE1EEEvT1_,@function
_ZN7rocprim17ROCPRIM_400000_NS6detail17trampoline_kernelINS0_14default_configENS1_25transform_config_selectorIjLb0EEEZNS1_14transform_implILb0ES3_S5_NS0_18transform_iteratorINS0_17counting_iteratorImlEEZNS1_24adjacent_difference_implIS3_Lb1ELb0EPKjPjN6thrust23THRUST_200600_302600_NS4plusIjEEEE10hipError_tPvRmT2_T3_mT4_P12ihipStream_tbEUlmE_jEESD_NS0_8identityIvEEEESI_SL_SM_mSN_SP_bEUlT_E_NS1_11comp_targetILNS1_3genE0ELNS1_11target_archE4294967295ELNS1_3gpuE0ELNS1_3repE0EEENS1_30default_config_static_selectorELNS0_4arch9wavefront6targetE1EEEvT1_: ; @_ZN7rocprim17ROCPRIM_400000_NS6detail17trampoline_kernelINS0_14default_configENS1_25transform_config_selectorIjLb0EEEZNS1_14transform_implILb0ES3_S5_NS0_18transform_iteratorINS0_17counting_iteratorImlEEZNS1_24adjacent_difference_implIS3_Lb1ELb0EPKjPjN6thrust23THRUST_200600_302600_NS4plusIjEEEE10hipError_tPvRmT2_T3_mT4_P12ihipStream_tbEUlmE_jEESD_NS0_8identityIvEEEESI_SL_SM_mSN_SP_bEUlT_E_NS1_11comp_targetILNS1_3genE0ELNS1_11target_archE4294967295ELNS1_3gpuE0ELNS1_3repE0EEENS1_30default_config_static_selectorELNS0_4arch9wavefront6targetE1EEEvT1_
; %bb.0:
	.section	.rodata,"a",@progbits
	.p2align	6, 0x0
	.amdhsa_kernel _ZN7rocprim17ROCPRIM_400000_NS6detail17trampoline_kernelINS0_14default_configENS1_25transform_config_selectorIjLb0EEEZNS1_14transform_implILb0ES3_S5_NS0_18transform_iteratorINS0_17counting_iteratorImlEEZNS1_24adjacent_difference_implIS3_Lb1ELb0EPKjPjN6thrust23THRUST_200600_302600_NS4plusIjEEEE10hipError_tPvRmT2_T3_mT4_P12ihipStream_tbEUlmE_jEESD_NS0_8identityIvEEEESI_SL_SM_mSN_SP_bEUlT_E_NS1_11comp_targetILNS1_3genE0ELNS1_11target_archE4294967295ELNS1_3gpuE0ELNS1_3repE0EEENS1_30default_config_static_selectorELNS0_4arch9wavefront6targetE1EEEvT1_
		.amdhsa_group_segment_fixed_size 0
		.amdhsa_private_segment_fixed_size 0
		.amdhsa_kernarg_size 56
		.amdhsa_user_sgpr_count 6
		.amdhsa_user_sgpr_private_segment_buffer 1
		.amdhsa_user_sgpr_dispatch_ptr 0
		.amdhsa_user_sgpr_queue_ptr 0
		.amdhsa_user_sgpr_kernarg_segment_ptr 1
		.amdhsa_user_sgpr_dispatch_id 0
		.amdhsa_user_sgpr_flat_scratch_init 0
		.amdhsa_user_sgpr_private_segment_size 0
		.amdhsa_uses_dynamic_stack 0
		.amdhsa_system_sgpr_private_segment_wavefront_offset 0
		.amdhsa_system_sgpr_workgroup_id_x 1
		.amdhsa_system_sgpr_workgroup_id_y 0
		.amdhsa_system_sgpr_workgroup_id_z 0
		.amdhsa_system_sgpr_workgroup_info 0
		.amdhsa_system_vgpr_workitem_id 0
		.amdhsa_next_free_vgpr 1
		.amdhsa_next_free_sgpr 0
		.amdhsa_reserve_vcc 0
		.amdhsa_reserve_flat_scratch 0
		.amdhsa_float_round_mode_32 0
		.amdhsa_float_round_mode_16_64 0
		.amdhsa_float_denorm_mode_32 3
		.amdhsa_float_denorm_mode_16_64 3
		.amdhsa_dx10_clamp 1
		.amdhsa_ieee_mode 1
		.amdhsa_fp16_overflow 0
		.amdhsa_exception_fp_ieee_invalid_op 0
		.amdhsa_exception_fp_denorm_src 0
		.amdhsa_exception_fp_ieee_div_zero 0
		.amdhsa_exception_fp_ieee_overflow 0
		.amdhsa_exception_fp_ieee_underflow 0
		.amdhsa_exception_fp_ieee_inexact 0
		.amdhsa_exception_int_div_zero 0
	.end_amdhsa_kernel
	.section	.text._ZN7rocprim17ROCPRIM_400000_NS6detail17trampoline_kernelINS0_14default_configENS1_25transform_config_selectorIjLb0EEEZNS1_14transform_implILb0ES3_S5_NS0_18transform_iteratorINS0_17counting_iteratorImlEEZNS1_24adjacent_difference_implIS3_Lb1ELb0EPKjPjN6thrust23THRUST_200600_302600_NS4plusIjEEEE10hipError_tPvRmT2_T3_mT4_P12ihipStream_tbEUlmE_jEESD_NS0_8identityIvEEEESI_SL_SM_mSN_SP_bEUlT_E_NS1_11comp_targetILNS1_3genE0ELNS1_11target_archE4294967295ELNS1_3gpuE0ELNS1_3repE0EEENS1_30default_config_static_selectorELNS0_4arch9wavefront6targetE1EEEvT1_,"axG",@progbits,_ZN7rocprim17ROCPRIM_400000_NS6detail17trampoline_kernelINS0_14default_configENS1_25transform_config_selectorIjLb0EEEZNS1_14transform_implILb0ES3_S5_NS0_18transform_iteratorINS0_17counting_iteratorImlEEZNS1_24adjacent_difference_implIS3_Lb1ELb0EPKjPjN6thrust23THRUST_200600_302600_NS4plusIjEEEE10hipError_tPvRmT2_T3_mT4_P12ihipStream_tbEUlmE_jEESD_NS0_8identityIvEEEESI_SL_SM_mSN_SP_bEUlT_E_NS1_11comp_targetILNS1_3genE0ELNS1_11target_archE4294967295ELNS1_3gpuE0ELNS1_3repE0EEENS1_30default_config_static_selectorELNS0_4arch9wavefront6targetE1EEEvT1_,comdat
.Lfunc_end656:
	.size	_ZN7rocprim17ROCPRIM_400000_NS6detail17trampoline_kernelINS0_14default_configENS1_25transform_config_selectorIjLb0EEEZNS1_14transform_implILb0ES3_S5_NS0_18transform_iteratorINS0_17counting_iteratorImlEEZNS1_24adjacent_difference_implIS3_Lb1ELb0EPKjPjN6thrust23THRUST_200600_302600_NS4plusIjEEEE10hipError_tPvRmT2_T3_mT4_P12ihipStream_tbEUlmE_jEESD_NS0_8identityIvEEEESI_SL_SM_mSN_SP_bEUlT_E_NS1_11comp_targetILNS1_3genE0ELNS1_11target_archE4294967295ELNS1_3gpuE0ELNS1_3repE0EEENS1_30default_config_static_selectorELNS0_4arch9wavefront6targetE1EEEvT1_, .Lfunc_end656-_ZN7rocprim17ROCPRIM_400000_NS6detail17trampoline_kernelINS0_14default_configENS1_25transform_config_selectorIjLb0EEEZNS1_14transform_implILb0ES3_S5_NS0_18transform_iteratorINS0_17counting_iteratorImlEEZNS1_24adjacent_difference_implIS3_Lb1ELb0EPKjPjN6thrust23THRUST_200600_302600_NS4plusIjEEEE10hipError_tPvRmT2_T3_mT4_P12ihipStream_tbEUlmE_jEESD_NS0_8identityIvEEEESI_SL_SM_mSN_SP_bEUlT_E_NS1_11comp_targetILNS1_3genE0ELNS1_11target_archE4294967295ELNS1_3gpuE0ELNS1_3repE0EEENS1_30default_config_static_selectorELNS0_4arch9wavefront6targetE1EEEvT1_
                                        ; -- End function
	.set _ZN7rocprim17ROCPRIM_400000_NS6detail17trampoline_kernelINS0_14default_configENS1_25transform_config_selectorIjLb0EEEZNS1_14transform_implILb0ES3_S5_NS0_18transform_iteratorINS0_17counting_iteratorImlEEZNS1_24adjacent_difference_implIS3_Lb1ELb0EPKjPjN6thrust23THRUST_200600_302600_NS4plusIjEEEE10hipError_tPvRmT2_T3_mT4_P12ihipStream_tbEUlmE_jEESD_NS0_8identityIvEEEESI_SL_SM_mSN_SP_bEUlT_E_NS1_11comp_targetILNS1_3genE0ELNS1_11target_archE4294967295ELNS1_3gpuE0ELNS1_3repE0EEENS1_30default_config_static_selectorELNS0_4arch9wavefront6targetE1EEEvT1_.num_vgpr, 0
	.set _ZN7rocprim17ROCPRIM_400000_NS6detail17trampoline_kernelINS0_14default_configENS1_25transform_config_selectorIjLb0EEEZNS1_14transform_implILb0ES3_S5_NS0_18transform_iteratorINS0_17counting_iteratorImlEEZNS1_24adjacent_difference_implIS3_Lb1ELb0EPKjPjN6thrust23THRUST_200600_302600_NS4plusIjEEEE10hipError_tPvRmT2_T3_mT4_P12ihipStream_tbEUlmE_jEESD_NS0_8identityIvEEEESI_SL_SM_mSN_SP_bEUlT_E_NS1_11comp_targetILNS1_3genE0ELNS1_11target_archE4294967295ELNS1_3gpuE0ELNS1_3repE0EEENS1_30default_config_static_selectorELNS0_4arch9wavefront6targetE1EEEvT1_.num_agpr, 0
	.set _ZN7rocprim17ROCPRIM_400000_NS6detail17trampoline_kernelINS0_14default_configENS1_25transform_config_selectorIjLb0EEEZNS1_14transform_implILb0ES3_S5_NS0_18transform_iteratorINS0_17counting_iteratorImlEEZNS1_24adjacent_difference_implIS3_Lb1ELb0EPKjPjN6thrust23THRUST_200600_302600_NS4plusIjEEEE10hipError_tPvRmT2_T3_mT4_P12ihipStream_tbEUlmE_jEESD_NS0_8identityIvEEEESI_SL_SM_mSN_SP_bEUlT_E_NS1_11comp_targetILNS1_3genE0ELNS1_11target_archE4294967295ELNS1_3gpuE0ELNS1_3repE0EEENS1_30default_config_static_selectorELNS0_4arch9wavefront6targetE1EEEvT1_.numbered_sgpr, 0
	.set _ZN7rocprim17ROCPRIM_400000_NS6detail17trampoline_kernelINS0_14default_configENS1_25transform_config_selectorIjLb0EEEZNS1_14transform_implILb0ES3_S5_NS0_18transform_iteratorINS0_17counting_iteratorImlEEZNS1_24adjacent_difference_implIS3_Lb1ELb0EPKjPjN6thrust23THRUST_200600_302600_NS4plusIjEEEE10hipError_tPvRmT2_T3_mT4_P12ihipStream_tbEUlmE_jEESD_NS0_8identityIvEEEESI_SL_SM_mSN_SP_bEUlT_E_NS1_11comp_targetILNS1_3genE0ELNS1_11target_archE4294967295ELNS1_3gpuE0ELNS1_3repE0EEENS1_30default_config_static_selectorELNS0_4arch9wavefront6targetE1EEEvT1_.num_named_barrier, 0
	.set _ZN7rocprim17ROCPRIM_400000_NS6detail17trampoline_kernelINS0_14default_configENS1_25transform_config_selectorIjLb0EEEZNS1_14transform_implILb0ES3_S5_NS0_18transform_iteratorINS0_17counting_iteratorImlEEZNS1_24adjacent_difference_implIS3_Lb1ELb0EPKjPjN6thrust23THRUST_200600_302600_NS4plusIjEEEE10hipError_tPvRmT2_T3_mT4_P12ihipStream_tbEUlmE_jEESD_NS0_8identityIvEEEESI_SL_SM_mSN_SP_bEUlT_E_NS1_11comp_targetILNS1_3genE0ELNS1_11target_archE4294967295ELNS1_3gpuE0ELNS1_3repE0EEENS1_30default_config_static_selectorELNS0_4arch9wavefront6targetE1EEEvT1_.private_seg_size, 0
	.set _ZN7rocprim17ROCPRIM_400000_NS6detail17trampoline_kernelINS0_14default_configENS1_25transform_config_selectorIjLb0EEEZNS1_14transform_implILb0ES3_S5_NS0_18transform_iteratorINS0_17counting_iteratorImlEEZNS1_24adjacent_difference_implIS3_Lb1ELb0EPKjPjN6thrust23THRUST_200600_302600_NS4plusIjEEEE10hipError_tPvRmT2_T3_mT4_P12ihipStream_tbEUlmE_jEESD_NS0_8identityIvEEEESI_SL_SM_mSN_SP_bEUlT_E_NS1_11comp_targetILNS1_3genE0ELNS1_11target_archE4294967295ELNS1_3gpuE0ELNS1_3repE0EEENS1_30default_config_static_selectorELNS0_4arch9wavefront6targetE1EEEvT1_.uses_vcc, 0
	.set _ZN7rocprim17ROCPRIM_400000_NS6detail17trampoline_kernelINS0_14default_configENS1_25transform_config_selectorIjLb0EEEZNS1_14transform_implILb0ES3_S5_NS0_18transform_iteratorINS0_17counting_iteratorImlEEZNS1_24adjacent_difference_implIS3_Lb1ELb0EPKjPjN6thrust23THRUST_200600_302600_NS4plusIjEEEE10hipError_tPvRmT2_T3_mT4_P12ihipStream_tbEUlmE_jEESD_NS0_8identityIvEEEESI_SL_SM_mSN_SP_bEUlT_E_NS1_11comp_targetILNS1_3genE0ELNS1_11target_archE4294967295ELNS1_3gpuE0ELNS1_3repE0EEENS1_30default_config_static_selectorELNS0_4arch9wavefront6targetE1EEEvT1_.uses_flat_scratch, 0
	.set _ZN7rocprim17ROCPRIM_400000_NS6detail17trampoline_kernelINS0_14default_configENS1_25transform_config_selectorIjLb0EEEZNS1_14transform_implILb0ES3_S5_NS0_18transform_iteratorINS0_17counting_iteratorImlEEZNS1_24adjacent_difference_implIS3_Lb1ELb0EPKjPjN6thrust23THRUST_200600_302600_NS4plusIjEEEE10hipError_tPvRmT2_T3_mT4_P12ihipStream_tbEUlmE_jEESD_NS0_8identityIvEEEESI_SL_SM_mSN_SP_bEUlT_E_NS1_11comp_targetILNS1_3genE0ELNS1_11target_archE4294967295ELNS1_3gpuE0ELNS1_3repE0EEENS1_30default_config_static_selectorELNS0_4arch9wavefront6targetE1EEEvT1_.has_dyn_sized_stack, 0
	.set _ZN7rocprim17ROCPRIM_400000_NS6detail17trampoline_kernelINS0_14default_configENS1_25transform_config_selectorIjLb0EEEZNS1_14transform_implILb0ES3_S5_NS0_18transform_iteratorINS0_17counting_iteratorImlEEZNS1_24adjacent_difference_implIS3_Lb1ELb0EPKjPjN6thrust23THRUST_200600_302600_NS4plusIjEEEE10hipError_tPvRmT2_T3_mT4_P12ihipStream_tbEUlmE_jEESD_NS0_8identityIvEEEESI_SL_SM_mSN_SP_bEUlT_E_NS1_11comp_targetILNS1_3genE0ELNS1_11target_archE4294967295ELNS1_3gpuE0ELNS1_3repE0EEENS1_30default_config_static_selectorELNS0_4arch9wavefront6targetE1EEEvT1_.has_recursion, 0
	.set _ZN7rocprim17ROCPRIM_400000_NS6detail17trampoline_kernelINS0_14default_configENS1_25transform_config_selectorIjLb0EEEZNS1_14transform_implILb0ES3_S5_NS0_18transform_iteratorINS0_17counting_iteratorImlEEZNS1_24adjacent_difference_implIS3_Lb1ELb0EPKjPjN6thrust23THRUST_200600_302600_NS4plusIjEEEE10hipError_tPvRmT2_T3_mT4_P12ihipStream_tbEUlmE_jEESD_NS0_8identityIvEEEESI_SL_SM_mSN_SP_bEUlT_E_NS1_11comp_targetILNS1_3genE0ELNS1_11target_archE4294967295ELNS1_3gpuE0ELNS1_3repE0EEENS1_30default_config_static_selectorELNS0_4arch9wavefront6targetE1EEEvT1_.has_indirect_call, 0
	.section	.AMDGPU.csdata,"",@progbits
; Kernel info:
; codeLenInByte = 0
; TotalNumSgprs: 4
; NumVgprs: 0
; ScratchSize: 0
; MemoryBound: 0
; FloatMode: 240
; IeeeMode: 1
; LDSByteSize: 0 bytes/workgroup (compile time only)
; SGPRBlocks: 0
; VGPRBlocks: 0
; NumSGPRsForWavesPerEU: 4
; NumVGPRsForWavesPerEU: 1
; Occupancy: 10
; WaveLimiterHint : 0
; COMPUTE_PGM_RSRC2:SCRATCH_EN: 0
; COMPUTE_PGM_RSRC2:USER_SGPR: 6
; COMPUTE_PGM_RSRC2:TRAP_HANDLER: 0
; COMPUTE_PGM_RSRC2:TGID_X_EN: 1
; COMPUTE_PGM_RSRC2:TGID_Y_EN: 0
; COMPUTE_PGM_RSRC2:TGID_Z_EN: 0
; COMPUTE_PGM_RSRC2:TIDIG_COMP_CNT: 0
	.section	.text._ZN7rocprim17ROCPRIM_400000_NS6detail17trampoline_kernelINS0_14default_configENS1_25transform_config_selectorIjLb0EEEZNS1_14transform_implILb0ES3_S5_NS0_18transform_iteratorINS0_17counting_iteratorImlEEZNS1_24adjacent_difference_implIS3_Lb1ELb0EPKjPjN6thrust23THRUST_200600_302600_NS4plusIjEEEE10hipError_tPvRmT2_T3_mT4_P12ihipStream_tbEUlmE_jEESD_NS0_8identityIvEEEESI_SL_SM_mSN_SP_bEUlT_E_NS1_11comp_targetILNS1_3genE5ELNS1_11target_archE942ELNS1_3gpuE9ELNS1_3repE0EEENS1_30default_config_static_selectorELNS0_4arch9wavefront6targetE1EEEvT1_,"axG",@progbits,_ZN7rocprim17ROCPRIM_400000_NS6detail17trampoline_kernelINS0_14default_configENS1_25transform_config_selectorIjLb0EEEZNS1_14transform_implILb0ES3_S5_NS0_18transform_iteratorINS0_17counting_iteratorImlEEZNS1_24adjacent_difference_implIS3_Lb1ELb0EPKjPjN6thrust23THRUST_200600_302600_NS4plusIjEEEE10hipError_tPvRmT2_T3_mT4_P12ihipStream_tbEUlmE_jEESD_NS0_8identityIvEEEESI_SL_SM_mSN_SP_bEUlT_E_NS1_11comp_targetILNS1_3genE5ELNS1_11target_archE942ELNS1_3gpuE9ELNS1_3repE0EEENS1_30default_config_static_selectorELNS0_4arch9wavefront6targetE1EEEvT1_,comdat
	.protected	_ZN7rocprim17ROCPRIM_400000_NS6detail17trampoline_kernelINS0_14default_configENS1_25transform_config_selectorIjLb0EEEZNS1_14transform_implILb0ES3_S5_NS0_18transform_iteratorINS0_17counting_iteratorImlEEZNS1_24adjacent_difference_implIS3_Lb1ELb0EPKjPjN6thrust23THRUST_200600_302600_NS4plusIjEEEE10hipError_tPvRmT2_T3_mT4_P12ihipStream_tbEUlmE_jEESD_NS0_8identityIvEEEESI_SL_SM_mSN_SP_bEUlT_E_NS1_11comp_targetILNS1_3genE5ELNS1_11target_archE942ELNS1_3gpuE9ELNS1_3repE0EEENS1_30default_config_static_selectorELNS0_4arch9wavefront6targetE1EEEvT1_ ; -- Begin function _ZN7rocprim17ROCPRIM_400000_NS6detail17trampoline_kernelINS0_14default_configENS1_25transform_config_selectorIjLb0EEEZNS1_14transform_implILb0ES3_S5_NS0_18transform_iteratorINS0_17counting_iteratorImlEEZNS1_24adjacent_difference_implIS3_Lb1ELb0EPKjPjN6thrust23THRUST_200600_302600_NS4plusIjEEEE10hipError_tPvRmT2_T3_mT4_P12ihipStream_tbEUlmE_jEESD_NS0_8identityIvEEEESI_SL_SM_mSN_SP_bEUlT_E_NS1_11comp_targetILNS1_3genE5ELNS1_11target_archE942ELNS1_3gpuE9ELNS1_3repE0EEENS1_30default_config_static_selectorELNS0_4arch9wavefront6targetE1EEEvT1_
	.globl	_ZN7rocprim17ROCPRIM_400000_NS6detail17trampoline_kernelINS0_14default_configENS1_25transform_config_selectorIjLb0EEEZNS1_14transform_implILb0ES3_S5_NS0_18transform_iteratorINS0_17counting_iteratorImlEEZNS1_24adjacent_difference_implIS3_Lb1ELb0EPKjPjN6thrust23THRUST_200600_302600_NS4plusIjEEEE10hipError_tPvRmT2_T3_mT4_P12ihipStream_tbEUlmE_jEESD_NS0_8identityIvEEEESI_SL_SM_mSN_SP_bEUlT_E_NS1_11comp_targetILNS1_3genE5ELNS1_11target_archE942ELNS1_3gpuE9ELNS1_3repE0EEENS1_30default_config_static_selectorELNS0_4arch9wavefront6targetE1EEEvT1_
	.p2align	8
	.type	_ZN7rocprim17ROCPRIM_400000_NS6detail17trampoline_kernelINS0_14default_configENS1_25transform_config_selectorIjLb0EEEZNS1_14transform_implILb0ES3_S5_NS0_18transform_iteratorINS0_17counting_iteratorImlEEZNS1_24adjacent_difference_implIS3_Lb1ELb0EPKjPjN6thrust23THRUST_200600_302600_NS4plusIjEEEE10hipError_tPvRmT2_T3_mT4_P12ihipStream_tbEUlmE_jEESD_NS0_8identityIvEEEESI_SL_SM_mSN_SP_bEUlT_E_NS1_11comp_targetILNS1_3genE5ELNS1_11target_archE942ELNS1_3gpuE9ELNS1_3repE0EEENS1_30default_config_static_selectorELNS0_4arch9wavefront6targetE1EEEvT1_,@function
_ZN7rocprim17ROCPRIM_400000_NS6detail17trampoline_kernelINS0_14default_configENS1_25transform_config_selectorIjLb0EEEZNS1_14transform_implILb0ES3_S5_NS0_18transform_iteratorINS0_17counting_iteratorImlEEZNS1_24adjacent_difference_implIS3_Lb1ELb0EPKjPjN6thrust23THRUST_200600_302600_NS4plusIjEEEE10hipError_tPvRmT2_T3_mT4_P12ihipStream_tbEUlmE_jEESD_NS0_8identityIvEEEESI_SL_SM_mSN_SP_bEUlT_E_NS1_11comp_targetILNS1_3genE5ELNS1_11target_archE942ELNS1_3gpuE9ELNS1_3repE0EEENS1_30default_config_static_selectorELNS0_4arch9wavefront6targetE1EEEvT1_: ; @_ZN7rocprim17ROCPRIM_400000_NS6detail17trampoline_kernelINS0_14default_configENS1_25transform_config_selectorIjLb0EEEZNS1_14transform_implILb0ES3_S5_NS0_18transform_iteratorINS0_17counting_iteratorImlEEZNS1_24adjacent_difference_implIS3_Lb1ELb0EPKjPjN6thrust23THRUST_200600_302600_NS4plusIjEEEE10hipError_tPvRmT2_T3_mT4_P12ihipStream_tbEUlmE_jEESD_NS0_8identityIvEEEESI_SL_SM_mSN_SP_bEUlT_E_NS1_11comp_targetILNS1_3genE5ELNS1_11target_archE942ELNS1_3gpuE9ELNS1_3repE0EEENS1_30default_config_static_selectorELNS0_4arch9wavefront6targetE1EEEvT1_
; %bb.0:
	.section	.rodata,"a",@progbits
	.p2align	6, 0x0
	.amdhsa_kernel _ZN7rocprim17ROCPRIM_400000_NS6detail17trampoline_kernelINS0_14default_configENS1_25transform_config_selectorIjLb0EEEZNS1_14transform_implILb0ES3_S5_NS0_18transform_iteratorINS0_17counting_iteratorImlEEZNS1_24adjacent_difference_implIS3_Lb1ELb0EPKjPjN6thrust23THRUST_200600_302600_NS4plusIjEEEE10hipError_tPvRmT2_T3_mT4_P12ihipStream_tbEUlmE_jEESD_NS0_8identityIvEEEESI_SL_SM_mSN_SP_bEUlT_E_NS1_11comp_targetILNS1_3genE5ELNS1_11target_archE942ELNS1_3gpuE9ELNS1_3repE0EEENS1_30default_config_static_selectorELNS0_4arch9wavefront6targetE1EEEvT1_
		.amdhsa_group_segment_fixed_size 0
		.amdhsa_private_segment_fixed_size 0
		.amdhsa_kernarg_size 56
		.amdhsa_user_sgpr_count 6
		.amdhsa_user_sgpr_private_segment_buffer 1
		.amdhsa_user_sgpr_dispatch_ptr 0
		.amdhsa_user_sgpr_queue_ptr 0
		.amdhsa_user_sgpr_kernarg_segment_ptr 1
		.amdhsa_user_sgpr_dispatch_id 0
		.amdhsa_user_sgpr_flat_scratch_init 0
		.amdhsa_user_sgpr_private_segment_size 0
		.amdhsa_uses_dynamic_stack 0
		.amdhsa_system_sgpr_private_segment_wavefront_offset 0
		.amdhsa_system_sgpr_workgroup_id_x 1
		.amdhsa_system_sgpr_workgroup_id_y 0
		.amdhsa_system_sgpr_workgroup_id_z 0
		.amdhsa_system_sgpr_workgroup_info 0
		.amdhsa_system_vgpr_workitem_id 0
		.amdhsa_next_free_vgpr 1
		.amdhsa_next_free_sgpr 0
		.amdhsa_reserve_vcc 0
		.amdhsa_reserve_flat_scratch 0
		.amdhsa_float_round_mode_32 0
		.amdhsa_float_round_mode_16_64 0
		.amdhsa_float_denorm_mode_32 3
		.amdhsa_float_denorm_mode_16_64 3
		.amdhsa_dx10_clamp 1
		.amdhsa_ieee_mode 1
		.amdhsa_fp16_overflow 0
		.amdhsa_exception_fp_ieee_invalid_op 0
		.amdhsa_exception_fp_denorm_src 0
		.amdhsa_exception_fp_ieee_div_zero 0
		.amdhsa_exception_fp_ieee_overflow 0
		.amdhsa_exception_fp_ieee_underflow 0
		.amdhsa_exception_fp_ieee_inexact 0
		.amdhsa_exception_int_div_zero 0
	.end_amdhsa_kernel
	.section	.text._ZN7rocprim17ROCPRIM_400000_NS6detail17trampoline_kernelINS0_14default_configENS1_25transform_config_selectorIjLb0EEEZNS1_14transform_implILb0ES3_S5_NS0_18transform_iteratorINS0_17counting_iteratorImlEEZNS1_24adjacent_difference_implIS3_Lb1ELb0EPKjPjN6thrust23THRUST_200600_302600_NS4plusIjEEEE10hipError_tPvRmT2_T3_mT4_P12ihipStream_tbEUlmE_jEESD_NS0_8identityIvEEEESI_SL_SM_mSN_SP_bEUlT_E_NS1_11comp_targetILNS1_3genE5ELNS1_11target_archE942ELNS1_3gpuE9ELNS1_3repE0EEENS1_30default_config_static_selectorELNS0_4arch9wavefront6targetE1EEEvT1_,"axG",@progbits,_ZN7rocprim17ROCPRIM_400000_NS6detail17trampoline_kernelINS0_14default_configENS1_25transform_config_selectorIjLb0EEEZNS1_14transform_implILb0ES3_S5_NS0_18transform_iteratorINS0_17counting_iteratorImlEEZNS1_24adjacent_difference_implIS3_Lb1ELb0EPKjPjN6thrust23THRUST_200600_302600_NS4plusIjEEEE10hipError_tPvRmT2_T3_mT4_P12ihipStream_tbEUlmE_jEESD_NS0_8identityIvEEEESI_SL_SM_mSN_SP_bEUlT_E_NS1_11comp_targetILNS1_3genE5ELNS1_11target_archE942ELNS1_3gpuE9ELNS1_3repE0EEENS1_30default_config_static_selectorELNS0_4arch9wavefront6targetE1EEEvT1_,comdat
.Lfunc_end657:
	.size	_ZN7rocprim17ROCPRIM_400000_NS6detail17trampoline_kernelINS0_14default_configENS1_25transform_config_selectorIjLb0EEEZNS1_14transform_implILb0ES3_S5_NS0_18transform_iteratorINS0_17counting_iteratorImlEEZNS1_24adjacent_difference_implIS3_Lb1ELb0EPKjPjN6thrust23THRUST_200600_302600_NS4plusIjEEEE10hipError_tPvRmT2_T3_mT4_P12ihipStream_tbEUlmE_jEESD_NS0_8identityIvEEEESI_SL_SM_mSN_SP_bEUlT_E_NS1_11comp_targetILNS1_3genE5ELNS1_11target_archE942ELNS1_3gpuE9ELNS1_3repE0EEENS1_30default_config_static_selectorELNS0_4arch9wavefront6targetE1EEEvT1_, .Lfunc_end657-_ZN7rocprim17ROCPRIM_400000_NS6detail17trampoline_kernelINS0_14default_configENS1_25transform_config_selectorIjLb0EEEZNS1_14transform_implILb0ES3_S5_NS0_18transform_iteratorINS0_17counting_iteratorImlEEZNS1_24adjacent_difference_implIS3_Lb1ELb0EPKjPjN6thrust23THRUST_200600_302600_NS4plusIjEEEE10hipError_tPvRmT2_T3_mT4_P12ihipStream_tbEUlmE_jEESD_NS0_8identityIvEEEESI_SL_SM_mSN_SP_bEUlT_E_NS1_11comp_targetILNS1_3genE5ELNS1_11target_archE942ELNS1_3gpuE9ELNS1_3repE0EEENS1_30default_config_static_selectorELNS0_4arch9wavefront6targetE1EEEvT1_
                                        ; -- End function
	.set _ZN7rocprim17ROCPRIM_400000_NS6detail17trampoline_kernelINS0_14default_configENS1_25transform_config_selectorIjLb0EEEZNS1_14transform_implILb0ES3_S5_NS0_18transform_iteratorINS0_17counting_iteratorImlEEZNS1_24adjacent_difference_implIS3_Lb1ELb0EPKjPjN6thrust23THRUST_200600_302600_NS4plusIjEEEE10hipError_tPvRmT2_T3_mT4_P12ihipStream_tbEUlmE_jEESD_NS0_8identityIvEEEESI_SL_SM_mSN_SP_bEUlT_E_NS1_11comp_targetILNS1_3genE5ELNS1_11target_archE942ELNS1_3gpuE9ELNS1_3repE0EEENS1_30default_config_static_selectorELNS0_4arch9wavefront6targetE1EEEvT1_.num_vgpr, 0
	.set _ZN7rocprim17ROCPRIM_400000_NS6detail17trampoline_kernelINS0_14default_configENS1_25transform_config_selectorIjLb0EEEZNS1_14transform_implILb0ES3_S5_NS0_18transform_iteratorINS0_17counting_iteratorImlEEZNS1_24adjacent_difference_implIS3_Lb1ELb0EPKjPjN6thrust23THRUST_200600_302600_NS4plusIjEEEE10hipError_tPvRmT2_T3_mT4_P12ihipStream_tbEUlmE_jEESD_NS0_8identityIvEEEESI_SL_SM_mSN_SP_bEUlT_E_NS1_11comp_targetILNS1_3genE5ELNS1_11target_archE942ELNS1_3gpuE9ELNS1_3repE0EEENS1_30default_config_static_selectorELNS0_4arch9wavefront6targetE1EEEvT1_.num_agpr, 0
	.set _ZN7rocprim17ROCPRIM_400000_NS6detail17trampoline_kernelINS0_14default_configENS1_25transform_config_selectorIjLb0EEEZNS1_14transform_implILb0ES3_S5_NS0_18transform_iteratorINS0_17counting_iteratorImlEEZNS1_24adjacent_difference_implIS3_Lb1ELb0EPKjPjN6thrust23THRUST_200600_302600_NS4plusIjEEEE10hipError_tPvRmT2_T3_mT4_P12ihipStream_tbEUlmE_jEESD_NS0_8identityIvEEEESI_SL_SM_mSN_SP_bEUlT_E_NS1_11comp_targetILNS1_3genE5ELNS1_11target_archE942ELNS1_3gpuE9ELNS1_3repE0EEENS1_30default_config_static_selectorELNS0_4arch9wavefront6targetE1EEEvT1_.numbered_sgpr, 0
	.set _ZN7rocprim17ROCPRIM_400000_NS6detail17trampoline_kernelINS0_14default_configENS1_25transform_config_selectorIjLb0EEEZNS1_14transform_implILb0ES3_S5_NS0_18transform_iteratorINS0_17counting_iteratorImlEEZNS1_24adjacent_difference_implIS3_Lb1ELb0EPKjPjN6thrust23THRUST_200600_302600_NS4plusIjEEEE10hipError_tPvRmT2_T3_mT4_P12ihipStream_tbEUlmE_jEESD_NS0_8identityIvEEEESI_SL_SM_mSN_SP_bEUlT_E_NS1_11comp_targetILNS1_3genE5ELNS1_11target_archE942ELNS1_3gpuE9ELNS1_3repE0EEENS1_30default_config_static_selectorELNS0_4arch9wavefront6targetE1EEEvT1_.num_named_barrier, 0
	.set _ZN7rocprim17ROCPRIM_400000_NS6detail17trampoline_kernelINS0_14default_configENS1_25transform_config_selectorIjLb0EEEZNS1_14transform_implILb0ES3_S5_NS0_18transform_iteratorINS0_17counting_iteratorImlEEZNS1_24adjacent_difference_implIS3_Lb1ELb0EPKjPjN6thrust23THRUST_200600_302600_NS4plusIjEEEE10hipError_tPvRmT2_T3_mT4_P12ihipStream_tbEUlmE_jEESD_NS0_8identityIvEEEESI_SL_SM_mSN_SP_bEUlT_E_NS1_11comp_targetILNS1_3genE5ELNS1_11target_archE942ELNS1_3gpuE9ELNS1_3repE0EEENS1_30default_config_static_selectorELNS0_4arch9wavefront6targetE1EEEvT1_.private_seg_size, 0
	.set _ZN7rocprim17ROCPRIM_400000_NS6detail17trampoline_kernelINS0_14default_configENS1_25transform_config_selectorIjLb0EEEZNS1_14transform_implILb0ES3_S5_NS0_18transform_iteratorINS0_17counting_iteratorImlEEZNS1_24adjacent_difference_implIS3_Lb1ELb0EPKjPjN6thrust23THRUST_200600_302600_NS4plusIjEEEE10hipError_tPvRmT2_T3_mT4_P12ihipStream_tbEUlmE_jEESD_NS0_8identityIvEEEESI_SL_SM_mSN_SP_bEUlT_E_NS1_11comp_targetILNS1_3genE5ELNS1_11target_archE942ELNS1_3gpuE9ELNS1_3repE0EEENS1_30default_config_static_selectorELNS0_4arch9wavefront6targetE1EEEvT1_.uses_vcc, 0
	.set _ZN7rocprim17ROCPRIM_400000_NS6detail17trampoline_kernelINS0_14default_configENS1_25transform_config_selectorIjLb0EEEZNS1_14transform_implILb0ES3_S5_NS0_18transform_iteratorINS0_17counting_iteratorImlEEZNS1_24adjacent_difference_implIS3_Lb1ELb0EPKjPjN6thrust23THRUST_200600_302600_NS4plusIjEEEE10hipError_tPvRmT2_T3_mT4_P12ihipStream_tbEUlmE_jEESD_NS0_8identityIvEEEESI_SL_SM_mSN_SP_bEUlT_E_NS1_11comp_targetILNS1_3genE5ELNS1_11target_archE942ELNS1_3gpuE9ELNS1_3repE0EEENS1_30default_config_static_selectorELNS0_4arch9wavefront6targetE1EEEvT1_.uses_flat_scratch, 0
	.set _ZN7rocprim17ROCPRIM_400000_NS6detail17trampoline_kernelINS0_14default_configENS1_25transform_config_selectorIjLb0EEEZNS1_14transform_implILb0ES3_S5_NS0_18transform_iteratorINS0_17counting_iteratorImlEEZNS1_24adjacent_difference_implIS3_Lb1ELb0EPKjPjN6thrust23THRUST_200600_302600_NS4plusIjEEEE10hipError_tPvRmT2_T3_mT4_P12ihipStream_tbEUlmE_jEESD_NS0_8identityIvEEEESI_SL_SM_mSN_SP_bEUlT_E_NS1_11comp_targetILNS1_3genE5ELNS1_11target_archE942ELNS1_3gpuE9ELNS1_3repE0EEENS1_30default_config_static_selectorELNS0_4arch9wavefront6targetE1EEEvT1_.has_dyn_sized_stack, 0
	.set _ZN7rocprim17ROCPRIM_400000_NS6detail17trampoline_kernelINS0_14default_configENS1_25transform_config_selectorIjLb0EEEZNS1_14transform_implILb0ES3_S5_NS0_18transform_iteratorINS0_17counting_iteratorImlEEZNS1_24adjacent_difference_implIS3_Lb1ELb0EPKjPjN6thrust23THRUST_200600_302600_NS4plusIjEEEE10hipError_tPvRmT2_T3_mT4_P12ihipStream_tbEUlmE_jEESD_NS0_8identityIvEEEESI_SL_SM_mSN_SP_bEUlT_E_NS1_11comp_targetILNS1_3genE5ELNS1_11target_archE942ELNS1_3gpuE9ELNS1_3repE0EEENS1_30default_config_static_selectorELNS0_4arch9wavefront6targetE1EEEvT1_.has_recursion, 0
	.set _ZN7rocprim17ROCPRIM_400000_NS6detail17trampoline_kernelINS0_14default_configENS1_25transform_config_selectorIjLb0EEEZNS1_14transform_implILb0ES3_S5_NS0_18transform_iteratorINS0_17counting_iteratorImlEEZNS1_24adjacent_difference_implIS3_Lb1ELb0EPKjPjN6thrust23THRUST_200600_302600_NS4plusIjEEEE10hipError_tPvRmT2_T3_mT4_P12ihipStream_tbEUlmE_jEESD_NS0_8identityIvEEEESI_SL_SM_mSN_SP_bEUlT_E_NS1_11comp_targetILNS1_3genE5ELNS1_11target_archE942ELNS1_3gpuE9ELNS1_3repE0EEENS1_30default_config_static_selectorELNS0_4arch9wavefront6targetE1EEEvT1_.has_indirect_call, 0
	.section	.AMDGPU.csdata,"",@progbits
; Kernel info:
; codeLenInByte = 0
; TotalNumSgprs: 4
; NumVgprs: 0
; ScratchSize: 0
; MemoryBound: 0
; FloatMode: 240
; IeeeMode: 1
; LDSByteSize: 0 bytes/workgroup (compile time only)
; SGPRBlocks: 0
; VGPRBlocks: 0
; NumSGPRsForWavesPerEU: 4
; NumVGPRsForWavesPerEU: 1
; Occupancy: 10
; WaveLimiterHint : 0
; COMPUTE_PGM_RSRC2:SCRATCH_EN: 0
; COMPUTE_PGM_RSRC2:USER_SGPR: 6
; COMPUTE_PGM_RSRC2:TRAP_HANDLER: 0
; COMPUTE_PGM_RSRC2:TGID_X_EN: 1
; COMPUTE_PGM_RSRC2:TGID_Y_EN: 0
; COMPUTE_PGM_RSRC2:TGID_Z_EN: 0
; COMPUTE_PGM_RSRC2:TIDIG_COMP_CNT: 0
	.section	.text._ZN7rocprim17ROCPRIM_400000_NS6detail17trampoline_kernelINS0_14default_configENS1_25transform_config_selectorIjLb0EEEZNS1_14transform_implILb0ES3_S5_NS0_18transform_iteratorINS0_17counting_iteratorImlEEZNS1_24adjacent_difference_implIS3_Lb1ELb0EPKjPjN6thrust23THRUST_200600_302600_NS4plusIjEEEE10hipError_tPvRmT2_T3_mT4_P12ihipStream_tbEUlmE_jEESD_NS0_8identityIvEEEESI_SL_SM_mSN_SP_bEUlT_E_NS1_11comp_targetILNS1_3genE4ELNS1_11target_archE910ELNS1_3gpuE8ELNS1_3repE0EEENS1_30default_config_static_selectorELNS0_4arch9wavefront6targetE1EEEvT1_,"axG",@progbits,_ZN7rocprim17ROCPRIM_400000_NS6detail17trampoline_kernelINS0_14default_configENS1_25transform_config_selectorIjLb0EEEZNS1_14transform_implILb0ES3_S5_NS0_18transform_iteratorINS0_17counting_iteratorImlEEZNS1_24adjacent_difference_implIS3_Lb1ELb0EPKjPjN6thrust23THRUST_200600_302600_NS4plusIjEEEE10hipError_tPvRmT2_T3_mT4_P12ihipStream_tbEUlmE_jEESD_NS0_8identityIvEEEESI_SL_SM_mSN_SP_bEUlT_E_NS1_11comp_targetILNS1_3genE4ELNS1_11target_archE910ELNS1_3gpuE8ELNS1_3repE0EEENS1_30default_config_static_selectorELNS0_4arch9wavefront6targetE1EEEvT1_,comdat
	.protected	_ZN7rocprim17ROCPRIM_400000_NS6detail17trampoline_kernelINS0_14default_configENS1_25transform_config_selectorIjLb0EEEZNS1_14transform_implILb0ES3_S5_NS0_18transform_iteratorINS0_17counting_iteratorImlEEZNS1_24adjacent_difference_implIS3_Lb1ELb0EPKjPjN6thrust23THRUST_200600_302600_NS4plusIjEEEE10hipError_tPvRmT2_T3_mT4_P12ihipStream_tbEUlmE_jEESD_NS0_8identityIvEEEESI_SL_SM_mSN_SP_bEUlT_E_NS1_11comp_targetILNS1_3genE4ELNS1_11target_archE910ELNS1_3gpuE8ELNS1_3repE0EEENS1_30default_config_static_selectorELNS0_4arch9wavefront6targetE1EEEvT1_ ; -- Begin function _ZN7rocprim17ROCPRIM_400000_NS6detail17trampoline_kernelINS0_14default_configENS1_25transform_config_selectorIjLb0EEEZNS1_14transform_implILb0ES3_S5_NS0_18transform_iteratorINS0_17counting_iteratorImlEEZNS1_24adjacent_difference_implIS3_Lb1ELb0EPKjPjN6thrust23THRUST_200600_302600_NS4plusIjEEEE10hipError_tPvRmT2_T3_mT4_P12ihipStream_tbEUlmE_jEESD_NS0_8identityIvEEEESI_SL_SM_mSN_SP_bEUlT_E_NS1_11comp_targetILNS1_3genE4ELNS1_11target_archE910ELNS1_3gpuE8ELNS1_3repE0EEENS1_30default_config_static_selectorELNS0_4arch9wavefront6targetE1EEEvT1_
	.globl	_ZN7rocprim17ROCPRIM_400000_NS6detail17trampoline_kernelINS0_14default_configENS1_25transform_config_selectorIjLb0EEEZNS1_14transform_implILb0ES3_S5_NS0_18transform_iteratorINS0_17counting_iteratorImlEEZNS1_24adjacent_difference_implIS3_Lb1ELb0EPKjPjN6thrust23THRUST_200600_302600_NS4plusIjEEEE10hipError_tPvRmT2_T3_mT4_P12ihipStream_tbEUlmE_jEESD_NS0_8identityIvEEEESI_SL_SM_mSN_SP_bEUlT_E_NS1_11comp_targetILNS1_3genE4ELNS1_11target_archE910ELNS1_3gpuE8ELNS1_3repE0EEENS1_30default_config_static_selectorELNS0_4arch9wavefront6targetE1EEEvT1_
	.p2align	8
	.type	_ZN7rocprim17ROCPRIM_400000_NS6detail17trampoline_kernelINS0_14default_configENS1_25transform_config_selectorIjLb0EEEZNS1_14transform_implILb0ES3_S5_NS0_18transform_iteratorINS0_17counting_iteratorImlEEZNS1_24adjacent_difference_implIS3_Lb1ELb0EPKjPjN6thrust23THRUST_200600_302600_NS4plusIjEEEE10hipError_tPvRmT2_T3_mT4_P12ihipStream_tbEUlmE_jEESD_NS0_8identityIvEEEESI_SL_SM_mSN_SP_bEUlT_E_NS1_11comp_targetILNS1_3genE4ELNS1_11target_archE910ELNS1_3gpuE8ELNS1_3repE0EEENS1_30default_config_static_selectorELNS0_4arch9wavefront6targetE1EEEvT1_,@function
_ZN7rocprim17ROCPRIM_400000_NS6detail17trampoline_kernelINS0_14default_configENS1_25transform_config_selectorIjLb0EEEZNS1_14transform_implILb0ES3_S5_NS0_18transform_iteratorINS0_17counting_iteratorImlEEZNS1_24adjacent_difference_implIS3_Lb1ELb0EPKjPjN6thrust23THRUST_200600_302600_NS4plusIjEEEE10hipError_tPvRmT2_T3_mT4_P12ihipStream_tbEUlmE_jEESD_NS0_8identityIvEEEESI_SL_SM_mSN_SP_bEUlT_E_NS1_11comp_targetILNS1_3genE4ELNS1_11target_archE910ELNS1_3gpuE8ELNS1_3repE0EEENS1_30default_config_static_selectorELNS0_4arch9wavefront6targetE1EEEvT1_: ; @_ZN7rocprim17ROCPRIM_400000_NS6detail17trampoline_kernelINS0_14default_configENS1_25transform_config_selectorIjLb0EEEZNS1_14transform_implILb0ES3_S5_NS0_18transform_iteratorINS0_17counting_iteratorImlEEZNS1_24adjacent_difference_implIS3_Lb1ELb0EPKjPjN6thrust23THRUST_200600_302600_NS4plusIjEEEE10hipError_tPvRmT2_T3_mT4_P12ihipStream_tbEUlmE_jEESD_NS0_8identityIvEEEESI_SL_SM_mSN_SP_bEUlT_E_NS1_11comp_targetILNS1_3genE4ELNS1_11target_archE910ELNS1_3gpuE8ELNS1_3repE0EEENS1_30default_config_static_selectorELNS0_4arch9wavefront6targetE1EEEvT1_
; %bb.0:
	.section	.rodata,"a",@progbits
	.p2align	6, 0x0
	.amdhsa_kernel _ZN7rocprim17ROCPRIM_400000_NS6detail17trampoline_kernelINS0_14default_configENS1_25transform_config_selectorIjLb0EEEZNS1_14transform_implILb0ES3_S5_NS0_18transform_iteratorINS0_17counting_iteratorImlEEZNS1_24adjacent_difference_implIS3_Lb1ELb0EPKjPjN6thrust23THRUST_200600_302600_NS4plusIjEEEE10hipError_tPvRmT2_T3_mT4_P12ihipStream_tbEUlmE_jEESD_NS0_8identityIvEEEESI_SL_SM_mSN_SP_bEUlT_E_NS1_11comp_targetILNS1_3genE4ELNS1_11target_archE910ELNS1_3gpuE8ELNS1_3repE0EEENS1_30default_config_static_selectorELNS0_4arch9wavefront6targetE1EEEvT1_
		.amdhsa_group_segment_fixed_size 0
		.amdhsa_private_segment_fixed_size 0
		.amdhsa_kernarg_size 56
		.amdhsa_user_sgpr_count 6
		.amdhsa_user_sgpr_private_segment_buffer 1
		.amdhsa_user_sgpr_dispatch_ptr 0
		.amdhsa_user_sgpr_queue_ptr 0
		.amdhsa_user_sgpr_kernarg_segment_ptr 1
		.amdhsa_user_sgpr_dispatch_id 0
		.amdhsa_user_sgpr_flat_scratch_init 0
		.amdhsa_user_sgpr_private_segment_size 0
		.amdhsa_uses_dynamic_stack 0
		.amdhsa_system_sgpr_private_segment_wavefront_offset 0
		.amdhsa_system_sgpr_workgroup_id_x 1
		.amdhsa_system_sgpr_workgroup_id_y 0
		.amdhsa_system_sgpr_workgroup_id_z 0
		.amdhsa_system_sgpr_workgroup_info 0
		.amdhsa_system_vgpr_workitem_id 0
		.amdhsa_next_free_vgpr 1
		.amdhsa_next_free_sgpr 0
		.amdhsa_reserve_vcc 0
		.amdhsa_reserve_flat_scratch 0
		.amdhsa_float_round_mode_32 0
		.amdhsa_float_round_mode_16_64 0
		.amdhsa_float_denorm_mode_32 3
		.amdhsa_float_denorm_mode_16_64 3
		.amdhsa_dx10_clamp 1
		.amdhsa_ieee_mode 1
		.amdhsa_fp16_overflow 0
		.amdhsa_exception_fp_ieee_invalid_op 0
		.amdhsa_exception_fp_denorm_src 0
		.amdhsa_exception_fp_ieee_div_zero 0
		.amdhsa_exception_fp_ieee_overflow 0
		.amdhsa_exception_fp_ieee_underflow 0
		.amdhsa_exception_fp_ieee_inexact 0
		.amdhsa_exception_int_div_zero 0
	.end_amdhsa_kernel
	.section	.text._ZN7rocprim17ROCPRIM_400000_NS6detail17trampoline_kernelINS0_14default_configENS1_25transform_config_selectorIjLb0EEEZNS1_14transform_implILb0ES3_S5_NS0_18transform_iteratorINS0_17counting_iteratorImlEEZNS1_24adjacent_difference_implIS3_Lb1ELb0EPKjPjN6thrust23THRUST_200600_302600_NS4plusIjEEEE10hipError_tPvRmT2_T3_mT4_P12ihipStream_tbEUlmE_jEESD_NS0_8identityIvEEEESI_SL_SM_mSN_SP_bEUlT_E_NS1_11comp_targetILNS1_3genE4ELNS1_11target_archE910ELNS1_3gpuE8ELNS1_3repE0EEENS1_30default_config_static_selectorELNS0_4arch9wavefront6targetE1EEEvT1_,"axG",@progbits,_ZN7rocprim17ROCPRIM_400000_NS6detail17trampoline_kernelINS0_14default_configENS1_25transform_config_selectorIjLb0EEEZNS1_14transform_implILb0ES3_S5_NS0_18transform_iteratorINS0_17counting_iteratorImlEEZNS1_24adjacent_difference_implIS3_Lb1ELb0EPKjPjN6thrust23THRUST_200600_302600_NS4plusIjEEEE10hipError_tPvRmT2_T3_mT4_P12ihipStream_tbEUlmE_jEESD_NS0_8identityIvEEEESI_SL_SM_mSN_SP_bEUlT_E_NS1_11comp_targetILNS1_3genE4ELNS1_11target_archE910ELNS1_3gpuE8ELNS1_3repE0EEENS1_30default_config_static_selectorELNS0_4arch9wavefront6targetE1EEEvT1_,comdat
.Lfunc_end658:
	.size	_ZN7rocprim17ROCPRIM_400000_NS6detail17trampoline_kernelINS0_14default_configENS1_25transform_config_selectorIjLb0EEEZNS1_14transform_implILb0ES3_S5_NS0_18transform_iteratorINS0_17counting_iteratorImlEEZNS1_24adjacent_difference_implIS3_Lb1ELb0EPKjPjN6thrust23THRUST_200600_302600_NS4plusIjEEEE10hipError_tPvRmT2_T3_mT4_P12ihipStream_tbEUlmE_jEESD_NS0_8identityIvEEEESI_SL_SM_mSN_SP_bEUlT_E_NS1_11comp_targetILNS1_3genE4ELNS1_11target_archE910ELNS1_3gpuE8ELNS1_3repE0EEENS1_30default_config_static_selectorELNS0_4arch9wavefront6targetE1EEEvT1_, .Lfunc_end658-_ZN7rocprim17ROCPRIM_400000_NS6detail17trampoline_kernelINS0_14default_configENS1_25transform_config_selectorIjLb0EEEZNS1_14transform_implILb0ES3_S5_NS0_18transform_iteratorINS0_17counting_iteratorImlEEZNS1_24adjacent_difference_implIS3_Lb1ELb0EPKjPjN6thrust23THRUST_200600_302600_NS4plusIjEEEE10hipError_tPvRmT2_T3_mT4_P12ihipStream_tbEUlmE_jEESD_NS0_8identityIvEEEESI_SL_SM_mSN_SP_bEUlT_E_NS1_11comp_targetILNS1_3genE4ELNS1_11target_archE910ELNS1_3gpuE8ELNS1_3repE0EEENS1_30default_config_static_selectorELNS0_4arch9wavefront6targetE1EEEvT1_
                                        ; -- End function
	.set _ZN7rocprim17ROCPRIM_400000_NS6detail17trampoline_kernelINS0_14default_configENS1_25transform_config_selectorIjLb0EEEZNS1_14transform_implILb0ES3_S5_NS0_18transform_iteratorINS0_17counting_iteratorImlEEZNS1_24adjacent_difference_implIS3_Lb1ELb0EPKjPjN6thrust23THRUST_200600_302600_NS4plusIjEEEE10hipError_tPvRmT2_T3_mT4_P12ihipStream_tbEUlmE_jEESD_NS0_8identityIvEEEESI_SL_SM_mSN_SP_bEUlT_E_NS1_11comp_targetILNS1_3genE4ELNS1_11target_archE910ELNS1_3gpuE8ELNS1_3repE0EEENS1_30default_config_static_selectorELNS0_4arch9wavefront6targetE1EEEvT1_.num_vgpr, 0
	.set _ZN7rocprim17ROCPRIM_400000_NS6detail17trampoline_kernelINS0_14default_configENS1_25transform_config_selectorIjLb0EEEZNS1_14transform_implILb0ES3_S5_NS0_18transform_iteratorINS0_17counting_iteratorImlEEZNS1_24adjacent_difference_implIS3_Lb1ELb0EPKjPjN6thrust23THRUST_200600_302600_NS4plusIjEEEE10hipError_tPvRmT2_T3_mT4_P12ihipStream_tbEUlmE_jEESD_NS0_8identityIvEEEESI_SL_SM_mSN_SP_bEUlT_E_NS1_11comp_targetILNS1_3genE4ELNS1_11target_archE910ELNS1_3gpuE8ELNS1_3repE0EEENS1_30default_config_static_selectorELNS0_4arch9wavefront6targetE1EEEvT1_.num_agpr, 0
	.set _ZN7rocprim17ROCPRIM_400000_NS6detail17trampoline_kernelINS0_14default_configENS1_25transform_config_selectorIjLb0EEEZNS1_14transform_implILb0ES3_S5_NS0_18transform_iteratorINS0_17counting_iteratorImlEEZNS1_24adjacent_difference_implIS3_Lb1ELb0EPKjPjN6thrust23THRUST_200600_302600_NS4plusIjEEEE10hipError_tPvRmT2_T3_mT4_P12ihipStream_tbEUlmE_jEESD_NS0_8identityIvEEEESI_SL_SM_mSN_SP_bEUlT_E_NS1_11comp_targetILNS1_3genE4ELNS1_11target_archE910ELNS1_3gpuE8ELNS1_3repE0EEENS1_30default_config_static_selectorELNS0_4arch9wavefront6targetE1EEEvT1_.numbered_sgpr, 0
	.set _ZN7rocprim17ROCPRIM_400000_NS6detail17trampoline_kernelINS0_14default_configENS1_25transform_config_selectorIjLb0EEEZNS1_14transform_implILb0ES3_S5_NS0_18transform_iteratorINS0_17counting_iteratorImlEEZNS1_24adjacent_difference_implIS3_Lb1ELb0EPKjPjN6thrust23THRUST_200600_302600_NS4plusIjEEEE10hipError_tPvRmT2_T3_mT4_P12ihipStream_tbEUlmE_jEESD_NS0_8identityIvEEEESI_SL_SM_mSN_SP_bEUlT_E_NS1_11comp_targetILNS1_3genE4ELNS1_11target_archE910ELNS1_3gpuE8ELNS1_3repE0EEENS1_30default_config_static_selectorELNS0_4arch9wavefront6targetE1EEEvT1_.num_named_barrier, 0
	.set _ZN7rocprim17ROCPRIM_400000_NS6detail17trampoline_kernelINS0_14default_configENS1_25transform_config_selectorIjLb0EEEZNS1_14transform_implILb0ES3_S5_NS0_18transform_iteratorINS0_17counting_iteratorImlEEZNS1_24adjacent_difference_implIS3_Lb1ELb0EPKjPjN6thrust23THRUST_200600_302600_NS4plusIjEEEE10hipError_tPvRmT2_T3_mT4_P12ihipStream_tbEUlmE_jEESD_NS0_8identityIvEEEESI_SL_SM_mSN_SP_bEUlT_E_NS1_11comp_targetILNS1_3genE4ELNS1_11target_archE910ELNS1_3gpuE8ELNS1_3repE0EEENS1_30default_config_static_selectorELNS0_4arch9wavefront6targetE1EEEvT1_.private_seg_size, 0
	.set _ZN7rocprim17ROCPRIM_400000_NS6detail17trampoline_kernelINS0_14default_configENS1_25transform_config_selectorIjLb0EEEZNS1_14transform_implILb0ES3_S5_NS0_18transform_iteratorINS0_17counting_iteratorImlEEZNS1_24adjacent_difference_implIS3_Lb1ELb0EPKjPjN6thrust23THRUST_200600_302600_NS4plusIjEEEE10hipError_tPvRmT2_T3_mT4_P12ihipStream_tbEUlmE_jEESD_NS0_8identityIvEEEESI_SL_SM_mSN_SP_bEUlT_E_NS1_11comp_targetILNS1_3genE4ELNS1_11target_archE910ELNS1_3gpuE8ELNS1_3repE0EEENS1_30default_config_static_selectorELNS0_4arch9wavefront6targetE1EEEvT1_.uses_vcc, 0
	.set _ZN7rocprim17ROCPRIM_400000_NS6detail17trampoline_kernelINS0_14default_configENS1_25transform_config_selectorIjLb0EEEZNS1_14transform_implILb0ES3_S5_NS0_18transform_iteratorINS0_17counting_iteratorImlEEZNS1_24adjacent_difference_implIS3_Lb1ELb0EPKjPjN6thrust23THRUST_200600_302600_NS4plusIjEEEE10hipError_tPvRmT2_T3_mT4_P12ihipStream_tbEUlmE_jEESD_NS0_8identityIvEEEESI_SL_SM_mSN_SP_bEUlT_E_NS1_11comp_targetILNS1_3genE4ELNS1_11target_archE910ELNS1_3gpuE8ELNS1_3repE0EEENS1_30default_config_static_selectorELNS0_4arch9wavefront6targetE1EEEvT1_.uses_flat_scratch, 0
	.set _ZN7rocprim17ROCPRIM_400000_NS6detail17trampoline_kernelINS0_14default_configENS1_25transform_config_selectorIjLb0EEEZNS1_14transform_implILb0ES3_S5_NS0_18transform_iteratorINS0_17counting_iteratorImlEEZNS1_24adjacent_difference_implIS3_Lb1ELb0EPKjPjN6thrust23THRUST_200600_302600_NS4plusIjEEEE10hipError_tPvRmT2_T3_mT4_P12ihipStream_tbEUlmE_jEESD_NS0_8identityIvEEEESI_SL_SM_mSN_SP_bEUlT_E_NS1_11comp_targetILNS1_3genE4ELNS1_11target_archE910ELNS1_3gpuE8ELNS1_3repE0EEENS1_30default_config_static_selectorELNS0_4arch9wavefront6targetE1EEEvT1_.has_dyn_sized_stack, 0
	.set _ZN7rocprim17ROCPRIM_400000_NS6detail17trampoline_kernelINS0_14default_configENS1_25transform_config_selectorIjLb0EEEZNS1_14transform_implILb0ES3_S5_NS0_18transform_iteratorINS0_17counting_iteratorImlEEZNS1_24adjacent_difference_implIS3_Lb1ELb0EPKjPjN6thrust23THRUST_200600_302600_NS4plusIjEEEE10hipError_tPvRmT2_T3_mT4_P12ihipStream_tbEUlmE_jEESD_NS0_8identityIvEEEESI_SL_SM_mSN_SP_bEUlT_E_NS1_11comp_targetILNS1_3genE4ELNS1_11target_archE910ELNS1_3gpuE8ELNS1_3repE0EEENS1_30default_config_static_selectorELNS0_4arch9wavefront6targetE1EEEvT1_.has_recursion, 0
	.set _ZN7rocprim17ROCPRIM_400000_NS6detail17trampoline_kernelINS0_14default_configENS1_25transform_config_selectorIjLb0EEEZNS1_14transform_implILb0ES3_S5_NS0_18transform_iteratorINS0_17counting_iteratorImlEEZNS1_24adjacent_difference_implIS3_Lb1ELb0EPKjPjN6thrust23THRUST_200600_302600_NS4plusIjEEEE10hipError_tPvRmT2_T3_mT4_P12ihipStream_tbEUlmE_jEESD_NS0_8identityIvEEEESI_SL_SM_mSN_SP_bEUlT_E_NS1_11comp_targetILNS1_3genE4ELNS1_11target_archE910ELNS1_3gpuE8ELNS1_3repE0EEENS1_30default_config_static_selectorELNS0_4arch9wavefront6targetE1EEEvT1_.has_indirect_call, 0
	.section	.AMDGPU.csdata,"",@progbits
; Kernel info:
; codeLenInByte = 0
; TotalNumSgprs: 4
; NumVgprs: 0
; ScratchSize: 0
; MemoryBound: 0
; FloatMode: 240
; IeeeMode: 1
; LDSByteSize: 0 bytes/workgroup (compile time only)
; SGPRBlocks: 0
; VGPRBlocks: 0
; NumSGPRsForWavesPerEU: 4
; NumVGPRsForWavesPerEU: 1
; Occupancy: 10
; WaveLimiterHint : 0
; COMPUTE_PGM_RSRC2:SCRATCH_EN: 0
; COMPUTE_PGM_RSRC2:USER_SGPR: 6
; COMPUTE_PGM_RSRC2:TRAP_HANDLER: 0
; COMPUTE_PGM_RSRC2:TGID_X_EN: 1
; COMPUTE_PGM_RSRC2:TGID_Y_EN: 0
; COMPUTE_PGM_RSRC2:TGID_Z_EN: 0
; COMPUTE_PGM_RSRC2:TIDIG_COMP_CNT: 0
	.section	.text._ZN7rocprim17ROCPRIM_400000_NS6detail17trampoline_kernelINS0_14default_configENS1_25transform_config_selectorIjLb0EEEZNS1_14transform_implILb0ES3_S5_NS0_18transform_iteratorINS0_17counting_iteratorImlEEZNS1_24adjacent_difference_implIS3_Lb1ELb0EPKjPjN6thrust23THRUST_200600_302600_NS4plusIjEEEE10hipError_tPvRmT2_T3_mT4_P12ihipStream_tbEUlmE_jEESD_NS0_8identityIvEEEESI_SL_SM_mSN_SP_bEUlT_E_NS1_11comp_targetILNS1_3genE3ELNS1_11target_archE908ELNS1_3gpuE7ELNS1_3repE0EEENS1_30default_config_static_selectorELNS0_4arch9wavefront6targetE1EEEvT1_,"axG",@progbits,_ZN7rocprim17ROCPRIM_400000_NS6detail17trampoline_kernelINS0_14default_configENS1_25transform_config_selectorIjLb0EEEZNS1_14transform_implILb0ES3_S5_NS0_18transform_iteratorINS0_17counting_iteratorImlEEZNS1_24adjacent_difference_implIS3_Lb1ELb0EPKjPjN6thrust23THRUST_200600_302600_NS4plusIjEEEE10hipError_tPvRmT2_T3_mT4_P12ihipStream_tbEUlmE_jEESD_NS0_8identityIvEEEESI_SL_SM_mSN_SP_bEUlT_E_NS1_11comp_targetILNS1_3genE3ELNS1_11target_archE908ELNS1_3gpuE7ELNS1_3repE0EEENS1_30default_config_static_selectorELNS0_4arch9wavefront6targetE1EEEvT1_,comdat
	.protected	_ZN7rocprim17ROCPRIM_400000_NS6detail17trampoline_kernelINS0_14default_configENS1_25transform_config_selectorIjLb0EEEZNS1_14transform_implILb0ES3_S5_NS0_18transform_iteratorINS0_17counting_iteratorImlEEZNS1_24adjacent_difference_implIS3_Lb1ELb0EPKjPjN6thrust23THRUST_200600_302600_NS4plusIjEEEE10hipError_tPvRmT2_T3_mT4_P12ihipStream_tbEUlmE_jEESD_NS0_8identityIvEEEESI_SL_SM_mSN_SP_bEUlT_E_NS1_11comp_targetILNS1_3genE3ELNS1_11target_archE908ELNS1_3gpuE7ELNS1_3repE0EEENS1_30default_config_static_selectorELNS0_4arch9wavefront6targetE1EEEvT1_ ; -- Begin function _ZN7rocprim17ROCPRIM_400000_NS6detail17trampoline_kernelINS0_14default_configENS1_25transform_config_selectorIjLb0EEEZNS1_14transform_implILb0ES3_S5_NS0_18transform_iteratorINS0_17counting_iteratorImlEEZNS1_24adjacent_difference_implIS3_Lb1ELb0EPKjPjN6thrust23THRUST_200600_302600_NS4plusIjEEEE10hipError_tPvRmT2_T3_mT4_P12ihipStream_tbEUlmE_jEESD_NS0_8identityIvEEEESI_SL_SM_mSN_SP_bEUlT_E_NS1_11comp_targetILNS1_3genE3ELNS1_11target_archE908ELNS1_3gpuE7ELNS1_3repE0EEENS1_30default_config_static_selectorELNS0_4arch9wavefront6targetE1EEEvT1_
	.globl	_ZN7rocprim17ROCPRIM_400000_NS6detail17trampoline_kernelINS0_14default_configENS1_25transform_config_selectorIjLb0EEEZNS1_14transform_implILb0ES3_S5_NS0_18transform_iteratorINS0_17counting_iteratorImlEEZNS1_24adjacent_difference_implIS3_Lb1ELb0EPKjPjN6thrust23THRUST_200600_302600_NS4plusIjEEEE10hipError_tPvRmT2_T3_mT4_P12ihipStream_tbEUlmE_jEESD_NS0_8identityIvEEEESI_SL_SM_mSN_SP_bEUlT_E_NS1_11comp_targetILNS1_3genE3ELNS1_11target_archE908ELNS1_3gpuE7ELNS1_3repE0EEENS1_30default_config_static_selectorELNS0_4arch9wavefront6targetE1EEEvT1_
	.p2align	8
	.type	_ZN7rocprim17ROCPRIM_400000_NS6detail17trampoline_kernelINS0_14default_configENS1_25transform_config_selectorIjLb0EEEZNS1_14transform_implILb0ES3_S5_NS0_18transform_iteratorINS0_17counting_iteratorImlEEZNS1_24adjacent_difference_implIS3_Lb1ELb0EPKjPjN6thrust23THRUST_200600_302600_NS4plusIjEEEE10hipError_tPvRmT2_T3_mT4_P12ihipStream_tbEUlmE_jEESD_NS0_8identityIvEEEESI_SL_SM_mSN_SP_bEUlT_E_NS1_11comp_targetILNS1_3genE3ELNS1_11target_archE908ELNS1_3gpuE7ELNS1_3repE0EEENS1_30default_config_static_selectorELNS0_4arch9wavefront6targetE1EEEvT1_,@function
_ZN7rocprim17ROCPRIM_400000_NS6detail17trampoline_kernelINS0_14default_configENS1_25transform_config_selectorIjLb0EEEZNS1_14transform_implILb0ES3_S5_NS0_18transform_iteratorINS0_17counting_iteratorImlEEZNS1_24adjacent_difference_implIS3_Lb1ELb0EPKjPjN6thrust23THRUST_200600_302600_NS4plusIjEEEE10hipError_tPvRmT2_T3_mT4_P12ihipStream_tbEUlmE_jEESD_NS0_8identityIvEEEESI_SL_SM_mSN_SP_bEUlT_E_NS1_11comp_targetILNS1_3genE3ELNS1_11target_archE908ELNS1_3gpuE7ELNS1_3repE0EEENS1_30default_config_static_selectorELNS0_4arch9wavefront6targetE1EEEvT1_: ; @_ZN7rocprim17ROCPRIM_400000_NS6detail17trampoline_kernelINS0_14default_configENS1_25transform_config_selectorIjLb0EEEZNS1_14transform_implILb0ES3_S5_NS0_18transform_iteratorINS0_17counting_iteratorImlEEZNS1_24adjacent_difference_implIS3_Lb1ELb0EPKjPjN6thrust23THRUST_200600_302600_NS4plusIjEEEE10hipError_tPvRmT2_T3_mT4_P12ihipStream_tbEUlmE_jEESD_NS0_8identityIvEEEESI_SL_SM_mSN_SP_bEUlT_E_NS1_11comp_targetILNS1_3genE3ELNS1_11target_archE908ELNS1_3gpuE7ELNS1_3repE0EEENS1_30default_config_static_selectorELNS0_4arch9wavefront6targetE1EEEvT1_
; %bb.0:
	.section	.rodata,"a",@progbits
	.p2align	6, 0x0
	.amdhsa_kernel _ZN7rocprim17ROCPRIM_400000_NS6detail17trampoline_kernelINS0_14default_configENS1_25transform_config_selectorIjLb0EEEZNS1_14transform_implILb0ES3_S5_NS0_18transform_iteratorINS0_17counting_iteratorImlEEZNS1_24adjacent_difference_implIS3_Lb1ELb0EPKjPjN6thrust23THRUST_200600_302600_NS4plusIjEEEE10hipError_tPvRmT2_T3_mT4_P12ihipStream_tbEUlmE_jEESD_NS0_8identityIvEEEESI_SL_SM_mSN_SP_bEUlT_E_NS1_11comp_targetILNS1_3genE3ELNS1_11target_archE908ELNS1_3gpuE7ELNS1_3repE0EEENS1_30default_config_static_selectorELNS0_4arch9wavefront6targetE1EEEvT1_
		.amdhsa_group_segment_fixed_size 0
		.amdhsa_private_segment_fixed_size 0
		.amdhsa_kernarg_size 56
		.amdhsa_user_sgpr_count 6
		.amdhsa_user_sgpr_private_segment_buffer 1
		.amdhsa_user_sgpr_dispatch_ptr 0
		.amdhsa_user_sgpr_queue_ptr 0
		.amdhsa_user_sgpr_kernarg_segment_ptr 1
		.amdhsa_user_sgpr_dispatch_id 0
		.amdhsa_user_sgpr_flat_scratch_init 0
		.amdhsa_user_sgpr_private_segment_size 0
		.amdhsa_uses_dynamic_stack 0
		.amdhsa_system_sgpr_private_segment_wavefront_offset 0
		.amdhsa_system_sgpr_workgroup_id_x 1
		.amdhsa_system_sgpr_workgroup_id_y 0
		.amdhsa_system_sgpr_workgroup_id_z 0
		.amdhsa_system_sgpr_workgroup_info 0
		.amdhsa_system_vgpr_workitem_id 0
		.amdhsa_next_free_vgpr 1
		.amdhsa_next_free_sgpr 0
		.amdhsa_reserve_vcc 0
		.amdhsa_reserve_flat_scratch 0
		.amdhsa_float_round_mode_32 0
		.amdhsa_float_round_mode_16_64 0
		.amdhsa_float_denorm_mode_32 3
		.amdhsa_float_denorm_mode_16_64 3
		.amdhsa_dx10_clamp 1
		.amdhsa_ieee_mode 1
		.amdhsa_fp16_overflow 0
		.amdhsa_exception_fp_ieee_invalid_op 0
		.amdhsa_exception_fp_denorm_src 0
		.amdhsa_exception_fp_ieee_div_zero 0
		.amdhsa_exception_fp_ieee_overflow 0
		.amdhsa_exception_fp_ieee_underflow 0
		.amdhsa_exception_fp_ieee_inexact 0
		.amdhsa_exception_int_div_zero 0
	.end_amdhsa_kernel
	.section	.text._ZN7rocprim17ROCPRIM_400000_NS6detail17trampoline_kernelINS0_14default_configENS1_25transform_config_selectorIjLb0EEEZNS1_14transform_implILb0ES3_S5_NS0_18transform_iteratorINS0_17counting_iteratorImlEEZNS1_24adjacent_difference_implIS3_Lb1ELb0EPKjPjN6thrust23THRUST_200600_302600_NS4plusIjEEEE10hipError_tPvRmT2_T3_mT4_P12ihipStream_tbEUlmE_jEESD_NS0_8identityIvEEEESI_SL_SM_mSN_SP_bEUlT_E_NS1_11comp_targetILNS1_3genE3ELNS1_11target_archE908ELNS1_3gpuE7ELNS1_3repE0EEENS1_30default_config_static_selectorELNS0_4arch9wavefront6targetE1EEEvT1_,"axG",@progbits,_ZN7rocprim17ROCPRIM_400000_NS6detail17trampoline_kernelINS0_14default_configENS1_25transform_config_selectorIjLb0EEEZNS1_14transform_implILb0ES3_S5_NS0_18transform_iteratorINS0_17counting_iteratorImlEEZNS1_24adjacent_difference_implIS3_Lb1ELb0EPKjPjN6thrust23THRUST_200600_302600_NS4plusIjEEEE10hipError_tPvRmT2_T3_mT4_P12ihipStream_tbEUlmE_jEESD_NS0_8identityIvEEEESI_SL_SM_mSN_SP_bEUlT_E_NS1_11comp_targetILNS1_3genE3ELNS1_11target_archE908ELNS1_3gpuE7ELNS1_3repE0EEENS1_30default_config_static_selectorELNS0_4arch9wavefront6targetE1EEEvT1_,comdat
.Lfunc_end659:
	.size	_ZN7rocprim17ROCPRIM_400000_NS6detail17trampoline_kernelINS0_14default_configENS1_25transform_config_selectorIjLb0EEEZNS1_14transform_implILb0ES3_S5_NS0_18transform_iteratorINS0_17counting_iteratorImlEEZNS1_24adjacent_difference_implIS3_Lb1ELb0EPKjPjN6thrust23THRUST_200600_302600_NS4plusIjEEEE10hipError_tPvRmT2_T3_mT4_P12ihipStream_tbEUlmE_jEESD_NS0_8identityIvEEEESI_SL_SM_mSN_SP_bEUlT_E_NS1_11comp_targetILNS1_3genE3ELNS1_11target_archE908ELNS1_3gpuE7ELNS1_3repE0EEENS1_30default_config_static_selectorELNS0_4arch9wavefront6targetE1EEEvT1_, .Lfunc_end659-_ZN7rocprim17ROCPRIM_400000_NS6detail17trampoline_kernelINS0_14default_configENS1_25transform_config_selectorIjLb0EEEZNS1_14transform_implILb0ES3_S5_NS0_18transform_iteratorINS0_17counting_iteratorImlEEZNS1_24adjacent_difference_implIS3_Lb1ELb0EPKjPjN6thrust23THRUST_200600_302600_NS4plusIjEEEE10hipError_tPvRmT2_T3_mT4_P12ihipStream_tbEUlmE_jEESD_NS0_8identityIvEEEESI_SL_SM_mSN_SP_bEUlT_E_NS1_11comp_targetILNS1_3genE3ELNS1_11target_archE908ELNS1_3gpuE7ELNS1_3repE0EEENS1_30default_config_static_selectorELNS0_4arch9wavefront6targetE1EEEvT1_
                                        ; -- End function
	.set _ZN7rocprim17ROCPRIM_400000_NS6detail17trampoline_kernelINS0_14default_configENS1_25transform_config_selectorIjLb0EEEZNS1_14transform_implILb0ES3_S5_NS0_18transform_iteratorINS0_17counting_iteratorImlEEZNS1_24adjacent_difference_implIS3_Lb1ELb0EPKjPjN6thrust23THRUST_200600_302600_NS4plusIjEEEE10hipError_tPvRmT2_T3_mT4_P12ihipStream_tbEUlmE_jEESD_NS0_8identityIvEEEESI_SL_SM_mSN_SP_bEUlT_E_NS1_11comp_targetILNS1_3genE3ELNS1_11target_archE908ELNS1_3gpuE7ELNS1_3repE0EEENS1_30default_config_static_selectorELNS0_4arch9wavefront6targetE1EEEvT1_.num_vgpr, 0
	.set _ZN7rocprim17ROCPRIM_400000_NS6detail17trampoline_kernelINS0_14default_configENS1_25transform_config_selectorIjLb0EEEZNS1_14transform_implILb0ES3_S5_NS0_18transform_iteratorINS0_17counting_iteratorImlEEZNS1_24adjacent_difference_implIS3_Lb1ELb0EPKjPjN6thrust23THRUST_200600_302600_NS4plusIjEEEE10hipError_tPvRmT2_T3_mT4_P12ihipStream_tbEUlmE_jEESD_NS0_8identityIvEEEESI_SL_SM_mSN_SP_bEUlT_E_NS1_11comp_targetILNS1_3genE3ELNS1_11target_archE908ELNS1_3gpuE7ELNS1_3repE0EEENS1_30default_config_static_selectorELNS0_4arch9wavefront6targetE1EEEvT1_.num_agpr, 0
	.set _ZN7rocprim17ROCPRIM_400000_NS6detail17trampoline_kernelINS0_14default_configENS1_25transform_config_selectorIjLb0EEEZNS1_14transform_implILb0ES3_S5_NS0_18transform_iteratorINS0_17counting_iteratorImlEEZNS1_24adjacent_difference_implIS3_Lb1ELb0EPKjPjN6thrust23THRUST_200600_302600_NS4plusIjEEEE10hipError_tPvRmT2_T3_mT4_P12ihipStream_tbEUlmE_jEESD_NS0_8identityIvEEEESI_SL_SM_mSN_SP_bEUlT_E_NS1_11comp_targetILNS1_3genE3ELNS1_11target_archE908ELNS1_3gpuE7ELNS1_3repE0EEENS1_30default_config_static_selectorELNS0_4arch9wavefront6targetE1EEEvT1_.numbered_sgpr, 0
	.set _ZN7rocprim17ROCPRIM_400000_NS6detail17trampoline_kernelINS0_14default_configENS1_25transform_config_selectorIjLb0EEEZNS1_14transform_implILb0ES3_S5_NS0_18transform_iteratorINS0_17counting_iteratorImlEEZNS1_24adjacent_difference_implIS3_Lb1ELb0EPKjPjN6thrust23THRUST_200600_302600_NS4plusIjEEEE10hipError_tPvRmT2_T3_mT4_P12ihipStream_tbEUlmE_jEESD_NS0_8identityIvEEEESI_SL_SM_mSN_SP_bEUlT_E_NS1_11comp_targetILNS1_3genE3ELNS1_11target_archE908ELNS1_3gpuE7ELNS1_3repE0EEENS1_30default_config_static_selectorELNS0_4arch9wavefront6targetE1EEEvT1_.num_named_barrier, 0
	.set _ZN7rocprim17ROCPRIM_400000_NS6detail17trampoline_kernelINS0_14default_configENS1_25transform_config_selectorIjLb0EEEZNS1_14transform_implILb0ES3_S5_NS0_18transform_iteratorINS0_17counting_iteratorImlEEZNS1_24adjacent_difference_implIS3_Lb1ELb0EPKjPjN6thrust23THRUST_200600_302600_NS4plusIjEEEE10hipError_tPvRmT2_T3_mT4_P12ihipStream_tbEUlmE_jEESD_NS0_8identityIvEEEESI_SL_SM_mSN_SP_bEUlT_E_NS1_11comp_targetILNS1_3genE3ELNS1_11target_archE908ELNS1_3gpuE7ELNS1_3repE0EEENS1_30default_config_static_selectorELNS0_4arch9wavefront6targetE1EEEvT1_.private_seg_size, 0
	.set _ZN7rocprim17ROCPRIM_400000_NS6detail17trampoline_kernelINS0_14default_configENS1_25transform_config_selectorIjLb0EEEZNS1_14transform_implILb0ES3_S5_NS0_18transform_iteratorINS0_17counting_iteratorImlEEZNS1_24adjacent_difference_implIS3_Lb1ELb0EPKjPjN6thrust23THRUST_200600_302600_NS4plusIjEEEE10hipError_tPvRmT2_T3_mT4_P12ihipStream_tbEUlmE_jEESD_NS0_8identityIvEEEESI_SL_SM_mSN_SP_bEUlT_E_NS1_11comp_targetILNS1_3genE3ELNS1_11target_archE908ELNS1_3gpuE7ELNS1_3repE0EEENS1_30default_config_static_selectorELNS0_4arch9wavefront6targetE1EEEvT1_.uses_vcc, 0
	.set _ZN7rocprim17ROCPRIM_400000_NS6detail17trampoline_kernelINS0_14default_configENS1_25transform_config_selectorIjLb0EEEZNS1_14transform_implILb0ES3_S5_NS0_18transform_iteratorINS0_17counting_iteratorImlEEZNS1_24adjacent_difference_implIS3_Lb1ELb0EPKjPjN6thrust23THRUST_200600_302600_NS4plusIjEEEE10hipError_tPvRmT2_T3_mT4_P12ihipStream_tbEUlmE_jEESD_NS0_8identityIvEEEESI_SL_SM_mSN_SP_bEUlT_E_NS1_11comp_targetILNS1_3genE3ELNS1_11target_archE908ELNS1_3gpuE7ELNS1_3repE0EEENS1_30default_config_static_selectorELNS0_4arch9wavefront6targetE1EEEvT1_.uses_flat_scratch, 0
	.set _ZN7rocprim17ROCPRIM_400000_NS6detail17trampoline_kernelINS0_14default_configENS1_25transform_config_selectorIjLb0EEEZNS1_14transform_implILb0ES3_S5_NS0_18transform_iteratorINS0_17counting_iteratorImlEEZNS1_24adjacent_difference_implIS3_Lb1ELb0EPKjPjN6thrust23THRUST_200600_302600_NS4plusIjEEEE10hipError_tPvRmT2_T3_mT4_P12ihipStream_tbEUlmE_jEESD_NS0_8identityIvEEEESI_SL_SM_mSN_SP_bEUlT_E_NS1_11comp_targetILNS1_3genE3ELNS1_11target_archE908ELNS1_3gpuE7ELNS1_3repE0EEENS1_30default_config_static_selectorELNS0_4arch9wavefront6targetE1EEEvT1_.has_dyn_sized_stack, 0
	.set _ZN7rocprim17ROCPRIM_400000_NS6detail17trampoline_kernelINS0_14default_configENS1_25transform_config_selectorIjLb0EEEZNS1_14transform_implILb0ES3_S5_NS0_18transform_iteratorINS0_17counting_iteratorImlEEZNS1_24adjacent_difference_implIS3_Lb1ELb0EPKjPjN6thrust23THRUST_200600_302600_NS4plusIjEEEE10hipError_tPvRmT2_T3_mT4_P12ihipStream_tbEUlmE_jEESD_NS0_8identityIvEEEESI_SL_SM_mSN_SP_bEUlT_E_NS1_11comp_targetILNS1_3genE3ELNS1_11target_archE908ELNS1_3gpuE7ELNS1_3repE0EEENS1_30default_config_static_selectorELNS0_4arch9wavefront6targetE1EEEvT1_.has_recursion, 0
	.set _ZN7rocprim17ROCPRIM_400000_NS6detail17trampoline_kernelINS0_14default_configENS1_25transform_config_selectorIjLb0EEEZNS1_14transform_implILb0ES3_S5_NS0_18transform_iteratorINS0_17counting_iteratorImlEEZNS1_24adjacent_difference_implIS3_Lb1ELb0EPKjPjN6thrust23THRUST_200600_302600_NS4plusIjEEEE10hipError_tPvRmT2_T3_mT4_P12ihipStream_tbEUlmE_jEESD_NS0_8identityIvEEEESI_SL_SM_mSN_SP_bEUlT_E_NS1_11comp_targetILNS1_3genE3ELNS1_11target_archE908ELNS1_3gpuE7ELNS1_3repE0EEENS1_30default_config_static_selectorELNS0_4arch9wavefront6targetE1EEEvT1_.has_indirect_call, 0
	.section	.AMDGPU.csdata,"",@progbits
; Kernel info:
; codeLenInByte = 0
; TotalNumSgprs: 4
; NumVgprs: 0
; ScratchSize: 0
; MemoryBound: 0
; FloatMode: 240
; IeeeMode: 1
; LDSByteSize: 0 bytes/workgroup (compile time only)
; SGPRBlocks: 0
; VGPRBlocks: 0
; NumSGPRsForWavesPerEU: 4
; NumVGPRsForWavesPerEU: 1
; Occupancy: 10
; WaveLimiterHint : 0
; COMPUTE_PGM_RSRC2:SCRATCH_EN: 0
; COMPUTE_PGM_RSRC2:USER_SGPR: 6
; COMPUTE_PGM_RSRC2:TRAP_HANDLER: 0
; COMPUTE_PGM_RSRC2:TGID_X_EN: 1
; COMPUTE_PGM_RSRC2:TGID_Y_EN: 0
; COMPUTE_PGM_RSRC2:TGID_Z_EN: 0
; COMPUTE_PGM_RSRC2:TIDIG_COMP_CNT: 0
	.section	.text._ZN7rocprim17ROCPRIM_400000_NS6detail17trampoline_kernelINS0_14default_configENS1_25transform_config_selectorIjLb0EEEZNS1_14transform_implILb0ES3_S5_NS0_18transform_iteratorINS0_17counting_iteratorImlEEZNS1_24adjacent_difference_implIS3_Lb1ELb0EPKjPjN6thrust23THRUST_200600_302600_NS4plusIjEEEE10hipError_tPvRmT2_T3_mT4_P12ihipStream_tbEUlmE_jEESD_NS0_8identityIvEEEESI_SL_SM_mSN_SP_bEUlT_E_NS1_11comp_targetILNS1_3genE2ELNS1_11target_archE906ELNS1_3gpuE6ELNS1_3repE0EEENS1_30default_config_static_selectorELNS0_4arch9wavefront6targetE1EEEvT1_,"axG",@progbits,_ZN7rocprim17ROCPRIM_400000_NS6detail17trampoline_kernelINS0_14default_configENS1_25transform_config_selectorIjLb0EEEZNS1_14transform_implILb0ES3_S5_NS0_18transform_iteratorINS0_17counting_iteratorImlEEZNS1_24adjacent_difference_implIS3_Lb1ELb0EPKjPjN6thrust23THRUST_200600_302600_NS4plusIjEEEE10hipError_tPvRmT2_T3_mT4_P12ihipStream_tbEUlmE_jEESD_NS0_8identityIvEEEESI_SL_SM_mSN_SP_bEUlT_E_NS1_11comp_targetILNS1_3genE2ELNS1_11target_archE906ELNS1_3gpuE6ELNS1_3repE0EEENS1_30default_config_static_selectorELNS0_4arch9wavefront6targetE1EEEvT1_,comdat
	.protected	_ZN7rocprim17ROCPRIM_400000_NS6detail17trampoline_kernelINS0_14default_configENS1_25transform_config_selectorIjLb0EEEZNS1_14transform_implILb0ES3_S5_NS0_18transform_iteratorINS0_17counting_iteratorImlEEZNS1_24adjacent_difference_implIS3_Lb1ELb0EPKjPjN6thrust23THRUST_200600_302600_NS4plusIjEEEE10hipError_tPvRmT2_T3_mT4_P12ihipStream_tbEUlmE_jEESD_NS0_8identityIvEEEESI_SL_SM_mSN_SP_bEUlT_E_NS1_11comp_targetILNS1_3genE2ELNS1_11target_archE906ELNS1_3gpuE6ELNS1_3repE0EEENS1_30default_config_static_selectorELNS0_4arch9wavefront6targetE1EEEvT1_ ; -- Begin function _ZN7rocprim17ROCPRIM_400000_NS6detail17trampoline_kernelINS0_14default_configENS1_25transform_config_selectorIjLb0EEEZNS1_14transform_implILb0ES3_S5_NS0_18transform_iteratorINS0_17counting_iteratorImlEEZNS1_24adjacent_difference_implIS3_Lb1ELb0EPKjPjN6thrust23THRUST_200600_302600_NS4plusIjEEEE10hipError_tPvRmT2_T3_mT4_P12ihipStream_tbEUlmE_jEESD_NS0_8identityIvEEEESI_SL_SM_mSN_SP_bEUlT_E_NS1_11comp_targetILNS1_3genE2ELNS1_11target_archE906ELNS1_3gpuE6ELNS1_3repE0EEENS1_30default_config_static_selectorELNS0_4arch9wavefront6targetE1EEEvT1_
	.globl	_ZN7rocprim17ROCPRIM_400000_NS6detail17trampoline_kernelINS0_14default_configENS1_25transform_config_selectorIjLb0EEEZNS1_14transform_implILb0ES3_S5_NS0_18transform_iteratorINS0_17counting_iteratorImlEEZNS1_24adjacent_difference_implIS3_Lb1ELb0EPKjPjN6thrust23THRUST_200600_302600_NS4plusIjEEEE10hipError_tPvRmT2_T3_mT4_P12ihipStream_tbEUlmE_jEESD_NS0_8identityIvEEEESI_SL_SM_mSN_SP_bEUlT_E_NS1_11comp_targetILNS1_3genE2ELNS1_11target_archE906ELNS1_3gpuE6ELNS1_3repE0EEENS1_30default_config_static_selectorELNS0_4arch9wavefront6targetE1EEEvT1_
	.p2align	8
	.type	_ZN7rocprim17ROCPRIM_400000_NS6detail17trampoline_kernelINS0_14default_configENS1_25transform_config_selectorIjLb0EEEZNS1_14transform_implILb0ES3_S5_NS0_18transform_iteratorINS0_17counting_iteratorImlEEZNS1_24adjacent_difference_implIS3_Lb1ELb0EPKjPjN6thrust23THRUST_200600_302600_NS4plusIjEEEE10hipError_tPvRmT2_T3_mT4_P12ihipStream_tbEUlmE_jEESD_NS0_8identityIvEEEESI_SL_SM_mSN_SP_bEUlT_E_NS1_11comp_targetILNS1_3genE2ELNS1_11target_archE906ELNS1_3gpuE6ELNS1_3repE0EEENS1_30default_config_static_selectorELNS0_4arch9wavefront6targetE1EEEvT1_,@function
_ZN7rocprim17ROCPRIM_400000_NS6detail17trampoline_kernelINS0_14default_configENS1_25transform_config_selectorIjLb0EEEZNS1_14transform_implILb0ES3_S5_NS0_18transform_iteratorINS0_17counting_iteratorImlEEZNS1_24adjacent_difference_implIS3_Lb1ELb0EPKjPjN6thrust23THRUST_200600_302600_NS4plusIjEEEE10hipError_tPvRmT2_T3_mT4_P12ihipStream_tbEUlmE_jEESD_NS0_8identityIvEEEESI_SL_SM_mSN_SP_bEUlT_E_NS1_11comp_targetILNS1_3genE2ELNS1_11target_archE906ELNS1_3gpuE6ELNS1_3repE0EEENS1_30default_config_static_selectorELNS0_4arch9wavefront6targetE1EEEvT1_: ; @_ZN7rocprim17ROCPRIM_400000_NS6detail17trampoline_kernelINS0_14default_configENS1_25transform_config_selectorIjLb0EEEZNS1_14transform_implILb0ES3_S5_NS0_18transform_iteratorINS0_17counting_iteratorImlEEZNS1_24adjacent_difference_implIS3_Lb1ELb0EPKjPjN6thrust23THRUST_200600_302600_NS4plusIjEEEE10hipError_tPvRmT2_T3_mT4_P12ihipStream_tbEUlmE_jEESD_NS0_8identityIvEEEESI_SL_SM_mSN_SP_bEUlT_E_NS1_11comp_targetILNS1_3genE2ELNS1_11target_archE906ELNS1_3gpuE6ELNS1_3repE0EEENS1_30default_config_static_selectorELNS0_4arch9wavefront6targetE1EEEvT1_
; %bb.0:
	s_load_dwordx4 s[0:3], s[4:5], 0x18
	s_load_dwordx2 s[14:15], s[4:5], 0x28
	s_load_dwordx4 s[8:11], s[4:5], 0x0
	s_load_dword s12, s[4:5], 0x10
	s_waitcnt lgkmcnt(0)
	s_load_dword s3, s[4:5], 0x38
                                        ; kill: killed $sgpr4_sgpr5
	s_lshl_b64 s[4:5], s[0:1], 2
	s_add_u32 s14, s14, s4
	s_addc_u32 s15, s15, s5
	s_lshl_b32 s4, s6, 11
	s_waitcnt lgkmcnt(0)
	s_add_i32 s3, s3, -1
	s_add_u32 s7, s8, s4
	s_addc_u32 s8, s9, 0
	s_add_u32 s16, s7, s0
	s_addc_u32 s17, s8, s1
	s_mov_b32 s5, 0
	s_cmp_lg_u32 s6, s3
	v_lshlrev_b32_e32 v5, 2, v0
	s_cbranch_scc0 .LBB660_2
; %bb.1:
	v_mov_b32_e32 v1, s17
	v_add_co_u32_e32 v2, vcc, s16, v0
	v_addc_co_u32_e32 v3, vcc, 0, v1, vcc
	v_mad_u64_u32 v[1:2], s[0:1], v2, s12, 0
	s_mov_b32 s13, s5
	s_lshl_b64 s[6:7], s[4:5], 2
	v_mad_u64_u32 v[2:3], s[0:1], v3, s12, v[2:3]
	v_mov_b32_e32 v3, s11
	s_lshl_b64 s[0:1], s[12:13], 12
	v_lshlrev_b64 v[1:2], 2, v[1:2]
	s_add_u32 s6, s14, s6
	v_add_co_u32_e32 v1, vcc, s10, v1
	v_addc_co_u32_e32 v2, vcc, v3, v2, vcc
	global_load_dword v6, v[1:2], off
	v_mov_b32_e32 v3, s1
	v_add_co_u32_e32 v1, vcc, s0, v1
	v_addc_co_u32_e32 v2, vcc, v2, v3, vcc
	global_load_dword v1, v[1:2], off
	s_addc_u32 s7, s15, s7
	v_mov_b32_e32 v2, s7
	v_add_co_u32_e32 v3, vcc, s6, v5
	v_addc_co_u32_e32 v4, vcc, 0, v2, vcc
	s_waitcnt vmcnt(1)
	global_store_dword v5, v6, s[6:7]
	s_mov_b64 s[6:7], -1
	s_cbranch_execz .LBB660_3
	s_branch .LBB660_12
.LBB660_2:
	s_mov_b64 s[6:7], 0
                                        ; implicit-def: $vgpr1
                                        ; implicit-def: $vgpr3_vgpr4
.LBB660_3:
	s_sub_i32 s8, s2, s4
	s_waitcnt vmcnt(1)
	v_mov_b32_e32 v1, 0
	v_cmp_gt_u32_e32 vcc, s8, v0
	v_mov_b32_e32 v2, v1
	s_and_saveexec_b64 s[2:3], vcc
	s_cbranch_execz .LBB660_5
; %bb.4:
	v_mov_b32_e32 v2, s17
	v_add_co_u32_e64 v3, s[0:1], s16, v0
	v_addc_co_u32_e64 v4, s[0:1], 0, v2, s[0:1]
	v_mad_u64_u32 v[2:3], s[0:1], v3, s12, 0
	v_mad_u64_u32 v[3:4], s[0:1], v4, s12, v[3:4]
	v_mov_b32_e32 v4, s11
	v_lshlrev_b64 v[2:3], 2, v[2:3]
	v_add_co_u32_e64 v2, s[0:1], s10, v2
	v_addc_co_u32_e64 v3, s[0:1], v4, v3, s[0:1]
	global_load_dword v2, v[2:3], off
	v_mov_b32_e32 v3, v1
	s_waitcnt vmcnt(0)
	v_mov_b32_e32 v1, v2
	v_mov_b32_e32 v2, v3
.LBB660_5:
	s_or_b64 exec, exec, s[2:3]
	v_or_b32_e32 v0, 0x400, v0
	v_cmp_gt_u32_e64 s[0:1], s8, v0
	s_and_saveexec_b64 s[8:9], s[0:1]
	s_cbranch_execz .LBB660_7
; %bb.6:
	v_mov_b32_e32 v2, s17
	v_add_co_u32_e64 v0, s[2:3], s16, v0
	v_addc_co_u32_e64 v4, s[2:3], 0, v2, s[2:3]
	v_mad_u64_u32 v[2:3], s[2:3], v0, s12, 0
	v_mov_b32_e32 v0, v3
	v_mad_u64_u32 v[3:4], s[2:3], v4, s12, v[0:1]
	v_mov_b32_e32 v0, s11
	v_lshlrev_b64 v[2:3], 2, v[2:3]
	v_add_co_u32_e64 v2, s[2:3], s10, v2
	v_addc_co_u32_e64 v3, s[2:3], v0, v3, s[2:3]
	global_load_dword v2, v[2:3], off
.LBB660_7:
	s_or_b64 exec, exec, s[8:9]
	s_lshl_b64 s[2:3], s[4:5], 2
	s_add_u32 s2, s14, s2
	s_addc_u32 s3, s15, s3
	v_cndmask_b32_e32 v0, 0, v1, vcc
	v_mov_b32_e32 v1, s3
	v_add_co_u32_e64 v3, s[2:3], s2, v5
	v_addc_co_u32_e64 v4, s[2:3], 0, v1, s[2:3]
	s_and_saveexec_b64 s[2:3], vcc
	s_cbranch_execz .LBB660_9
; %bb.8:
	global_store_dword v[3:4], v0, off
.LBB660_9:
	s_or_b64 exec, exec, s[2:3]
                                        ; implicit-def: $vgpr1
	s_and_saveexec_b64 s[2:3], s[0:1]
	s_cbranch_execz .LBB660_11
; %bb.10:
	s_waitcnt vmcnt(0)
	v_cndmask_b32_e64 v1, 0, v2, s[0:1]
	s_or_b64 s[6:7], s[6:7], exec
.LBB660_11:
	s_or_b64 exec, exec, s[2:3]
.LBB660_12:
	s_and_saveexec_b64 s[0:1], s[6:7]
	s_cbranch_execnz .LBB660_14
; %bb.13:
	s_endpgm
.LBB660_14:
	s_waitcnt vmcnt(0)
	v_add_co_u32_e32 v2, vcc, 0x1000, v3
	v_addc_co_u32_e32 v3, vcc, 0, v4, vcc
	global_store_dword v[2:3], v1, off
	s_endpgm
	.section	.rodata,"a",@progbits
	.p2align	6, 0x0
	.amdhsa_kernel _ZN7rocprim17ROCPRIM_400000_NS6detail17trampoline_kernelINS0_14default_configENS1_25transform_config_selectorIjLb0EEEZNS1_14transform_implILb0ES3_S5_NS0_18transform_iteratorINS0_17counting_iteratorImlEEZNS1_24adjacent_difference_implIS3_Lb1ELb0EPKjPjN6thrust23THRUST_200600_302600_NS4plusIjEEEE10hipError_tPvRmT2_T3_mT4_P12ihipStream_tbEUlmE_jEESD_NS0_8identityIvEEEESI_SL_SM_mSN_SP_bEUlT_E_NS1_11comp_targetILNS1_3genE2ELNS1_11target_archE906ELNS1_3gpuE6ELNS1_3repE0EEENS1_30default_config_static_selectorELNS0_4arch9wavefront6targetE1EEEvT1_
		.amdhsa_group_segment_fixed_size 0
		.amdhsa_private_segment_fixed_size 0
		.amdhsa_kernarg_size 312
		.amdhsa_user_sgpr_count 6
		.amdhsa_user_sgpr_private_segment_buffer 1
		.amdhsa_user_sgpr_dispatch_ptr 0
		.amdhsa_user_sgpr_queue_ptr 0
		.amdhsa_user_sgpr_kernarg_segment_ptr 1
		.amdhsa_user_sgpr_dispatch_id 0
		.amdhsa_user_sgpr_flat_scratch_init 0
		.amdhsa_user_sgpr_private_segment_size 0
		.amdhsa_uses_dynamic_stack 0
		.amdhsa_system_sgpr_private_segment_wavefront_offset 0
		.amdhsa_system_sgpr_workgroup_id_x 1
		.amdhsa_system_sgpr_workgroup_id_y 0
		.amdhsa_system_sgpr_workgroup_id_z 0
		.amdhsa_system_sgpr_workgroup_info 0
		.amdhsa_system_vgpr_workitem_id 0
		.amdhsa_next_free_vgpr 7
		.amdhsa_next_free_sgpr 18
		.amdhsa_reserve_vcc 1
		.amdhsa_reserve_flat_scratch 0
		.amdhsa_float_round_mode_32 0
		.amdhsa_float_round_mode_16_64 0
		.amdhsa_float_denorm_mode_32 3
		.amdhsa_float_denorm_mode_16_64 3
		.amdhsa_dx10_clamp 1
		.amdhsa_ieee_mode 1
		.amdhsa_fp16_overflow 0
		.amdhsa_exception_fp_ieee_invalid_op 0
		.amdhsa_exception_fp_denorm_src 0
		.amdhsa_exception_fp_ieee_div_zero 0
		.amdhsa_exception_fp_ieee_overflow 0
		.amdhsa_exception_fp_ieee_underflow 0
		.amdhsa_exception_fp_ieee_inexact 0
		.amdhsa_exception_int_div_zero 0
	.end_amdhsa_kernel
	.section	.text._ZN7rocprim17ROCPRIM_400000_NS6detail17trampoline_kernelINS0_14default_configENS1_25transform_config_selectorIjLb0EEEZNS1_14transform_implILb0ES3_S5_NS0_18transform_iteratorINS0_17counting_iteratorImlEEZNS1_24adjacent_difference_implIS3_Lb1ELb0EPKjPjN6thrust23THRUST_200600_302600_NS4plusIjEEEE10hipError_tPvRmT2_T3_mT4_P12ihipStream_tbEUlmE_jEESD_NS0_8identityIvEEEESI_SL_SM_mSN_SP_bEUlT_E_NS1_11comp_targetILNS1_3genE2ELNS1_11target_archE906ELNS1_3gpuE6ELNS1_3repE0EEENS1_30default_config_static_selectorELNS0_4arch9wavefront6targetE1EEEvT1_,"axG",@progbits,_ZN7rocprim17ROCPRIM_400000_NS6detail17trampoline_kernelINS0_14default_configENS1_25transform_config_selectorIjLb0EEEZNS1_14transform_implILb0ES3_S5_NS0_18transform_iteratorINS0_17counting_iteratorImlEEZNS1_24adjacent_difference_implIS3_Lb1ELb0EPKjPjN6thrust23THRUST_200600_302600_NS4plusIjEEEE10hipError_tPvRmT2_T3_mT4_P12ihipStream_tbEUlmE_jEESD_NS0_8identityIvEEEESI_SL_SM_mSN_SP_bEUlT_E_NS1_11comp_targetILNS1_3genE2ELNS1_11target_archE906ELNS1_3gpuE6ELNS1_3repE0EEENS1_30default_config_static_selectorELNS0_4arch9wavefront6targetE1EEEvT1_,comdat
.Lfunc_end660:
	.size	_ZN7rocprim17ROCPRIM_400000_NS6detail17trampoline_kernelINS0_14default_configENS1_25transform_config_selectorIjLb0EEEZNS1_14transform_implILb0ES3_S5_NS0_18transform_iteratorINS0_17counting_iteratorImlEEZNS1_24adjacent_difference_implIS3_Lb1ELb0EPKjPjN6thrust23THRUST_200600_302600_NS4plusIjEEEE10hipError_tPvRmT2_T3_mT4_P12ihipStream_tbEUlmE_jEESD_NS0_8identityIvEEEESI_SL_SM_mSN_SP_bEUlT_E_NS1_11comp_targetILNS1_3genE2ELNS1_11target_archE906ELNS1_3gpuE6ELNS1_3repE0EEENS1_30default_config_static_selectorELNS0_4arch9wavefront6targetE1EEEvT1_, .Lfunc_end660-_ZN7rocprim17ROCPRIM_400000_NS6detail17trampoline_kernelINS0_14default_configENS1_25transform_config_selectorIjLb0EEEZNS1_14transform_implILb0ES3_S5_NS0_18transform_iteratorINS0_17counting_iteratorImlEEZNS1_24adjacent_difference_implIS3_Lb1ELb0EPKjPjN6thrust23THRUST_200600_302600_NS4plusIjEEEE10hipError_tPvRmT2_T3_mT4_P12ihipStream_tbEUlmE_jEESD_NS0_8identityIvEEEESI_SL_SM_mSN_SP_bEUlT_E_NS1_11comp_targetILNS1_3genE2ELNS1_11target_archE906ELNS1_3gpuE6ELNS1_3repE0EEENS1_30default_config_static_selectorELNS0_4arch9wavefront6targetE1EEEvT1_
                                        ; -- End function
	.set _ZN7rocprim17ROCPRIM_400000_NS6detail17trampoline_kernelINS0_14default_configENS1_25transform_config_selectorIjLb0EEEZNS1_14transform_implILb0ES3_S5_NS0_18transform_iteratorINS0_17counting_iteratorImlEEZNS1_24adjacent_difference_implIS3_Lb1ELb0EPKjPjN6thrust23THRUST_200600_302600_NS4plusIjEEEE10hipError_tPvRmT2_T3_mT4_P12ihipStream_tbEUlmE_jEESD_NS0_8identityIvEEEESI_SL_SM_mSN_SP_bEUlT_E_NS1_11comp_targetILNS1_3genE2ELNS1_11target_archE906ELNS1_3gpuE6ELNS1_3repE0EEENS1_30default_config_static_selectorELNS0_4arch9wavefront6targetE1EEEvT1_.num_vgpr, 7
	.set _ZN7rocprim17ROCPRIM_400000_NS6detail17trampoline_kernelINS0_14default_configENS1_25transform_config_selectorIjLb0EEEZNS1_14transform_implILb0ES3_S5_NS0_18transform_iteratorINS0_17counting_iteratorImlEEZNS1_24adjacent_difference_implIS3_Lb1ELb0EPKjPjN6thrust23THRUST_200600_302600_NS4plusIjEEEE10hipError_tPvRmT2_T3_mT4_P12ihipStream_tbEUlmE_jEESD_NS0_8identityIvEEEESI_SL_SM_mSN_SP_bEUlT_E_NS1_11comp_targetILNS1_3genE2ELNS1_11target_archE906ELNS1_3gpuE6ELNS1_3repE0EEENS1_30default_config_static_selectorELNS0_4arch9wavefront6targetE1EEEvT1_.num_agpr, 0
	.set _ZN7rocprim17ROCPRIM_400000_NS6detail17trampoline_kernelINS0_14default_configENS1_25transform_config_selectorIjLb0EEEZNS1_14transform_implILb0ES3_S5_NS0_18transform_iteratorINS0_17counting_iteratorImlEEZNS1_24adjacent_difference_implIS3_Lb1ELb0EPKjPjN6thrust23THRUST_200600_302600_NS4plusIjEEEE10hipError_tPvRmT2_T3_mT4_P12ihipStream_tbEUlmE_jEESD_NS0_8identityIvEEEESI_SL_SM_mSN_SP_bEUlT_E_NS1_11comp_targetILNS1_3genE2ELNS1_11target_archE906ELNS1_3gpuE6ELNS1_3repE0EEENS1_30default_config_static_selectorELNS0_4arch9wavefront6targetE1EEEvT1_.numbered_sgpr, 18
	.set _ZN7rocprim17ROCPRIM_400000_NS6detail17trampoline_kernelINS0_14default_configENS1_25transform_config_selectorIjLb0EEEZNS1_14transform_implILb0ES3_S5_NS0_18transform_iteratorINS0_17counting_iteratorImlEEZNS1_24adjacent_difference_implIS3_Lb1ELb0EPKjPjN6thrust23THRUST_200600_302600_NS4plusIjEEEE10hipError_tPvRmT2_T3_mT4_P12ihipStream_tbEUlmE_jEESD_NS0_8identityIvEEEESI_SL_SM_mSN_SP_bEUlT_E_NS1_11comp_targetILNS1_3genE2ELNS1_11target_archE906ELNS1_3gpuE6ELNS1_3repE0EEENS1_30default_config_static_selectorELNS0_4arch9wavefront6targetE1EEEvT1_.num_named_barrier, 0
	.set _ZN7rocprim17ROCPRIM_400000_NS6detail17trampoline_kernelINS0_14default_configENS1_25transform_config_selectorIjLb0EEEZNS1_14transform_implILb0ES3_S5_NS0_18transform_iteratorINS0_17counting_iteratorImlEEZNS1_24adjacent_difference_implIS3_Lb1ELb0EPKjPjN6thrust23THRUST_200600_302600_NS4plusIjEEEE10hipError_tPvRmT2_T3_mT4_P12ihipStream_tbEUlmE_jEESD_NS0_8identityIvEEEESI_SL_SM_mSN_SP_bEUlT_E_NS1_11comp_targetILNS1_3genE2ELNS1_11target_archE906ELNS1_3gpuE6ELNS1_3repE0EEENS1_30default_config_static_selectorELNS0_4arch9wavefront6targetE1EEEvT1_.private_seg_size, 0
	.set _ZN7rocprim17ROCPRIM_400000_NS6detail17trampoline_kernelINS0_14default_configENS1_25transform_config_selectorIjLb0EEEZNS1_14transform_implILb0ES3_S5_NS0_18transform_iteratorINS0_17counting_iteratorImlEEZNS1_24adjacent_difference_implIS3_Lb1ELb0EPKjPjN6thrust23THRUST_200600_302600_NS4plusIjEEEE10hipError_tPvRmT2_T3_mT4_P12ihipStream_tbEUlmE_jEESD_NS0_8identityIvEEEESI_SL_SM_mSN_SP_bEUlT_E_NS1_11comp_targetILNS1_3genE2ELNS1_11target_archE906ELNS1_3gpuE6ELNS1_3repE0EEENS1_30default_config_static_selectorELNS0_4arch9wavefront6targetE1EEEvT1_.uses_vcc, 1
	.set _ZN7rocprim17ROCPRIM_400000_NS6detail17trampoline_kernelINS0_14default_configENS1_25transform_config_selectorIjLb0EEEZNS1_14transform_implILb0ES3_S5_NS0_18transform_iteratorINS0_17counting_iteratorImlEEZNS1_24adjacent_difference_implIS3_Lb1ELb0EPKjPjN6thrust23THRUST_200600_302600_NS4plusIjEEEE10hipError_tPvRmT2_T3_mT4_P12ihipStream_tbEUlmE_jEESD_NS0_8identityIvEEEESI_SL_SM_mSN_SP_bEUlT_E_NS1_11comp_targetILNS1_3genE2ELNS1_11target_archE906ELNS1_3gpuE6ELNS1_3repE0EEENS1_30default_config_static_selectorELNS0_4arch9wavefront6targetE1EEEvT1_.uses_flat_scratch, 0
	.set _ZN7rocprim17ROCPRIM_400000_NS6detail17trampoline_kernelINS0_14default_configENS1_25transform_config_selectorIjLb0EEEZNS1_14transform_implILb0ES3_S5_NS0_18transform_iteratorINS0_17counting_iteratorImlEEZNS1_24adjacent_difference_implIS3_Lb1ELb0EPKjPjN6thrust23THRUST_200600_302600_NS4plusIjEEEE10hipError_tPvRmT2_T3_mT4_P12ihipStream_tbEUlmE_jEESD_NS0_8identityIvEEEESI_SL_SM_mSN_SP_bEUlT_E_NS1_11comp_targetILNS1_3genE2ELNS1_11target_archE906ELNS1_3gpuE6ELNS1_3repE0EEENS1_30default_config_static_selectorELNS0_4arch9wavefront6targetE1EEEvT1_.has_dyn_sized_stack, 0
	.set _ZN7rocprim17ROCPRIM_400000_NS6detail17trampoline_kernelINS0_14default_configENS1_25transform_config_selectorIjLb0EEEZNS1_14transform_implILb0ES3_S5_NS0_18transform_iteratorINS0_17counting_iteratorImlEEZNS1_24adjacent_difference_implIS3_Lb1ELb0EPKjPjN6thrust23THRUST_200600_302600_NS4plusIjEEEE10hipError_tPvRmT2_T3_mT4_P12ihipStream_tbEUlmE_jEESD_NS0_8identityIvEEEESI_SL_SM_mSN_SP_bEUlT_E_NS1_11comp_targetILNS1_3genE2ELNS1_11target_archE906ELNS1_3gpuE6ELNS1_3repE0EEENS1_30default_config_static_selectorELNS0_4arch9wavefront6targetE1EEEvT1_.has_recursion, 0
	.set _ZN7rocprim17ROCPRIM_400000_NS6detail17trampoline_kernelINS0_14default_configENS1_25transform_config_selectorIjLb0EEEZNS1_14transform_implILb0ES3_S5_NS0_18transform_iteratorINS0_17counting_iteratorImlEEZNS1_24adjacent_difference_implIS3_Lb1ELb0EPKjPjN6thrust23THRUST_200600_302600_NS4plusIjEEEE10hipError_tPvRmT2_T3_mT4_P12ihipStream_tbEUlmE_jEESD_NS0_8identityIvEEEESI_SL_SM_mSN_SP_bEUlT_E_NS1_11comp_targetILNS1_3genE2ELNS1_11target_archE906ELNS1_3gpuE6ELNS1_3repE0EEENS1_30default_config_static_selectorELNS0_4arch9wavefront6targetE1EEEvT1_.has_indirect_call, 0
	.section	.AMDGPU.csdata,"",@progbits
; Kernel info:
; codeLenInByte = 584
; TotalNumSgprs: 22
; NumVgprs: 7
; ScratchSize: 0
; MemoryBound: 0
; FloatMode: 240
; IeeeMode: 1
; LDSByteSize: 0 bytes/workgroup (compile time only)
; SGPRBlocks: 2
; VGPRBlocks: 1
; NumSGPRsForWavesPerEU: 22
; NumVGPRsForWavesPerEU: 7
; Occupancy: 10
; WaveLimiterHint : 0
; COMPUTE_PGM_RSRC2:SCRATCH_EN: 0
; COMPUTE_PGM_RSRC2:USER_SGPR: 6
; COMPUTE_PGM_RSRC2:TRAP_HANDLER: 0
; COMPUTE_PGM_RSRC2:TGID_X_EN: 1
; COMPUTE_PGM_RSRC2:TGID_Y_EN: 0
; COMPUTE_PGM_RSRC2:TGID_Z_EN: 0
; COMPUTE_PGM_RSRC2:TIDIG_COMP_CNT: 0
	.section	.text._ZN7rocprim17ROCPRIM_400000_NS6detail17trampoline_kernelINS0_14default_configENS1_25transform_config_selectorIjLb0EEEZNS1_14transform_implILb0ES3_S5_NS0_18transform_iteratorINS0_17counting_iteratorImlEEZNS1_24adjacent_difference_implIS3_Lb1ELb0EPKjPjN6thrust23THRUST_200600_302600_NS4plusIjEEEE10hipError_tPvRmT2_T3_mT4_P12ihipStream_tbEUlmE_jEESD_NS0_8identityIvEEEESI_SL_SM_mSN_SP_bEUlT_E_NS1_11comp_targetILNS1_3genE10ELNS1_11target_archE1201ELNS1_3gpuE5ELNS1_3repE0EEENS1_30default_config_static_selectorELNS0_4arch9wavefront6targetE1EEEvT1_,"axG",@progbits,_ZN7rocprim17ROCPRIM_400000_NS6detail17trampoline_kernelINS0_14default_configENS1_25transform_config_selectorIjLb0EEEZNS1_14transform_implILb0ES3_S5_NS0_18transform_iteratorINS0_17counting_iteratorImlEEZNS1_24adjacent_difference_implIS3_Lb1ELb0EPKjPjN6thrust23THRUST_200600_302600_NS4plusIjEEEE10hipError_tPvRmT2_T3_mT4_P12ihipStream_tbEUlmE_jEESD_NS0_8identityIvEEEESI_SL_SM_mSN_SP_bEUlT_E_NS1_11comp_targetILNS1_3genE10ELNS1_11target_archE1201ELNS1_3gpuE5ELNS1_3repE0EEENS1_30default_config_static_selectorELNS0_4arch9wavefront6targetE1EEEvT1_,comdat
	.protected	_ZN7rocprim17ROCPRIM_400000_NS6detail17trampoline_kernelINS0_14default_configENS1_25transform_config_selectorIjLb0EEEZNS1_14transform_implILb0ES3_S5_NS0_18transform_iteratorINS0_17counting_iteratorImlEEZNS1_24adjacent_difference_implIS3_Lb1ELb0EPKjPjN6thrust23THRUST_200600_302600_NS4plusIjEEEE10hipError_tPvRmT2_T3_mT4_P12ihipStream_tbEUlmE_jEESD_NS0_8identityIvEEEESI_SL_SM_mSN_SP_bEUlT_E_NS1_11comp_targetILNS1_3genE10ELNS1_11target_archE1201ELNS1_3gpuE5ELNS1_3repE0EEENS1_30default_config_static_selectorELNS0_4arch9wavefront6targetE1EEEvT1_ ; -- Begin function _ZN7rocprim17ROCPRIM_400000_NS6detail17trampoline_kernelINS0_14default_configENS1_25transform_config_selectorIjLb0EEEZNS1_14transform_implILb0ES3_S5_NS0_18transform_iteratorINS0_17counting_iteratorImlEEZNS1_24adjacent_difference_implIS3_Lb1ELb0EPKjPjN6thrust23THRUST_200600_302600_NS4plusIjEEEE10hipError_tPvRmT2_T3_mT4_P12ihipStream_tbEUlmE_jEESD_NS0_8identityIvEEEESI_SL_SM_mSN_SP_bEUlT_E_NS1_11comp_targetILNS1_3genE10ELNS1_11target_archE1201ELNS1_3gpuE5ELNS1_3repE0EEENS1_30default_config_static_selectorELNS0_4arch9wavefront6targetE1EEEvT1_
	.globl	_ZN7rocprim17ROCPRIM_400000_NS6detail17trampoline_kernelINS0_14default_configENS1_25transform_config_selectorIjLb0EEEZNS1_14transform_implILb0ES3_S5_NS0_18transform_iteratorINS0_17counting_iteratorImlEEZNS1_24adjacent_difference_implIS3_Lb1ELb0EPKjPjN6thrust23THRUST_200600_302600_NS4plusIjEEEE10hipError_tPvRmT2_T3_mT4_P12ihipStream_tbEUlmE_jEESD_NS0_8identityIvEEEESI_SL_SM_mSN_SP_bEUlT_E_NS1_11comp_targetILNS1_3genE10ELNS1_11target_archE1201ELNS1_3gpuE5ELNS1_3repE0EEENS1_30default_config_static_selectorELNS0_4arch9wavefront6targetE1EEEvT1_
	.p2align	8
	.type	_ZN7rocprim17ROCPRIM_400000_NS6detail17trampoline_kernelINS0_14default_configENS1_25transform_config_selectorIjLb0EEEZNS1_14transform_implILb0ES3_S5_NS0_18transform_iteratorINS0_17counting_iteratorImlEEZNS1_24adjacent_difference_implIS3_Lb1ELb0EPKjPjN6thrust23THRUST_200600_302600_NS4plusIjEEEE10hipError_tPvRmT2_T3_mT4_P12ihipStream_tbEUlmE_jEESD_NS0_8identityIvEEEESI_SL_SM_mSN_SP_bEUlT_E_NS1_11comp_targetILNS1_3genE10ELNS1_11target_archE1201ELNS1_3gpuE5ELNS1_3repE0EEENS1_30default_config_static_selectorELNS0_4arch9wavefront6targetE1EEEvT1_,@function
_ZN7rocprim17ROCPRIM_400000_NS6detail17trampoline_kernelINS0_14default_configENS1_25transform_config_selectorIjLb0EEEZNS1_14transform_implILb0ES3_S5_NS0_18transform_iteratorINS0_17counting_iteratorImlEEZNS1_24adjacent_difference_implIS3_Lb1ELb0EPKjPjN6thrust23THRUST_200600_302600_NS4plusIjEEEE10hipError_tPvRmT2_T3_mT4_P12ihipStream_tbEUlmE_jEESD_NS0_8identityIvEEEESI_SL_SM_mSN_SP_bEUlT_E_NS1_11comp_targetILNS1_3genE10ELNS1_11target_archE1201ELNS1_3gpuE5ELNS1_3repE0EEENS1_30default_config_static_selectorELNS0_4arch9wavefront6targetE1EEEvT1_: ; @_ZN7rocprim17ROCPRIM_400000_NS6detail17trampoline_kernelINS0_14default_configENS1_25transform_config_selectorIjLb0EEEZNS1_14transform_implILb0ES3_S5_NS0_18transform_iteratorINS0_17counting_iteratorImlEEZNS1_24adjacent_difference_implIS3_Lb1ELb0EPKjPjN6thrust23THRUST_200600_302600_NS4plusIjEEEE10hipError_tPvRmT2_T3_mT4_P12ihipStream_tbEUlmE_jEESD_NS0_8identityIvEEEESI_SL_SM_mSN_SP_bEUlT_E_NS1_11comp_targetILNS1_3genE10ELNS1_11target_archE1201ELNS1_3gpuE5ELNS1_3repE0EEENS1_30default_config_static_selectorELNS0_4arch9wavefront6targetE1EEEvT1_
; %bb.0:
	.section	.rodata,"a",@progbits
	.p2align	6, 0x0
	.amdhsa_kernel _ZN7rocprim17ROCPRIM_400000_NS6detail17trampoline_kernelINS0_14default_configENS1_25transform_config_selectorIjLb0EEEZNS1_14transform_implILb0ES3_S5_NS0_18transform_iteratorINS0_17counting_iteratorImlEEZNS1_24adjacent_difference_implIS3_Lb1ELb0EPKjPjN6thrust23THRUST_200600_302600_NS4plusIjEEEE10hipError_tPvRmT2_T3_mT4_P12ihipStream_tbEUlmE_jEESD_NS0_8identityIvEEEESI_SL_SM_mSN_SP_bEUlT_E_NS1_11comp_targetILNS1_3genE10ELNS1_11target_archE1201ELNS1_3gpuE5ELNS1_3repE0EEENS1_30default_config_static_selectorELNS0_4arch9wavefront6targetE1EEEvT1_
		.amdhsa_group_segment_fixed_size 0
		.amdhsa_private_segment_fixed_size 0
		.amdhsa_kernarg_size 56
		.amdhsa_user_sgpr_count 6
		.amdhsa_user_sgpr_private_segment_buffer 1
		.amdhsa_user_sgpr_dispatch_ptr 0
		.amdhsa_user_sgpr_queue_ptr 0
		.amdhsa_user_sgpr_kernarg_segment_ptr 1
		.amdhsa_user_sgpr_dispatch_id 0
		.amdhsa_user_sgpr_flat_scratch_init 0
		.amdhsa_user_sgpr_private_segment_size 0
		.amdhsa_uses_dynamic_stack 0
		.amdhsa_system_sgpr_private_segment_wavefront_offset 0
		.amdhsa_system_sgpr_workgroup_id_x 1
		.amdhsa_system_sgpr_workgroup_id_y 0
		.amdhsa_system_sgpr_workgroup_id_z 0
		.amdhsa_system_sgpr_workgroup_info 0
		.amdhsa_system_vgpr_workitem_id 0
		.amdhsa_next_free_vgpr 1
		.amdhsa_next_free_sgpr 0
		.amdhsa_reserve_vcc 0
		.amdhsa_reserve_flat_scratch 0
		.amdhsa_float_round_mode_32 0
		.amdhsa_float_round_mode_16_64 0
		.amdhsa_float_denorm_mode_32 3
		.amdhsa_float_denorm_mode_16_64 3
		.amdhsa_dx10_clamp 1
		.amdhsa_ieee_mode 1
		.amdhsa_fp16_overflow 0
		.amdhsa_exception_fp_ieee_invalid_op 0
		.amdhsa_exception_fp_denorm_src 0
		.amdhsa_exception_fp_ieee_div_zero 0
		.amdhsa_exception_fp_ieee_overflow 0
		.amdhsa_exception_fp_ieee_underflow 0
		.amdhsa_exception_fp_ieee_inexact 0
		.amdhsa_exception_int_div_zero 0
	.end_amdhsa_kernel
	.section	.text._ZN7rocprim17ROCPRIM_400000_NS6detail17trampoline_kernelINS0_14default_configENS1_25transform_config_selectorIjLb0EEEZNS1_14transform_implILb0ES3_S5_NS0_18transform_iteratorINS0_17counting_iteratorImlEEZNS1_24adjacent_difference_implIS3_Lb1ELb0EPKjPjN6thrust23THRUST_200600_302600_NS4plusIjEEEE10hipError_tPvRmT2_T3_mT4_P12ihipStream_tbEUlmE_jEESD_NS0_8identityIvEEEESI_SL_SM_mSN_SP_bEUlT_E_NS1_11comp_targetILNS1_3genE10ELNS1_11target_archE1201ELNS1_3gpuE5ELNS1_3repE0EEENS1_30default_config_static_selectorELNS0_4arch9wavefront6targetE1EEEvT1_,"axG",@progbits,_ZN7rocprim17ROCPRIM_400000_NS6detail17trampoline_kernelINS0_14default_configENS1_25transform_config_selectorIjLb0EEEZNS1_14transform_implILb0ES3_S5_NS0_18transform_iteratorINS0_17counting_iteratorImlEEZNS1_24adjacent_difference_implIS3_Lb1ELb0EPKjPjN6thrust23THRUST_200600_302600_NS4plusIjEEEE10hipError_tPvRmT2_T3_mT4_P12ihipStream_tbEUlmE_jEESD_NS0_8identityIvEEEESI_SL_SM_mSN_SP_bEUlT_E_NS1_11comp_targetILNS1_3genE10ELNS1_11target_archE1201ELNS1_3gpuE5ELNS1_3repE0EEENS1_30default_config_static_selectorELNS0_4arch9wavefront6targetE1EEEvT1_,comdat
.Lfunc_end661:
	.size	_ZN7rocprim17ROCPRIM_400000_NS6detail17trampoline_kernelINS0_14default_configENS1_25transform_config_selectorIjLb0EEEZNS1_14transform_implILb0ES3_S5_NS0_18transform_iteratorINS0_17counting_iteratorImlEEZNS1_24adjacent_difference_implIS3_Lb1ELb0EPKjPjN6thrust23THRUST_200600_302600_NS4plusIjEEEE10hipError_tPvRmT2_T3_mT4_P12ihipStream_tbEUlmE_jEESD_NS0_8identityIvEEEESI_SL_SM_mSN_SP_bEUlT_E_NS1_11comp_targetILNS1_3genE10ELNS1_11target_archE1201ELNS1_3gpuE5ELNS1_3repE0EEENS1_30default_config_static_selectorELNS0_4arch9wavefront6targetE1EEEvT1_, .Lfunc_end661-_ZN7rocprim17ROCPRIM_400000_NS6detail17trampoline_kernelINS0_14default_configENS1_25transform_config_selectorIjLb0EEEZNS1_14transform_implILb0ES3_S5_NS0_18transform_iteratorINS0_17counting_iteratorImlEEZNS1_24adjacent_difference_implIS3_Lb1ELb0EPKjPjN6thrust23THRUST_200600_302600_NS4plusIjEEEE10hipError_tPvRmT2_T3_mT4_P12ihipStream_tbEUlmE_jEESD_NS0_8identityIvEEEESI_SL_SM_mSN_SP_bEUlT_E_NS1_11comp_targetILNS1_3genE10ELNS1_11target_archE1201ELNS1_3gpuE5ELNS1_3repE0EEENS1_30default_config_static_selectorELNS0_4arch9wavefront6targetE1EEEvT1_
                                        ; -- End function
	.set _ZN7rocprim17ROCPRIM_400000_NS6detail17trampoline_kernelINS0_14default_configENS1_25transform_config_selectorIjLb0EEEZNS1_14transform_implILb0ES3_S5_NS0_18transform_iteratorINS0_17counting_iteratorImlEEZNS1_24adjacent_difference_implIS3_Lb1ELb0EPKjPjN6thrust23THRUST_200600_302600_NS4plusIjEEEE10hipError_tPvRmT2_T3_mT4_P12ihipStream_tbEUlmE_jEESD_NS0_8identityIvEEEESI_SL_SM_mSN_SP_bEUlT_E_NS1_11comp_targetILNS1_3genE10ELNS1_11target_archE1201ELNS1_3gpuE5ELNS1_3repE0EEENS1_30default_config_static_selectorELNS0_4arch9wavefront6targetE1EEEvT1_.num_vgpr, 0
	.set _ZN7rocprim17ROCPRIM_400000_NS6detail17trampoline_kernelINS0_14default_configENS1_25transform_config_selectorIjLb0EEEZNS1_14transform_implILb0ES3_S5_NS0_18transform_iteratorINS0_17counting_iteratorImlEEZNS1_24adjacent_difference_implIS3_Lb1ELb0EPKjPjN6thrust23THRUST_200600_302600_NS4plusIjEEEE10hipError_tPvRmT2_T3_mT4_P12ihipStream_tbEUlmE_jEESD_NS0_8identityIvEEEESI_SL_SM_mSN_SP_bEUlT_E_NS1_11comp_targetILNS1_3genE10ELNS1_11target_archE1201ELNS1_3gpuE5ELNS1_3repE0EEENS1_30default_config_static_selectorELNS0_4arch9wavefront6targetE1EEEvT1_.num_agpr, 0
	.set _ZN7rocprim17ROCPRIM_400000_NS6detail17trampoline_kernelINS0_14default_configENS1_25transform_config_selectorIjLb0EEEZNS1_14transform_implILb0ES3_S5_NS0_18transform_iteratorINS0_17counting_iteratorImlEEZNS1_24adjacent_difference_implIS3_Lb1ELb0EPKjPjN6thrust23THRUST_200600_302600_NS4plusIjEEEE10hipError_tPvRmT2_T3_mT4_P12ihipStream_tbEUlmE_jEESD_NS0_8identityIvEEEESI_SL_SM_mSN_SP_bEUlT_E_NS1_11comp_targetILNS1_3genE10ELNS1_11target_archE1201ELNS1_3gpuE5ELNS1_3repE0EEENS1_30default_config_static_selectorELNS0_4arch9wavefront6targetE1EEEvT1_.numbered_sgpr, 0
	.set _ZN7rocprim17ROCPRIM_400000_NS6detail17trampoline_kernelINS0_14default_configENS1_25transform_config_selectorIjLb0EEEZNS1_14transform_implILb0ES3_S5_NS0_18transform_iteratorINS0_17counting_iteratorImlEEZNS1_24adjacent_difference_implIS3_Lb1ELb0EPKjPjN6thrust23THRUST_200600_302600_NS4plusIjEEEE10hipError_tPvRmT2_T3_mT4_P12ihipStream_tbEUlmE_jEESD_NS0_8identityIvEEEESI_SL_SM_mSN_SP_bEUlT_E_NS1_11comp_targetILNS1_3genE10ELNS1_11target_archE1201ELNS1_3gpuE5ELNS1_3repE0EEENS1_30default_config_static_selectorELNS0_4arch9wavefront6targetE1EEEvT1_.num_named_barrier, 0
	.set _ZN7rocprim17ROCPRIM_400000_NS6detail17trampoline_kernelINS0_14default_configENS1_25transform_config_selectorIjLb0EEEZNS1_14transform_implILb0ES3_S5_NS0_18transform_iteratorINS0_17counting_iteratorImlEEZNS1_24adjacent_difference_implIS3_Lb1ELb0EPKjPjN6thrust23THRUST_200600_302600_NS4plusIjEEEE10hipError_tPvRmT2_T3_mT4_P12ihipStream_tbEUlmE_jEESD_NS0_8identityIvEEEESI_SL_SM_mSN_SP_bEUlT_E_NS1_11comp_targetILNS1_3genE10ELNS1_11target_archE1201ELNS1_3gpuE5ELNS1_3repE0EEENS1_30default_config_static_selectorELNS0_4arch9wavefront6targetE1EEEvT1_.private_seg_size, 0
	.set _ZN7rocprim17ROCPRIM_400000_NS6detail17trampoline_kernelINS0_14default_configENS1_25transform_config_selectorIjLb0EEEZNS1_14transform_implILb0ES3_S5_NS0_18transform_iteratorINS0_17counting_iteratorImlEEZNS1_24adjacent_difference_implIS3_Lb1ELb0EPKjPjN6thrust23THRUST_200600_302600_NS4plusIjEEEE10hipError_tPvRmT2_T3_mT4_P12ihipStream_tbEUlmE_jEESD_NS0_8identityIvEEEESI_SL_SM_mSN_SP_bEUlT_E_NS1_11comp_targetILNS1_3genE10ELNS1_11target_archE1201ELNS1_3gpuE5ELNS1_3repE0EEENS1_30default_config_static_selectorELNS0_4arch9wavefront6targetE1EEEvT1_.uses_vcc, 0
	.set _ZN7rocprim17ROCPRIM_400000_NS6detail17trampoline_kernelINS0_14default_configENS1_25transform_config_selectorIjLb0EEEZNS1_14transform_implILb0ES3_S5_NS0_18transform_iteratorINS0_17counting_iteratorImlEEZNS1_24adjacent_difference_implIS3_Lb1ELb0EPKjPjN6thrust23THRUST_200600_302600_NS4plusIjEEEE10hipError_tPvRmT2_T3_mT4_P12ihipStream_tbEUlmE_jEESD_NS0_8identityIvEEEESI_SL_SM_mSN_SP_bEUlT_E_NS1_11comp_targetILNS1_3genE10ELNS1_11target_archE1201ELNS1_3gpuE5ELNS1_3repE0EEENS1_30default_config_static_selectorELNS0_4arch9wavefront6targetE1EEEvT1_.uses_flat_scratch, 0
	.set _ZN7rocprim17ROCPRIM_400000_NS6detail17trampoline_kernelINS0_14default_configENS1_25transform_config_selectorIjLb0EEEZNS1_14transform_implILb0ES3_S5_NS0_18transform_iteratorINS0_17counting_iteratorImlEEZNS1_24adjacent_difference_implIS3_Lb1ELb0EPKjPjN6thrust23THRUST_200600_302600_NS4plusIjEEEE10hipError_tPvRmT2_T3_mT4_P12ihipStream_tbEUlmE_jEESD_NS0_8identityIvEEEESI_SL_SM_mSN_SP_bEUlT_E_NS1_11comp_targetILNS1_3genE10ELNS1_11target_archE1201ELNS1_3gpuE5ELNS1_3repE0EEENS1_30default_config_static_selectorELNS0_4arch9wavefront6targetE1EEEvT1_.has_dyn_sized_stack, 0
	.set _ZN7rocprim17ROCPRIM_400000_NS6detail17trampoline_kernelINS0_14default_configENS1_25transform_config_selectorIjLb0EEEZNS1_14transform_implILb0ES3_S5_NS0_18transform_iteratorINS0_17counting_iteratorImlEEZNS1_24adjacent_difference_implIS3_Lb1ELb0EPKjPjN6thrust23THRUST_200600_302600_NS4plusIjEEEE10hipError_tPvRmT2_T3_mT4_P12ihipStream_tbEUlmE_jEESD_NS0_8identityIvEEEESI_SL_SM_mSN_SP_bEUlT_E_NS1_11comp_targetILNS1_3genE10ELNS1_11target_archE1201ELNS1_3gpuE5ELNS1_3repE0EEENS1_30default_config_static_selectorELNS0_4arch9wavefront6targetE1EEEvT1_.has_recursion, 0
	.set _ZN7rocprim17ROCPRIM_400000_NS6detail17trampoline_kernelINS0_14default_configENS1_25transform_config_selectorIjLb0EEEZNS1_14transform_implILb0ES3_S5_NS0_18transform_iteratorINS0_17counting_iteratorImlEEZNS1_24adjacent_difference_implIS3_Lb1ELb0EPKjPjN6thrust23THRUST_200600_302600_NS4plusIjEEEE10hipError_tPvRmT2_T3_mT4_P12ihipStream_tbEUlmE_jEESD_NS0_8identityIvEEEESI_SL_SM_mSN_SP_bEUlT_E_NS1_11comp_targetILNS1_3genE10ELNS1_11target_archE1201ELNS1_3gpuE5ELNS1_3repE0EEENS1_30default_config_static_selectorELNS0_4arch9wavefront6targetE1EEEvT1_.has_indirect_call, 0
	.section	.AMDGPU.csdata,"",@progbits
; Kernel info:
; codeLenInByte = 0
; TotalNumSgprs: 4
; NumVgprs: 0
; ScratchSize: 0
; MemoryBound: 0
; FloatMode: 240
; IeeeMode: 1
; LDSByteSize: 0 bytes/workgroup (compile time only)
; SGPRBlocks: 0
; VGPRBlocks: 0
; NumSGPRsForWavesPerEU: 4
; NumVGPRsForWavesPerEU: 1
; Occupancy: 10
; WaveLimiterHint : 0
; COMPUTE_PGM_RSRC2:SCRATCH_EN: 0
; COMPUTE_PGM_RSRC2:USER_SGPR: 6
; COMPUTE_PGM_RSRC2:TRAP_HANDLER: 0
; COMPUTE_PGM_RSRC2:TGID_X_EN: 1
; COMPUTE_PGM_RSRC2:TGID_Y_EN: 0
; COMPUTE_PGM_RSRC2:TGID_Z_EN: 0
; COMPUTE_PGM_RSRC2:TIDIG_COMP_CNT: 0
	.section	.text._ZN7rocprim17ROCPRIM_400000_NS6detail17trampoline_kernelINS0_14default_configENS1_25transform_config_selectorIjLb0EEEZNS1_14transform_implILb0ES3_S5_NS0_18transform_iteratorINS0_17counting_iteratorImlEEZNS1_24adjacent_difference_implIS3_Lb1ELb0EPKjPjN6thrust23THRUST_200600_302600_NS4plusIjEEEE10hipError_tPvRmT2_T3_mT4_P12ihipStream_tbEUlmE_jEESD_NS0_8identityIvEEEESI_SL_SM_mSN_SP_bEUlT_E_NS1_11comp_targetILNS1_3genE10ELNS1_11target_archE1200ELNS1_3gpuE4ELNS1_3repE0EEENS1_30default_config_static_selectorELNS0_4arch9wavefront6targetE1EEEvT1_,"axG",@progbits,_ZN7rocprim17ROCPRIM_400000_NS6detail17trampoline_kernelINS0_14default_configENS1_25transform_config_selectorIjLb0EEEZNS1_14transform_implILb0ES3_S5_NS0_18transform_iteratorINS0_17counting_iteratorImlEEZNS1_24adjacent_difference_implIS3_Lb1ELb0EPKjPjN6thrust23THRUST_200600_302600_NS4plusIjEEEE10hipError_tPvRmT2_T3_mT4_P12ihipStream_tbEUlmE_jEESD_NS0_8identityIvEEEESI_SL_SM_mSN_SP_bEUlT_E_NS1_11comp_targetILNS1_3genE10ELNS1_11target_archE1200ELNS1_3gpuE4ELNS1_3repE0EEENS1_30default_config_static_selectorELNS0_4arch9wavefront6targetE1EEEvT1_,comdat
	.protected	_ZN7rocprim17ROCPRIM_400000_NS6detail17trampoline_kernelINS0_14default_configENS1_25transform_config_selectorIjLb0EEEZNS1_14transform_implILb0ES3_S5_NS0_18transform_iteratorINS0_17counting_iteratorImlEEZNS1_24adjacent_difference_implIS3_Lb1ELb0EPKjPjN6thrust23THRUST_200600_302600_NS4plusIjEEEE10hipError_tPvRmT2_T3_mT4_P12ihipStream_tbEUlmE_jEESD_NS0_8identityIvEEEESI_SL_SM_mSN_SP_bEUlT_E_NS1_11comp_targetILNS1_3genE10ELNS1_11target_archE1200ELNS1_3gpuE4ELNS1_3repE0EEENS1_30default_config_static_selectorELNS0_4arch9wavefront6targetE1EEEvT1_ ; -- Begin function _ZN7rocprim17ROCPRIM_400000_NS6detail17trampoline_kernelINS0_14default_configENS1_25transform_config_selectorIjLb0EEEZNS1_14transform_implILb0ES3_S5_NS0_18transform_iteratorINS0_17counting_iteratorImlEEZNS1_24adjacent_difference_implIS3_Lb1ELb0EPKjPjN6thrust23THRUST_200600_302600_NS4plusIjEEEE10hipError_tPvRmT2_T3_mT4_P12ihipStream_tbEUlmE_jEESD_NS0_8identityIvEEEESI_SL_SM_mSN_SP_bEUlT_E_NS1_11comp_targetILNS1_3genE10ELNS1_11target_archE1200ELNS1_3gpuE4ELNS1_3repE0EEENS1_30default_config_static_selectorELNS0_4arch9wavefront6targetE1EEEvT1_
	.globl	_ZN7rocprim17ROCPRIM_400000_NS6detail17trampoline_kernelINS0_14default_configENS1_25transform_config_selectorIjLb0EEEZNS1_14transform_implILb0ES3_S5_NS0_18transform_iteratorINS0_17counting_iteratorImlEEZNS1_24adjacent_difference_implIS3_Lb1ELb0EPKjPjN6thrust23THRUST_200600_302600_NS4plusIjEEEE10hipError_tPvRmT2_T3_mT4_P12ihipStream_tbEUlmE_jEESD_NS0_8identityIvEEEESI_SL_SM_mSN_SP_bEUlT_E_NS1_11comp_targetILNS1_3genE10ELNS1_11target_archE1200ELNS1_3gpuE4ELNS1_3repE0EEENS1_30default_config_static_selectorELNS0_4arch9wavefront6targetE1EEEvT1_
	.p2align	8
	.type	_ZN7rocprim17ROCPRIM_400000_NS6detail17trampoline_kernelINS0_14default_configENS1_25transform_config_selectorIjLb0EEEZNS1_14transform_implILb0ES3_S5_NS0_18transform_iteratorINS0_17counting_iteratorImlEEZNS1_24adjacent_difference_implIS3_Lb1ELb0EPKjPjN6thrust23THRUST_200600_302600_NS4plusIjEEEE10hipError_tPvRmT2_T3_mT4_P12ihipStream_tbEUlmE_jEESD_NS0_8identityIvEEEESI_SL_SM_mSN_SP_bEUlT_E_NS1_11comp_targetILNS1_3genE10ELNS1_11target_archE1200ELNS1_3gpuE4ELNS1_3repE0EEENS1_30default_config_static_selectorELNS0_4arch9wavefront6targetE1EEEvT1_,@function
_ZN7rocprim17ROCPRIM_400000_NS6detail17trampoline_kernelINS0_14default_configENS1_25transform_config_selectorIjLb0EEEZNS1_14transform_implILb0ES3_S5_NS0_18transform_iteratorINS0_17counting_iteratorImlEEZNS1_24adjacent_difference_implIS3_Lb1ELb0EPKjPjN6thrust23THRUST_200600_302600_NS4plusIjEEEE10hipError_tPvRmT2_T3_mT4_P12ihipStream_tbEUlmE_jEESD_NS0_8identityIvEEEESI_SL_SM_mSN_SP_bEUlT_E_NS1_11comp_targetILNS1_3genE10ELNS1_11target_archE1200ELNS1_3gpuE4ELNS1_3repE0EEENS1_30default_config_static_selectorELNS0_4arch9wavefront6targetE1EEEvT1_: ; @_ZN7rocprim17ROCPRIM_400000_NS6detail17trampoline_kernelINS0_14default_configENS1_25transform_config_selectorIjLb0EEEZNS1_14transform_implILb0ES3_S5_NS0_18transform_iteratorINS0_17counting_iteratorImlEEZNS1_24adjacent_difference_implIS3_Lb1ELb0EPKjPjN6thrust23THRUST_200600_302600_NS4plusIjEEEE10hipError_tPvRmT2_T3_mT4_P12ihipStream_tbEUlmE_jEESD_NS0_8identityIvEEEESI_SL_SM_mSN_SP_bEUlT_E_NS1_11comp_targetILNS1_3genE10ELNS1_11target_archE1200ELNS1_3gpuE4ELNS1_3repE0EEENS1_30default_config_static_selectorELNS0_4arch9wavefront6targetE1EEEvT1_
; %bb.0:
	.section	.rodata,"a",@progbits
	.p2align	6, 0x0
	.amdhsa_kernel _ZN7rocprim17ROCPRIM_400000_NS6detail17trampoline_kernelINS0_14default_configENS1_25transform_config_selectorIjLb0EEEZNS1_14transform_implILb0ES3_S5_NS0_18transform_iteratorINS0_17counting_iteratorImlEEZNS1_24adjacent_difference_implIS3_Lb1ELb0EPKjPjN6thrust23THRUST_200600_302600_NS4plusIjEEEE10hipError_tPvRmT2_T3_mT4_P12ihipStream_tbEUlmE_jEESD_NS0_8identityIvEEEESI_SL_SM_mSN_SP_bEUlT_E_NS1_11comp_targetILNS1_3genE10ELNS1_11target_archE1200ELNS1_3gpuE4ELNS1_3repE0EEENS1_30default_config_static_selectorELNS0_4arch9wavefront6targetE1EEEvT1_
		.amdhsa_group_segment_fixed_size 0
		.amdhsa_private_segment_fixed_size 0
		.amdhsa_kernarg_size 56
		.amdhsa_user_sgpr_count 6
		.amdhsa_user_sgpr_private_segment_buffer 1
		.amdhsa_user_sgpr_dispatch_ptr 0
		.amdhsa_user_sgpr_queue_ptr 0
		.amdhsa_user_sgpr_kernarg_segment_ptr 1
		.amdhsa_user_sgpr_dispatch_id 0
		.amdhsa_user_sgpr_flat_scratch_init 0
		.amdhsa_user_sgpr_private_segment_size 0
		.amdhsa_uses_dynamic_stack 0
		.amdhsa_system_sgpr_private_segment_wavefront_offset 0
		.amdhsa_system_sgpr_workgroup_id_x 1
		.amdhsa_system_sgpr_workgroup_id_y 0
		.amdhsa_system_sgpr_workgroup_id_z 0
		.amdhsa_system_sgpr_workgroup_info 0
		.amdhsa_system_vgpr_workitem_id 0
		.amdhsa_next_free_vgpr 1
		.amdhsa_next_free_sgpr 0
		.amdhsa_reserve_vcc 0
		.amdhsa_reserve_flat_scratch 0
		.amdhsa_float_round_mode_32 0
		.amdhsa_float_round_mode_16_64 0
		.amdhsa_float_denorm_mode_32 3
		.amdhsa_float_denorm_mode_16_64 3
		.amdhsa_dx10_clamp 1
		.amdhsa_ieee_mode 1
		.amdhsa_fp16_overflow 0
		.amdhsa_exception_fp_ieee_invalid_op 0
		.amdhsa_exception_fp_denorm_src 0
		.amdhsa_exception_fp_ieee_div_zero 0
		.amdhsa_exception_fp_ieee_overflow 0
		.amdhsa_exception_fp_ieee_underflow 0
		.amdhsa_exception_fp_ieee_inexact 0
		.amdhsa_exception_int_div_zero 0
	.end_amdhsa_kernel
	.section	.text._ZN7rocprim17ROCPRIM_400000_NS6detail17trampoline_kernelINS0_14default_configENS1_25transform_config_selectorIjLb0EEEZNS1_14transform_implILb0ES3_S5_NS0_18transform_iteratorINS0_17counting_iteratorImlEEZNS1_24adjacent_difference_implIS3_Lb1ELb0EPKjPjN6thrust23THRUST_200600_302600_NS4plusIjEEEE10hipError_tPvRmT2_T3_mT4_P12ihipStream_tbEUlmE_jEESD_NS0_8identityIvEEEESI_SL_SM_mSN_SP_bEUlT_E_NS1_11comp_targetILNS1_3genE10ELNS1_11target_archE1200ELNS1_3gpuE4ELNS1_3repE0EEENS1_30default_config_static_selectorELNS0_4arch9wavefront6targetE1EEEvT1_,"axG",@progbits,_ZN7rocprim17ROCPRIM_400000_NS6detail17trampoline_kernelINS0_14default_configENS1_25transform_config_selectorIjLb0EEEZNS1_14transform_implILb0ES3_S5_NS0_18transform_iteratorINS0_17counting_iteratorImlEEZNS1_24adjacent_difference_implIS3_Lb1ELb0EPKjPjN6thrust23THRUST_200600_302600_NS4plusIjEEEE10hipError_tPvRmT2_T3_mT4_P12ihipStream_tbEUlmE_jEESD_NS0_8identityIvEEEESI_SL_SM_mSN_SP_bEUlT_E_NS1_11comp_targetILNS1_3genE10ELNS1_11target_archE1200ELNS1_3gpuE4ELNS1_3repE0EEENS1_30default_config_static_selectorELNS0_4arch9wavefront6targetE1EEEvT1_,comdat
.Lfunc_end662:
	.size	_ZN7rocprim17ROCPRIM_400000_NS6detail17trampoline_kernelINS0_14default_configENS1_25transform_config_selectorIjLb0EEEZNS1_14transform_implILb0ES3_S5_NS0_18transform_iteratorINS0_17counting_iteratorImlEEZNS1_24adjacent_difference_implIS3_Lb1ELb0EPKjPjN6thrust23THRUST_200600_302600_NS4plusIjEEEE10hipError_tPvRmT2_T3_mT4_P12ihipStream_tbEUlmE_jEESD_NS0_8identityIvEEEESI_SL_SM_mSN_SP_bEUlT_E_NS1_11comp_targetILNS1_3genE10ELNS1_11target_archE1200ELNS1_3gpuE4ELNS1_3repE0EEENS1_30default_config_static_selectorELNS0_4arch9wavefront6targetE1EEEvT1_, .Lfunc_end662-_ZN7rocprim17ROCPRIM_400000_NS6detail17trampoline_kernelINS0_14default_configENS1_25transform_config_selectorIjLb0EEEZNS1_14transform_implILb0ES3_S5_NS0_18transform_iteratorINS0_17counting_iteratorImlEEZNS1_24adjacent_difference_implIS3_Lb1ELb0EPKjPjN6thrust23THRUST_200600_302600_NS4plusIjEEEE10hipError_tPvRmT2_T3_mT4_P12ihipStream_tbEUlmE_jEESD_NS0_8identityIvEEEESI_SL_SM_mSN_SP_bEUlT_E_NS1_11comp_targetILNS1_3genE10ELNS1_11target_archE1200ELNS1_3gpuE4ELNS1_3repE0EEENS1_30default_config_static_selectorELNS0_4arch9wavefront6targetE1EEEvT1_
                                        ; -- End function
	.set _ZN7rocprim17ROCPRIM_400000_NS6detail17trampoline_kernelINS0_14default_configENS1_25transform_config_selectorIjLb0EEEZNS1_14transform_implILb0ES3_S5_NS0_18transform_iteratorINS0_17counting_iteratorImlEEZNS1_24adjacent_difference_implIS3_Lb1ELb0EPKjPjN6thrust23THRUST_200600_302600_NS4plusIjEEEE10hipError_tPvRmT2_T3_mT4_P12ihipStream_tbEUlmE_jEESD_NS0_8identityIvEEEESI_SL_SM_mSN_SP_bEUlT_E_NS1_11comp_targetILNS1_3genE10ELNS1_11target_archE1200ELNS1_3gpuE4ELNS1_3repE0EEENS1_30default_config_static_selectorELNS0_4arch9wavefront6targetE1EEEvT1_.num_vgpr, 0
	.set _ZN7rocprim17ROCPRIM_400000_NS6detail17trampoline_kernelINS0_14default_configENS1_25transform_config_selectorIjLb0EEEZNS1_14transform_implILb0ES3_S5_NS0_18transform_iteratorINS0_17counting_iteratorImlEEZNS1_24adjacent_difference_implIS3_Lb1ELb0EPKjPjN6thrust23THRUST_200600_302600_NS4plusIjEEEE10hipError_tPvRmT2_T3_mT4_P12ihipStream_tbEUlmE_jEESD_NS0_8identityIvEEEESI_SL_SM_mSN_SP_bEUlT_E_NS1_11comp_targetILNS1_3genE10ELNS1_11target_archE1200ELNS1_3gpuE4ELNS1_3repE0EEENS1_30default_config_static_selectorELNS0_4arch9wavefront6targetE1EEEvT1_.num_agpr, 0
	.set _ZN7rocprim17ROCPRIM_400000_NS6detail17trampoline_kernelINS0_14default_configENS1_25transform_config_selectorIjLb0EEEZNS1_14transform_implILb0ES3_S5_NS0_18transform_iteratorINS0_17counting_iteratorImlEEZNS1_24adjacent_difference_implIS3_Lb1ELb0EPKjPjN6thrust23THRUST_200600_302600_NS4plusIjEEEE10hipError_tPvRmT2_T3_mT4_P12ihipStream_tbEUlmE_jEESD_NS0_8identityIvEEEESI_SL_SM_mSN_SP_bEUlT_E_NS1_11comp_targetILNS1_3genE10ELNS1_11target_archE1200ELNS1_3gpuE4ELNS1_3repE0EEENS1_30default_config_static_selectorELNS0_4arch9wavefront6targetE1EEEvT1_.numbered_sgpr, 0
	.set _ZN7rocprim17ROCPRIM_400000_NS6detail17trampoline_kernelINS0_14default_configENS1_25transform_config_selectorIjLb0EEEZNS1_14transform_implILb0ES3_S5_NS0_18transform_iteratorINS0_17counting_iteratorImlEEZNS1_24adjacent_difference_implIS3_Lb1ELb0EPKjPjN6thrust23THRUST_200600_302600_NS4plusIjEEEE10hipError_tPvRmT2_T3_mT4_P12ihipStream_tbEUlmE_jEESD_NS0_8identityIvEEEESI_SL_SM_mSN_SP_bEUlT_E_NS1_11comp_targetILNS1_3genE10ELNS1_11target_archE1200ELNS1_3gpuE4ELNS1_3repE0EEENS1_30default_config_static_selectorELNS0_4arch9wavefront6targetE1EEEvT1_.num_named_barrier, 0
	.set _ZN7rocprim17ROCPRIM_400000_NS6detail17trampoline_kernelINS0_14default_configENS1_25transform_config_selectorIjLb0EEEZNS1_14transform_implILb0ES3_S5_NS0_18transform_iteratorINS0_17counting_iteratorImlEEZNS1_24adjacent_difference_implIS3_Lb1ELb0EPKjPjN6thrust23THRUST_200600_302600_NS4plusIjEEEE10hipError_tPvRmT2_T3_mT4_P12ihipStream_tbEUlmE_jEESD_NS0_8identityIvEEEESI_SL_SM_mSN_SP_bEUlT_E_NS1_11comp_targetILNS1_3genE10ELNS1_11target_archE1200ELNS1_3gpuE4ELNS1_3repE0EEENS1_30default_config_static_selectorELNS0_4arch9wavefront6targetE1EEEvT1_.private_seg_size, 0
	.set _ZN7rocprim17ROCPRIM_400000_NS6detail17trampoline_kernelINS0_14default_configENS1_25transform_config_selectorIjLb0EEEZNS1_14transform_implILb0ES3_S5_NS0_18transform_iteratorINS0_17counting_iteratorImlEEZNS1_24adjacent_difference_implIS3_Lb1ELb0EPKjPjN6thrust23THRUST_200600_302600_NS4plusIjEEEE10hipError_tPvRmT2_T3_mT4_P12ihipStream_tbEUlmE_jEESD_NS0_8identityIvEEEESI_SL_SM_mSN_SP_bEUlT_E_NS1_11comp_targetILNS1_3genE10ELNS1_11target_archE1200ELNS1_3gpuE4ELNS1_3repE0EEENS1_30default_config_static_selectorELNS0_4arch9wavefront6targetE1EEEvT1_.uses_vcc, 0
	.set _ZN7rocprim17ROCPRIM_400000_NS6detail17trampoline_kernelINS0_14default_configENS1_25transform_config_selectorIjLb0EEEZNS1_14transform_implILb0ES3_S5_NS0_18transform_iteratorINS0_17counting_iteratorImlEEZNS1_24adjacent_difference_implIS3_Lb1ELb0EPKjPjN6thrust23THRUST_200600_302600_NS4plusIjEEEE10hipError_tPvRmT2_T3_mT4_P12ihipStream_tbEUlmE_jEESD_NS0_8identityIvEEEESI_SL_SM_mSN_SP_bEUlT_E_NS1_11comp_targetILNS1_3genE10ELNS1_11target_archE1200ELNS1_3gpuE4ELNS1_3repE0EEENS1_30default_config_static_selectorELNS0_4arch9wavefront6targetE1EEEvT1_.uses_flat_scratch, 0
	.set _ZN7rocprim17ROCPRIM_400000_NS6detail17trampoline_kernelINS0_14default_configENS1_25transform_config_selectorIjLb0EEEZNS1_14transform_implILb0ES3_S5_NS0_18transform_iteratorINS0_17counting_iteratorImlEEZNS1_24adjacent_difference_implIS3_Lb1ELb0EPKjPjN6thrust23THRUST_200600_302600_NS4plusIjEEEE10hipError_tPvRmT2_T3_mT4_P12ihipStream_tbEUlmE_jEESD_NS0_8identityIvEEEESI_SL_SM_mSN_SP_bEUlT_E_NS1_11comp_targetILNS1_3genE10ELNS1_11target_archE1200ELNS1_3gpuE4ELNS1_3repE0EEENS1_30default_config_static_selectorELNS0_4arch9wavefront6targetE1EEEvT1_.has_dyn_sized_stack, 0
	.set _ZN7rocprim17ROCPRIM_400000_NS6detail17trampoline_kernelINS0_14default_configENS1_25transform_config_selectorIjLb0EEEZNS1_14transform_implILb0ES3_S5_NS0_18transform_iteratorINS0_17counting_iteratorImlEEZNS1_24adjacent_difference_implIS3_Lb1ELb0EPKjPjN6thrust23THRUST_200600_302600_NS4plusIjEEEE10hipError_tPvRmT2_T3_mT4_P12ihipStream_tbEUlmE_jEESD_NS0_8identityIvEEEESI_SL_SM_mSN_SP_bEUlT_E_NS1_11comp_targetILNS1_3genE10ELNS1_11target_archE1200ELNS1_3gpuE4ELNS1_3repE0EEENS1_30default_config_static_selectorELNS0_4arch9wavefront6targetE1EEEvT1_.has_recursion, 0
	.set _ZN7rocprim17ROCPRIM_400000_NS6detail17trampoline_kernelINS0_14default_configENS1_25transform_config_selectorIjLb0EEEZNS1_14transform_implILb0ES3_S5_NS0_18transform_iteratorINS0_17counting_iteratorImlEEZNS1_24adjacent_difference_implIS3_Lb1ELb0EPKjPjN6thrust23THRUST_200600_302600_NS4plusIjEEEE10hipError_tPvRmT2_T3_mT4_P12ihipStream_tbEUlmE_jEESD_NS0_8identityIvEEEESI_SL_SM_mSN_SP_bEUlT_E_NS1_11comp_targetILNS1_3genE10ELNS1_11target_archE1200ELNS1_3gpuE4ELNS1_3repE0EEENS1_30default_config_static_selectorELNS0_4arch9wavefront6targetE1EEEvT1_.has_indirect_call, 0
	.section	.AMDGPU.csdata,"",@progbits
; Kernel info:
; codeLenInByte = 0
; TotalNumSgprs: 4
; NumVgprs: 0
; ScratchSize: 0
; MemoryBound: 0
; FloatMode: 240
; IeeeMode: 1
; LDSByteSize: 0 bytes/workgroup (compile time only)
; SGPRBlocks: 0
; VGPRBlocks: 0
; NumSGPRsForWavesPerEU: 4
; NumVGPRsForWavesPerEU: 1
; Occupancy: 10
; WaveLimiterHint : 0
; COMPUTE_PGM_RSRC2:SCRATCH_EN: 0
; COMPUTE_PGM_RSRC2:USER_SGPR: 6
; COMPUTE_PGM_RSRC2:TRAP_HANDLER: 0
; COMPUTE_PGM_RSRC2:TGID_X_EN: 1
; COMPUTE_PGM_RSRC2:TGID_Y_EN: 0
; COMPUTE_PGM_RSRC2:TGID_Z_EN: 0
; COMPUTE_PGM_RSRC2:TIDIG_COMP_CNT: 0
	.section	.text._ZN7rocprim17ROCPRIM_400000_NS6detail17trampoline_kernelINS0_14default_configENS1_25transform_config_selectorIjLb0EEEZNS1_14transform_implILb0ES3_S5_NS0_18transform_iteratorINS0_17counting_iteratorImlEEZNS1_24adjacent_difference_implIS3_Lb1ELb0EPKjPjN6thrust23THRUST_200600_302600_NS4plusIjEEEE10hipError_tPvRmT2_T3_mT4_P12ihipStream_tbEUlmE_jEESD_NS0_8identityIvEEEESI_SL_SM_mSN_SP_bEUlT_E_NS1_11comp_targetILNS1_3genE9ELNS1_11target_archE1100ELNS1_3gpuE3ELNS1_3repE0EEENS1_30default_config_static_selectorELNS0_4arch9wavefront6targetE1EEEvT1_,"axG",@progbits,_ZN7rocprim17ROCPRIM_400000_NS6detail17trampoline_kernelINS0_14default_configENS1_25transform_config_selectorIjLb0EEEZNS1_14transform_implILb0ES3_S5_NS0_18transform_iteratorINS0_17counting_iteratorImlEEZNS1_24adjacent_difference_implIS3_Lb1ELb0EPKjPjN6thrust23THRUST_200600_302600_NS4plusIjEEEE10hipError_tPvRmT2_T3_mT4_P12ihipStream_tbEUlmE_jEESD_NS0_8identityIvEEEESI_SL_SM_mSN_SP_bEUlT_E_NS1_11comp_targetILNS1_3genE9ELNS1_11target_archE1100ELNS1_3gpuE3ELNS1_3repE0EEENS1_30default_config_static_selectorELNS0_4arch9wavefront6targetE1EEEvT1_,comdat
	.protected	_ZN7rocprim17ROCPRIM_400000_NS6detail17trampoline_kernelINS0_14default_configENS1_25transform_config_selectorIjLb0EEEZNS1_14transform_implILb0ES3_S5_NS0_18transform_iteratorINS0_17counting_iteratorImlEEZNS1_24adjacent_difference_implIS3_Lb1ELb0EPKjPjN6thrust23THRUST_200600_302600_NS4plusIjEEEE10hipError_tPvRmT2_T3_mT4_P12ihipStream_tbEUlmE_jEESD_NS0_8identityIvEEEESI_SL_SM_mSN_SP_bEUlT_E_NS1_11comp_targetILNS1_3genE9ELNS1_11target_archE1100ELNS1_3gpuE3ELNS1_3repE0EEENS1_30default_config_static_selectorELNS0_4arch9wavefront6targetE1EEEvT1_ ; -- Begin function _ZN7rocprim17ROCPRIM_400000_NS6detail17trampoline_kernelINS0_14default_configENS1_25transform_config_selectorIjLb0EEEZNS1_14transform_implILb0ES3_S5_NS0_18transform_iteratorINS0_17counting_iteratorImlEEZNS1_24adjacent_difference_implIS3_Lb1ELb0EPKjPjN6thrust23THRUST_200600_302600_NS4plusIjEEEE10hipError_tPvRmT2_T3_mT4_P12ihipStream_tbEUlmE_jEESD_NS0_8identityIvEEEESI_SL_SM_mSN_SP_bEUlT_E_NS1_11comp_targetILNS1_3genE9ELNS1_11target_archE1100ELNS1_3gpuE3ELNS1_3repE0EEENS1_30default_config_static_selectorELNS0_4arch9wavefront6targetE1EEEvT1_
	.globl	_ZN7rocprim17ROCPRIM_400000_NS6detail17trampoline_kernelINS0_14default_configENS1_25transform_config_selectorIjLb0EEEZNS1_14transform_implILb0ES3_S5_NS0_18transform_iteratorINS0_17counting_iteratorImlEEZNS1_24adjacent_difference_implIS3_Lb1ELb0EPKjPjN6thrust23THRUST_200600_302600_NS4plusIjEEEE10hipError_tPvRmT2_T3_mT4_P12ihipStream_tbEUlmE_jEESD_NS0_8identityIvEEEESI_SL_SM_mSN_SP_bEUlT_E_NS1_11comp_targetILNS1_3genE9ELNS1_11target_archE1100ELNS1_3gpuE3ELNS1_3repE0EEENS1_30default_config_static_selectorELNS0_4arch9wavefront6targetE1EEEvT1_
	.p2align	8
	.type	_ZN7rocprim17ROCPRIM_400000_NS6detail17trampoline_kernelINS0_14default_configENS1_25transform_config_selectorIjLb0EEEZNS1_14transform_implILb0ES3_S5_NS0_18transform_iteratorINS0_17counting_iteratorImlEEZNS1_24adjacent_difference_implIS3_Lb1ELb0EPKjPjN6thrust23THRUST_200600_302600_NS4plusIjEEEE10hipError_tPvRmT2_T3_mT4_P12ihipStream_tbEUlmE_jEESD_NS0_8identityIvEEEESI_SL_SM_mSN_SP_bEUlT_E_NS1_11comp_targetILNS1_3genE9ELNS1_11target_archE1100ELNS1_3gpuE3ELNS1_3repE0EEENS1_30default_config_static_selectorELNS0_4arch9wavefront6targetE1EEEvT1_,@function
_ZN7rocprim17ROCPRIM_400000_NS6detail17trampoline_kernelINS0_14default_configENS1_25transform_config_selectorIjLb0EEEZNS1_14transform_implILb0ES3_S5_NS0_18transform_iteratorINS0_17counting_iteratorImlEEZNS1_24adjacent_difference_implIS3_Lb1ELb0EPKjPjN6thrust23THRUST_200600_302600_NS4plusIjEEEE10hipError_tPvRmT2_T3_mT4_P12ihipStream_tbEUlmE_jEESD_NS0_8identityIvEEEESI_SL_SM_mSN_SP_bEUlT_E_NS1_11comp_targetILNS1_3genE9ELNS1_11target_archE1100ELNS1_3gpuE3ELNS1_3repE0EEENS1_30default_config_static_selectorELNS0_4arch9wavefront6targetE1EEEvT1_: ; @_ZN7rocprim17ROCPRIM_400000_NS6detail17trampoline_kernelINS0_14default_configENS1_25transform_config_selectorIjLb0EEEZNS1_14transform_implILb0ES3_S5_NS0_18transform_iteratorINS0_17counting_iteratorImlEEZNS1_24adjacent_difference_implIS3_Lb1ELb0EPKjPjN6thrust23THRUST_200600_302600_NS4plusIjEEEE10hipError_tPvRmT2_T3_mT4_P12ihipStream_tbEUlmE_jEESD_NS0_8identityIvEEEESI_SL_SM_mSN_SP_bEUlT_E_NS1_11comp_targetILNS1_3genE9ELNS1_11target_archE1100ELNS1_3gpuE3ELNS1_3repE0EEENS1_30default_config_static_selectorELNS0_4arch9wavefront6targetE1EEEvT1_
; %bb.0:
	.section	.rodata,"a",@progbits
	.p2align	6, 0x0
	.amdhsa_kernel _ZN7rocprim17ROCPRIM_400000_NS6detail17trampoline_kernelINS0_14default_configENS1_25transform_config_selectorIjLb0EEEZNS1_14transform_implILb0ES3_S5_NS0_18transform_iteratorINS0_17counting_iteratorImlEEZNS1_24adjacent_difference_implIS3_Lb1ELb0EPKjPjN6thrust23THRUST_200600_302600_NS4plusIjEEEE10hipError_tPvRmT2_T3_mT4_P12ihipStream_tbEUlmE_jEESD_NS0_8identityIvEEEESI_SL_SM_mSN_SP_bEUlT_E_NS1_11comp_targetILNS1_3genE9ELNS1_11target_archE1100ELNS1_3gpuE3ELNS1_3repE0EEENS1_30default_config_static_selectorELNS0_4arch9wavefront6targetE1EEEvT1_
		.amdhsa_group_segment_fixed_size 0
		.amdhsa_private_segment_fixed_size 0
		.amdhsa_kernarg_size 56
		.amdhsa_user_sgpr_count 6
		.amdhsa_user_sgpr_private_segment_buffer 1
		.amdhsa_user_sgpr_dispatch_ptr 0
		.amdhsa_user_sgpr_queue_ptr 0
		.amdhsa_user_sgpr_kernarg_segment_ptr 1
		.amdhsa_user_sgpr_dispatch_id 0
		.amdhsa_user_sgpr_flat_scratch_init 0
		.amdhsa_user_sgpr_private_segment_size 0
		.amdhsa_uses_dynamic_stack 0
		.amdhsa_system_sgpr_private_segment_wavefront_offset 0
		.amdhsa_system_sgpr_workgroup_id_x 1
		.amdhsa_system_sgpr_workgroup_id_y 0
		.amdhsa_system_sgpr_workgroup_id_z 0
		.amdhsa_system_sgpr_workgroup_info 0
		.amdhsa_system_vgpr_workitem_id 0
		.amdhsa_next_free_vgpr 1
		.amdhsa_next_free_sgpr 0
		.amdhsa_reserve_vcc 0
		.amdhsa_reserve_flat_scratch 0
		.amdhsa_float_round_mode_32 0
		.amdhsa_float_round_mode_16_64 0
		.amdhsa_float_denorm_mode_32 3
		.amdhsa_float_denorm_mode_16_64 3
		.amdhsa_dx10_clamp 1
		.amdhsa_ieee_mode 1
		.amdhsa_fp16_overflow 0
		.amdhsa_exception_fp_ieee_invalid_op 0
		.amdhsa_exception_fp_denorm_src 0
		.amdhsa_exception_fp_ieee_div_zero 0
		.amdhsa_exception_fp_ieee_overflow 0
		.amdhsa_exception_fp_ieee_underflow 0
		.amdhsa_exception_fp_ieee_inexact 0
		.amdhsa_exception_int_div_zero 0
	.end_amdhsa_kernel
	.section	.text._ZN7rocprim17ROCPRIM_400000_NS6detail17trampoline_kernelINS0_14default_configENS1_25transform_config_selectorIjLb0EEEZNS1_14transform_implILb0ES3_S5_NS0_18transform_iteratorINS0_17counting_iteratorImlEEZNS1_24adjacent_difference_implIS3_Lb1ELb0EPKjPjN6thrust23THRUST_200600_302600_NS4plusIjEEEE10hipError_tPvRmT2_T3_mT4_P12ihipStream_tbEUlmE_jEESD_NS0_8identityIvEEEESI_SL_SM_mSN_SP_bEUlT_E_NS1_11comp_targetILNS1_3genE9ELNS1_11target_archE1100ELNS1_3gpuE3ELNS1_3repE0EEENS1_30default_config_static_selectorELNS0_4arch9wavefront6targetE1EEEvT1_,"axG",@progbits,_ZN7rocprim17ROCPRIM_400000_NS6detail17trampoline_kernelINS0_14default_configENS1_25transform_config_selectorIjLb0EEEZNS1_14transform_implILb0ES3_S5_NS0_18transform_iteratorINS0_17counting_iteratorImlEEZNS1_24adjacent_difference_implIS3_Lb1ELb0EPKjPjN6thrust23THRUST_200600_302600_NS4plusIjEEEE10hipError_tPvRmT2_T3_mT4_P12ihipStream_tbEUlmE_jEESD_NS0_8identityIvEEEESI_SL_SM_mSN_SP_bEUlT_E_NS1_11comp_targetILNS1_3genE9ELNS1_11target_archE1100ELNS1_3gpuE3ELNS1_3repE0EEENS1_30default_config_static_selectorELNS0_4arch9wavefront6targetE1EEEvT1_,comdat
.Lfunc_end663:
	.size	_ZN7rocprim17ROCPRIM_400000_NS6detail17trampoline_kernelINS0_14default_configENS1_25transform_config_selectorIjLb0EEEZNS1_14transform_implILb0ES3_S5_NS0_18transform_iteratorINS0_17counting_iteratorImlEEZNS1_24adjacent_difference_implIS3_Lb1ELb0EPKjPjN6thrust23THRUST_200600_302600_NS4plusIjEEEE10hipError_tPvRmT2_T3_mT4_P12ihipStream_tbEUlmE_jEESD_NS0_8identityIvEEEESI_SL_SM_mSN_SP_bEUlT_E_NS1_11comp_targetILNS1_3genE9ELNS1_11target_archE1100ELNS1_3gpuE3ELNS1_3repE0EEENS1_30default_config_static_selectorELNS0_4arch9wavefront6targetE1EEEvT1_, .Lfunc_end663-_ZN7rocprim17ROCPRIM_400000_NS6detail17trampoline_kernelINS0_14default_configENS1_25transform_config_selectorIjLb0EEEZNS1_14transform_implILb0ES3_S5_NS0_18transform_iteratorINS0_17counting_iteratorImlEEZNS1_24adjacent_difference_implIS3_Lb1ELb0EPKjPjN6thrust23THRUST_200600_302600_NS4plusIjEEEE10hipError_tPvRmT2_T3_mT4_P12ihipStream_tbEUlmE_jEESD_NS0_8identityIvEEEESI_SL_SM_mSN_SP_bEUlT_E_NS1_11comp_targetILNS1_3genE9ELNS1_11target_archE1100ELNS1_3gpuE3ELNS1_3repE0EEENS1_30default_config_static_selectorELNS0_4arch9wavefront6targetE1EEEvT1_
                                        ; -- End function
	.set _ZN7rocprim17ROCPRIM_400000_NS6detail17trampoline_kernelINS0_14default_configENS1_25transform_config_selectorIjLb0EEEZNS1_14transform_implILb0ES3_S5_NS0_18transform_iteratorINS0_17counting_iteratorImlEEZNS1_24adjacent_difference_implIS3_Lb1ELb0EPKjPjN6thrust23THRUST_200600_302600_NS4plusIjEEEE10hipError_tPvRmT2_T3_mT4_P12ihipStream_tbEUlmE_jEESD_NS0_8identityIvEEEESI_SL_SM_mSN_SP_bEUlT_E_NS1_11comp_targetILNS1_3genE9ELNS1_11target_archE1100ELNS1_3gpuE3ELNS1_3repE0EEENS1_30default_config_static_selectorELNS0_4arch9wavefront6targetE1EEEvT1_.num_vgpr, 0
	.set _ZN7rocprim17ROCPRIM_400000_NS6detail17trampoline_kernelINS0_14default_configENS1_25transform_config_selectorIjLb0EEEZNS1_14transform_implILb0ES3_S5_NS0_18transform_iteratorINS0_17counting_iteratorImlEEZNS1_24adjacent_difference_implIS3_Lb1ELb0EPKjPjN6thrust23THRUST_200600_302600_NS4plusIjEEEE10hipError_tPvRmT2_T3_mT4_P12ihipStream_tbEUlmE_jEESD_NS0_8identityIvEEEESI_SL_SM_mSN_SP_bEUlT_E_NS1_11comp_targetILNS1_3genE9ELNS1_11target_archE1100ELNS1_3gpuE3ELNS1_3repE0EEENS1_30default_config_static_selectorELNS0_4arch9wavefront6targetE1EEEvT1_.num_agpr, 0
	.set _ZN7rocprim17ROCPRIM_400000_NS6detail17trampoline_kernelINS0_14default_configENS1_25transform_config_selectorIjLb0EEEZNS1_14transform_implILb0ES3_S5_NS0_18transform_iteratorINS0_17counting_iteratorImlEEZNS1_24adjacent_difference_implIS3_Lb1ELb0EPKjPjN6thrust23THRUST_200600_302600_NS4plusIjEEEE10hipError_tPvRmT2_T3_mT4_P12ihipStream_tbEUlmE_jEESD_NS0_8identityIvEEEESI_SL_SM_mSN_SP_bEUlT_E_NS1_11comp_targetILNS1_3genE9ELNS1_11target_archE1100ELNS1_3gpuE3ELNS1_3repE0EEENS1_30default_config_static_selectorELNS0_4arch9wavefront6targetE1EEEvT1_.numbered_sgpr, 0
	.set _ZN7rocprim17ROCPRIM_400000_NS6detail17trampoline_kernelINS0_14default_configENS1_25transform_config_selectorIjLb0EEEZNS1_14transform_implILb0ES3_S5_NS0_18transform_iteratorINS0_17counting_iteratorImlEEZNS1_24adjacent_difference_implIS3_Lb1ELb0EPKjPjN6thrust23THRUST_200600_302600_NS4plusIjEEEE10hipError_tPvRmT2_T3_mT4_P12ihipStream_tbEUlmE_jEESD_NS0_8identityIvEEEESI_SL_SM_mSN_SP_bEUlT_E_NS1_11comp_targetILNS1_3genE9ELNS1_11target_archE1100ELNS1_3gpuE3ELNS1_3repE0EEENS1_30default_config_static_selectorELNS0_4arch9wavefront6targetE1EEEvT1_.num_named_barrier, 0
	.set _ZN7rocprim17ROCPRIM_400000_NS6detail17trampoline_kernelINS0_14default_configENS1_25transform_config_selectorIjLb0EEEZNS1_14transform_implILb0ES3_S5_NS0_18transform_iteratorINS0_17counting_iteratorImlEEZNS1_24adjacent_difference_implIS3_Lb1ELb0EPKjPjN6thrust23THRUST_200600_302600_NS4plusIjEEEE10hipError_tPvRmT2_T3_mT4_P12ihipStream_tbEUlmE_jEESD_NS0_8identityIvEEEESI_SL_SM_mSN_SP_bEUlT_E_NS1_11comp_targetILNS1_3genE9ELNS1_11target_archE1100ELNS1_3gpuE3ELNS1_3repE0EEENS1_30default_config_static_selectorELNS0_4arch9wavefront6targetE1EEEvT1_.private_seg_size, 0
	.set _ZN7rocprim17ROCPRIM_400000_NS6detail17trampoline_kernelINS0_14default_configENS1_25transform_config_selectorIjLb0EEEZNS1_14transform_implILb0ES3_S5_NS0_18transform_iteratorINS0_17counting_iteratorImlEEZNS1_24adjacent_difference_implIS3_Lb1ELb0EPKjPjN6thrust23THRUST_200600_302600_NS4plusIjEEEE10hipError_tPvRmT2_T3_mT4_P12ihipStream_tbEUlmE_jEESD_NS0_8identityIvEEEESI_SL_SM_mSN_SP_bEUlT_E_NS1_11comp_targetILNS1_3genE9ELNS1_11target_archE1100ELNS1_3gpuE3ELNS1_3repE0EEENS1_30default_config_static_selectorELNS0_4arch9wavefront6targetE1EEEvT1_.uses_vcc, 0
	.set _ZN7rocprim17ROCPRIM_400000_NS6detail17trampoline_kernelINS0_14default_configENS1_25transform_config_selectorIjLb0EEEZNS1_14transform_implILb0ES3_S5_NS0_18transform_iteratorINS0_17counting_iteratorImlEEZNS1_24adjacent_difference_implIS3_Lb1ELb0EPKjPjN6thrust23THRUST_200600_302600_NS4plusIjEEEE10hipError_tPvRmT2_T3_mT4_P12ihipStream_tbEUlmE_jEESD_NS0_8identityIvEEEESI_SL_SM_mSN_SP_bEUlT_E_NS1_11comp_targetILNS1_3genE9ELNS1_11target_archE1100ELNS1_3gpuE3ELNS1_3repE0EEENS1_30default_config_static_selectorELNS0_4arch9wavefront6targetE1EEEvT1_.uses_flat_scratch, 0
	.set _ZN7rocprim17ROCPRIM_400000_NS6detail17trampoline_kernelINS0_14default_configENS1_25transform_config_selectorIjLb0EEEZNS1_14transform_implILb0ES3_S5_NS0_18transform_iteratorINS0_17counting_iteratorImlEEZNS1_24adjacent_difference_implIS3_Lb1ELb0EPKjPjN6thrust23THRUST_200600_302600_NS4plusIjEEEE10hipError_tPvRmT2_T3_mT4_P12ihipStream_tbEUlmE_jEESD_NS0_8identityIvEEEESI_SL_SM_mSN_SP_bEUlT_E_NS1_11comp_targetILNS1_3genE9ELNS1_11target_archE1100ELNS1_3gpuE3ELNS1_3repE0EEENS1_30default_config_static_selectorELNS0_4arch9wavefront6targetE1EEEvT1_.has_dyn_sized_stack, 0
	.set _ZN7rocprim17ROCPRIM_400000_NS6detail17trampoline_kernelINS0_14default_configENS1_25transform_config_selectorIjLb0EEEZNS1_14transform_implILb0ES3_S5_NS0_18transform_iteratorINS0_17counting_iteratorImlEEZNS1_24adjacent_difference_implIS3_Lb1ELb0EPKjPjN6thrust23THRUST_200600_302600_NS4plusIjEEEE10hipError_tPvRmT2_T3_mT4_P12ihipStream_tbEUlmE_jEESD_NS0_8identityIvEEEESI_SL_SM_mSN_SP_bEUlT_E_NS1_11comp_targetILNS1_3genE9ELNS1_11target_archE1100ELNS1_3gpuE3ELNS1_3repE0EEENS1_30default_config_static_selectorELNS0_4arch9wavefront6targetE1EEEvT1_.has_recursion, 0
	.set _ZN7rocprim17ROCPRIM_400000_NS6detail17trampoline_kernelINS0_14default_configENS1_25transform_config_selectorIjLb0EEEZNS1_14transform_implILb0ES3_S5_NS0_18transform_iteratorINS0_17counting_iteratorImlEEZNS1_24adjacent_difference_implIS3_Lb1ELb0EPKjPjN6thrust23THRUST_200600_302600_NS4plusIjEEEE10hipError_tPvRmT2_T3_mT4_P12ihipStream_tbEUlmE_jEESD_NS0_8identityIvEEEESI_SL_SM_mSN_SP_bEUlT_E_NS1_11comp_targetILNS1_3genE9ELNS1_11target_archE1100ELNS1_3gpuE3ELNS1_3repE0EEENS1_30default_config_static_selectorELNS0_4arch9wavefront6targetE1EEEvT1_.has_indirect_call, 0
	.section	.AMDGPU.csdata,"",@progbits
; Kernel info:
; codeLenInByte = 0
; TotalNumSgprs: 4
; NumVgprs: 0
; ScratchSize: 0
; MemoryBound: 0
; FloatMode: 240
; IeeeMode: 1
; LDSByteSize: 0 bytes/workgroup (compile time only)
; SGPRBlocks: 0
; VGPRBlocks: 0
; NumSGPRsForWavesPerEU: 4
; NumVGPRsForWavesPerEU: 1
; Occupancy: 10
; WaveLimiterHint : 0
; COMPUTE_PGM_RSRC2:SCRATCH_EN: 0
; COMPUTE_PGM_RSRC2:USER_SGPR: 6
; COMPUTE_PGM_RSRC2:TRAP_HANDLER: 0
; COMPUTE_PGM_RSRC2:TGID_X_EN: 1
; COMPUTE_PGM_RSRC2:TGID_Y_EN: 0
; COMPUTE_PGM_RSRC2:TGID_Z_EN: 0
; COMPUTE_PGM_RSRC2:TIDIG_COMP_CNT: 0
	.section	.text._ZN7rocprim17ROCPRIM_400000_NS6detail17trampoline_kernelINS0_14default_configENS1_25transform_config_selectorIjLb0EEEZNS1_14transform_implILb0ES3_S5_NS0_18transform_iteratorINS0_17counting_iteratorImlEEZNS1_24adjacent_difference_implIS3_Lb1ELb0EPKjPjN6thrust23THRUST_200600_302600_NS4plusIjEEEE10hipError_tPvRmT2_T3_mT4_P12ihipStream_tbEUlmE_jEESD_NS0_8identityIvEEEESI_SL_SM_mSN_SP_bEUlT_E_NS1_11comp_targetILNS1_3genE8ELNS1_11target_archE1030ELNS1_3gpuE2ELNS1_3repE0EEENS1_30default_config_static_selectorELNS0_4arch9wavefront6targetE1EEEvT1_,"axG",@progbits,_ZN7rocprim17ROCPRIM_400000_NS6detail17trampoline_kernelINS0_14default_configENS1_25transform_config_selectorIjLb0EEEZNS1_14transform_implILb0ES3_S5_NS0_18transform_iteratorINS0_17counting_iteratorImlEEZNS1_24adjacent_difference_implIS3_Lb1ELb0EPKjPjN6thrust23THRUST_200600_302600_NS4plusIjEEEE10hipError_tPvRmT2_T3_mT4_P12ihipStream_tbEUlmE_jEESD_NS0_8identityIvEEEESI_SL_SM_mSN_SP_bEUlT_E_NS1_11comp_targetILNS1_3genE8ELNS1_11target_archE1030ELNS1_3gpuE2ELNS1_3repE0EEENS1_30default_config_static_selectorELNS0_4arch9wavefront6targetE1EEEvT1_,comdat
	.protected	_ZN7rocprim17ROCPRIM_400000_NS6detail17trampoline_kernelINS0_14default_configENS1_25transform_config_selectorIjLb0EEEZNS1_14transform_implILb0ES3_S5_NS0_18transform_iteratorINS0_17counting_iteratorImlEEZNS1_24adjacent_difference_implIS3_Lb1ELb0EPKjPjN6thrust23THRUST_200600_302600_NS4plusIjEEEE10hipError_tPvRmT2_T3_mT4_P12ihipStream_tbEUlmE_jEESD_NS0_8identityIvEEEESI_SL_SM_mSN_SP_bEUlT_E_NS1_11comp_targetILNS1_3genE8ELNS1_11target_archE1030ELNS1_3gpuE2ELNS1_3repE0EEENS1_30default_config_static_selectorELNS0_4arch9wavefront6targetE1EEEvT1_ ; -- Begin function _ZN7rocprim17ROCPRIM_400000_NS6detail17trampoline_kernelINS0_14default_configENS1_25transform_config_selectorIjLb0EEEZNS1_14transform_implILb0ES3_S5_NS0_18transform_iteratorINS0_17counting_iteratorImlEEZNS1_24adjacent_difference_implIS3_Lb1ELb0EPKjPjN6thrust23THRUST_200600_302600_NS4plusIjEEEE10hipError_tPvRmT2_T3_mT4_P12ihipStream_tbEUlmE_jEESD_NS0_8identityIvEEEESI_SL_SM_mSN_SP_bEUlT_E_NS1_11comp_targetILNS1_3genE8ELNS1_11target_archE1030ELNS1_3gpuE2ELNS1_3repE0EEENS1_30default_config_static_selectorELNS0_4arch9wavefront6targetE1EEEvT1_
	.globl	_ZN7rocprim17ROCPRIM_400000_NS6detail17trampoline_kernelINS0_14default_configENS1_25transform_config_selectorIjLb0EEEZNS1_14transform_implILb0ES3_S5_NS0_18transform_iteratorINS0_17counting_iteratorImlEEZNS1_24adjacent_difference_implIS3_Lb1ELb0EPKjPjN6thrust23THRUST_200600_302600_NS4plusIjEEEE10hipError_tPvRmT2_T3_mT4_P12ihipStream_tbEUlmE_jEESD_NS0_8identityIvEEEESI_SL_SM_mSN_SP_bEUlT_E_NS1_11comp_targetILNS1_3genE8ELNS1_11target_archE1030ELNS1_3gpuE2ELNS1_3repE0EEENS1_30default_config_static_selectorELNS0_4arch9wavefront6targetE1EEEvT1_
	.p2align	8
	.type	_ZN7rocprim17ROCPRIM_400000_NS6detail17trampoline_kernelINS0_14default_configENS1_25transform_config_selectorIjLb0EEEZNS1_14transform_implILb0ES3_S5_NS0_18transform_iteratorINS0_17counting_iteratorImlEEZNS1_24adjacent_difference_implIS3_Lb1ELb0EPKjPjN6thrust23THRUST_200600_302600_NS4plusIjEEEE10hipError_tPvRmT2_T3_mT4_P12ihipStream_tbEUlmE_jEESD_NS0_8identityIvEEEESI_SL_SM_mSN_SP_bEUlT_E_NS1_11comp_targetILNS1_3genE8ELNS1_11target_archE1030ELNS1_3gpuE2ELNS1_3repE0EEENS1_30default_config_static_selectorELNS0_4arch9wavefront6targetE1EEEvT1_,@function
_ZN7rocprim17ROCPRIM_400000_NS6detail17trampoline_kernelINS0_14default_configENS1_25transform_config_selectorIjLb0EEEZNS1_14transform_implILb0ES3_S5_NS0_18transform_iteratorINS0_17counting_iteratorImlEEZNS1_24adjacent_difference_implIS3_Lb1ELb0EPKjPjN6thrust23THRUST_200600_302600_NS4plusIjEEEE10hipError_tPvRmT2_T3_mT4_P12ihipStream_tbEUlmE_jEESD_NS0_8identityIvEEEESI_SL_SM_mSN_SP_bEUlT_E_NS1_11comp_targetILNS1_3genE8ELNS1_11target_archE1030ELNS1_3gpuE2ELNS1_3repE0EEENS1_30default_config_static_selectorELNS0_4arch9wavefront6targetE1EEEvT1_: ; @_ZN7rocprim17ROCPRIM_400000_NS6detail17trampoline_kernelINS0_14default_configENS1_25transform_config_selectorIjLb0EEEZNS1_14transform_implILb0ES3_S5_NS0_18transform_iteratorINS0_17counting_iteratorImlEEZNS1_24adjacent_difference_implIS3_Lb1ELb0EPKjPjN6thrust23THRUST_200600_302600_NS4plusIjEEEE10hipError_tPvRmT2_T3_mT4_P12ihipStream_tbEUlmE_jEESD_NS0_8identityIvEEEESI_SL_SM_mSN_SP_bEUlT_E_NS1_11comp_targetILNS1_3genE8ELNS1_11target_archE1030ELNS1_3gpuE2ELNS1_3repE0EEENS1_30default_config_static_selectorELNS0_4arch9wavefront6targetE1EEEvT1_
; %bb.0:
	.section	.rodata,"a",@progbits
	.p2align	6, 0x0
	.amdhsa_kernel _ZN7rocprim17ROCPRIM_400000_NS6detail17trampoline_kernelINS0_14default_configENS1_25transform_config_selectorIjLb0EEEZNS1_14transform_implILb0ES3_S5_NS0_18transform_iteratorINS0_17counting_iteratorImlEEZNS1_24adjacent_difference_implIS3_Lb1ELb0EPKjPjN6thrust23THRUST_200600_302600_NS4plusIjEEEE10hipError_tPvRmT2_T3_mT4_P12ihipStream_tbEUlmE_jEESD_NS0_8identityIvEEEESI_SL_SM_mSN_SP_bEUlT_E_NS1_11comp_targetILNS1_3genE8ELNS1_11target_archE1030ELNS1_3gpuE2ELNS1_3repE0EEENS1_30default_config_static_selectorELNS0_4arch9wavefront6targetE1EEEvT1_
		.amdhsa_group_segment_fixed_size 0
		.amdhsa_private_segment_fixed_size 0
		.amdhsa_kernarg_size 56
		.amdhsa_user_sgpr_count 6
		.amdhsa_user_sgpr_private_segment_buffer 1
		.amdhsa_user_sgpr_dispatch_ptr 0
		.amdhsa_user_sgpr_queue_ptr 0
		.amdhsa_user_sgpr_kernarg_segment_ptr 1
		.amdhsa_user_sgpr_dispatch_id 0
		.amdhsa_user_sgpr_flat_scratch_init 0
		.amdhsa_user_sgpr_private_segment_size 0
		.amdhsa_uses_dynamic_stack 0
		.amdhsa_system_sgpr_private_segment_wavefront_offset 0
		.amdhsa_system_sgpr_workgroup_id_x 1
		.amdhsa_system_sgpr_workgroup_id_y 0
		.amdhsa_system_sgpr_workgroup_id_z 0
		.amdhsa_system_sgpr_workgroup_info 0
		.amdhsa_system_vgpr_workitem_id 0
		.amdhsa_next_free_vgpr 1
		.amdhsa_next_free_sgpr 0
		.amdhsa_reserve_vcc 0
		.amdhsa_reserve_flat_scratch 0
		.amdhsa_float_round_mode_32 0
		.amdhsa_float_round_mode_16_64 0
		.amdhsa_float_denorm_mode_32 3
		.amdhsa_float_denorm_mode_16_64 3
		.amdhsa_dx10_clamp 1
		.amdhsa_ieee_mode 1
		.amdhsa_fp16_overflow 0
		.amdhsa_exception_fp_ieee_invalid_op 0
		.amdhsa_exception_fp_denorm_src 0
		.amdhsa_exception_fp_ieee_div_zero 0
		.amdhsa_exception_fp_ieee_overflow 0
		.amdhsa_exception_fp_ieee_underflow 0
		.amdhsa_exception_fp_ieee_inexact 0
		.amdhsa_exception_int_div_zero 0
	.end_amdhsa_kernel
	.section	.text._ZN7rocprim17ROCPRIM_400000_NS6detail17trampoline_kernelINS0_14default_configENS1_25transform_config_selectorIjLb0EEEZNS1_14transform_implILb0ES3_S5_NS0_18transform_iteratorINS0_17counting_iteratorImlEEZNS1_24adjacent_difference_implIS3_Lb1ELb0EPKjPjN6thrust23THRUST_200600_302600_NS4plusIjEEEE10hipError_tPvRmT2_T3_mT4_P12ihipStream_tbEUlmE_jEESD_NS0_8identityIvEEEESI_SL_SM_mSN_SP_bEUlT_E_NS1_11comp_targetILNS1_3genE8ELNS1_11target_archE1030ELNS1_3gpuE2ELNS1_3repE0EEENS1_30default_config_static_selectorELNS0_4arch9wavefront6targetE1EEEvT1_,"axG",@progbits,_ZN7rocprim17ROCPRIM_400000_NS6detail17trampoline_kernelINS0_14default_configENS1_25transform_config_selectorIjLb0EEEZNS1_14transform_implILb0ES3_S5_NS0_18transform_iteratorINS0_17counting_iteratorImlEEZNS1_24adjacent_difference_implIS3_Lb1ELb0EPKjPjN6thrust23THRUST_200600_302600_NS4plusIjEEEE10hipError_tPvRmT2_T3_mT4_P12ihipStream_tbEUlmE_jEESD_NS0_8identityIvEEEESI_SL_SM_mSN_SP_bEUlT_E_NS1_11comp_targetILNS1_3genE8ELNS1_11target_archE1030ELNS1_3gpuE2ELNS1_3repE0EEENS1_30default_config_static_selectorELNS0_4arch9wavefront6targetE1EEEvT1_,comdat
.Lfunc_end664:
	.size	_ZN7rocprim17ROCPRIM_400000_NS6detail17trampoline_kernelINS0_14default_configENS1_25transform_config_selectorIjLb0EEEZNS1_14transform_implILb0ES3_S5_NS0_18transform_iteratorINS0_17counting_iteratorImlEEZNS1_24adjacent_difference_implIS3_Lb1ELb0EPKjPjN6thrust23THRUST_200600_302600_NS4plusIjEEEE10hipError_tPvRmT2_T3_mT4_P12ihipStream_tbEUlmE_jEESD_NS0_8identityIvEEEESI_SL_SM_mSN_SP_bEUlT_E_NS1_11comp_targetILNS1_3genE8ELNS1_11target_archE1030ELNS1_3gpuE2ELNS1_3repE0EEENS1_30default_config_static_selectorELNS0_4arch9wavefront6targetE1EEEvT1_, .Lfunc_end664-_ZN7rocprim17ROCPRIM_400000_NS6detail17trampoline_kernelINS0_14default_configENS1_25transform_config_selectorIjLb0EEEZNS1_14transform_implILb0ES3_S5_NS0_18transform_iteratorINS0_17counting_iteratorImlEEZNS1_24adjacent_difference_implIS3_Lb1ELb0EPKjPjN6thrust23THRUST_200600_302600_NS4plusIjEEEE10hipError_tPvRmT2_T3_mT4_P12ihipStream_tbEUlmE_jEESD_NS0_8identityIvEEEESI_SL_SM_mSN_SP_bEUlT_E_NS1_11comp_targetILNS1_3genE8ELNS1_11target_archE1030ELNS1_3gpuE2ELNS1_3repE0EEENS1_30default_config_static_selectorELNS0_4arch9wavefront6targetE1EEEvT1_
                                        ; -- End function
	.set _ZN7rocprim17ROCPRIM_400000_NS6detail17trampoline_kernelINS0_14default_configENS1_25transform_config_selectorIjLb0EEEZNS1_14transform_implILb0ES3_S5_NS0_18transform_iteratorINS0_17counting_iteratorImlEEZNS1_24adjacent_difference_implIS3_Lb1ELb0EPKjPjN6thrust23THRUST_200600_302600_NS4plusIjEEEE10hipError_tPvRmT2_T3_mT4_P12ihipStream_tbEUlmE_jEESD_NS0_8identityIvEEEESI_SL_SM_mSN_SP_bEUlT_E_NS1_11comp_targetILNS1_3genE8ELNS1_11target_archE1030ELNS1_3gpuE2ELNS1_3repE0EEENS1_30default_config_static_selectorELNS0_4arch9wavefront6targetE1EEEvT1_.num_vgpr, 0
	.set _ZN7rocprim17ROCPRIM_400000_NS6detail17trampoline_kernelINS0_14default_configENS1_25transform_config_selectorIjLb0EEEZNS1_14transform_implILb0ES3_S5_NS0_18transform_iteratorINS0_17counting_iteratorImlEEZNS1_24adjacent_difference_implIS3_Lb1ELb0EPKjPjN6thrust23THRUST_200600_302600_NS4plusIjEEEE10hipError_tPvRmT2_T3_mT4_P12ihipStream_tbEUlmE_jEESD_NS0_8identityIvEEEESI_SL_SM_mSN_SP_bEUlT_E_NS1_11comp_targetILNS1_3genE8ELNS1_11target_archE1030ELNS1_3gpuE2ELNS1_3repE0EEENS1_30default_config_static_selectorELNS0_4arch9wavefront6targetE1EEEvT1_.num_agpr, 0
	.set _ZN7rocprim17ROCPRIM_400000_NS6detail17trampoline_kernelINS0_14default_configENS1_25transform_config_selectorIjLb0EEEZNS1_14transform_implILb0ES3_S5_NS0_18transform_iteratorINS0_17counting_iteratorImlEEZNS1_24adjacent_difference_implIS3_Lb1ELb0EPKjPjN6thrust23THRUST_200600_302600_NS4plusIjEEEE10hipError_tPvRmT2_T3_mT4_P12ihipStream_tbEUlmE_jEESD_NS0_8identityIvEEEESI_SL_SM_mSN_SP_bEUlT_E_NS1_11comp_targetILNS1_3genE8ELNS1_11target_archE1030ELNS1_3gpuE2ELNS1_3repE0EEENS1_30default_config_static_selectorELNS0_4arch9wavefront6targetE1EEEvT1_.numbered_sgpr, 0
	.set _ZN7rocprim17ROCPRIM_400000_NS6detail17trampoline_kernelINS0_14default_configENS1_25transform_config_selectorIjLb0EEEZNS1_14transform_implILb0ES3_S5_NS0_18transform_iteratorINS0_17counting_iteratorImlEEZNS1_24adjacent_difference_implIS3_Lb1ELb0EPKjPjN6thrust23THRUST_200600_302600_NS4plusIjEEEE10hipError_tPvRmT2_T3_mT4_P12ihipStream_tbEUlmE_jEESD_NS0_8identityIvEEEESI_SL_SM_mSN_SP_bEUlT_E_NS1_11comp_targetILNS1_3genE8ELNS1_11target_archE1030ELNS1_3gpuE2ELNS1_3repE0EEENS1_30default_config_static_selectorELNS0_4arch9wavefront6targetE1EEEvT1_.num_named_barrier, 0
	.set _ZN7rocprim17ROCPRIM_400000_NS6detail17trampoline_kernelINS0_14default_configENS1_25transform_config_selectorIjLb0EEEZNS1_14transform_implILb0ES3_S5_NS0_18transform_iteratorINS0_17counting_iteratorImlEEZNS1_24adjacent_difference_implIS3_Lb1ELb0EPKjPjN6thrust23THRUST_200600_302600_NS4plusIjEEEE10hipError_tPvRmT2_T3_mT4_P12ihipStream_tbEUlmE_jEESD_NS0_8identityIvEEEESI_SL_SM_mSN_SP_bEUlT_E_NS1_11comp_targetILNS1_3genE8ELNS1_11target_archE1030ELNS1_3gpuE2ELNS1_3repE0EEENS1_30default_config_static_selectorELNS0_4arch9wavefront6targetE1EEEvT1_.private_seg_size, 0
	.set _ZN7rocprim17ROCPRIM_400000_NS6detail17trampoline_kernelINS0_14default_configENS1_25transform_config_selectorIjLb0EEEZNS1_14transform_implILb0ES3_S5_NS0_18transform_iteratorINS0_17counting_iteratorImlEEZNS1_24adjacent_difference_implIS3_Lb1ELb0EPKjPjN6thrust23THRUST_200600_302600_NS4plusIjEEEE10hipError_tPvRmT2_T3_mT4_P12ihipStream_tbEUlmE_jEESD_NS0_8identityIvEEEESI_SL_SM_mSN_SP_bEUlT_E_NS1_11comp_targetILNS1_3genE8ELNS1_11target_archE1030ELNS1_3gpuE2ELNS1_3repE0EEENS1_30default_config_static_selectorELNS0_4arch9wavefront6targetE1EEEvT1_.uses_vcc, 0
	.set _ZN7rocprim17ROCPRIM_400000_NS6detail17trampoline_kernelINS0_14default_configENS1_25transform_config_selectorIjLb0EEEZNS1_14transform_implILb0ES3_S5_NS0_18transform_iteratorINS0_17counting_iteratorImlEEZNS1_24adjacent_difference_implIS3_Lb1ELb0EPKjPjN6thrust23THRUST_200600_302600_NS4plusIjEEEE10hipError_tPvRmT2_T3_mT4_P12ihipStream_tbEUlmE_jEESD_NS0_8identityIvEEEESI_SL_SM_mSN_SP_bEUlT_E_NS1_11comp_targetILNS1_3genE8ELNS1_11target_archE1030ELNS1_3gpuE2ELNS1_3repE0EEENS1_30default_config_static_selectorELNS0_4arch9wavefront6targetE1EEEvT1_.uses_flat_scratch, 0
	.set _ZN7rocprim17ROCPRIM_400000_NS6detail17trampoline_kernelINS0_14default_configENS1_25transform_config_selectorIjLb0EEEZNS1_14transform_implILb0ES3_S5_NS0_18transform_iteratorINS0_17counting_iteratorImlEEZNS1_24adjacent_difference_implIS3_Lb1ELb0EPKjPjN6thrust23THRUST_200600_302600_NS4plusIjEEEE10hipError_tPvRmT2_T3_mT4_P12ihipStream_tbEUlmE_jEESD_NS0_8identityIvEEEESI_SL_SM_mSN_SP_bEUlT_E_NS1_11comp_targetILNS1_3genE8ELNS1_11target_archE1030ELNS1_3gpuE2ELNS1_3repE0EEENS1_30default_config_static_selectorELNS0_4arch9wavefront6targetE1EEEvT1_.has_dyn_sized_stack, 0
	.set _ZN7rocprim17ROCPRIM_400000_NS6detail17trampoline_kernelINS0_14default_configENS1_25transform_config_selectorIjLb0EEEZNS1_14transform_implILb0ES3_S5_NS0_18transform_iteratorINS0_17counting_iteratorImlEEZNS1_24adjacent_difference_implIS3_Lb1ELb0EPKjPjN6thrust23THRUST_200600_302600_NS4plusIjEEEE10hipError_tPvRmT2_T3_mT4_P12ihipStream_tbEUlmE_jEESD_NS0_8identityIvEEEESI_SL_SM_mSN_SP_bEUlT_E_NS1_11comp_targetILNS1_3genE8ELNS1_11target_archE1030ELNS1_3gpuE2ELNS1_3repE0EEENS1_30default_config_static_selectorELNS0_4arch9wavefront6targetE1EEEvT1_.has_recursion, 0
	.set _ZN7rocprim17ROCPRIM_400000_NS6detail17trampoline_kernelINS0_14default_configENS1_25transform_config_selectorIjLb0EEEZNS1_14transform_implILb0ES3_S5_NS0_18transform_iteratorINS0_17counting_iteratorImlEEZNS1_24adjacent_difference_implIS3_Lb1ELb0EPKjPjN6thrust23THRUST_200600_302600_NS4plusIjEEEE10hipError_tPvRmT2_T3_mT4_P12ihipStream_tbEUlmE_jEESD_NS0_8identityIvEEEESI_SL_SM_mSN_SP_bEUlT_E_NS1_11comp_targetILNS1_3genE8ELNS1_11target_archE1030ELNS1_3gpuE2ELNS1_3repE0EEENS1_30default_config_static_selectorELNS0_4arch9wavefront6targetE1EEEvT1_.has_indirect_call, 0
	.section	.AMDGPU.csdata,"",@progbits
; Kernel info:
; codeLenInByte = 0
; TotalNumSgprs: 4
; NumVgprs: 0
; ScratchSize: 0
; MemoryBound: 0
; FloatMode: 240
; IeeeMode: 1
; LDSByteSize: 0 bytes/workgroup (compile time only)
; SGPRBlocks: 0
; VGPRBlocks: 0
; NumSGPRsForWavesPerEU: 4
; NumVGPRsForWavesPerEU: 1
; Occupancy: 10
; WaveLimiterHint : 0
; COMPUTE_PGM_RSRC2:SCRATCH_EN: 0
; COMPUTE_PGM_RSRC2:USER_SGPR: 6
; COMPUTE_PGM_RSRC2:TRAP_HANDLER: 0
; COMPUTE_PGM_RSRC2:TGID_X_EN: 1
; COMPUTE_PGM_RSRC2:TGID_Y_EN: 0
; COMPUTE_PGM_RSRC2:TGID_Z_EN: 0
; COMPUTE_PGM_RSRC2:TIDIG_COMP_CNT: 0
	.section	.text._ZN7rocprim17ROCPRIM_400000_NS6detail17trampoline_kernelINS0_14default_configENS1_35adjacent_difference_config_selectorILb1EjEEZNS1_24adjacent_difference_implIS3_Lb1ELb0EPKjPjN6thrust23THRUST_200600_302600_NS4plusIjEEEE10hipError_tPvRmT2_T3_mT4_P12ihipStream_tbEUlT_E_NS1_11comp_targetILNS1_3genE0ELNS1_11target_archE4294967295ELNS1_3gpuE0ELNS1_3repE0EEENS1_30default_config_static_selectorELNS0_4arch9wavefront6targetE1EEEvT1_,"axG",@progbits,_ZN7rocprim17ROCPRIM_400000_NS6detail17trampoline_kernelINS0_14default_configENS1_35adjacent_difference_config_selectorILb1EjEEZNS1_24adjacent_difference_implIS3_Lb1ELb0EPKjPjN6thrust23THRUST_200600_302600_NS4plusIjEEEE10hipError_tPvRmT2_T3_mT4_P12ihipStream_tbEUlT_E_NS1_11comp_targetILNS1_3genE0ELNS1_11target_archE4294967295ELNS1_3gpuE0ELNS1_3repE0EEENS1_30default_config_static_selectorELNS0_4arch9wavefront6targetE1EEEvT1_,comdat
	.protected	_ZN7rocprim17ROCPRIM_400000_NS6detail17trampoline_kernelINS0_14default_configENS1_35adjacent_difference_config_selectorILb1EjEEZNS1_24adjacent_difference_implIS3_Lb1ELb0EPKjPjN6thrust23THRUST_200600_302600_NS4plusIjEEEE10hipError_tPvRmT2_T3_mT4_P12ihipStream_tbEUlT_E_NS1_11comp_targetILNS1_3genE0ELNS1_11target_archE4294967295ELNS1_3gpuE0ELNS1_3repE0EEENS1_30default_config_static_selectorELNS0_4arch9wavefront6targetE1EEEvT1_ ; -- Begin function _ZN7rocprim17ROCPRIM_400000_NS6detail17trampoline_kernelINS0_14default_configENS1_35adjacent_difference_config_selectorILb1EjEEZNS1_24adjacent_difference_implIS3_Lb1ELb0EPKjPjN6thrust23THRUST_200600_302600_NS4plusIjEEEE10hipError_tPvRmT2_T3_mT4_P12ihipStream_tbEUlT_E_NS1_11comp_targetILNS1_3genE0ELNS1_11target_archE4294967295ELNS1_3gpuE0ELNS1_3repE0EEENS1_30default_config_static_selectorELNS0_4arch9wavefront6targetE1EEEvT1_
	.globl	_ZN7rocprim17ROCPRIM_400000_NS6detail17trampoline_kernelINS0_14default_configENS1_35adjacent_difference_config_selectorILb1EjEEZNS1_24adjacent_difference_implIS3_Lb1ELb0EPKjPjN6thrust23THRUST_200600_302600_NS4plusIjEEEE10hipError_tPvRmT2_T3_mT4_P12ihipStream_tbEUlT_E_NS1_11comp_targetILNS1_3genE0ELNS1_11target_archE4294967295ELNS1_3gpuE0ELNS1_3repE0EEENS1_30default_config_static_selectorELNS0_4arch9wavefront6targetE1EEEvT1_
	.p2align	8
	.type	_ZN7rocprim17ROCPRIM_400000_NS6detail17trampoline_kernelINS0_14default_configENS1_35adjacent_difference_config_selectorILb1EjEEZNS1_24adjacent_difference_implIS3_Lb1ELb0EPKjPjN6thrust23THRUST_200600_302600_NS4plusIjEEEE10hipError_tPvRmT2_T3_mT4_P12ihipStream_tbEUlT_E_NS1_11comp_targetILNS1_3genE0ELNS1_11target_archE4294967295ELNS1_3gpuE0ELNS1_3repE0EEENS1_30default_config_static_selectorELNS0_4arch9wavefront6targetE1EEEvT1_,@function
_ZN7rocprim17ROCPRIM_400000_NS6detail17trampoline_kernelINS0_14default_configENS1_35adjacent_difference_config_selectorILb1EjEEZNS1_24adjacent_difference_implIS3_Lb1ELb0EPKjPjN6thrust23THRUST_200600_302600_NS4plusIjEEEE10hipError_tPvRmT2_T3_mT4_P12ihipStream_tbEUlT_E_NS1_11comp_targetILNS1_3genE0ELNS1_11target_archE4294967295ELNS1_3gpuE0ELNS1_3repE0EEENS1_30default_config_static_selectorELNS0_4arch9wavefront6targetE1EEEvT1_: ; @_ZN7rocprim17ROCPRIM_400000_NS6detail17trampoline_kernelINS0_14default_configENS1_35adjacent_difference_config_selectorILb1EjEEZNS1_24adjacent_difference_implIS3_Lb1ELb0EPKjPjN6thrust23THRUST_200600_302600_NS4plusIjEEEE10hipError_tPvRmT2_T3_mT4_P12ihipStream_tbEUlT_E_NS1_11comp_targetILNS1_3genE0ELNS1_11target_archE4294967295ELNS1_3gpuE0ELNS1_3repE0EEENS1_30default_config_static_selectorELNS0_4arch9wavefront6targetE1EEEvT1_
; %bb.0:
	.section	.rodata,"a",@progbits
	.p2align	6, 0x0
	.amdhsa_kernel _ZN7rocprim17ROCPRIM_400000_NS6detail17trampoline_kernelINS0_14default_configENS1_35adjacent_difference_config_selectorILb1EjEEZNS1_24adjacent_difference_implIS3_Lb1ELb0EPKjPjN6thrust23THRUST_200600_302600_NS4plusIjEEEE10hipError_tPvRmT2_T3_mT4_P12ihipStream_tbEUlT_E_NS1_11comp_targetILNS1_3genE0ELNS1_11target_archE4294967295ELNS1_3gpuE0ELNS1_3repE0EEENS1_30default_config_static_selectorELNS0_4arch9wavefront6targetE1EEEvT1_
		.amdhsa_group_segment_fixed_size 0
		.amdhsa_private_segment_fixed_size 0
		.amdhsa_kernarg_size 56
		.amdhsa_user_sgpr_count 6
		.amdhsa_user_sgpr_private_segment_buffer 1
		.amdhsa_user_sgpr_dispatch_ptr 0
		.amdhsa_user_sgpr_queue_ptr 0
		.amdhsa_user_sgpr_kernarg_segment_ptr 1
		.amdhsa_user_sgpr_dispatch_id 0
		.amdhsa_user_sgpr_flat_scratch_init 0
		.amdhsa_user_sgpr_private_segment_size 0
		.amdhsa_uses_dynamic_stack 0
		.amdhsa_system_sgpr_private_segment_wavefront_offset 0
		.amdhsa_system_sgpr_workgroup_id_x 1
		.amdhsa_system_sgpr_workgroup_id_y 0
		.amdhsa_system_sgpr_workgroup_id_z 0
		.amdhsa_system_sgpr_workgroup_info 0
		.amdhsa_system_vgpr_workitem_id 0
		.amdhsa_next_free_vgpr 1
		.amdhsa_next_free_sgpr 0
		.amdhsa_reserve_vcc 0
		.amdhsa_reserve_flat_scratch 0
		.amdhsa_float_round_mode_32 0
		.amdhsa_float_round_mode_16_64 0
		.amdhsa_float_denorm_mode_32 3
		.amdhsa_float_denorm_mode_16_64 3
		.amdhsa_dx10_clamp 1
		.amdhsa_ieee_mode 1
		.amdhsa_fp16_overflow 0
		.amdhsa_exception_fp_ieee_invalid_op 0
		.amdhsa_exception_fp_denorm_src 0
		.amdhsa_exception_fp_ieee_div_zero 0
		.amdhsa_exception_fp_ieee_overflow 0
		.amdhsa_exception_fp_ieee_underflow 0
		.amdhsa_exception_fp_ieee_inexact 0
		.amdhsa_exception_int_div_zero 0
	.end_amdhsa_kernel
	.section	.text._ZN7rocprim17ROCPRIM_400000_NS6detail17trampoline_kernelINS0_14default_configENS1_35adjacent_difference_config_selectorILb1EjEEZNS1_24adjacent_difference_implIS3_Lb1ELb0EPKjPjN6thrust23THRUST_200600_302600_NS4plusIjEEEE10hipError_tPvRmT2_T3_mT4_P12ihipStream_tbEUlT_E_NS1_11comp_targetILNS1_3genE0ELNS1_11target_archE4294967295ELNS1_3gpuE0ELNS1_3repE0EEENS1_30default_config_static_selectorELNS0_4arch9wavefront6targetE1EEEvT1_,"axG",@progbits,_ZN7rocprim17ROCPRIM_400000_NS6detail17trampoline_kernelINS0_14default_configENS1_35adjacent_difference_config_selectorILb1EjEEZNS1_24adjacent_difference_implIS3_Lb1ELb0EPKjPjN6thrust23THRUST_200600_302600_NS4plusIjEEEE10hipError_tPvRmT2_T3_mT4_P12ihipStream_tbEUlT_E_NS1_11comp_targetILNS1_3genE0ELNS1_11target_archE4294967295ELNS1_3gpuE0ELNS1_3repE0EEENS1_30default_config_static_selectorELNS0_4arch9wavefront6targetE1EEEvT1_,comdat
.Lfunc_end665:
	.size	_ZN7rocprim17ROCPRIM_400000_NS6detail17trampoline_kernelINS0_14default_configENS1_35adjacent_difference_config_selectorILb1EjEEZNS1_24adjacent_difference_implIS3_Lb1ELb0EPKjPjN6thrust23THRUST_200600_302600_NS4plusIjEEEE10hipError_tPvRmT2_T3_mT4_P12ihipStream_tbEUlT_E_NS1_11comp_targetILNS1_3genE0ELNS1_11target_archE4294967295ELNS1_3gpuE0ELNS1_3repE0EEENS1_30default_config_static_selectorELNS0_4arch9wavefront6targetE1EEEvT1_, .Lfunc_end665-_ZN7rocprim17ROCPRIM_400000_NS6detail17trampoline_kernelINS0_14default_configENS1_35adjacent_difference_config_selectorILb1EjEEZNS1_24adjacent_difference_implIS3_Lb1ELb0EPKjPjN6thrust23THRUST_200600_302600_NS4plusIjEEEE10hipError_tPvRmT2_T3_mT4_P12ihipStream_tbEUlT_E_NS1_11comp_targetILNS1_3genE0ELNS1_11target_archE4294967295ELNS1_3gpuE0ELNS1_3repE0EEENS1_30default_config_static_selectorELNS0_4arch9wavefront6targetE1EEEvT1_
                                        ; -- End function
	.set _ZN7rocprim17ROCPRIM_400000_NS6detail17trampoline_kernelINS0_14default_configENS1_35adjacent_difference_config_selectorILb1EjEEZNS1_24adjacent_difference_implIS3_Lb1ELb0EPKjPjN6thrust23THRUST_200600_302600_NS4plusIjEEEE10hipError_tPvRmT2_T3_mT4_P12ihipStream_tbEUlT_E_NS1_11comp_targetILNS1_3genE0ELNS1_11target_archE4294967295ELNS1_3gpuE0ELNS1_3repE0EEENS1_30default_config_static_selectorELNS0_4arch9wavefront6targetE1EEEvT1_.num_vgpr, 0
	.set _ZN7rocprim17ROCPRIM_400000_NS6detail17trampoline_kernelINS0_14default_configENS1_35adjacent_difference_config_selectorILb1EjEEZNS1_24adjacent_difference_implIS3_Lb1ELb0EPKjPjN6thrust23THRUST_200600_302600_NS4plusIjEEEE10hipError_tPvRmT2_T3_mT4_P12ihipStream_tbEUlT_E_NS1_11comp_targetILNS1_3genE0ELNS1_11target_archE4294967295ELNS1_3gpuE0ELNS1_3repE0EEENS1_30default_config_static_selectorELNS0_4arch9wavefront6targetE1EEEvT1_.num_agpr, 0
	.set _ZN7rocprim17ROCPRIM_400000_NS6detail17trampoline_kernelINS0_14default_configENS1_35adjacent_difference_config_selectorILb1EjEEZNS1_24adjacent_difference_implIS3_Lb1ELb0EPKjPjN6thrust23THRUST_200600_302600_NS4plusIjEEEE10hipError_tPvRmT2_T3_mT4_P12ihipStream_tbEUlT_E_NS1_11comp_targetILNS1_3genE0ELNS1_11target_archE4294967295ELNS1_3gpuE0ELNS1_3repE0EEENS1_30default_config_static_selectorELNS0_4arch9wavefront6targetE1EEEvT1_.numbered_sgpr, 0
	.set _ZN7rocprim17ROCPRIM_400000_NS6detail17trampoline_kernelINS0_14default_configENS1_35adjacent_difference_config_selectorILb1EjEEZNS1_24adjacent_difference_implIS3_Lb1ELb0EPKjPjN6thrust23THRUST_200600_302600_NS4plusIjEEEE10hipError_tPvRmT2_T3_mT4_P12ihipStream_tbEUlT_E_NS1_11comp_targetILNS1_3genE0ELNS1_11target_archE4294967295ELNS1_3gpuE0ELNS1_3repE0EEENS1_30default_config_static_selectorELNS0_4arch9wavefront6targetE1EEEvT1_.num_named_barrier, 0
	.set _ZN7rocprim17ROCPRIM_400000_NS6detail17trampoline_kernelINS0_14default_configENS1_35adjacent_difference_config_selectorILb1EjEEZNS1_24adjacent_difference_implIS3_Lb1ELb0EPKjPjN6thrust23THRUST_200600_302600_NS4plusIjEEEE10hipError_tPvRmT2_T3_mT4_P12ihipStream_tbEUlT_E_NS1_11comp_targetILNS1_3genE0ELNS1_11target_archE4294967295ELNS1_3gpuE0ELNS1_3repE0EEENS1_30default_config_static_selectorELNS0_4arch9wavefront6targetE1EEEvT1_.private_seg_size, 0
	.set _ZN7rocprim17ROCPRIM_400000_NS6detail17trampoline_kernelINS0_14default_configENS1_35adjacent_difference_config_selectorILb1EjEEZNS1_24adjacent_difference_implIS3_Lb1ELb0EPKjPjN6thrust23THRUST_200600_302600_NS4plusIjEEEE10hipError_tPvRmT2_T3_mT4_P12ihipStream_tbEUlT_E_NS1_11comp_targetILNS1_3genE0ELNS1_11target_archE4294967295ELNS1_3gpuE0ELNS1_3repE0EEENS1_30default_config_static_selectorELNS0_4arch9wavefront6targetE1EEEvT1_.uses_vcc, 0
	.set _ZN7rocprim17ROCPRIM_400000_NS6detail17trampoline_kernelINS0_14default_configENS1_35adjacent_difference_config_selectorILb1EjEEZNS1_24adjacent_difference_implIS3_Lb1ELb0EPKjPjN6thrust23THRUST_200600_302600_NS4plusIjEEEE10hipError_tPvRmT2_T3_mT4_P12ihipStream_tbEUlT_E_NS1_11comp_targetILNS1_3genE0ELNS1_11target_archE4294967295ELNS1_3gpuE0ELNS1_3repE0EEENS1_30default_config_static_selectorELNS0_4arch9wavefront6targetE1EEEvT1_.uses_flat_scratch, 0
	.set _ZN7rocprim17ROCPRIM_400000_NS6detail17trampoline_kernelINS0_14default_configENS1_35adjacent_difference_config_selectorILb1EjEEZNS1_24adjacent_difference_implIS3_Lb1ELb0EPKjPjN6thrust23THRUST_200600_302600_NS4plusIjEEEE10hipError_tPvRmT2_T3_mT4_P12ihipStream_tbEUlT_E_NS1_11comp_targetILNS1_3genE0ELNS1_11target_archE4294967295ELNS1_3gpuE0ELNS1_3repE0EEENS1_30default_config_static_selectorELNS0_4arch9wavefront6targetE1EEEvT1_.has_dyn_sized_stack, 0
	.set _ZN7rocprim17ROCPRIM_400000_NS6detail17trampoline_kernelINS0_14default_configENS1_35adjacent_difference_config_selectorILb1EjEEZNS1_24adjacent_difference_implIS3_Lb1ELb0EPKjPjN6thrust23THRUST_200600_302600_NS4plusIjEEEE10hipError_tPvRmT2_T3_mT4_P12ihipStream_tbEUlT_E_NS1_11comp_targetILNS1_3genE0ELNS1_11target_archE4294967295ELNS1_3gpuE0ELNS1_3repE0EEENS1_30default_config_static_selectorELNS0_4arch9wavefront6targetE1EEEvT1_.has_recursion, 0
	.set _ZN7rocprim17ROCPRIM_400000_NS6detail17trampoline_kernelINS0_14default_configENS1_35adjacent_difference_config_selectorILb1EjEEZNS1_24adjacent_difference_implIS3_Lb1ELb0EPKjPjN6thrust23THRUST_200600_302600_NS4plusIjEEEE10hipError_tPvRmT2_T3_mT4_P12ihipStream_tbEUlT_E_NS1_11comp_targetILNS1_3genE0ELNS1_11target_archE4294967295ELNS1_3gpuE0ELNS1_3repE0EEENS1_30default_config_static_selectorELNS0_4arch9wavefront6targetE1EEEvT1_.has_indirect_call, 0
	.section	.AMDGPU.csdata,"",@progbits
; Kernel info:
; codeLenInByte = 0
; TotalNumSgprs: 4
; NumVgprs: 0
; ScratchSize: 0
; MemoryBound: 0
; FloatMode: 240
; IeeeMode: 1
; LDSByteSize: 0 bytes/workgroup (compile time only)
; SGPRBlocks: 0
; VGPRBlocks: 0
; NumSGPRsForWavesPerEU: 4
; NumVGPRsForWavesPerEU: 1
; Occupancy: 10
; WaveLimiterHint : 0
; COMPUTE_PGM_RSRC2:SCRATCH_EN: 0
; COMPUTE_PGM_RSRC2:USER_SGPR: 6
; COMPUTE_PGM_RSRC2:TRAP_HANDLER: 0
; COMPUTE_PGM_RSRC2:TGID_X_EN: 1
; COMPUTE_PGM_RSRC2:TGID_Y_EN: 0
; COMPUTE_PGM_RSRC2:TGID_Z_EN: 0
; COMPUTE_PGM_RSRC2:TIDIG_COMP_CNT: 0
	.section	.text._ZN7rocprim17ROCPRIM_400000_NS6detail17trampoline_kernelINS0_14default_configENS1_35adjacent_difference_config_selectorILb1EjEEZNS1_24adjacent_difference_implIS3_Lb1ELb0EPKjPjN6thrust23THRUST_200600_302600_NS4plusIjEEEE10hipError_tPvRmT2_T3_mT4_P12ihipStream_tbEUlT_E_NS1_11comp_targetILNS1_3genE10ELNS1_11target_archE1201ELNS1_3gpuE5ELNS1_3repE0EEENS1_30default_config_static_selectorELNS0_4arch9wavefront6targetE1EEEvT1_,"axG",@progbits,_ZN7rocprim17ROCPRIM_400000_NS6detail17trampoline_kernelINS0_14default_configENS1_35adjacent_difference_config_selectorILb1EjEEZNS1_24adjacent_difference_implIS3_Lb1ELb0EPKjPjN6thrust23THRUST_200600_302600_NS4plusIjEEEE10hipError_tPvRmT2_T3_mT4_P12ihipStream_tbEUlT_E_NS1_11comp_targetILNS1_3genE10ELNS1_11target_archE1201ELNS1_3gpuE5ELNS1_3repE0EEENS1_30default_config_static_selectorELNS0_4arch9wavefront6targetE1EEEvT1_,comdat
	.protected	_ZN7rocprim17ROCPRIM_400000_NS6detail17trampoline_kernelINS0_14default_configENS1_35adjacent_difference_config_selectorILb1EjEEZNS1_24adjacent_difference_implIS3_Lb1ELb0EPKjPjN6thrust23THRUST_200600_302600_NS4plusIjEEEE10hipError_tPvRmT2_T3_mT4_P12ihipStream_tbEUlT_E_NS1_11comp_targetILNS1_3genE10ELNS1_11target_archE1201ELNS1_3gpuE5ELNS1_3repE0EEENS1_30default_config_static_selectorELNS0_4arch9wavefront6targetE1EEEvT1_ ; -- Begin function _ZN7rocprim17ROCPRIM_400000_NS6detail17trampoline_kernelINS0_14default_configENS1_35adjacent_difference_config_selectorILb1EjEEZNS1_24adjacent_difference_implIS3_Lb1ELb0EPKjPjN6thrust23THRUST_200600_302600_NS4plusIjEEEE10hipError_tPvRmT2_T3_mT4_P12ihipStream_tbEUlT_E_NS1_11comp_targetILNS1_3genE10ELNS1_11target_archE1201ELNS1_3gpuE5ELNS1_3repE0EEENS1_30default_config_static_selectorELNS0_4arch9wavefront6targetE1EEEvT1_
	.globl	_ZN7rocprim17ROCPRIM_400000_NS6detail17trampoline_kernelINS0_14default_configENS1_35adjacent_difference_config_selectorILb1EjEEZNS1_24adjacent_difference_implIS3_Lb1ELb0EPKjPjN6thrust23THRUST_200600_302600_NS4plusIjEEEE10hipError_tPvRmT2_T3_mT4_P12ihipStream_tbEUlT_E_NS1_11comp_targetILNS1_3genE10ELNS1_11target_archE1201ELNS1_3gpuE5ELNS1_3repE0EEENS1_30default_config_static_selectorELNS0_4arch9wavefront6targetE1EEEvT1_
	.p2align	8
	.type	_ZN7rocprim17ROCPRIM_400000_NS6detail17trampoline_kernelINS0_14default_configENS1_35adjacent_difference_config_selectorILb1EjEEZNS1_24adjacent_difference_implIS3_Lb1ELb0EPKjPjN6thrust23THRUST_200600_302600_NS4plusIjEEEE10hipError_tPvRmT2_T3_mT4_P12ihipStream_tbEUlT_E_NS1_11comp_targetILNS1_3genE10ELNS1_11target_archE1201ELNS1_3gpuE5ELNS1_3repE0EEENS1_30default_config_static_selectorELNS0_4arch9wavefront6targetE1EEEvT1_,@function
_ZN7rocprim17ROCPRIM_400000_NS6detail17trampoline_kernelINS0_14default_configENS1_35adjacent_difference_config_selectorILb1EjEEZNS1_24adjacent_difference_implIS3_Lb1ELb0EPKjPjN6thrust23THRUST_200600_302600_NS4plusIjEEEE10hipError_tPvRmT2_T3_mT4_P12ihipStream_tbEUlT_E_NS1_11comp_targetILNS1_3genE10ELNS1_11target_archE1201ELNS1_3gpuE5ELNS1_3repE0EEENS1_30default_config_static_selectorELNS0_4arch9wavefront6targetE1EEEvT1_: ; @_ZN7rocprim17ROCPRIM_400000_NS6detail17trampoline_kernelINS0_14default_configENS1_35adjacent_difference_config_selectorILb1EjEEZNS1_24adjacent_difference_implIS3_Lb1ELb0EPKjPjN6thrust23THRUST_200600_302600_NS4plusIjEEEE10hipError_tPvRmT2_T3_mT4_P12ihipStream_tbEUlT_E_NS1_11comp_targetILNS1_3genE10ELNS1_11target_archE1201ELNS1_3gpuE5ELNS1_3repE0EEENS1_30default_config_static_selectorELNS0_4arch9wavefront6targetE1EEEvT1_
; %bb.0:
	.section	.rodata,"a",@progbits
	.p2align	6, 0x0
	.amdhsa_kernel _ZN7rocprim17ROCPRIM_400000_NS6detail17trampoline_kernelINS0_14default_configENS1_35adjacent_difference_config_selectorILb1EjEEZNS1_24adjacent_difference_implIS3_Lb1ELb0EPKjPjN6thrust23THRUST_200600_302600_NS4plusIjEEEE10hipError_tPvRmT2_T3_mT4_P12ihipStream_tbEUlT_E_NS1_11comp_targetILNS1_3genE10ELNS1_11target_archE1201ELNS1_3gpuE5ELNS1_3repE0EEENS1_30default_config_static_selectorELNS0_4arch9wavefront6targetE1EEEvT1_
		.amdhsa_group_segment_fixed_size 0
		.amdhsa_private_segment_fixed_size 0
		.amdhsa_kernarg_size 56
		.amdhsa_user_sgpr_count 6
		.amdhsa_user_sgpr_private_segment_buffer 1
		.amdhsa_user_sgpr_dispatch_ptr 0
		.amdhsa_user_sgpr_queue_ptr 0
		.amdhsa_user_sgpr_kernarg_segment_ptr 1
		.amdhsa_user_sgpr_dispatch_id 0
		.amdhsa_user_sgpr_flat_scratch_init 0
		.amdhsa_user_sgpr_private_segment_size 0
		.amdhsa_uses_dynamic_stack 0
		.amdhsa_system_sgpr_private_segment_wavefront_offset 0
		.amdhsa_system_sgpr_workgroup_id_x 1
		.amdhsa_system_sgpr_workgroup_id_y 0
		.amdhsa_system_sgpr_workgroup_id_z 0
		.amdhsa_system_sgpr_workgroup_info 0
		.amdhsa_system_vgpr_workitem_id 0
		.amdhsa_next_free_vgpr 1
		.amdhsa_next_free_sgpr 0
		.amdhsa_reserve_vcc 0
		.amdhsa_reserve_flat_scratch 0
		.amdhsa_float_round_mode_32 0
		.amdhsa_float_round_mode_16_64 0
		.amdhsa_float_denorm_mode_32 3
		.amdhsa_float_denorm_mode_16_64 3
		.amdhsa_dx10_clamp 1
		.amdhsa_ieee_mode 1
		.amdhsa_fp16_overflow 0
		.amdhsa_exception_fp_ieee_invalid_op 0
		.amdhsa_exception_fp_denorm_src 0
		.amdhsa_exception_fp_ieee_div_zero 0
		.amdhsa_exception_fp_ieee_overflow 0
		.amdhsa_exception_fp_ieee_underflow 0
		.amdhsa_exception_fp_ieee_inexact 0
		.amdhsa_exception_int_div_zero 0
	.end_amdhsa_kernel
	.section	.text._ZN7rocprim17ROCPRIM_400000_NS6detail17trampoline_kernelINS0_14default_configENS1_35adjacent_difference_config_selectorILb1EjEEZNS1_24adjacent_difference_implIS3_Lb1ELb0EPKjPjN6thrust23THRUST_200600_302600_NS4plusIjEEEE10hipError_tPvRmT2_T3_mT4_P12ihipStream_tbEUlT_E_NS1_11comp_targetILNS1_3genE10ELNS1_11target_archE1201ELNS1_3gpuE5ELNS1_3repE0EEENS1_30default_config_static_selectorELNS0_4arch9wavefront6targetE1EEEvT1_,"axG",@progbits,_ZN7rocprim17ROCPRIM_400000_NS6detail17trampoline_kernelINS0_14default_configENS1_35adjacent_difference_config_selectorILb1EjEEZNS1_24adjacent_difference_implIS3_Lb1ELb0EPKjPjN6thrust23THRUST_200600_302600_NS4plusIjEEEE10hipError_tPvRmT2_T3_mT4_P12ihipStream_tbEUlT_E_NS1_11comp_targetILNS1_3genE10ELNS1_11target_archE1201ELNS1_3gpuE5ELNS1_3repE0EEENS1_30default_config_static_selectorELNS0_4arch9wavefront6targetE1EEEvT1_,comdat
.Lfunc_end666:
	.size	_ZN7rocprim17ROCPRIM_400000_NS6detail17trampoline_kernelINS0_14default_configENS1_35adjacent_difference_config_selectorILb1EjEEZNS1_24adjacent_difference_implIS3_Lb1ELb0EPKjPjN6thrust23THRUST_200600_302600_NS4plusIjEEEE10hipError_tPvRmT2_T3_mT4_P12ihipStream_tbEUlT_E_NS1_11comp_targetILNS1_3genE10ELNS1_11target_archE1201ELNS1_3gpuE5ELNS1_3repE0EEENS1_30default_config_static_selectorELNS0_4arch9wavefront6targetE1EEEvT1_, .Lfunc_end666-_ZN7rocprim17ROCPRIM_400000_NS6detail17trampoline_kernelINS0_14default_configENS1_35adjacent_difference_config_selectorILb1EjEEZNS1_24adjacent_difference_implIS3_Lb1ELb0EPKjPjN6thrust23THRUST_200600_302600_NS4plusIjEEEE10hipError_tPvRmT2_T3_mT4_P12ihipStream_tbEUlT_E_NS1_11comp_targetILNS1_3genE10ELNS1_11target_archE1201ELNS1_3gpuE5ELNS1_3repE0EEENS1_30default_config_static_selectorELNS0_4arch9wavefront6targetE1EEEvT1_
                                        ; -- End function
	.set _ZN7rocprim17ROCPRIM_400000_NS6detail17trampoline_kernelINS0_14default_configENS1_35adjacent_difference_config_selectorILb1EjEEZNS1_24adjacent_difference_implIS3_Lb1ELb0EPKjPjN6thrust23THRUST_200600_302600_NS4plusIjEEEE10hipError_tPvRmT2_T3_mT4_P12ihipStream_tbEUlT_E_NS1_11comp_targetILNS1_3genE10ELNS1_11target_archE1201ELNS1_3gpuE5ELNS1_3repE0EEENS1_30default_config_static_selectorELNS0_4arch9wavefront6targetE1EEEvT1_.num_vgpr, 0
	.set _ZN7rocprim17ROCPRIM_400000_NS6detail17trampoline_kernelINS0_14default_configENS1_35adjacent_difference_config_selectorILb1EjEEZNS1_24adjacent_difference_implIS3_Lb1ELb0EPKjPjN6thrust23THRUST_200600_302600_NS4plusIjEEEE10hipError_tPvRmT2_T3_mT4_P12ihipStream_tbEUlT_E_NS1_11comp_targetILNS1_3genE10ELNS1_11target_archE1201ELNS1_3gpuE5ELNS1_3repE0EEENS1_30default_config_static_selectorELNS0_4arch9wavefront6targetE1EEEvT1_.num_agpr, 0
	.set _ZN7rocprim17ROCPRIM_400000_NS6detail17trampoline_kernelINS0_14default_configENS1_35adjacent_difference_config_selectorILb1EjEEZNS1_24adjacent_difference_implIS3_Lb1ELb0EPKjPjN6thrust23THRUST_200600_302600_NS4plusIjEEEE10hipError_tPvRmT2_T3_mT4_P12ihipStream_tbEUlT_E_NS1_11comp_targetILNS1_3genE10ELNS1_11target_archE1201ELNS1_3gpuE5ELNS1_3repE0EEENS1_30default_config_static_selectorELNS0_4arch9wavefront6targetE1EEEvT1_.numbered_sgpr, 0
	.set _ZN7rocprim17ROCPRIM_400000_NS6detail17trampoline_kernelINS0_14default_configENS1_35adjacent_difference_config_selectorILb1EjEEZNS1_24adjacent_difference_implIS3_Lb1ELb0EPKjPjN6thrust23THRUST_200600_302600_NS4plusIjEEEE10hipError_tPvRmT2_T3_mT4_P12ihipStream_tbEUlT_E_NS1_11comp_targetILNS1_3genE10ELNS1_11target_archE1201ELNS1_3gpuE5ELNS1_3repE0EEENS1_30default_config_static_selectorELNS0_4arch9wavefront6targetE1EEEvT1_.num_named_barrier, 0
	.set _ZN7rocprim17ROCPRIM_400000_NS6detail17trampoline_kernelINS0_14default_configENS1_35adjacent_difference_config_selectorILb1EjEEZNS1_24adjacent_difference_implIS3_Lb1ELb0EPKjPjN6thrust23THRUST_200600_302600_NS4plusIjEEEE10hipError_tPvRmT2_T3_mT4_P12ihipStream_tbEUlT_E_NS1_11comp_targetILNS1_3genE10ELNS1_11target_archE1201ELNS1_3gpuE5ELNS1_3repE0EEENS1_30default_config_static_selectorELNS0_4arch9wavefront6targetE1EEEvT1_.private_seg_size, 0
	.set _ZN7rocprim17ROCPRIM_400000_NS6detail17trampoline_kernelINS0_14default_configENS1_35adjacent_difference_config_selectorILb1EjEEZNS1_24adjacent_difference_implIS3_Lb1ELb0EPKjPjN6thrust23THRUST_200600_302600_NS4plusIjEEEE10hipError_tPvRmT2_T3_mT4_P12ihipStream_tbEUlT_E_NS1_11comp_targetILNS1_3genE10ELNS1_11target_archE1201ELNS1_3gpuE5ELNS1_3repE0EEENS1_30default_config_static_selectorELNS0_4arch9wavefront6targetE1EEEvT1_.uses_vcc, 0
	.set _ZN7rocprim17ROCPRIM_400000_NS6detail17trampoline_kernelINS0_14default_configENS1_35adjacent_difference_config_selectorILb1EjEEZNS1_24adjacent_difference_implIS3_Lb1ELb0EPKjPjN6thrust23THRUST_200600_302600_NS4plusIjEEEE10hipError_tPvRmT2_T3_mT4_P12ihipStream_tbEUlT_E_NS1_11comp_targetILNS1_3genE10ELNS1_11target_archE1201ELNS1_3gpuE5ELNS1_3repE0EEENS1_30default_config_static_selectorELNS0_4arch9wavefront6targetE1EEEvT1_.uses_flat_scratch, 0
	.set _ZN7rocprim17ROCPRIM_400000_NS6detail17trampoline_kernelINS0_14default_configENS1_35adjacent_difference_config_selectorILb1EjEEZNS1_24adjacent_difference_implIS3_Lb1ELb0EPKjPjN6thrust23THRUST_200600_302600_NS4plusIjEEEE10hipError_tPvRmT2_T3_mT4_P12ihipStream_tbEUlT_E_NS1_11comp_targetILNS1_3genE10ELNS1_11target_archE1201ELNS1_3gpuE5ELNS1_3repE0EEENS1_30default_config_static_selectorELNS0_4arch9wavefront6targetE1EEEvT1_.has_dyn_sized_stack, 0
	.set _ZN7rocprim17ROCPRIM_400000_NS6detail17trampoline_kernelINS0_14default_configENS1_35adjacent_difference_config_selectorILb1EjEEZNS1_24adjacent_difference_implIS3_Lb1ELb0EPKjPjN6thrust23THRUST_200600_302600_NS4plusIjEEEE10hipError_tPvRmT2_T3_mT4_P12ihipStream_tbEUlT_E_NS1_11comp_targetILNS1_3genE10ELNS1_11target_archE1201ELNS1_3gpuE5ELNS1_3repE0EEENS1_30default_config_static_selectorELNS0_4arch9wavefront6targetE1EEEvT1_.has_recursion, 0
	.set _ZN7rocprim17ROCPRIM_400000_NS6detail17trampoline_kernelINS0_14default_configENS1_35adjacent_difference_config_selectorILb1EjEEZNS1_24adjacent_difference_implIS3_Lb1ELb0EPKjPjN6thrust23THRUST_200600_302600_NS4plusIjEEEE10hipError_tPvRmT2_T3_mT4_P12ihipStream_tbEUlT_E_NS1_11comp_targetILNS1_3genE10ELNS1_11target_archE1201ELNS1_3gpuE5ELNS1_3repE0EEENS1_30default_config_static_selectorELNS0_4arch9wavefront6targetE1EEEvT1_.has_indirect_call, 0
	.section	.AMDGPU.csdata,"",@progbits
; Kernel info:
; codeLenInByte = 0
; TotalNumSgprs: 4
; NumVgprs: 0
; ScratchSize: 0
; MemoryBound: 0
; FloatMode: 240
; IeeeMode: 1
; LDSByteSize: 0 bytes/workgroup (compile time only)
; SGPRBlocks: 0
; VGPRBlocks: 0
; NumSGPRsForWavesPerEU: 4
; NumVGPRsForWavesPerEU: 1
; Occupancy: 10
; WaveLimiterHint : 0
; COMPUTE_PGM_RSRC2:SCRATCH_EN: 0
; COMPUTE_PGM_RSRC2:USER_SGPR: 6
; COMPUTE_PGM_RSRC2:TRAP_HANDLER: 0
; COMPUTE_PGM_RSRC2:TGID_X_EN: 1
; COMPUTE_PGM_RSRC2:TGID_Y_EN: 0
; COMPUTE_PGM_RSRC2:TGID_Z_EN: 0
; COMPUTE_PGM_RSRC2:TIDIG_COMP_CNT: 0
	.section	.text._ZN7rocprim17ROCPRIM_400000_NS6detail17trampoline_kernelINS0_14default_configENS1_35adjacent_difference_config_selectorILb1EjEEZNS1_24adjacent_difference_implIS3_Lb1ELb0EPKjPjN6thrust23THRUST_200600_302600_NS4plusIjEEEE10hipError_tPvRmT2_T3_mT4_P12ihipStream_tbEUlT_E_NS1_11comp_targetILNS1_3genE5ELNS1_11target_archE942ELNS1_3gpuE9ELNS1_3repE0EEENS1_30default_config_static_selectorELNS0_4arch9wavefront6targetE1EEEvT1_,"axG",@progbits,_ZN7rocprim17ROCPRIM_400000_NS6detail17trampoline_kernelINS0_14default_configENS1_35adjacent_difference_config_selectorILb1EjEEZNS1_24adjacent_difference_implIS3_Lb1ELb0EPKjPjN6thrust23THRUST_200600_302600_NS4plusIjEEEE10hipError_tPvRmT2_T3_mT4_P12ihipStream_tbEUlT_E_NS1_11comp_targetILNS1_3genE5ELNS1_11target_archE942ELNS1_3gpuE9ELNS1_3repE0EEENS1_30default_config_static_selectorELNS0_4arch9wavefront6targetE1EEEvT1_,comdat
	.protected	_ZN7rocprim17ROCPRIM_400000_NS6detail17trampoline_kernelINS0_14default_configENS1_35adjacent_difference_config_selectorILb1EjEEZNS1_24adjacent_difference_implIS3_Lb1ELb0EPKjPjN6thrust23THRUST_200600_302600_NS4plusIjEEEE10hipError_tPvRmT2_T3_mT4_P12ihipStream_tbEUlT_E_NS1_11comp_targetILNS1_3genE5ELNS1_11target_archE942ELNS1_3gpuE9ELNS1_3repE0EEENS1_30default_config_static_selectorELNS0_4arch9wavefront6targetE1EEEvT1_ ; -- Begin function _ZN7rocprim17ROCPRIM_400000_NS6detail17trampoline_kernelINS0_14default_configENS1_35adjacent_difference_config_selectorILb1EjEEZNS1_24adjacent_difference_implIS3_Lb1ELb0EPKjPjN6thrust23THRUST_200600_302600_NS4plusIjEEEE10hipError_tPvRmT2_T3_mT4_P12ihipStream_tbEUlT_E_NS1_11comp_targetILNS1_3genE5ELNS1_11target_archE942ELNS1_3gpuE9ELNS1_3repE0EEENS1_30default_config_static_selectorELNS0_4arch9wavefront6targetE1EEEvT1_
	.globl	_ZN7rocprim17ROCPRIM_400000_NS6detail17trampoline_kernelINS0_14default_configENS1_35adjacent_difference_config_selectorILb1EjEEZNS1_24adjacent_difference_implIS3_Lb1ELb0EPKjPjN6thrust23THRUST_200600_302600_NS4plusIjEEEE10hipError_tPvRmT2_T3_mT4_P12ihipStream_tbEUlT_E_NS1_11comp_targetILNS1_3genE5ELNS1_11target_archE942ELNS1_3gpuE9ELNS1_3repE0EEENS1_30default_config_static_selectorELNS0_4arch9wavefront6targetE1EEEvT1_
	.p2align	8
	.type	_ZN7rocprim17ROCPRIM_400000_NS6detail17trampoline_kernelINS0_14default_configENS1_35adjacent_difference_config_selectorILb1EjEEZNS1_24adjacent_difference_implIS3_Lb1ELb0EPKjPjN6thrust23THRUST_200600_302600_NS4plusIjEEEE10hipError_tPvRmT2_T3_mT4_P12ihipStream_tbEUlT_E_NS1_11comp_targetILNS1_3genE5ELNS1_11target_archE942ELNS1_3gpuE9ELNS1_3repE0EEENS1_30default_config_static_selectorELNS0_4arch9wavefront6targetE1EEEvT1_,@function
_ZN7rocprim17ROCPRIM_400000_NS6detail17trampoline_kernelINS0_14default_configENS1_35adjacent_difference_config_selectorILb1EjEEZNS1_24adjacent_difference_implIS3_Lb1ELb0EPKjPjN6thrust23THRUST_200600_302600_NS4plusIjEEEE10hipError_tPvRmT2_T3_mT4_P12ihipStream_tbEUlT_E_NS1_11comp_targetILNS1_3genE5ELNS1_11target_archE942ELNS1_3gpuE9ELNS1_3repE0EEENS1_30default_config_static_selectorELNS0_4arch9wavefront6targetE1EEEvT1_: ; @_ZN7rocprim17ROCPRIM_400000_NS6detail17trampoline_kernelINS0_14default_configENS1_35adjacent_difference_config_selectorILb1EjEEZNS1_24adjacent_difference_implIS3_Lb1ELb0EPKjPjN6thrust23THRUST_200600_302600_NS4plusIjEEEE10hipError_tPvRmT2_T3_mT4_P12ihipStream_tbEUlT_E_NS1_11comp_targetILNS1_3genE5ELNS1_11target_archE942ELNS1_3gpuE9ELNS1_3repE0EEENS1_30default_config_static_selectorELNS0_4arch9wavefront6targetE1EEEvT1_
; %bb.0:
	.section	.rodata,"a",@progbits
	.p2align	6, 0x0
	.amdhsa_kernel _ZN7rocprim17ROCPRIM_400000_NS6detail17trampoline_kernelINS0_14default_configENS1_35adjacent_difference_config_selectorILb1EjEEZNS1_24adjacent_difference_implIS3_Lb1ELb0EPKjPjN6thrust23THRUST_200600_302600_NS4plusIjEEEE10hipError_tPvRmT2_T3_mT4_P12ihipStream_tbEUlT_E_NS1_11comp_targetILNS1_3genE5ELNS1_11target_archE942ELNS1_3gpuE9ELNS1_3repE0EEENS1_30default_config_static_selectorELNS0_4arch9wavefront6targetE1EEEvT1_
		.amdhsa_group_segment_fixed_size 0
		.amdhsa_private_segment_fixed_size 0
		.amdhsa_kernarg_size 56
		.amdhsa_user_sgpr_count 6
		.amdhsa_user_sgpr_private_segment_buffer 1
		.amdhsa_user_sgpr_dispatch_ptr 0
		.amdhsa_user_sgpr_queue_ptr 0
		.amdhsa_user_sgpr_kernarg_segment_ptr 1
		.amdhsa_user_sgpr_dispatch_id 0
		.amdhsa_user_sgpr_flat_scratch_init 0
		.amdhsa_user_sgpr_private_segment_size 0
		.amdhsa_uses_dynamic_stack 0
		.amdhsa_system_sgpr_private_segment_wavefront_offset 0
		.amdhsa_system_sgpr_workgroup_id_x 1
		.amdhsa_system_sgpr_workgroup_id_y 0
		.amdhsa_system_sgpr_workgroup_id_z 0
		.amdhsa_system_sgpr_workgroup_info 0
		.amdhsa_system_vgpr_workitem_id 0
		.amdhsa_next_free_vgpr 1
		.amdhsa_next_free_sgpr 0
		.amdhsa_reserve_vcc 0
		.amdhsa_reserve_flat_scratch 0
		.amdhsa_float_round_mode_32 0
		.amdhsa_float_round_mode_16_64 0
		.amdhsa_float_denorm_mode_32 3
		.amdhsa_float_denorm_mode_16_64 3
		.amdhsa_dx10_clamp 1
		.amdhsa_ieee_mode 1
		.amdhsa_fp16_overflow 0
		.amdhsa_exception_fp_ieee_invalid_op 0
		.amdhsa_exception_fp_denorm_src 0
		.amdhsa_exception_fp_ieee_div_zero 0
		.amdhsa_exception_fp_ieee_overflow 0
		.amdhsa_exception_fp_ieee_underflow 0
		.amdhsa_exception_fp_ieee_inexact 0
		.amdhsa_exception_int_div_zero 0
	.end_amdhsa_kernel
	.section	.text._ZN7rocprim17ROCPRIM_400000_NS6detail17trampoline_kernelINS0_14default_configENS1_35adjacent_difference_config_selectorILb1EjEEZNS1_24adjacent_difference_implIS3_Lb1ELb0EPKjPjN6thrust23THRUST_200600_302600_NS4plusIjEEEE10hipError_tPvRmT2_T3_mT4_P12ihipStream_tbEUlT_E_NS1_11comp_targetILNS1_3genE5ELNS1_11target_archE942ELNS1_3gpuE9ELNS1_3repE0EEENS1_30default_config_static_selectorELNS0_4arch9wavefront6targetE1EEEvT1_,"axG",@progbits,_ZN7rocprim17ROCPRIM_400000_NS6detail17trampoline_kernelINS0_14default_configENS1_35adjacent_difference_config_selectorILb1EjEEZNS1_24adjacent_difference_implIS3_Lb1ELb0EPKjPjN6thrust23THRUST_200600_302600_NS4plusIjEEEE10hipError_tPvRmT2_T3_mT4_P12ihipStream_tbEUlT_E_NS1_11comp_targetILNS1_3genE5ELNS1_11target_archE942ELNS1_3gpuE9ELNS1_3repE0EEENS1_30default_config_static_selectorELNS0_4arch9wavefront6targetE1EEEvT1_,comdat
.Lfunc_end667:
	.size	_ZN7rocprim17ROCPRIM_400000_NS6detail17trampoline_kernelINS0_14default_configENS1_35adjacent_difference_config_selectorILb1EjEEZNS1_24adjacent_difference_implIS3_Lb1ELb0EPKjPjN6thrust23THRUST_200600_302600_NS4plusIjEEEE10hipError_tPvRmT2_T3_mT4_P12ihipStream_tbEUlT_E_NS1_11comp_targetILNS1_3genE5ELNS1_11target_archE942ELNS1_3gpuE9ELNS1_3repE0EEENS1_30default_config_static_selectorELNS0_4arch9wavefront6targetE1EEEvT1_, .Lfunc_end667-_ZN7rocprim17ROCPRIM_400000_NS6detail17trampoline_kernelINS0_14default_configENS1_35adjacent_difference_config_selectorILb1EjEEZNS1_24adjacent_difference_implIS3_Lb1ELb0EPKjPjN6thrust23THRUST_200600_302600_NS4plusIjEEEE10hipError_tPvRmT2_T3_mT4_P12ihipStream_tbEUlT_E_NS1_11comp_targetILNS1_3genE5ELNS1_11target_archE942ELNS1_3gpuE9ELNS1_3repE0EEENS1_30default_config_static_selectorELNS0_4arch9wavefront6targetE1EEEvT1_
                                        ; -- End function
	.set _ZN7rocprim17ROCPRIM_400000_NS6detail17trampoline_kernelINS0_14default_configENS1_35adjacent_difference_config_selectorILb1EjEEZNS1_24adjacent_difference_implIS3_Lb1ELb0EPKjPjN6thrust23THRUST_200600_302600_NS4plusIjEEEE10hipError_tPvRmT2_T3_mT4_P12ihipStream_tbEUlT_E_NS1_11comp_targetILNS1_3genE5ELNS1_11target_archE942ELNS1_3gpuE9ELNS1_3repE0EEENS1_30default_config_static_selectorELNS0_4arch9wavefront6targetE1EEEvT1_.num_vgpr, 0
	.set _ZN7rocprim17ROCPRIM_400000_NS6detail17trampoline_kernelINS0_14default_configENS1_35adjacent_difference_config_selectorILb1EjEEZNS1_24adjacent_difference_implIS3_Lb1ELb0EPKjPjN6thrust23THRUST_200600_302600_NS4plusIjEEEE10hipError_tPvRmT2_T3_mT4_P12ihipStream_tbEUlT_E_NS1_11comp_targetILNS1_3genE5ELNS1_11target_archE942ELNS1_3gpuE9ELNS1_3repE0EEENS1_30default_config_static_selectorELNS0_4arch9wavefront6targetE1EEEvT1_.num_agpr, 0
	.set _ZN7rocprim17ROCPRIM_400000_NS6detail17trampoline_kernelINS0_14default_configENS1_35adjacent_difference_config_selectorILb1EjEEZNS1_24adjacent_difference_implIS3_Lb1ELb0EPKjPjN6thrust23THRUST_200600_302600_NS4plusIjEEEE10hipError_tPvRmT2_T3_mT4_P12ihipStream_tbEUlT_E_NS1_11comp_targetILNS1_3genE5ELNS1_11target_archE942ELNS1_3gpuE9ELNS1_3repE0EEENS1_30default_config_static_selectorELNS0_4arch9wavefront6targetE1EEEvT1_.numbered_sgpr, 0
	.set _ZN7rocprim17ROCPRIM_400000_NS6detail17trampoline_kernelINS0_14default_configENS1_35adjacent_difference_config_selectorILb1EjEEZNS1_24adjacent_difference_implIS3_Lb1ELb0EPKjPjN6thrust23THRUST_200600_302600_NS4plusIjEEEE10hipError_tPvRmT2_T3_mT4_P12ihipStream_tbEUlT_E_NS1_11comp_targetILNS1_3genE5ELNS1_11target_archE942ELNS1_3gpuE9ELNS1_3repE0EEENS1_30default_config_static_selectorELNS0_4arch9wavefront6targetE1EEEvT1_.num_named_barrier, 0
	.set _ZN7rocprim17ROCPRIM_400000_NS6detail17trampoline_kernelINS0_14default_configENS1_35adjacent_difference_config_selectorILb1EjEEZNS1_24adjacent_difference_implIS3_Lb1ELb0EPKjPjN6thrust23THRUST_200600_302600_NS4plusIjEEEE10hipError_tPvRmT2_T3_mT4_P12ihipStream_tbEUlT_E_NS1_11comp_targetILNS1_3genE5ELNS1_11target_archE942ELNS1_3gpuE9ELNS1_3repE0EEENS1_30default_config_static_selectorELNS0_4arch9wavefront6targetE1EEEvT1_.private_seg_size, 0
	.set _ZN7rocprim17ROCPRIM_400000_NS6detail17trampoline_kernelINS0_14default_configENS1_35adjacent_difference_config_selectorILb1EjEEZNS1_24adjacent_difference_implIS3_Lb1ELb0EPKjPjN6thrust23THRUST_200600_302600_NS4plusIjEEEE10hipError_tPvRmT2_T3_mT4_P12ihipStream_tbEUlT_E_NS1_11comp_targetILNS1_3genE5ELNS1_11target_archE942ELNS1_3gpuE9ELNS1_3repE0EEENS1_30default_config_static_selectorELNS0_4arch9wavefront6targetE1EEEvT1_.uses_vcc, 0
	.set _ZN7rocprim17ROCPRIM_400000_NS6detail17trampoline_kernelINS0_14default_configENS1_35adjacent_difference_config_selectorILb1EjEEZNS1_24adjacent_difference_implIS3_Lb1ELb0EPKjPjN6thrust23THRUST_200600_302600_NS4plusIjEEEE10hipError_tPvRmT2_T3_mT4_P12ihipStream_tbEUlT_E_NS1_11comp_targetILNS1_3genE5ELNS1_11target_archE942ELNS1_3gpuE9ELNS1_3repE0EEENS1_30default_config_static_selectorELNS0_4arch9wavefront6targetE1EEEvT1_.uses_flat_scratch, 0
	.set _ZN7rocprim17ROCPRIM_400000_NS6detail17trampoline_kernelINS0_14default_configENS1_35adjacent_difference_config_selectorILb1EjEEZNS1_24adjacent_difference_implIS3_Lb1ELb0EPKjPjN6thrust23THRUST_200600_302600_NS4plusIjEEEE10hipError_tPvRmT2_T3_mT4_P12ihipStream_tbEUlT_E_NS1_11comp_targetILNS1_3genE5ELNS1_11target_archE942ELNS1_3gpuE9ELNS1_3repE0EEENS1_30default_config_static_selectorELNS0_4arch9wavefront6targetE1EEEvT1_.has_dyn_sized_stack, 0
	.set _ZN7rocprim17ROCPRIM_400000_NS6detail17trampoline_kernelINS0_14default_configENS1_35adjacent_difference_config_selectorILb1EjEEZNS1_24adjacent_difference_implIS3_Lb1ELb0EPKjPjN6thrust23THRUST_200600_302600_NS4plusIjEEEE10hipError_tPvRmT2_T3_mT4_P12ihipStream_tbEUlT_E_NS1_11comp_targetILNS1_3genE5ELNS1_11target_archE942ELNS1_3gpuE9ELNS1_3repE0EEENS1_30default_config_static_selectorELNS0_4arch9wavefront6targetE1EEEvT1_.has_recursion, 0
	.set _ZN7rocprim17ROCPRIM_400000_NS6detail17trampoline_kernelINS0_14default_configENS1_35adjacent_difference_config_selectorILb1EjEEZNS1_24adjacent_difference_implIS3_Lb1ELb0EPKjPjN6thrust23THRUST_200600_302600_NS4plusIjEEEE10hipError_tPvRmT2_T3_mT4_P12ihipStream_tbEUlT_E_NS1_11comp_targetILNS1_3genE5ELNS1_11target_archE942ELNS1_3gpuE9ELNS1_3repE0EEENS1_30default_config_static_selectorELNS0_4arch9wavefront6targetE1EEEvT1_.has_indirect_call, 0
	.section	.AMDGPU.csdata,"",@progbits
; Kernel info:
; codeLenInByte = 0
; TotalNumSgprs: 4
; NumVgprs: 0
; ScratchSize: 0
; MemoryBound: 0
; FloatMode: 240
; IeeeMode: 1
; LDSByteSize: 0 bytes/workgroup (compile time only)
; SGPRBlocks: 0
; VGPRBlocks: 0
; NumSGPRsForWavesPerEU: 4
; NumVGPRsForWavesPerEU: 1
; Occupancy: 10
; WaveLimiterHint : 0
; COMPUTE_PGM_RSRC2:SCRATCH_EN: 0
; COMPUTE_PGM_RSRC2:USER_SGPR: 6
; COMPUTE_PGM_RSRC2:TRAP_HANDLER: 0
; COMPUTE_PGM_RSRC2:TGID_X_EN: 1
; COMPUTE_PGM_RSRC2:TGID_Y_EN: 0
; COMPUTE_PGM_RSRC2:TGID_Z_EN: 0
; COMPUTE_PGM_RSRC2:TIDIG_COMP_CNT: 0
	.section	.text._ZN7rocprim17ROCPRIM_400000_NS6detail17trampoline_kernelINS0_14default_configENS1_35adjacent_difference_config_selectorILb1EjEEZNS1_24adjacent_difference_implIS3_Lb1ELb0EPKjPjN6thrust23THRUST_200600_302600_NS4plusIjEEEE10hipError_tPvRmT2_T3_mT4_P12ihipStream_tbEUlT_E_NS1_11comp_targetILNS1_3genE4ELNS1_11target_archE910ELNS1_3gpuE8ELNS1_3repE0EEENS1_30default_config_static_selectorELNS0_4arch9wavefront6targetE1EEEvT1_,"axG",@progbits,_ZN7rocprim17ROCPRIM_400000_NS6detail17trampoline_kernelINS0_14default_configENS1_35adjacent_difference_config_selectorILb1EjEEZNS1_24adjacent_difference_implIS3_Lb1ELb0EPKjPjN6thrust23THRUST_200600_302600_NS4plusIjEEEE10hipError_tPvRmT2_T3_mT4_P12ihipStream_tbEUlT_E_NS1_11comp_targetILNS1_3genE4ELNS1_11target_archE910ELNS1_3gpuE8ELNS1_3repE0EEENS1_30default_config_static_selectorELNS0_4arch9wavefront6targetE1EEEvT1_,comdat
	.protected	_ZN7rocprim17ROCPRIM_400000_NS6detail17trampoline_kernelINS0_14default_configENS1_35adjacent_difference_config_selectorILb1EjEEZNS1_24adjacent_difference_implIS3_Lb1ELb0EPKjPjN6thrust23THRUST_200600_302600_NS4plusIjEEEE10hipError_tPvRmT2_T3_mT4_P12ihipStream_tbEUlT_E_NS1_11comp_targetILNS1_3genE4ELNS1_11target_archE910ELNS1_3gpuE8ELNS1_3repE0EEENS1_30default_config_static_selectorELNS0_4arch9wavefront6targetE1EEEvT1_ ; -- Begin function _ZN7rocprim17ROCPRIM_400000_NS6detail17trampoline_kernelINS0_14default_configENS1_35adjacent_difference_config_selectorILb1EjEEZNS1_24adjacent_difference_implIS3_Lb1ELb0EPKjPjN6thrust23THRUST_200600_302600_NS4plusIjEEEE10hipError_tPvRmT2_T3_mT4_P12ihipStream_tbEUlT_E_NS1_11comp_targetILNS1_3genE4ELNS1_11target_archE910ELNS1_3gpuE8ELNS1_3repE0EEENS1_30default_config_static_selectorELNS0_4arch9wavefront6targetE1EEEvT1_
	.globl	_ZN7rocprim17ROCPRIM_400000_NS6detail17trampoline_kernelINS0_14default_configENS1_35adjacent_difference_config_selectorILb1EjEEZNS1_24adjacent_difference_implIS3_Lb1ELb0EPKjPjN6thrust23THRUST_200600_302600_NS4plusIjEEEE10hipError_tPvRmT2_T3_mT4_P12ihipStream_tbEUlT_E_NS1_11comp_targetILNS1_3genE4ELNS1_11target_archE910ELNS1_3gpuE8ELNS1_3repE0EEENS1_30default_config_static_selectorELNS0_4arch9wavefront6targetE1EEEvT1_
	.p2align	8
	.type	_ZN7rocprim17ROCPRIM_400000_NS6detail17trampoline_kernelINS0_14default_configENS1_35adjacent_difference_config_selectorILb1EjEEZNS1_24adjacent_difference_implIS3_Lb1ELb0EPKjPjN6thrust23THRUST_200600_302600_NS4plusIjEEEE10hipError_tPvRmT2_T3_mT4_P12ihipStream_tbEUlT_E_NS1_11comp_targetILNS1_3genE4ELNS1_11target_archE910ELNS1_3gpuE8ELNS1_3repE0EEENS1_30default_config_static_selectorELNS0_4arch9wavefront6targetE1EEEvT1_,@function
_ZN7rocprim17ROCPRIM_400000_NS6detail17trampoline_kernelINS0_14default_configENS1_35adjacent_difference_config_selectorILb1EjEEZNS1_24adjacent_difference_implIS3_Lb1ELb0EPKjPjN6thrust23THRUST_200600_302600_NS4plusIjEEEE10hipError_tPvRmT2_T3_mT4_P12ihipStream_tbEUlT_E_NS1_11comp_targetILNS1_3genE4ELNS1_11target_archE910ELNS1_3gpuE8ELNS1_3repE0EEENS1_30default_config_static_selectorELNS0_4arch9wavefront6targetE1EEEvT1_: ; @_ZN7rocprim17ROCPRIM_400000_NS6detail17trampoline_kernelINS0_14default_configENS1_35adjacent_difference_config_selectorILb1EjEEZNS1_24adjacent_difference_implIS3_Lb1ELb0EPKjPjN6thrust23THRUST_200600_302600_NS4plusIjEEEE10hipError_tPvRmT2_T3_mT4_P12ihipStream_tbEUlT_E_NS1_11comp_targetILNS1_3genE4ELNS1_11target_archE910ELNS1_3gpuE8ELNS1_3repE0EEENS1_30default_config_static_selectorELNS0_4arch9wavefront6targetE1EEEvT1_
; %bb.0:
	.section	.rodata,"a",@progbits
	.p2align	6, 0x0
	.amdhsa_kernel _ZN7rocprim17ROCPRIM_400000_NS6detail17trampoline_kernelINS0_14default_configENS1_35adjacent_difference_config_selectorILb1EjEEZNS1_24adjacent_difference_implIS3_Lb1ELb0EPKjPjN6thrust23THRUST_200600_302600_NS4plusIjEEEE10hipError_tPvRmT2_T3_mT4_P12ihipStream_tbEUlT_E_NS1_11comp_targetILNS1_3genE4ELNS1_11target_archE910ELNS1_3gpuE8ELNS1_3repE0EEENS1_30default_config_static_selectorELNS0_4arch9wavefront6targetE1EEEvT1_
		.amdhsa_group_segment_fixed_size 0
		.amdhsa_private_segment_fixed_size 0
		.amdhsa_kernarg_size 56
		.amdhsa_user_sgpr_count 6
		.amdhsa_user_sgpr_private_segment_buffer 1
		.amdhsa_user_sgpr_dispatch_ptr 0
		.amdhsa_user_sgpr_queue_ptr 0
		.amdhsa_user_sgpr_kernarg_segment_ptr 1
		.amdhsa_user_sgpr_dispatch_id 0
		.amdhsa_user_sgpr_flat_scratch_init 0
		.amdhsa_user_sgpr_private_segment_size 0
		.amdhsa_uses_dynamic_stack 0
		.amdhsa_system_sgpr_private_segment_wavefront_offset 0
		.amdhsa_system_sgpr_workgroup_id_x 1
		.amdhsa_system_sgpr_workgroup_id_y 0
		.amdhsa_system_sgpr_workgroup_id_z 0
		.amdhsa_system_sgpr_workgroup_info 0
		.amdhsa_system_vgpr_workitem_id 0
		.amdhsa_next_free_vgpr 1
		.amdhsa_next_free_sgpr 0
		.amdhsa_reserve_vcc 0
		.amdhsa_reserve_flat_scratch 0
		.amdhsa_float_round_mode_32 0
		.amdhsa_float_round_mode_16_64 0
		.amdhsa_float_denorm_mode_32 3
		.amdhsa_float_denorm_mode_16_64 3
		.amdhsa_dx10_clamp 1
		.amdhsa_ieee_mode 1
		.amdhsa_fp16_overflow 0
		.amdhsa_exception_fp_ieee_invalid_op 0
		.amdhsa_exception_fp_denorm_src 0
		.amdhsa_exception_fp_ieee_div_zero 0
		.amdhsa_exception_fp_ieee_overflow 0
		.amdhsa_exception_fp_ieee_underflow 0
		.amdhsa_exception_fp_ieee_inexact 0
		.amdhsa_exception_int_div_zero 0
	.end_amdhsa_kernel
	.section	.text._ZN7rocprim17ROCPRIM_400000_NS6detail17trampoline_kernelINS0_14default_configENS1_35adjacent_difference_config_selectorILb1EjEEZNS1_24adjacent_difference_implIS3_Lb1ELb0EPKjPjN6thrust23THRUST_200600_302600_NS4plusIjEEEE10hipError_tPvRmT2_T3_mT4_P12ihipStream_tbEUlT_E_NS1_11comp_targetILNS1_3genE4ELNS1_11target_archE910ELNS1_3gpuE8ELNS1_3repE0EEENS1_30default_config_static_selectorELNS0_4arch9wavefront6targetE1EEEvT1_,"axG",@progbits,_ZN7rocprim17ROCPRIM_400000_NS6detail17trampoline_kernelINS0_14default_configENS1_35adjacent_difference_config_selectorILb1EjEEZNS1_24adjacent_difference_implIS3_Lb1ELb0EPKjPjN6thrust23THRUST_200600_302600_NS4plusIjEEEE10hipError_tPvRmT2_T3_mT4_P12ihipStream_tbEUlT_E_NS1_11comp_targetILNS1_3genE4ELNS1_11target_archE910ELNS1_3gpuE8ELNS1_3repE0EEENS1_30default_config_static_selectorELNS0_4arch9wavefront6targetE1EEEvT1_,comdat
.Lfunc_end668:
	.size	_ZN7rocprim17ROCPRIM_400000_NS6detail17trampoline_kernelINS0_14default_configENS1_35adjacent_difference_config_selectorILb1EjEEZNS1_24adjacent_difference_implIS3_Lb1ELb0EPKjPjN6thrust23THRUST_200600_302600_NS4plusIjEEEE10hipError_tPvRmT2_T3_mT4_P12ihipStream_tbEUlT_E_NS1_11comp_targetILNS1_3genE4ELNS1_11target_archE910ELNS1_3gpuE8ELNS1_3repE0EEENS1_30default_config_static_selectorELNS0_4arch9wavefront6targetE1EEEvT1_, .Lfunc_end668-_ZN7rocprim17ROCPRIM_400000_NS6detail17trampoline_kernelINS0_14default_configENS1_35adjacent_difference_config_selectorILb1EjEEZNS1_24adjacent_difference_implIS3_Lb1ELb0EPKjPjN6thrust23THRUST_200600_302600_NS4plusIjEEEE10hipError_tPvRmT2_T3_mT4_P12ihipStream_tbEUlT_E_NS1_11comp_targetILNS1_3genE4ELNS1_11target_archE910ELNS1_3gpuE8ELNS1_3repE0EEENS1_30default_config_static_selectorELNS0_4arch9wavefront6targetE1EEEvT1_
                                        ; -- End function
	.set _ZN7rocprim17ROCPRIM_400000_NS6detail17trampoline_kernelINS0_14default_configENS1_35adjacent_difference_config_selectorILb1EjEEZNS1_24adjacent_difference_implIS3_Lb1ELb0EPKjPjN6thrust23THRUST_200600_302600_NS4plusIjEEEE10hipError_tPvRmT2_T3_mT4_P12ihipStream_tbEUlT_E_NS1_11comp_targetILNS1_3genE4ELNS1_11target_archE910ELNS1_3gpuE8ELNS1_3repE0EEENS1_30default_config_static_selectorELNS0_4arch9wavefront6targetE1EEEvT1_.num_vgpr, 0
	.set _ZN7rocprim17ROCPRIM_400000_NS6detail17trampoline_kernelINS0_14default_configENS1_35adjacent_difference_config_selectorILb1EjEEZNS1_24adjacent_difference_implIS3_Lb1ELb0EPKjPjN6thrust23THRUST_200600_302600_NS4plusIjEEEE10hipError_tPvRmT2_T3_mT4_P12ihipStream_tbEUlT_E_NS1_11comp_targetILNS1_3genE4ELNS1_11target_archE910ELNS1_3gpuE8ELNS1_3repE0EEENS1_30default_config_static_selectorELNS0_4arch9wavefront6targetE1EEEvT1_.num_agpr, 0
	.set _ZN7rocprim17ROCPRIM_400000_NS6detail17trampoline_kernelINS0_14default_configENS1_35adjacent_difference_config_selectorILb1EjEEZNS1_24adjacent_difference_implIS3_Lb1ELb0EPKjPjN6thrust23THRUST_200600_302600_NS4plusIjEEEE10hipError_tPvRmT2_T3_mT4_P12ihipStream_tbEUlT_E_NS1_11comp_targetILNS1_3genE4ELNS1_11target_archE910ELNS1_3gpuE8ELNS1_3repE0EEENS1_30default_config_static_selectorELNS0_4arch9wavefront6targetE1EEEvT1_.numbered_sgpr, 0
	.set _ZN7rocprim17ROCPRIM_400000_NS6detail17trampoline_kernelINS0_14default_configENS1_35adjacent_difference_config_selectorILb1EjEEZNS1_24adjacent_difference_implIS3_Lb1ELb0EPKjPjN6thrust23THRUST_200600_302600_NS4plusIjEEEE10hipError_tPvRmT2_T3_mT4_P12ihipStream_tbEUlT_E_NS1_11comp_targetILNS1_3genE4ELNS1_11target_archE910ELNS1_3gpuE8ELNS1_3repE0EEENS1_30default_config_static_selectorELNS0_4arch9wavefront6targetE1EEEvT1_.num_named_barrier, 0
	.set _ZN7rocprim17ROCPRIM_400000_NS6detail17trampoline_kernelINS0_14default_configENS1_35adjacent_difference_config_selectorILb1EjEEZNS1_24adjacent_difference_implIS3_Lb1ELb0EPKjPjN6thrust23THRUST_200600_302600_NS4plusIjEEEE10hipError_tPvRmT2_T3_mT4_P12ihipStream_tbEUlT_E_NS1_11comp_targetILNS1_3genE4ELNS1_11target_archE910ELNS1_3gpuE8ELNS1_3repE0EEENS1_30default_config_static_selectorELNS0_4arch9wavefront6targetE1EEEvT1_.private_seg_size, 0
	.set _ZN7rocprim17ROCPRIM_400000_NS6detail17trampoline_kernelINS0_14default_configENS1_35adjacent_difference_config_selectorILb1EjEEZNS1_24adjacent_difference_implIS3_Lb1ELb0EPKjPjN6thrust23THRUST_200600_302600_NS4plusIjEEEE10hipError_tPvRmT2_T3_mT4_P12ihipStream_tbEUlT_E_NS1_11comp_targetILNS1_3genE4ELNS1_11target_archE910ELNS1_3gpuE8ELNS1_3repE0EEENS1_30default_config_static_selectorELNS0_4arch9wavefront6targetE1EEEvT1_.uses_vcc, 0
	.set _ZN7rocprim17ROCPRIM_400000_NS6detail17trampoline_kernelINS0_14default_configENS1_35adjacent_difference_config_selectorILb1EjEEZNS1_24adjacent_difference_implIS3_Lb1ELb0EPKjPjN6thrust23THRUST_200600_302600_NS4plusIjEEEE10hipError_tPvRmT2_T3_mT4_P12ihipStream_tbEUlT_E_NS1_11comp_targetILNS1_3genE4ELNS1_11target_archE910ELNS1_3gpuE8ELNS1_3repE0EEENS1_30default_config_static_selectorELNS0_4arch9wavefront6targetE1EEEvT1_.uses_flat_scratch, 0
	.set _ZN7rocprim17ROCPRIM_400000_NS6detail17trampoline_kernelINS0_14default_configENS1_35adjacent_difference_config_selectorILb1EjEEZNS1_24adjacent_difference_implIS3_Lb1ELb0EPKjPjN6thrust23THRUST_200600_302600_NS4plusIjEEEE10hipError_tPvRmT2_T3_mT4_P12ihipStream_tbEUlT_E_NS1_11comp_targetILNS1_3genE4ELNS1_11target_archE910ELNS1_3gpuE8ELNS1_3repE0EEENS1_30default_config_static_selectorELNS0_4arch9wavefront6targetE1EEEvT1_.has_dyn_sized_stack, 0
	.set _ZN7rocprim17ROCPRIM_400000_NS6detail17trampoline_kernelINS0_14default_configENS1_35adjacent_difference_config_selectorILb1EjEEZNS1_24adjacent_difference_implIS3_Lb1ELb0EPKjPjN6thrust23THRUST_200600_302600_NS4plusIjEEEE10hipError_tPvRmT2_T3_mT4_P12ihipStream_tbEUlT_E_NS1_11comp_targetILNS1_3genE4ELNS1_11target_archE910ELNS1_3gpuE8ELNS1_3repE0EEENS1_30default_config_static_selectorELNS0_4arch9wavefront6targetE1EEEvT1_.has_recursion, 0
	.set _ZN7rocprim17ROCPRIM_400000_NS6detail17trampoline_kernelINS0_14default_configENS1_35adjacent_difference_config_selectorILb1EjEEZNS1_24adjacent_difference_implIS3_Lb1ELb0EPKjPjN6thrust23THRUST_200600_302600_NS4plusIjEEEE10hipError_tPvRmT2_T3_mT4_P12ihipStream_tbEUlT_E_NS1_11comp_targetILNS1_3genE4ELNS1_11target_archE910ELNS1_3gpuE8ELNS1_3repE0EEENS1_30default_config_static_selectorELNS0_4arch9wavefront6targetE1EEEvT1_.has_indirect_call, 0
	.section	.AMDGPU.csdata,"",@progbits
; Kernel info:
; codeLenInByte = 0
; TotalNumSgprs: 4
; NumVgprs: 0
; ScratchSize: 0
; MemoryBound: 0
; FloatMode: 240
; IeeeMode: 1
; LDSByteSize: 0 bytes/workgroup (compile time only)
; SGPRBlocks: 0
; VGPRBlocks: 0
; NumSGPRsForWavesPerEU: 4
; NumVGPRsForWavesPerEU: 1
; Occupancy: 10
; WaveLimiterHint : 0
; COMPUTE_PGM_RSRC2:SCRATCH_EN: 0
; COMPUTE_PGM_RSRC2:USER_SGPR: 6
; COMPUTE_PGM_RSRC2:TRAP_HANDLER: 0
; COMPUTE_PGM_RSRC2:TGID_X_EN: 1
; COMPUTE_PGM_RSRC2:TGID_Y_EN: 0
; COMPUTE_PGM_RSRC2:TGID_Z_EN: 0
; COMPUTE_PGM_RSRC2:TIDIG_COMP_CNT: 0
	.section	.text._ZN7rocprim17ROCPRIM_400000_NS6detail17trampoline_kernelINS0_14default_configENS1_35adjacent_difference_config_selectorILb1EjEEZNS1_24adjacent_difference_implIS3_Lb1ELb0EPKjPjN6thrust23THRUST_200600_302600_NS4plusIjEEEE10hipError_tPvRmT2_T3_mT4_P12ihipStream_tbEUlT_E_NS1_11comp_targetILNS1_3genE3ELNS1_11target_archE908ELNS1_3gpuE7ELNS1_3repE0EEENS1_30default_config_static_selectorELNS0_4arch9wavefront6targetE1EEEvT1_,"axG",@progbits,_ZN7rocprim17ROCPRIM_400000_NS6detail17trampoline_kernelINS0_14default_configENS1_35adjacent_difference_config_selectorILb1EjEEZNS1_24adjacent_difference_implIS3_Lb1ELb0EPKjPjN6thrust23THRUST_200600_302600_NS4plusIjEEEE10hipError_tPvRmT2_T3_mT4_P12ihipStream_tbEUlT_E_NS1_11comp_targetILNS1_3genE3ELNS1_11target_archE908ELNS1_3gpuE7ELNS1_3repE0EEENS1_30default_config_static_selectorELNS0_4arch9wavefront6targetE1EEEvT1_,comdat
	.protected	_ZN7rocprim17ROCPRIM_400000_NS6detail17trampoline_kernelINS0_14default_configENS1_35adjacent_difference_config_selectorILb1EjEEZNS1_24adjacent_difference_implIS3_Lb1ELb0EPKjPjN6thrust23THRUST_200600_302600_NS4plusIjEEEE10hipError_tPvRmT2_T3_mT4_P12ihipStream_tbEUlT_E_NS1_11comp_targetILNS1_3genE3ELNS1_11target_archE908ELNS1_3gpuE7ELNS1_3repE0EEENS1_30default_config_static_selectorELNS0_4arch9wavefront6targetE1EEEvT1_ ; -- Begin function _ZN7rocprim17ROCPRIM_400000_NS6detail17trampoline_kernelINS0_14default_configENS1_35adjacent_difference_config_selectorILb1EjEEZNS1_24adjacent_difference_implIS3_Lb1ELb0EPKjPjN6thrust23THRUST_200600_302600_NS4plusIjEEEE10hipError_tPvRmT2_T3_mT4_P12ihipStream_tbEUlT_E_NS1_11comp_targetILNS1_3genE3ELNS1_11target_archE908ELNS1_3gpuE7ELNS1_3repE0EEENS1_30default_config_static_selectorELNS0_4arch9wavefront6targetE1EEEvT1_
	.globl	_ZN7rocprim17ROCPRIM_400000_NS6detail17trampoline_kernelINS0_14default_configENS1_35adjacent_difference_config_selectorILb1EjEEZNS1_24adjacent_difference_implIS3_Lb1ELb0EPKjPjN6thrust23THRUST_200600_302600_NS4plusIjEEEE10hipError_tPvRmT2_T3_mT4_P12ihipStream_tbEUlT_E_NS1_11comp_targetILNS1_3genE3ELNS1_11target_archE908ELNS1_3gpuE7ELNS1_3repE0EEENS1_30default_config_static_selectorELNS0_4arch9wavefront6targetE1EEEvT1_
	.p2align	8
	.type	_ZN7rocprim17ROCPRIM_400000_NS6detail17trampoline_kernelINS0_14default_configENS1_35adjacent_difference_config_selectorILb1EjEEZNS1_24adjacent_difference_implIS3_Lb1ELb0EPKjPjN6thrust23THRUST_200600_302600_NS4plusIjEEEE10hipError_tPvRmT2_T3_mT4_P12ihipStream_tbEUlT_E_NS1_11comp_targetILNS1_3genE3ELNS1_11target_archE908ELNS1_3gpuE7ELNS1_3repE0EEENS1_30default_config_static_selectorELNS0_4arch9wavefront6targetE1EEEvT1_,@function
_ZN7rocprim17ROCPRIM_400000_NS6detail17trampoline_kernelINS0_14default_configENS1_35adjacent_difference_config_selectorILb1EjEEZNS1_24adjacent_difference_implIS3_Lb1ELb0EPKjPjN6thrust23THRUST_200600_302600_NS4plusIjEEEE10hipError_tPvRmT2_T3_mT4_P12ihipStream_tbEUlT_E_NS1_11comp_targetILNS1_3genE3ELNS1_11target_archE908ELNS1_3gpuE7ELNS1_3repE0EEENS1_30default_config_static_selectorELNS0_4arch9wavefront6targetE1EEEvT1_: ; @_ZN7rocprim17ROCPRIM_400000_NS6detail17trampoline_kernelINS0_14default_configENS1_35adjacent_difference_config_selectorILb1EjEEZNS1_24adjacent_difference_implIS3_Lb1ELb0EPKjPjN6thrust23THRUST_200600_302600_NS4plusIjEEEE10hipError_tPvRmT2_T3_mT4_P12ihipStream_tbEUlT_E_NS1_11comp_targetILNS1_3genE3ELNS1_11target_archE908ELNS1_3gpuE7ELNS1_3repE0EEENS1_30default_config_static_selectorELNS0_4arch9wavefront6targetE1EEEvT1_
; %bb.0:
	.section	.rodata,"a",@progbits
	.p2align	6, 0x0
	.amdhsa_kernel _ZN7rocprim17ROCPRIM_400000_NS6detail17trampoline_kernelINS0_14default_configENS1_35adjacent_difference_config_selectorILb1EjEEZNS1_24adjacent_difference_implIS3_Lb1ELb0EPKjPjN6thrust23THRUST_200600_302600_NS4plusIjEEEE10hipError_tPvRmT2_T3_mT4_P12ihipStream_tbEUlT_E_NS1_11comp_targetILNS1_3genE3ELNS1_11target_archE908ELNS1_3gpuE7ELNS1_3repE0EEENS1_30default_config_static_selectorELNS0_4arch9wavefront6targetE1EEEvT1_
		.amdhsa_group_segment_fixed_size 0
		.amdhsa_private_segment_fixed_size 0
		.amdhsa_kernarg_size 56
		.amdhsa_user_sgpr_count 6
		.amdhsa_user_sgpr_private_segment_buffer 1
		.amdhsa_user_sgpr_dispatch_ptr 0
		.amdhsa_user_sgpr_queue_ptr 0
		.amdhsa_user_sgpr_kernarg_segment_ptr 1
		.amdhsa_user_sgpr_dispatch_id 0
		.amdhsa_user_sgpr_flat_scratch_init 0
		.amdhsa_user_sgpr_private_segment_size 0
		.amdhsa_uses_dynamic_stack 0
		.amdhsa_system_sgpr_private_segment_wavefront_offset 0
		.amdhsa_system_sgpr_workgroup_id_x 1
		.amdhsa_system_sgpr_workgroup_id_y 0
		.amdhsa_system_sgpr_workgroup_id_z 0
		.amdhsa_system_sgpr_workgroup_info 0
		.amdhsa_system_vgpr_workitem_id 0
		.amdhsa_next_free_vgpr 1
		.amdhsa_next_free_sgpr 0
		.amdhsa_reserve_vcc 0
		.amdhsa_reserve_flat_scratch 0
		.amdhsa_float_round_mode_32 0
		.amdhsa_float_round_mode_16_64 0
		.amdhsa_float_denorm_mode_32 3
		.amdhsa_float_denorm_mode_16_64 3
		.amdhsa_dx10_clamp 1
		.amdhsa_ieee_mode 1
		.amdhsa_fp16_overflow 0
		.amdhsa_exception_fp_ieee_invalid_op 0
		.amdhsa_exception_fp_denorm_src 0
		.amdhsa_exception_fp_ieee_div_zero 0
		.amdhsa_exception_fp_ieee_overflow 0
		.amdhsa_exception_fp_ieee_underflow 0
		.amdhsa_exception_fp_ieee_inexact 0
		.amdhsa_exception_int_div_zero 0
	.end_amdhsa_kernel
	.section	.text._ZN7rocprim17ROCPRIM_400000_NS6detail17trampoline_kernelINS0_14default_configENS1_35adjacent_difference_config_selectorILb1EjEEZNS1_24adjacent_difference_implIS3_Lb1ELb0EPKjPjN6thrust23THRUST_200600_302600_NS4plusIjEEEE10hipError_tPvRmT2_T3_mT4_P12ihipStream_tbEUlT_E_NS1_11comp_targetILNS1_3genE3ELNS1_11target_archE908ELNS1_3gpuE7ELNS1_3repE0EEENS1_30default_config_static_selectorELNS0_4arch9wavefront6targetE1EEEvT1_,"axG",@progbits,_ZN7rocprim17ROCPRIM_400000_NS6detail17trampoline_kernelINS0_14default_configENS1_35adjacent_difference_config_selectorILb1EjEEZNS1_24adjacent_difference_implIS3_Lb1ELb0EPKjPjN6thrust23THRUST_200600_302600_NS4plusIjEEEE10hipError_tPvRmT2_T3_mT4_P12ihipStream_tbEUlT_E_NS1_11comp_targetILNS1_3genE3ELNS1_11target_archE908ELNS1_3gpuE7ELNS1_3repE0EEENS1_30default_config_static_selectorELNS0_4arch9wavefront6targetE1EEEvT1_,comdat
.Lfunc_end669:
	.size	_ZN7rocprim17ROCPRIM_400000_NS6detail17trampoline_kernelINS0_14default_configENS1_35adjacent_difference_config_selectorILb1EjEEZNS1_24adjacent_difference_implIS3_Lb1ELb0EPKjPjN6thrust23THRUST_200600_302600_NS4plusIjEEEE10hipError_tPvRmT2_T3_mT4_P12ihipStream_tbEUlT_E_NS1_11comp_targetILNS1_3genE3ELNS1_11target_archE908ELNS1_3gpuE7ELNS1_3repE0EEENS1_30default_config_static_selectorELNS0_4arch9wavefront6targetE1EEEvT1_, .Lfunc_end669-_ZN7rocprim17ROCPRIM_400000_NS6detail17trampoline_kernelINS0_14default_configENS1_35adjacent_difference_config_selectorILb1EjEEZNS1_24adjacent_difference_implIS3_Lb1ELb0EPKjPjN6thrust23THRUST_200600_302600_NS4plusIjEEEE10hipError_tPvRmT2_T3_mT4_P12ihipStream_tbEUlT_E_NS1_11comp_targetILNS1_3genE3ELNS1_11target_archE908ELNS1_3gpuE7ELNS1_3repE0EEENS1_30default_config_static_selectorELNS0_4arch9wavefront6targetE1EEEvT1_
                                        ; -- End function
	.set _ZN7rocprim17ROCPRIM_400000_NS6detail17trampoline_kernelINS0_14default_configENS1_35adjacent_difference_config_selectorILb1EjEEZNS1_24adjacent_difference_implIS3_Lb1ELb0EPKjPjN6thrust23THRUST_200600_302600_NS4plusIjEEEE10hipError_tPvRmT2_T3_mT4_P12ihipStream_tbEUlT_E_NS1_11comp_targetILNS1_3genE3ELNS1_11target_archE908ELNS1_3gpuE7ELNS1_3repE0EEENS1_30default_config_static_selectorELNS0_4arch9wavefront6targetE1EEEvT1_.num_vgpr, 0
	.set _ZN7rocprim17ROCPRIM_400000_NS6detail17trampoline_kernelINS0_14default_configENS1_35adjacent_difference_config_selectorILb1EjEEZNS1_24adjacent_difference_implIS3_Lb1ELb0EPKjPjN6thrust23THRUST_200600_302600_NS4plusIjEEEE10hipError_tPvRmT2_T3_mT4_P12ihipStream_tbEUlT_E_NS1_11comp_targetILNS1_3genE3ELNS1_11target_archE908ELNS1_3gpuE7ELNS1_3repE0EEENS1_30default_config_static_selectorELNS0_4arch9wavefront6targetE1EEEvT1_.num_agpr, 0
	.set _ZN7rocprim17ROCPRIM_400000_NS6detail17trampoline_kernelINS0_14default_configENS1_35adjacent_difference_config_selectorILb1EjEEZNS1_24adjacent_difference_implIS3_Lb1ELb0EPKjPjN6thrust23THRUST_200600_302600_NS4plusIjEEEE10hipError_tPvRmT2_T3_mT4_P12ihipStream_tbEUlT_E_NS1_11comp_targetILNS1_3genE3ELNS1_11target_archE908ELNS1_3gpuE7ELNS1_3repE0EEENS1_30default_config_static_selectorELNS0_4arch9wavefront6targetE1EEEvT1_.numbered_sgpr, 0
	.set _ZN7rocprim17ROCPRIM_400000_NS6detail17trampoline_kernelINS0_14default_configENS1_35adjacent_difference_config_selectorILb1EjEEZNS1_24adjacent_difference_implIS3_Lb1ELb0EPKjPjN6thrust23THRUST_200600_302600_NS4plusIjEEEE10hipError_tPvRmT2_T3_mT4_P12ihipStream_tbEUlT_E_NS1_11comp_targetILNS1_3genE3ELNS1_11target_archE908ELNS1_3gpuE7ELNS1_3repE0EEENS1_30default_config_static_selectorELNS0_4arch9wavefront6targetE1EEEvT1_.num_named_barrier, 0
	.set _ZN7rocprim17ROCPRIM_400000_NS6detail17trampoline_kernelINS0_14default_configENS1_35adjacent_difference_config_selectorILb1EjEEZNS1_24adjacent_difference_implIS3_Lb1ELb0EPKjPjN6thrust23THRUST_200600_302600_NS4plusIjEEEE10hipError_tPvRmT2_T3_mT4_P12ihipStream_tbEUlT_E_NS1_11comp_targetILNS1_3genE3ELNS1_11target_archE908ELNS1_3gpuE7ELNS1_3repE0EEENS1_30default_config_static_selectorELNS0_4arch9wavefront6targetE1EEEvT1_.private_seg_size, 0
	.set _ZN7rocprim17ROCPRIM_400000_NS6detail17trampoline_kernelINS0_14default_configENS1_35adjacent_difference_config_selectorILb1EjEEZNS1_24adjacent_difference_implIS3_Lb1ELb0EPKjPjN6thrust23THRUST_200600_302600_NS4plusIjEEEE10hipError_tPvRmT2_T3_mT4_P12ihipStream_tbEUlT_E_NS1_11comp_targetILNS1_3genE3ELNS1_11target_archE908ELNS1_3gpuE7ELNS1_3repE0EEENS1_30default_config_static_selectorELNS0_4arch9wavefront6targetE1EEEvT1_.uses_vcc, 0
	.set _ZN7rocprim17ROCPRIM_400000_NS6detail17trampoline_kernelINS0_14default_configENS1_35adjacent_difference_config_selectorILb1EjEEZNS1_24adjacent_difference_implIS3_Lb1ELb0EPKjPjN6thrust23THRUST_200600_302600_NS4plusIjEEEE10hipError_tPvRmT2_T3_mT4_P12ihipStream_tbEUlT_E_NS1_11comp_targetILNS1_3genE3ELNS1_11target_archE908ELNS1_3gpuE7ELNS1_3repE0EEENS1_30default_config_static_selectorELNS0_4arch9wavefront6targetE1EEEvT1_.uses_flat_scratch, 0
	.set _ZN7rocprim17ROCPRIM_400000_NS6detail17trampoline_kernelINS0_14default_configENS1_35adjacent_difference_config_selectorILb1EjEEZNS1_24adjacent_difference_implIS3_Lb1ELb0EPKjPjN6thrust23THRUST_200600_302600_NS4plusIjEEEE10hipError_tPvRmT2_T3_mT4_P12ihipStream_tbEUlT_E_NS1_11comp_targetILNS1_3genE3ELNS1_11target_archE908ELNS1_3gpuE7ELNS1_3repE0EEENS1_30default_config_static_selectorELNS0_4arch9wavefront6targetE1EEEvT1_.has_dyn_sized_stack, 0
	.set _ZN7rocprim17ROCPRIM_400000_NS6detail17trampoline_kernelINS0_14default_configENS1_35adjacent_difference_config_selectorILb1EjEEZNS1_24adjacent_difference_implIS3_Lb1ELb0EPKjPjN6thrust23THRUST_200600_302600_NS4plusIjEEEE10hipError_tPvRmT2_T3_mT4_P12ihipStream_tbEUlT_E_NS1_11comp_targetILNS1_3genE3ELNS1_11target_archE908ELNS1_3gpuE7ELNS1_3repE0EEENS1_30default_config_static_selectorELNS0_4arch9wavefront6targetE1EEEvT1_.has_recursion, 0
	.set _ZN7rocprim17ROCPRIM_400000_NS6detail17trampoline_kernelINS0_14default_configENS1_35adjacent_difference_config_selectorILb1EjEEZNS1_24adjacent_difference_implIS3_Lb1ELb0EPKjPjN6thrust23THRUST_200600_302600_NS4plusIjEEEE10hipError_tPvRmT2_T3_mT4_P12ihipStream_tbEUlT_E_NS1_11comp_targetILNS1_3genE3ELNS1_11target_archE908ELNS1_3gpuE7ELNS1_3repE0EEENS1_30default_config_static_selectorELNS0_4arch9wavefront6targetE1EEEvT1_.has_indirect_call, 0
	.section	.AMDGPU.csdata,"",@progbits
; Kernel info:
; codeLenInByte = 0
; TotalNumSgprs: 4
; NumVgprs: 0
; ScratchSize: 0
; MemoryBound: 0
; FloatMode: 240
; IeeeMode: 1
; LDSByteSize: 0 bytes/workgroup (compile time only)
; SGPRBlocks: 0
; VGPRBlocks: 0
; NumSGPRsForWavesPerEU: 4
; NumVGPRsForWavesPerEU: 1
; Occupancy: 10
; WaveLimiterHint : 0
; COMPUTE_PGM_RSRC2:SCRATCH_EN: 0
; COMPUTE_PGM_RSRC2:USER_SGPR: 6
; COMPUTE_PGM_RSRC2:TRAP_HANDLER: 0
; COMPUTE_PGM_RSRC2:TGID_X_EN: 1
; COMPUTE_PGM_RSRC2:TGID_Y_EN: 0
; COMPUTE_PGM_RSRC2:TGID_Z_EN: 0
; COMPUTE_PGM_RSRC2:TIDIG_COMP_CNT: 0
	.section	.text._ZN7rocprim17ROCPRIM_400000_NS6detail17trampoline_kernelINS0_14default_configENS1_35adjacent_difference_config_selectorILb1EjEEZNS1_24adjacent_difference_implIS3_Lb1ELb0EPKjPjN6thrust23THRUST_200600_302600_NS4plusIjEEEE10hipError_tPvRmT2_T3_mT4_P12ihipStream_tbEUlT_E_NS1_11comp_targetILNS1_3genE2ELNS1_11target_archE906ELNS1_3gpuE6ELNS1_3repE0EEENS1_30default_config_static_selectorELNS0_4arch9wavefront6targetE1EEEvT1_,"axG",@progbits,_ZN7rocprim17ROCPRIM_400000_NS6detail17trampoline_kernelINS0_14default_configENS1_35adjacent_difference_config_selectorILb1EjEEZNS1_24adjacent_difference_implIS3_Lb1ELb0EPKjPjN6thrust23THRUST_200600_302600_NS4plusIjEEEE10hipError_tPvRmT2_T3_mT4_P12ihipStream_tbEUlT_E_NS1_11comp_targetILNS1_3genE2ELNS1_11target_archE906ELNS1_3gpuE6ELNS1_3repE0EEENS1_30default_config_static_selectorELNS0_4arch9wavefront6targetE1EEEvT1_,comdat
	.protected	_ZN7rocprim17ROCPRIM_400000_NS6detail17trampoline_kernelINS0_14default_configENS1_35adjacent_difference_config_selectorILb1EjEEZNS1_24adjacent_difference_implIS3_Lb1ELb0EPKjPjN6thrust23THRUST_200600_302600_NS4plusIjEEEE10hipError_tPvRmT2_T3_mT4_P12ihipStream_tbEUlT_E_NS1_11comp_targetILNS1_3genE2ELNS1_11target_archE906ELNS1_3gpuE6ELNS1_3repE0EEENS1_30default_config_static_selectorELNS0_4arch9wavefront6targetE1EEEvT1_ ; -- Begin function _ZN7rocprim17ROCPRIM_400000_NS6detail17trampoline_kernelINS0_14default_configENS1_35adjacent_difference_config_selectorILb1EjEEZNS1_24adjacent_difference_implIS3_Lb1ELb0EPKjPjN6thrust23THRUST_200600_302600_NS4plusIjEEEE10hipError_tPvRmT2_T3_mT4_P12ihipStream_tbEUlT_E_NS1_11comp_targetILNS1_3genE2ELNS1_11target_archE906ELNS1_3gpuE6ELNS1_3repE0EEENS1_30default_config_static_selectorELNS0_4arch9wavefront6targetE1EEEvT1_
	.globl	_ZN7rocprim17ROCPRIM_400000_NS6detail17trampoline_kernelINS0_14default_configENS1_35adjacent_difference_config_selectorILb1EjEEZNS1_24adjacent_difference_implIS3_Lb1ELb0EPKjPjN6thrust23THRUST_200600_302600_NS4plusIjEEEE10hipError_tPvRmT2_T3_mT4_P12ihipStream_tbEUlT_E_NS1_11comp_targetILNS1_3genE2ELNS1_11target_archE906ELNS1_3gpuE6ELNS1_3repE0EEENS1_30default_config_static_selectorELNS0_4arch9wavefront6targetE1EEEvT1_
	.p2align	8
	.type	_ZN7rocprim17ROCPRIM_400000_NS6detail17trampoline_kernelINS0_14default_configENS1_35adjacent_difference_config_selectorILb1EjEEZNS1_24adjacent_difference_implIS3_Lb1ELb0EPKjPjN6thrust23THRUST_200600_302600_NS4plusIjEEEE10hipError_tPvRmT2_T3_mT4_P12ihipStream_tbEUlT_E_NS1_11comp_targetILNS1_3genE2ELNS1_11target_archE906ELNS1_3gpuE6ELNS1_3repE0EEENS1_30default_config_static_selectorELNS0_4arch9wavefront6targetE1EEEvT1_,@function
_ZN7rocprim17ROCPRIM_400000_NS6detail17trampoline_kernelINS0_14default_configENS1_35adjacent_difference_config_selectorILb1EjEEZNS1_24adjacent_difference_implIS3_Lb1ELb0EPKjPjN6thrust23THRUST_200600_302600_NS4plusIjEEEE10hipError_tPvRmT2_T3_mT4_P12ihipStream_tbEUlT_E_NS1_11comp_targetILNS1_3genE2ELNS1_11target_archE906ELNS1_3gpuE6ELNS1_3repE0EEENS1_30default_config_static_selectorELNS0_4arch9wavefront6targetE1EEEvT1_: ; @_ZN7rocprim17ROCPRIM_400000_NS6detail17trampoline_kernelINS0_14default_configENS1_35adjacent_difference_config_selectorILb1EjEEZNS1_24adjacent_difference_implIS3_Lb1ELb0EPKjPjN6thrust23THRUST_200600_302600_NS4plusIjEEEE10hipError_tPvRmT2_T3_mT4_P12ihipStream_tbEUlT_E_NS1_11comp_targetILNS1_3genE2ELNS1_11target_archE906ELNS1_3gpuE6ELNS1_3repE0EEENS1_30default_config_static_selectorELNS0_4arch9wavefront6targetE1EEEvT1_
; %bb.0:
	s_load_dwordx8 s[8:15], s[4:5], 0x0
	s_load_dwordx4 s[16:19], s[4:5], 0x28
	s_mul_i32 s20, s6, 0xb00
	s_mov_b32 s7, 0
	s_mov_b64 s[22:23], -1
	s_waitcnt lgkmcnt(0)
	s_lshl_b64 s[10:11], s[10:11], 2
	s_add_u32 s26, s8, s10
	s_addc_u32 s27, s9, s11
	s_mul_i32 s3, s15, 0xba2e8ba3
	s_mul_hi_u32 s4, s14, 0xba2e8ba3
	s_mul_hi_u32 s2, s15, 0xba2e8ba3
	s_add_u32 s3, s3, s4
	s_mul_i32 s1, s14, 0x2e8ba2e8
	s_addc_u32 s2, s2, 0
	s_mul_hi_u32 s0, s14, 0x2e8ba2e8
	s_add_u32 s1, s1, s3
	s_addc_u32 s0, s0, 0
	s_add_u32 s0, s2, s0
	s_addc_u32 s1, 0, 0
	s_mul_i32 s3, s15, 0x2e8ba2e8
	s_mul_hi_u32 s2, s15, 0x2e8ba2e8
	s_add_u32 s0, s3, s0
	s_addc_u32 s1, s2, s1
	s_lshr_b64 s[2:3], s[0:1], 9
	s_lshr_b32 s0, s1, 9
	s_mulk_i32 s0, 0xb00
	s_mul_hi_u32 s1, s2, 0xb00
	s_add_i32 s1, s1, s0
	s_mul_i32 s0, s2, 0xb00
	s_sub_u32 s0, s14, s0
	s_subb_u32 s1, s15, s1
	s_cmp_lg_u64 s[0:1], 0
	s_cselect_b64 s[0:1], -1, 0
	v_cndmask_b32_e64 v1, 0, 1, s[0:1]
	v_readfirstlane_b32 s0, v1
	s_add_u32 s2, s2, s0
	s_addc_u32 s3, s3, 0
	s_add_u32 s4, s18, s6
	s_addc_u32 s5, s19, 0
	s_add_u32 s8, s2, -1
	s_addc_u32 s9, s3, -1
	v_mov_b32_e32 v1, s8
	v_mov_b32_e32 v2, s9
	v_cmp_ge_u64_e64 s[0:1], s[4:5], v[1:2]
	s_mul_i32 s15, s8, 0xfffff500
	s_and_b64 vcc, exec, s[0:1]
	s_cbranch_vccz .LBB670_24
; %bb.1:
	s_mov_b32 s21, s7
	s_add_i32 s28, s15, s14
	s_lshl_b64 s[22:23], s[20:21], 2
	s_add_u32 s22, s26, s22
	v_mov_b32_e32 v1, 0
	s_addc_u32 s23, s27, s23
	v_cmp_gt_u32_e32 vcc, s28, v0
	v_mov_b32_e32 v2, v1
	v_mov_b32_e32 v3, v1
	;; [unrolled: 1-line block ×10, first 2 shown]
	s_and_saveexec_b64 s[24:25], vcc
	s_cbranch_execz .LBB670_3
; %bb.2:
	v_lshlrev_b32_e32 v2, 2, v0
	global_load_dword v2, v2, s[22:23]
	v_mov_b32_e32 v3, v1
	v_mov_b32_e32 v4, v1
	;; [unrolled: 1-line block ×10, first 2 shown]
	s_waitcnt vmcnt(0)
	v_mov_b32_e32 v1, v2
	v_mov_b32_e32 v2, v3
	;; [unrolled: 1-line block ×11, first 2 shown]
.LBB670_3:
	s_or_b64 exec, exec, s[24:25]
	v_or_b32_e32 v12, 0x100, v0
	v_cmp_gt_u32_e32 vcc, s28, v12
	s_and_saveexec_b64 s[24:25], vcc
	s_cbranch_execz .LBB670_5
; %bb.4:
	v_lshlrev_b32_e32 v2, 2, v0
	global_load_dword v2, v2, s[22:23] offset:1024
.LBB670_5:
	s_or_b64 exec, exec, s[24:25]
	v_or_b32_e32 v12, 0x200, v0
	v_cmp_gt_u32_e32 vcc, s28, v12
	s_and_saveexec_b64 s[24:25], vcc
	s_cbranch_execz .LBB670_7
; %bb.6:
	v_lshlrev_b32_e32 v3, 2, v0
	global_load_dword v3, v3, s[22:23] offset:2048
.LBB670_7:
	;; [unrolled: 9-line block ×3, first 2 shown]
	s_or_b64 exec, exec, s[24:25]
	v_or_b32_e32 v12, 0x400, v0
	v_cmp_gt_u32_e32 vcc, s28, v12
	s_and_saveexec_b64 s[24:25], vcc
	s_cbranch_execz .LBB670_11
; %bb.10:
	v_lshlrev_b32_e32 v5, 2, v12
	global_load_dword v5, v5, s[22:23]
.LBB670_11:
	s_or_b64 exec, exec, s[24:25]
	v_or_b32_e32 v12, 0x500, v0
	v_cmp_gt_u32_e32 vcc, s28, v12
	s_and_saveexec_b64 s[24:25], vcc
	s_cbranch_execz .LBB670_13
; %bb.12:
	v_lshlrev_b32_e32 v6, 2, v12
	global_load_dword v6, v6, s[22:23]
.LBB670_13:
	;; [unrolled: 9-line block ×7, first 2 shown]
	s_or_b64 exec, exec, s[24:25]
	v_lshlrev_b32_e32 v12, 2, v0
	s_mov_b64 s[22:23], 0
	s_waitcnt vmcnt(0)
	ds_write2st64_b32 v12, v1, v2 offset1:4
	ds_write2st64_b32 v12, v3, v4 offset0:8 offset1:12
	ds_write2st64_b32 v12, v5, v6 offset0:16 offset1:20
	;; [unrolled: 1-line block ×4, first 2 shown]
	ds_write_b32 v12, v11 offset:10240
	s_waitcnt lgkmcnt(0)
	s_barrier
.LBB670_24:
	s_and_b64 vcc, exec, s[22:23]
	v_lshlrev_b32_e32 v13, 2, v0
	s_cbranch_vccz .LBB670_26
; %bb.25:
	s_mov_b32 s21, 0
	s_lshl_b64 s[22:23], s[20:21], 2
	s_add_u32 s22, s26, s22
	s_addc_u32 s23, s27, s23
	v_mov_b32_e32 v1, s23
	v_add_co_u32_e32 v3, vcc, s22, v13
	v_addc_co_u32_e32 v4, vcc, 0, v1, vcc
	v_add_co_u32_e32 v1, vcc, 0x1000, v3
	v_addc_co_u32_e32 v2, vcc, 0, v4, vcc
	v_add_co_u32_e32 v3, vcc, 0x2000, v3
	global_load_dword v5, v13, s[22:23] offset:1024
	global_load_dword v6, v13, s[22:23] offset:2048
	;; [unrolled: 1-line block ×3, first 2 shown]
	v_addc_co_u32_e32 v4, vcc, 0, v4, vcc
	global_load_dword v8, v13, s[22:23]
	global_load_dword v9, v[1:2], off
	global_load_dword v10, v[1:2], off offset:1024
	global_load_dword v11, v[1:2], off offset:2048
	;; [unrolled: 1-line block ×3, first 2 shown]
	global_load_dword v14, v[3:4], off
	global_load_dword v15, v[3:4], off offset:1024
	global_load_dword v16, v[3:4], off offset:2048
	s_waitcnt vmcnt(7)
	ds_write2st64_b32 v13, v8, v5 offset1:4
	ds_write2st64_b32 v13, v6, v7 offset0:8 offset1:12
	s_waitcnt vmcnt(5)
	ds_write2st64_b32 v13, v9, v10 offset0:16 offset1:20
	s_waitcnt vmcnt(3)
	;; [unrolled: 2-line block ×4, first 2 shown]
	ds_write_b32 v13, v16 offset:10240
	s_waitcnt lgkmcnt(0)
	s_barrier
.LBB670_26:
	v_mul_u32_u24_e32 v14, 44, v0
	ds_read2_b32 v[3:4], v14 offset1:1
	ds_read2_b32 v[5:6], v14 offset0:2 offset1:3
	ds_read2_b32 v[7:8], v14 offset0:4 offset1:5
	;; [unrolled: 1-line block ×4, first 2 shown]
	ds_read_b32 v11, v14 offset:40
	s_cmp_eq_u64 s[4:5], 0
	s_waitcnt lgkmcnt(0)
	s_barrier
	s_cbranch_scc1 .LBB670_31
; %bb.27:
	s_lshl_b64 s[18:19], s[18:19], 2
	s_add_u32 s16, s16, s18
	s_addc_u32 s17, s17, s19
	s_lshl_b64 s[6:7], s[6:7], 2
	s_add_u32 s6, s16, s6
	s_addc_u32 s7, s17, s7
	s_add_u32 s6, s6, -4
	s_addc_u32 s7, s7, -1
	s_load_dword s16, s[6:7], 0x0
	s_cmp_eq_u64 s[4:5], s[8:9]
	s_cbranch_scc1 .LBB670_32
; %bb.28:
	v_cmp_ne_u32_e32 vcc, 0, v0
	s_waitcnt lgkmcnt(0)
	v_mov_b32_e32 v12, s16
	ds_write_b32 v13, v11
	s_waitcnt lgkmcnt(0)
	s_barrier
	s_and_saveexec_b64 s[6:7], vcc
; %bb.29:
	v_add_u32_e32 v12, -4, v13
	ds_read_b32 v12, v12
; %bb.30:
	s_or_b64 exec, exec, s[6:7]
	v_add_u32_e32 v15, v2, v1
	v_add_u32_e32 v16, v1, v10
	;; [unrolled: 1-line block ×9, first 2 shown]
	s_waitcnt lgkmcnt(0)
	v_add_u32_e32 v20, v12, v3
	v_mov_b32_e32 v12, v2
	s_branch .LBB670_36
.LBB670_31:
                                        ; implicit-def: $vgpr12
                                        ; implicit-def: $vgpr15
                                        ; implicit-def: $vgpr16
                                        ; implicit-def: $vgpr20
                                        ; implicit-def: $vgpr24
                                        ; implicit-def: $vgpr23
                                        ; implicit-def: $vgpr22
                                        ; implicit-def: $vgpr21
                                        ; implicit-def: $vgpr19
                                        ; implicit-def: $vgpr18
                                        ; implicit-def: $vgpr17
	s_branch .LBB670_37
.LBB670_32:
                                        ; implicit-def: $vgpr15
                                        ; implicit-def: $vgpr16
                                        ; implicit-def: $vgpr20
                                        ; implicit-def: $vgpr24
                                        ; implicit-def: $vgpr23
                                        ; implicit-def: $vgpr22
                                        ; implicit-def: $vgpr21
                                        ; implicit-def: $vgpr19
                                        ; implicit-def: $vgpr18
                                        ; implicit-def: $vgpr17
	v_mov_b32_e32 v12, v2
	s_cbranch_execz .LBB670_36
; %bb.33:
	v_mul_u32_u24_e32 v20, 11, v0
	v_cmp_ne_u32_e32 vcc, 0, v0
	s_waitcnt lgkmcnt(0)
	v_mov_b32_e32 v25, s16
	ds_write_b32 v13, v11
	s_waitcnt lgkmcnt(0)
	s_barrier
	s_and_saveexec_b64 s[6:7], vcc
; %bb.34:
	v_add_u32_e32 v12, -4, v13
	ds_read_b32 v25, v12
; %bb.35:
	s_or_b64 exec, exec, s[6:7]
	s_mulk_i32 s4, 0xf500
	s_add_i32 s4, s4, s14
	v_add_u32_e32 v12, 10, v20
	v_cmp_gt_u32_e32 vcc, s4, v12
	v_add_u32_e32 v15, 9, v20
	v_cndmask_b32_e32 v12, 0, v2, vcc
	v_cmp_gt_u32_e32 vcc, s4, v15
	v_add_u32_e32 v16, 8, v20
	v_cndmask_b32_e32 v15, 0, v1, vcc
	;; [unrolled: 3-line block ×9, first 2 shown]
	v_cmp_gt_u32_e32 vcc, s4, v24
	v_cndmask_b32_e32 v24, 0, v3, vcc
	v_cmp_gt_u32_e32 vcc, s4, v20
	s_waitcnt lgkmcnt(0)
	v_cndmask_b32_e32 v20, 0, v25, vcc
	v_add_u32_e32 v15, v15, v2
	v_add_u32_e32 v16, v16, v1
	;; [unrolled: 1-line block ×10, first 2 shown]
.LBB670_36:
	s_cbranch_execnz .LBB670_46
.LBB670_37:
	s_cmp_eq_u64 s[2:3], 1
	v_cmp_ne_u32_e32 vcc, 0, v0
	s_cbranch_scc1 .LBB670_41
; %bb.38:
	v_mov_b32_e32 v20, v3
	ds_write_b32 v13, v11
	s_waitcnt lgkmcnt(0)
	s_barrier
	s_and_saveexec_b64 s[2:3], vcc
	s_cbranch_execz .LBB670_40
; %bb.39:
	v_add_u32_e32 v12, -4, v13
	ds_read_b32 v12, v12
	s_waitcnt lgkmcnt(0)
	v_add_u32_e32 v20, v12, v3
.LBB670_40:
	s_or_b64 exec, exec, s[2:3]
	v_add_u32_e32 v15, v2, v1
	v_add_u32_e32 v16, v1, v10
	;; [unrolled: 1-line block ×9, first 2 shown]
	s_cbranch_execz .LBB670_42
	s_branch .LBB670_45
.LBB670_41:
                                        ; implicit-def: $vgpr15
                                        ; implicit-def: $vgpr16
                                        ; implicit-def: $vgpr20
                                        ; implicit-def: $vgpr24
                                        ; implicit-def: $vgpr23
                                        ; implicit-def: $vgpr22
                                        ; implicit-def: $vgpr21
                                        ; implicit-def: $vgpr19
                                        ; implicit-def: $vgpr18
                                        ; implicit-def: $vgpr17
.LBB670_42:
	v_mad_u32_u24 v12, v0, 11, 10
	v_cmp_gt_u32_e32 vcc, s14, v12
	v_mad_u32_u24 v12, v0, 11, 9
	v_cmp_gt_u32_e64 s[2:3], s14, v12
	v_mad_u32_u24 v16, v0, 11, 8
	v_cndmask_b32_e64 v12, 0, v1, s[2:3]
	v_cmp_gt_u32_e64 s[2:3], s14, v16
	v_mad_u32_u24 v17, v0, 11, 7
	v_cndmask_b32_e64 v16, 0, v10, s[2:3]
	;; [unrolled: 3-line block ×7, first 2 shown]
	v_cmp_gt_u32_e64 s[2:3], s14, v21
	v_mad_u32_u24 v21, v0, 11, 1
	v_mul_u32_u24_e32 v15, 11, v0
	v_cndmask_b32_e64 v23, 0, v4, s[2:3]
	v_cmp_gt_u32_e64 s[2:3], s14, v21
	v_cndmask_b32_e64 v24, 0, v3, s[2:3]
	v_cmp_ne_u32_e64 s[2:3], 0, v0
	v_cmp_gt_u32_e64 s[4:5], s14, v15
	s_and_b64 s[4:5], s[2:3], s[4:5]
	ds_write_b32 v13, v11
	s_waitcnt lgkmcnt(0)
	s_barrier
	s_and_saveexec_b64 s[2:3], s[4:5]
	s_cbranch_execz .LBB670_44
; %bb.43:
	v_add_u32_e32 v15, -4, v13
	ds_read_b32 v15, v15
	s_waitcnt lgkmcnt(0)
	v_add_u32_e32 v3, v15, v3
.LBB670_44:
	s_or_b64 exec, exec, s[2:3]
	v_cndmask_b32_e32 v25, 0, v2, vcc
	v_add_u32_e32 v15, v12, v2
	v_add_u32_e32 v16, v16, v1
	;; [unrolled: 1-line block ×9, first 2 shown]
	v_mov_b32_e32 v2, v25
	v_mov_b32_e32 v20, v3
.LBB670_45:
	v_mov_b32_e32 v12, v2
.LBB670_46:
	s_add_u32 s4, s12, s10
	s_addc_u32 s5, s13, s11
	v_add_u32_e32 v25, v12, v11
	s_and_b64 vcc, exec, s[0:1]
	s_waitcnt lgkmcnt(0)
	s_barrier
	s_cbranch_vccz .LBB670_68
; %bb.47:
	v_mul_i32_i24_e32 v26, 0xffffffd8, v0
	v_mad_u32_u24 v1, v0, 44, v26
	ds_write2_b32 v14, v20, v24 offset1:1
	ds_write2_b32 v14, v23, v22 offset0:2 offset1:3
	ds_write2_b32 v14, v21, v19 offset0:4 offset1:5
	;; [unrolled: 1-line block ×4, first 2 shown]
	ds_write_b32 v14, v25 offset:40
	s_waitcnt lgkmcnt(0)
	s_barrier
	ds_read2st64_b32 v[11:12], v1 offset0:4 offset1:8
	ds_read2st64_b32 v[9:10], v1 offset0:12 offset1:16
	ds_read2st64_b32 v[7:8], v1 offset0:20 offset1:24
	ds_read2st64_b32 v[5:6], v1 offset0:28 offset1:32
	ds_read2st64_b32 v[1:2], v1 offset0:36 offset1:40
	s_mov_b32 s21, 0
	s_add_i32 s15, s15, s14
	s_lshl_b64 s[0:1], s[20:21], 2
	s_add_u32 s0, s4, s0
	s_addc_u32 s1, s5, s1
	v_mov_b32_e32 v4, s1
	v_add_co_u32_e32 v3, vcc, s0, v13
	v_addc_co_u32_e32 v4, vcc, 0, v4, vcc
	v_cmp_gt_u32_e32 vcc, s15, v0
	s_and_saveexec_b64 s[0:1], vcc
	s_cbranch_execz .LBB670_49
; %bb.48:
	v_add_u32_e32 v26, v14, v26
	ds_read_b32 v26, v26
	s_waitcnt lgkmcnt(0)
	global_store_dword v[3:4], v26, off
.LBB670_49:
	s_or_b64 exec, exec, s[0:1]
	v_or_b32_e32 v26, 0x100, v0
	v_cmp_gt_u32_e32 vcc, s15, v26
	s_and_saveexec_b64 s[0:1], vcc
	s_cbranch_execz .LBB670_51
; %bb.50:
	s_waitcnt lgkmcnt(4)
	global_store_dword v[3:4], v11, off offset:1024
.LBB670_51:
	s_or_b64 exec, exec, s[0:1]
	s_waitcnt lgkmcnt(4)
	v_or_b32_e32 v11, 0x200, v0
	v_cmp_gt_u32_e32 vcc, s15, v11
	s_and_saveexec_b64 s[0:1], vcc
	s_cbranch_execz .LBB670_53
; %bb.52:
	global_store_dword v[3:4], v12, off offset:2048
.LBB670_53:
	s_or_b64 exec, exec, s[0:1]
	v_or_b32_e32 v11, 0x300, v0
	v_cmp_gt_u32_e32 vcc, s15, v11
	s_and_saveexec_b64 s[0:1], vcc
	s_cbranch_execz .LBB670_55
; %bb.54:
	s_waitcnt lgkmcnt(3)
	global_store_dword v[3:4], v9, off offset:3072
.LBB670_55:
	s_or_b64 exec, exec, s[0:1]
	s_waitcnt lgkmcnt(3)
	v_or_b32_e32 v9, 0x400, v0
	v_cmp_gt_u32_e32 vcc, s15, v9
	s_and_saveexec_b64 s[0:1], vcc
	s_cbranch_execz .LBB670_57
; %bb.56:
	v_add_co_u32_e32 v11, vcc, 0x1000, v3
	v_addc_co_u32_e32 v12, vcc, 0, v4, vcc
	global_store_dword v[11:12], v10, off
.LBB670_57:
	s_or_b64 exec, exec, s[0:1]
	v_or_b32_e32 v9, 0x500, v0
	v_cmp_gt_u32_e32 vcc, s15, v9
	s_and_saveexec_b64 s[0:1], vcc
	s_cbranch_execz .LBB670_59
; %bb.58:
	v_add_co_u32_e32 v9, vcc, 0x1000, v3
	v_addc_co_u32_e32 v10, vcc, 0, v4, vcc
	s_waitcnt lgkmcnt(2)
	global_store_dword v[9:10], v7, off offset:1024
.LBB670_59:
	s_or_b64 exec, exec, s[0:1]
	s_waitcnt lgkmcnt(2)
	v_or_b32_e32 v7, 0x600, v0
	v_cmp_gt_u32_e32 vcc, s15, v7
	s_and_saveexec_b64 s[0:1], vcc
	s_cbranch_execz .LBB670_61
; %bb.60:
	v_add_co_u32_e32 v9, vcc, 0x1000, v3
	v_addc_co_u32_e32 v10, vcc, 0, v4, vcc
	global_store_dword v[9:10], v8, off offset:2048
.LBB670_61:
	s_or_b64 exec, exec, s[0:1]
	v_or_b32_e32 v7, 0x700, v0
	v_cmp_gt_u32_e32 vcc, s15, v7
	s_and_saveexec_b64 s[0:1], vcc
	s_cbranch_execz .LBB670_63
; %bb.62:
	v_add_co_u32_e32 v7, vcc, 0x1000, v3
	v_addc_co_u32_e32 v8, vcc, 0, v4, vcc
	s_waitcnt lgkmcnt(1)
	global_store_dword v[7:8], v5, off offset:3072
.LBB670_63:
	s_or_b64 exec, exec, s[0:1]
	s_waitcnt lgkmcnt(1)
	v_or_b32_e32 v5, 0x800, v0
	v_cmp_gt_u32_e32 vcc, s15, v5
	s_and_saveexec_b64 s[0:1], vcc
	s_cbranch_execz .LBB670_65
; %bb.64:
	v_add_co_u32_e32 v7, vcc, 0x2000, v3
	v_addc_co_u32_e32 v8, vcc, 0, v4, vcc
	global_store_dword v[7:8], v6, off
.LBB670_65:
	s_or_b64 exec, exec, s[0:1]
	v_or_b32_e32 v5, 0x900, v0
	v_cmp_gt_u32_e32 vcc, s15, v5
	s_and_saveexec_b64 s[0:1], vcc
	s_cbranch_execz .LBB670_67
; %bb.66:
	v_add_co_u32_e32 v5, vcc, 0x2000, v3
	v_addc_co_u32_e32 v6, vcc, 0, v4, vcc
	s_waitcnt lgkmcnt(0)
	global_store_dword v[5:6], v1, off offset:1024
.LBB670_67:
	s_or_b64 exec, exec, s[0:1]
	s_waitcnt lgkmcnt(0)
	v_or_b32_e32 v1, 0xa00, v0
	v_cmp_gt_u32_e64 s[0:1], s15, v1
	s_branch .LBB670_70
.LBB670_68:
	s_mov_b64 s[0:1], 0
                                        ; implicit-def: $vgpr2
                                        ; implicit-def: $vgpr3_vgpr4
	s_cbranch_execz .LBB670_70
; %bb.69:
	s_mov_b32 s21, 0
	s_lshl_b64 s[2:3], s[20:21], 2
	s_add_u32 s2, s4, s2
	v_mul_i32_i24_e32 v1, 0xffffffd8, v0
	s_addc_u32 s3, s5, s3
	v_mad_u32_u24 v2, v0, 44, v1
	ds_write2_b32 v14, v20, v24 offset1:1
	ds_write2_b32 v14, v23, v22 offset0:2 offset1:3
	ds_write2_b32 v14, v21, v19 offset0:4 offset1:5
	;; [unrolled: 1-line block ×4, first 2 shown]
	ds_write_b32 v14, v25 offset:40
	s_waitcnt vmcnt(0) lgkmcnt(0)
	s_barrier
	ds_read2st64_b32 v[0:1], v2 offset1:4
	ds_read2st64_b32 v[5:6], v2 offset0:8 offset1:12
	ds_read2st64_b32 v[7:8], v2 offset0:16 offset1:20
	;; [unrolled: 1-line block ×4, first 2 shown]
	ds_read_b32 v2, v2 offset:10240
	v_mov_b32_e32 v4, s3
	v_add_co_u32_e32 v3, vcc, s2, v13
	v_addc_co_u32_e32 v4, vcc, 0, v4, vcc
	s_waitcnt lgkmcnt(5)
	global_store_dword v13, v0, s[2:3]
	global_store_dword v13, v1, s[2:3] offset:1024
	s_waitcnt lgkmcnt(4)
	global_store_dword v13, v5, s[2:3] offset:2048
	global_store_dword v13, v6, s[2:3] offset:3072
	s_movk_i32 s2, 0x1000
	v_add_co_u32_e32 v0, vcc, s2, v3
	v_addc_co_u32_e32 v1, vcc, 0, v4, vcc
	s_waitcnt lgkmcnt(3)
	global_store_dword v[0:1], v7, off
	global_store_dword v[0:1], v8, off offset:1024
	s_waitcnt lgkmcnt(2)
	global_store_dword v[0:1], v9, off offset:2048
	global_store_dword v[0:1], v10, off offset:3072
	v_add_co_u32_e32 v0, vcc, 0x2000, v3
	v_addc_co_u32_e32 v1, vcc, 0, v4, vcc
	s_or_b64 s[0:1], s[0:1], exec
	s_waitcnt lgkmcnt(1)
	global_store_dword v[0:1], v11, off
	global_store_dword v[0:1], v12, off offset:1024
.LBB670_70:
	s_and_saveexec_b64 s[2:3], s[0:1]
	s_cbranch_execnz .LBB670_72
; %bb.71:
	s_endpgm
.LBB670_72:
	v_add_co_u32_e32 v0, vcc, 0x2000, v3
	v_addc_co_u32_e32 v1, vcc, 0, v4, vcc
	s_waitcnt lgkmcnt(0)
	global_store_dword v[0:1], v2, off offset:2048
	s_endpgm
	.section	.rodata,"a",@progbits
	.p2align	6, 0x0
	.amdhsa_kernel _ZN7rocprim17ROCPRIM_400000_NS6detail17trampoline_kernelINS0_14default_configENS1_35adjacent_difference_config_selectorILb1EjEEZNS1_24adjacent_difference_implIS3_Lb1ELb0EPKjPjN6thrust23THRUST_200600_302600_NS4plusIjEEEE10hipError_tPvRmT2_T3_mT4_P12ihipStream_tbEUlT_E_NS1_11comp_targetILNS1_3genE2ELNS1_11target_archE906ELNS1_3gpuE6ELNS1_3repE0EEENS1_30default_config_static_selectorELNS0_4arch9wavefront6targetE1EEEvT1_
		.amdhsa_group_segment_fixed_size 11264
		.amdhsa_private_segment_fixed_size 0
		.amdhsa_kernarg_size 56
		.amdhsa_user_sgpr_count 6
		.amdhsa_user_sgpr_private_segment_buffer 1
		.amdhsa_user_sgpr_dispatch_ptr 0
		.amdhsa_user_sgpr_queue_ptr 0
		.amdhsa_user_sgpr_kernarg_segment_ptr 1
		.amdhsa_user_sgpr_dispatch_id 0
		.amdhsa_user_sgpr_flat_scratch_init 0
		.amdhsa_user_sgpr_private_segment_size 0
		.amdhsa_uses_dynamic_stack 0
		.amdhsa_system_sgpr_private_segment_wavefront_offset 0
		.amdhsa_system_sgpr_workgroup_id_x 1
		.amdhsa_system_sgpr_workgroup_id_y 0
		.amdhsa_system_sgpr_workgroup_id_z 0
		.amdhsa_system_sgpr_workgroup_info 0
		.amdhsa_system_vgpr_workitem_id 0
		.amdhsa_next_free_vgpr 41
		.amdhsa_next_free_sgpr 98
		.amdhsa_reserve_vcc 1
		.amdhsa_reserve_flat_scratch 0
		.amdhsa_float_round_mode_32 0
		.amdhsa_float_round_mode_16_64 0
		.amdhsa_float_denorm_mode_32 3
		.amdhsa_float_denorm_mode_16_64 3
		.amdhsa_dx10_clamp 1
		.amdhsa_ieee_mode 1
		.amdhsa_fp16_overflow 0
		.amdhsa_exception_fp_ieee_invalid_op 0
		.amdhsa_exception_fp_denorm_src 0
		.amdhsa_exception_fp_ieee_div_zero 0
		.amdhsa_exception_fp_ieee_overflow 0
		.amdhsa_exception_fp_ieee_underflow 0
		.amdhsa_exception_fp_ieee_inexact 0
		.amdhsa_exception_int_div_zero 0
	.end_amdhsa_kernel
	.section	.text._ZN7rocprim17ROCPRIM_400000_NS6detail17trampoline_kernelINS0_14default_configENS1_35adjacent_difference_config_selectorILb1EjEEZNS1_24adjacent_difference_implIS3_Lb1ELb0EPKjPjN6thrust23THRUST_200600_302600_NS4plusIjEEEE10hipError_tPvRmT2_T3_mT4_P12ihipStream_tbEUlT_E_NS1_11comp_targetILNS1_3genE2ELNS1_11target_archE906ELNS1_3gpuE6ELNS1_3repE0EEENS1_30default_config_static_selectorELNS0_4arch9wavefront6targetE1EEEvT1_,"axG",@progbits,_ZN7rocprim17ROCPRIM_400000_NS6detail17trampoline_kernelINS0_14default_configENS1_35adjacent_difference_config_selectorILb1EjEEZNS1_24adjacent_difference_implIS3_Lb1ELb0EPKjPjN6thrust23THRUST_200600_302600_NS4plusIjEEEE10hipError_tPvRmT2_T3_mT4_P12ihipStream_tbEUlT_E_NS1_11comp_targetILNS1_3genE2ELNS1_11target_archE906ELNS1_3gpuE6ELNS1_3repE0EEENS1_30default_config_static_selectorELNS0_4arch9wavefront6targetE1EEEvT1_,comdat
.Lfunc_end670:
	.size	_ZN7rocprim17ROCPRIM_400000_NS6detail17trampoline_kernelINS0_14default_configENS1_35adjacent_difference_config_selectorILb1EjEEZNS1_24adjacent_difference_implIS3_Lb1ELb0EPKjPjN6thrust23THRUST_200600_302600_NS4plusIjEEEE10hipError_tPvRmT2_T3_mT4_P12ihipStream_tbEUlT_E_NS1_11comp_targetILNS1_3genE2ELNS1_11target_archE906ELNS1_3gpuE6ELNS1_3repE0EEENS1_30default_config_static_selectorELNS0_4arch9wavefront6targetE1EEEvT1_, .Lfunc_end670-_ZN7rocprim17ROCPRIM_400000_NS6detail17trampoline_kernelINS0_14default_configENS1_35adjacent_difference_config_selectorILb1EjEEZNS1_24adjacent_difference_implIS3_Lb1ELb0EPKjPjN6thrust23THRUST_200600_302600_NS4plusIjEEEE10hipError_tPvRmT2_T3_mT4_P12ihipStream_tbEUlT_E_NS1_11comp_targetILNS1_3genE2ELNS1_11target_archE906ELNS1_3gpuE6ELNS1_3repE0EEENS1_30default_config_static_selectorELNS0_4arch9wavefront6targetE1EEEvT1_
                                        ; -- End function
	.set _ZN7rocprim17ROCPRIM_400000_NS6detail17trampoline_kernelINS0_14default_configENS1_35adjacent_difference_config_selectorILb1EjEEZNS1_24adjacent_difference_implIS3_Lb1ELb0EPKjPjN6thrust23THRUST_200600_302600_NS4plusIjEEEE10hipError_tPvRmT2_T3_mT4_P12ihipStream_tbEUlT_E_NS1_11comp_targetILNS1_3genE2ELNS1_11target_archE906ELNS1_3gpuE6ELNS1_3repE0EEENS1_30default_config_static_selectorELNS0_4arch9wavefront6targetE1EEEvT1_.num_vgpr, 27
	.set _ZN7rocprim17ROCPRIM_400000_NS6detail17trampoline_kernelINS0_14default_configENS1_35adjacent_difference_config_selectorILb1EjEEZNS1_24adjacent_difference_implIS3_Lb1ELb0EPKjPjN6thrust23THRUST_200600_302600_NS4plusIjEEEE10hipError_tPvRmT2_T3_mT4_P12ihipStream_tbEUlT_E_NS1_11comp_targetILNS1_3genE2ELNS1_11target_archE906ELNS1_3gpuE6ELNS1_3repE0EEENS1_30default_config_static_selectorELNS0_4arch9wavefront6targetE1EEEvT1_.num_agpr, 0
	.set _ZN7rocprim17ROCPRIM_400000_NS6detail17trampoline_kernelINS0_14default_configENS1_35adjacent_difference_config_selectorILb1EjEEZNS1_24adjacent_difference_implIS3_Lb1ELb0EPKjPjN6thrust23THRUST_200600_302600_NS4plusIjEEEE10hipError_tPvRmT2_T3_mT4_P12ihipStream_tbEUlT_E_NS1_11comp_targetILNS1_3genE2ELNS1_11target_archE906ELNS1_3gpuE6ELNS1_3repE0EEENS1_30default_config_static_selectorELNS0_4arch9wavefront6targetE1EEEvT1_.numbered_sgpr, 29
	.set _ZN7rocprim17ROCPRIM_400000_NS6detail17trampoline_kernelINS0_14default_configENS1_35adjacent_difference_config_selectorILb1EjEEZNS1_24adjacent_difference_implIS3_Lb1ELb0EPKjPjN6thrust23THRUST_200600_302600_NS4plusIjEEEE10hipError_tPvRmT2_T3_mT4_P12ihipStream_tbEUlT_E_NS1_11comp_targetILNS1_3genE2ELNS1_11target_archE906ELNS1_3gpuE6ELNS1_3repE0EEENS1_30default_config_static_selectorELNS0_4arch9wavefront6targetE1EEEvT1_.num_named_barrier, 0
	.set _ZN7rocprim17ROCPRIM_400000_NS6detail17trampoline_kernelINS0_14default_configENS1_35adjacent_difference_config_selectorILb1EjEEZNS1_24adjacent_difference_implIS3_Lb1ELb0EPKjPjN6thrust23THRUST_200600_302600_NS4plusIjEEEE10hipError_tPvRmT2_T3_mT4_P12ihipStream_tbEUlT_E_NS1_11comp_targetILNS1_3genE2ELNS1_11target_archE906ELNS1_3gpuE6ELNS1_3repE0EEENS1_30default_config_static_selectorELNS0_4arch9wavefront6targetE1EEEvT1_.private_seg_size, 0
	.set _ZN7rocprim17ROCPRIM_400000_NS6detail17trampoline_kernelINS0_14default_configENS1_35adjacent_difference_config_selectorILb1EjEEZNS1_24adjacent_difference_implIS3_Lb1ELb0EPKjPjN6thrust23THRUST_200600_302600_NS4plusIjEEEE10hipError_tPvRmT2_T3_mT4_P12ihipStream_tbEUlT_E_NS1_11comp_targetILNS1_3genE2ELNS1_11target_archE906ELNS1_3gpuE6ELNS1_3repE0EEENS1_30default_config_static_selectorELNS0_4arch9wavefront6targetE1EEEvT1_.uses_vcc, 1
	.set _ZN7rocprim17ROCPRIM_400000_NS6detail17trampoline_kernelINS0_14default_configENS1_35adjacent_difference_config_selectorILb1EjEEZNS1_24adjacent_difference_implIS3_Lb1ELb0EPKjPjN6thrust23THRUST_200600_302600_NS4plusIjEEEE10hipError_tPvRmT2_T3_mT4_P12ihipStream_tbEUlT_E_NS1_11comp_targetILNS1_3genE2ELNS1_11target_archE906ELNS1_3gpuE6ELNS1_3repE0EEENS1_30default_config_static_selectorELNS0_4arch9wavefront6targetE1EEEvT1_.uses_flat_scratch, 0
	.set _ZN7rocprim17ROCPRIM_400000_NS6detail17trampoline_kernelINS0_14default_configENS1_35adjacent_difference_config_selectorILb1EjEEZNS1_24adjacent_difference_implIS3_Lb1ELb0EPKjPjN6thrust23THRUST_200600_302600_NS4plusIjEEEE10hipError_tPvRmT2_T3_mT4_P12ihipStream_tbEUlT_E_NS1_11comp_targetILNS1_3genE2ELNS1_11target_archE906ELNS1_3gpuE6ELNS1_3repE0EEENS1_30default_config_static_selectorELNS0_4arch9wavefront6targetE1EEEvT1_.has_dyn_sized_stack, 0
	.set _ZN7rocprim17ROCPRIM_400000_NS6detail17trampoline_kernelINS0_14default_configENS1_35adjacent_difference_config_selectorILb1EjEEZNS1_24adjacent_difference_implIS3_Lb1ELb0EPKjPjN6thrust23THRUST_200600_302600_NS4plusIjEEEE10hipError_tPvRmT2_T3_mT4_P12ihipStream_tbEUlT_E_NS1_11comp_targetILNS1_3genE2ELNS1_11target_archE906ELNS1_3gpuE6ELNS1_3repE0EEENS1_30default_config_static_selectorELNS0_4arch9wavefront6targetE1EEEvT1_.has_recursion, 0
	.set _ZN7rocprim17ROCPRIM_400000_NS6detail17trampoline_kernelINS0_14default_configENS1_35adjacent_difference_config_selectorILb1EjEEZNS1_24adjacent_difference_implIS3_Lb1ELb0EPKjPjN6thrust23THRUST_200600_302600_NS4plusIjEEEE10hipError_tPvRmT2_T3_mT4_P12ihipStream_tbEUlT_E_NS1_11comp_targetILNS1_3genE2ELNS1_11target_archE906ELNS1_3gpuE6ELNS1_3repE0EEENS1_30default_config_static_selectorELNS0_4arch9wavefront6targetE1EEEvT1_.has_indirect_call, 0
	.section	.AMDGPU.csdata,"",@progbits
; Kernel info:
; codeLenInByte = 2968
; TotalNumSgprs: 33
; NumVgprs: 27
; ScratchSize: 0
; MemoryBound: 0
; FloatMode: 240
; IeeeMode: 1
; LDSByteSize: 11264 bytes/workgroup (compile time only)
; SGPRBlocks: 12
; VGPRBlocks: 10
; NumSGPRsForWavesPerEU: 102
; NumVGPRsForWavesPerEU: 41
; Occupancy: 5
; WaveLimiterHint : 1
; COMPUTE_PGM_RSRC2:SCRATCH_EN: 0
; COMPUTE_PGM_RSRC2:USER_SGPR: 6
; COMPUTE_PGM_RSRC2:TRAP_HANDLER: 0
; COMPUTE_PGM_RSRC2:TGID_X_EN: 1
; COMPUTE_PGM_RSRC2:TGID_Y_EN: 0
; COMPUTE_PGM_RSRC2:TGID_Z_EN: 0
; COMPUTE_PGM_RSRC2:TIDIG_COMP_CNT: 0
	.section	.text._ZN7rocprim17ROCPRIM_400000_NS6detail17trampoline_kernelINS0_14default_configENS1_35adjacent_difference_config_selectorILb1EjEEZNS1_24adjacent_difference_implIS3_Lb1ELb0EPKjPjN6thrust23THRUST_200600_302600_NS4plusIjEEEE10hipError_tPvRmT2_T3_mT4_P12ihipStream_tbEUlT_E_NS1_11comp_targetILNS1_3genE9ELNS1_11target_archE1100ELNS1_3gpuE3ELNS1_3repE0EEENS1_30default_config_static_selectorELNS0_4arch9wavefront6targetE1EEEvT1_,"axG",@progbits,_ZN7rocprim17ROCPRIM_400000_NS6detail17trampoline_kernelINS0_14default_configENS1_35adjacent_difference_config_selectorILb1EjEEZNS1_24adjacent_difference_implIS3_Lb1ELb0EPKjPjN6thrust23THRUST_200600_302600_NS4plusIjEEEE10hipError_tPvRmT2_T3_mT4_P12ihipStream_tbEUlT_E_NS1_11comp_targetILNS1_3genE9ELNS1_11target_archE1100ELNS1_3gpuE3ELNS1_3repE0EEENS1_30default_config_static_selectorELNS0_4arch9wavefront6targetE1EEEvT1_,comdat
	.protected	_ZN7rocprim17ROCPRIM_400000_NS6detail17trampoline_kernelINS0_14default_configENS1_35adjacent_difference_config_selectorILb1EjEEZNS1_24adjacent_difference_implIS3_Lb1ELb0EPKjPjN6thrust23THRUST_200600_302600_NS4plusIjEEEE10hipError_tPvRmT2_T3_mT4_P12ihipStream_tbEUlT_E_NS1_11comp_targetILNS1_3genE9ELNS1_11target_archE1100ELNS1_3gpuE3ELNS1_3repE0EEENS1_30default_config_static_selectorELNS0_4arch9wavefront6targetE1EEEvT1_ ; -- Begin function _ZN7rocprim17ROCPRIM_400000_NS6detail17trampoline_kernelINS0_14default_configENS1_35adjacent_difference_config_selectorILb1EjEEZNS1_24adjacent_difference_implIS3_Lb1ELb0EPKjPjN6thrust23THRUST_200600_302600_NS4plusIjEEEE10hipError_tPvRmT2_T3_mT4_P12ihipStream_tbEUlT_E_NS1_11comp_targetILNS1_3genE9ELNS1_11target_archE1100ELNS1_3gpuE3ELNS1_3repE0EEENS1_30default_config_static_selectorELNS0_4arch9wavefront6targetE1EEEvT1_
	.globl	_ZN7rocprim17ROCPRIM_400000_NS6detail17trampoline_kernelINS0_14default_configENS1_35adjacent_difference_config_selectorILb1EjEEZNS1_24adjacent_difference_implIS3_Lb1ELb0EPKjPjN6thrust23THRUST_200600_302600_NS4plusIjEEEE10hipError_tPvRmT2_T3_mT4_P12ihipStream_tbEUlT_E_NS1_11comp_targetILNS1_3genE9ELNS1_11target_archE1100ELNS1_3gpuE3ELNS1_3repE0EEENS1_30default_config_static_selectorELNS0_4arch9wavefront6targetE1EEEvT1_
	.p2align	8
	.type	_ZN7rocprim17ROCPRIM_400000_NS6detail17trampoline_kernelINS0_14default_configENS1_35adjacent_difference_config_selectorILb1EjEEZNS1_24adjacent_difference_implIS3_Lb1ELb0EPKjPjN6thrust23THRUST_200600_302600_NS4plusIjEEEE10hipError_tPvRmT2_T3_mT4_P12ihipStream_tbEUlT_E_NS1_11comp_targetILNS1_3genE9ELNS1_11target_archE1100ELNS1_3gpuE3ELNS1_3repE0EEENS1_30default_config_static_selectorELNS0_4arch9wavefront6targetE1EEEvT1_,@function
_ZN7rocprim17ROCPRIM_400000_NS6detail17trampoline_kernelINS0_14default_configENS1_35adjacent_difference_config_selectorILb1EjEEZNS1_24adjacent_difference_implIS3_Lb1ELb0EPKjPjN6thrust23THRUST_200600_302600_NS4plusIjEEEE10hipError_tPvRmT2_T3_mT4_P12ihipStream_tbEUlT_E_NS1_11comp_targetILNS1_3genE9ELNS1_11target_archE1100ELNS1_3gpuE3ELNS1_3repE0EEENS1_30default_config_static_selectorELNS0_4arch9wavefront6targetE1EEEvT1_: ; @_ZN7rocprim17ROCPRIM_400000_NS6detail17trampoline_kernelINS0_14default_configENS1_35adjacent_difference_config_selectorILb1EjEEZNS1_24adjacent_difference_implIS3_Lb1ELb0EPKjPjN6thrust23THRUST_200600_302600_NS4plusIjEEEE10hipError_tPvRmT2_T3_mT4_P12ihipStream_tbEUlT_E_NS1_11comp_targetILNS1_3genE9ELNS1_11target_archE1100ELNS1_3gpuE3ELNS1_3repE0EEENS1_30default_config_static_selectorELNS0_4arch9wavefront6targetE1EEEvT1_
; %bb.0:
	.section	.rodata,"a",@progbits
	.p2align	6, 0x0
	.amdhsa_kernel _ZN7rocprim17ROCPRIM_400000_NS6detail17trampoline_kernelINS0_14default_configENS1_35adjacent_difference_config_selectorILb1EjEEZNS1_24adjacent_difference_implIS3_Lb1ELb0EPKjPjN6thrust23THRUST_200600_302600_NS4plusIjEEEE10hipError_tPvRmT2_T3_mT4_P12ihipStream_tbEUlT_E_NS1_11comp_targetILNS1_3genE9ELNS1_11target_archE1100ELNS1_3gpuE3ELNS1_3repE0EEENS1_30default_config_static_selectorELNS0_4arch9wavefront6targetE1EEEvT1_
		.amdhsa_group_segment_fixed_size 0
		.amdhsa_private_segment_fixed_size 0
		.amdhsa_kernarg_size 56
		.amdhsa_user_sgpr_count 6
		.amdhsa_user_sgpr_private_segment_buffer 1
		.amdhsa_user_sgpr_dispatch_ptr 0
		.amdhsa_user_sgpr_queue_ptr 0
		.amdhsa_user_sgpr_kernarg_segment_ptr 1
		.amdhsa_user_sgpr_dispatch_id 0
		.amdhsa_user_sgpr_flat_scratch_init 0
		.amdhsa_user_sgpr_private_segment_size 0
		.amdhsa_uses_dynamic_stack 0
		.amdhsa_system_sgpr_private_segment_wavefront_offset 0
		.amdhsa_system_sgpr_workgroup_id_x 1
		.amdhsa_system_sgpr_workgroup_id_y 0
		.amdhsa_system_sgpr_workgroup_id_z 0
		.amdhsa_system_sgpr_workgroup_info 0
		.amdhsa_system_vgpr_workitem_id 0
		.amdhsa_next_free_vgpr 1
		.amdhsa_next_free_sgpr 0
		.amdhsa_reserve_vcc 0
		.amdhsa_reserve_flat_scratch 0
		.amdhsa_float_round_mode_32 0
		.amdhsa_float_round_mode_16_64 0
		.amdhsa_float_denorm_mode_32 3
		.amdhsa_float_denorm_mode_16_64 3
		.amdhsa_dx10_clamp 1
		.amdhsa_ieee_mode 1
		.amdhsa_fp16_overflow 0
		.amdhsa_exception_fp_ieee_invalid_op 0
		.amdhsa_exception_fp_denorm_src 0
		.amdhsa_exception_fp_ieee_div_zero 0
		.amdhsa_exception_fp_ieee_overflow 0
		.amdhsa_exception_fp_ieee_underflow 0
		.amdhsa_exception_fp_ieee_inexact 0
		.amdhsa_exception_int_div_zero 0
	.end_amdhsa_kernel
	.section	.text._ZN7rocprim17ROCPRIM_400000_NS6detail17trampoline_kernelINS0_14default_configENS1_35adjacent_difference_config_selectorILb1EjEEZNS1_24adjacent_difference_implIS3_Lb1ELb0EPKjPjN6thrust23THRUST_200600_302600_NS4plusIjEEEE10hipError_tPvRmT2_T3_mT4_P12ihipStream_tbEUlT_E_NS1_11comp_targetILNS1_3genE9ELNS1_11target_archE1100ELNS1_3gpuE3ELNS1_3repE0EEENS1_30default_config_static_selectorELNS0_4arch9wavefront6targetE1EEEvT1_,"axG",@progbits,_ZN7rocprim17ROCPRIM_400000_NS6detail17trampoline_kernelINS0_14default_configENS1_35adjacent_difference_config_selectorILb1EjEEZNS1_24adjacent_difference_implIS3_Lb1ELb0EPKjPjN6thrust23THRUST_200600_302600_NS4plusIjEEEE10hipError_tPvRmT2_T3_mT4_P12ihipStream_tbEUlT_E_NS1_11comp_targetILNS1_3genE9ELNS1_11target_archE1100ELNS1_3gpuE3ELNS1_3repE0EEENS1_30default_config_static_selectorELNS0_4arch9wavefront6targetE1EEEvT1_,comdat
.Lfunc_end671:
	.size	_ZN7rocprim17ROCPRIM_400000_NS6detail17trampoline_kernelINS0_14default_configENS1_35adjacent_difference_config_selectorILb1EjEEZNS1_24adjacent_difference_implIS3_Lb1ELb0EPKjPjN6thrust23THRUST_200600_302600_NS4plusIjEEEE10hipError_tPvRmT2_T3_mT4_P12ihipStream_tbEUlT_E_NS1_11comp_targetILNS1_3genE9ELNS1_11target_archE1100ELNS1_3gpuE3ELNS1_3repE0EEENS1_30default_config_static_selectorELNS0_4arch9wavefront6targetE1EEEvT1_, .Lfunc_end671-_ZN7rocprim17ROCPRIM_400000_NS6detail17trampoline_kernelINS0_14default_configENS1_35adjacent_difference_config_selectorILb1EjEEZNS1_24adjacent_difference_implIS3_Lb1ELb0EPKjPjN6thrust23THRUST_200600_302600_NS4plusIjEEEE10hipError_tPvRmT2_T3_mT4_P12ihipStream_tbEUlT_E_NS1_11comp_targetILNS1_3genE9ELNS1_11target_archE1100ELNS1_3gpuE3ELNS1_3repE0EEENS1_30default_config_static_selectorELNS0_4arch9wavefront6targetE1EEEvT1_
                                        ; -- End function
	.set _ZN7rocprim17ROCPRIM_400000_NS6detail17trampoline_kernelINS0_14default_configENS1_35adjacent_difference_config_selectorILb1EjEEZNS1_24adjacent_difference_implIS3_Lb1ELb0EPKjPjN6thrust23THRUST_200600_302600_NS4plusIjEEEE10hipError_tPvRmT2_T3_mT4_P12ihipStream_tbEUlT_E_NS1_11comp_targetILNS1_3genE9ELNS1_11target_archE1100ELNS1_3gpuE3ELNS1_3repE0EEENS1_30default_config_static_selectorELNS0_4arch9wavefront6targetE1EEEvT1_.num_vgpr, 0
	.set _ZN7rocprim17ROCPRIM_400000_NS6detail17trampoline_kernelINS0_14default_configENS1_35adjacent_difference_config_selectorILb1EjEEZNS1_24adjacent_difference_implIS3_Lb1ELb0EPKjPjN6thrust23THRUST_200600_302600_NS4plusIjEEEE10hipError_tPvRmT2_T3_mT4_P12ihipStream_tbEUlT_E_NS1_11comp_targetILNS1_3genE9ELNS1_11target_archE1100ELNS1_3gpuE3ELNS1_3repE0EEENS1_30default_config_static_selectorELNS0_4arch9wavefront6targetE1EEEvT1_.num_agpr, 0
	.set _ZN7rocprim17ROCPRIM_400000_NS6detail17trampoline_kernelINS0_14default_configENS1_35adjacent_difference_config_selectorILb1EjEEZNS1_24adjacent_difference_implIS3_Lb1ELb0EPKjPjN6thrust23THRUST_200600_302600_NS4plusIjEEEE10hipError_tPvRmT2_T3_mT4_P12ihipStream_tbEUlT_E_NS1_11comp_targetILNS1_3genE9ELNS1_11target_archE1100ELNS1_3gpuE3ELNS1_3repE0EEENS1_30default_config_static_selectorELNS0_4arch9wavefront6targetE1EEEvT1_.numbered_sgpr, 0
	.set _ZN7rocprim17ROCPRIM_400000_NS6detail17trampoline_kernelINS0_14default_configENS1_35adjacent_difference_config_selectorILb1EjEEZNS1_24adjacent_difference_implIS3_Lb1ELb0EPKjPjN6thrust23THRUST_200600_302600_NS4plusIjEEEE10hipError_tPvRmT2_T3_mT4_P12ihipStream_tbEUlT_E_NS1_11comp_targetILNS1_3genE9ELNS1_11target_archE1100ELNS1_3gpuE3ELNS1_3repE0EEENS1_30default_config_static_selectorELNS0_4arch9wavefront6targetE1EEEvT1_.num_named_barrier, 0
	.set _ZN7rocprim17ROCPRIM_400000_NS6detail17trampoline_kernelINS0_14default_configENS1_35adjacent_difference_config_selectorILb1EjEEZNS1_24adjacent_difference_implIS3_Lb1ELb0EPKjPjN6thrust23THRUST_200600_302600_NS4plusIjEEEE10hipError_tPvRmT2_T3_mT4_P12ihipStream_tbEUlT_E_NS1_11comp_targetILNS1_3genE9ELNS1_11target_archE1100ELNS1_3gpuE3ELNS1_3repE0EEENS1_30default_config_static_selectorELNS0_4arch9wavefront6targetE1EEEvT1_.private_seg_size, 0
	.set _ZN7rocprim17ROCPRIM_400000_NS6detail17trampoline_kernelINS0_14default_configENS1_35adjacent_difference_config_selectorILb1EjEEZNS1_24adjacent_difference_implIS3_Lb1ELb0EPKjPjN6thrust23THRUST_200600_302600_NS4plusIjEEEE10hipError_tPvRmT2_T3_mT4_P12ihipStream_tbEUlT_E_NS1_11comp_targetILNS1_3genE9ELNS1_11target_archE1100ELNS1_3gpuE3ELNS1_3repE0EEENS1_30default_config_static_selectorELNS0_4arch9wavefront6targetE1EEEvT1_.uses_vcc, 0
	.set _ZN7rocprim17ROCPRIM_400000_NS6detail17trampoline_kernelINS0_14default_configENS1_35adjacent_difference_config_selectorILb1EjEEZNS1_24adjacent_difference_implIS3_Lb1ELb0EPKjPjN6thrust23THRUST_200600_302600_NS4plusIjEEEE10hipError_tPvRmT2_T3_mT4_P12ihipStream_tbEUlT_E_NS1_11comp_targetILNS1_3genE9ELNS1_11target_archE1100ELNS1_3gpuE3ELNS1_3repE0EEENS1_30default_config_static_selectorELNS0_4arch9wavefront6targetE1EEEvT1_.uses_flat_scratch, 0
	.set _ZN7rocprim17ROCPRIM_400000_NS6detail17trampoline_kernelINS0_14default_configENS1_35adjacent_difference_config_selectorILb1EjEEZNS1_24adjacent_difference_implIS3_Lb1ELb0EPKjPjN6thrust23THRUST_200600_302600_NS4plusIjEEEE10hipError_tPvRmT2_T3_mT4_P12ihipStream_tbEUlT_E_NS1_11comp_targetILNS1_3genE9ELNS1_11target_archE1100ELNS1_3gpuE3ELNS1_3repE0EEENS1_30default_config_static_selectorELNS0_4arch9wavefront6targetE1EEEvT1_.has_dyn_sized_stack, 0
	.set _ZN7rocprim17ROCPRIM_400000_NS6detail17trampoline_kernelINS0_14default_configENS1_35adjacent_difference_config_selectorILb1EjEEZNS1_24adjacent_difference_implIS3_Lb1ELb0EPKjPjN6thrust23THRUST_200600_302600_NS4plusIjEEEE10hipError_tPvRmT2_T3_mT4_P12ihipStream_tbEUlT_E_NS1_11comp_targetILNS1_3genE9ELNS1_11target_archE1100ELNS1_3gpuE3ELNS1_3repE0EEENS1_30default_config_static_selectorELNS0_4arch9wavefront6targetE1EEEvT1_.has_recursion, 0
	.set _ZN7rocprim17ROCPRIM_400000_NS6detail17trampoline_kernelINS0_14default_configENS1_35adjacent_difference_config_selectorILb1EjEEZNS1_24adjacent_difference_implIS3_Lb1ELb0EPKjPjN6thrust23THRUST_200600_302600_NS4plusIjEEEE10hipError_tPvRmT2_T3_mT4_P12ihipStream_tbEUlT_E_NS1_11comp_targetILNS1_3genE9ELNS1_11target_archE1100ELNS1_3gpuE3ELNS1_3repE0EEENS1_30default_config_static_selectorELNS0_4arch9wavefront6targetE1EEEvT1_.has_indirect_call, 0
	.section	.AMDGPU.csdata,"",@progbits
; Kernel info:
; codeLenInByte = 0
; TotalNumSgprs: 4
; NumVgprs: 0
; ScratchSize: 0
; MemoryBound: 0
; FloatMode: 240
; IeeeMode: 1
; LDSByteSize: 0 bytes/workgroup (compile time only)
; SGPRBlocks: 0
; VGPRBlocks: 0
; NumSGPRsForWavesPerEU: 4
; NumVGPRsForWavesPerEU: 1
; Occupancy: 10
; WaveLimiterHint : 0
; COMPUTE_PGM_RSRC2:SCRATCH_EN: 0
; COMPUTE_PGM_RSRC2:USER_SGPR: 6
; COMPUTE_PGM_RSRC2:TRAP_HANDLER: 0
; COMPUTE_PGM_RSRC2:TGID_X_EN: 1
; COMPUTE_PGM_RSRC2:TGID_Y_EN: 0
; COMPUTE_PGM_RSRC2:TGID_Z_EN: 0
; COMPUTE_PGM_RSRC2:TIDIG_COMP_CNT: 0
	.section	.text._ZN7rocprim17ROCPRIM_400000_NS6detail17trampoline_kernelINS0_14default_configENS1_35adjacent_difference_config_selectorILb1EjEEZNS1_24adjacent_difference_implIS3_Lb1ELb0EPKjPjN6thrust23THRUST_200600_302600_NS4plusIjEEEE10hipError_tPvRmT2_T3_mT4_P12ihipStream_tbEUlT_E_NS1_11comp_targetILNS1_3genE8ELNS1_11target_archE1030ELNS1_3gpuE2ELNS1_3repE0EEENS1_30default_config_static_selectorELNS0_4arch9wavefront6targetE1EEEvT1_,"axG",@progbits,_ZN7rocprim17ROCPRIM_400000_NS6detail17trampoline_kernelINS0_14default_configENS1_35adjacent_difference_config_selectorILb1EjEEZNS1_24adjacent_difference_implIS3_Lb1ELb0EPKjPjN6thrust23THRUST_200600_302600_NS4plusIjEEEE10hipError_tPvRmT2_T3_mT4_P12ihipStream_tbEUlT_E_NS1_11comp_targetILNS1_3genE8ELNS1_11target_archE1030ELNS1_3gpuE2ELNS1_3repE0EEENS1_30default_config_static_selectorELNS0_4arch9wavefront6targetE1EEEvT1_,comdat
	.protected	_ZN7rocprim17ROCPRIM_400000_NS6detail17trampoline_kernelINS0_14default_configENS1_35adjacent_difference_config_selectorILb1EjEEZNS1_24adjacent_difference_implIS3_Lb1ELb0EPKjPjN6thrust23THRUST_200600_302600_NS4plusIjEEEE10hipError_tPvRmT2_T3_mT4_P12ihipStream_tbEUlT_E_NS1_11comp_targetILNS1_3genE8ELNS1_11target_archE1030ELNS1_3gpuE2ELNS1_3repE0EEENS1_30default_config_static_selectorELNS0_4arch9wavefront6targetE1EEEvT1_ ; -- Begin function _ZN7rocprim17ROCPRIM_400000_NS6detail17trampoline_kernelINS0_14default_configENS1_35adjacent_difference_config_selectorILb1EjEEZNS1_24adjacent_difference_implIS3_Lb1ELb0EPKjPjN6thrust23THRUST_200600_302600_NS4plusIjEEEE10hipError_tPvRmT2_T3_mT4_P12ihipStream_tbEUlT_E_NS1_11comp_targetILNS1_3genE8ELNS1_11target_archE1030ELNS1_3gpuE2ELNS1_3repE0EEENS1_30default_config_static_selectorELNS0_4arch9wavefront6targetE1EEEvT1_
	.globl	_ZN7rocprim17ROCPRIM_400000_NS6detail17trampoline_kernelINS0_14default_configENS1_35adjacent_difference_config_selectorILb1EjEEZNS1_24adjacent_difference_implIS3_Lb1ELb0EPKjPjN6thrust23THRUST_200600_302600_NS4plusIjEEEE10hipError_tPvRmT2_T3_mT4_P12ihipStream_tbEUlT_E_NS1_11comp_targetILNS1_3genE8ELNS1_11target_archE1030ELNS1_3gpuE2ELNS1_3repE0EEENS1_30default_config_static_selectorELNS0_4arch9wavefront6targetE1EEEvT1_
	.p2align	8
	.type	_ZN7rocprim17ROCPRIM_400000_NS6detail17trampoline_kernelINS0_14default_configENS1_35adjacent_difference_config_selectorILb1EjEEZNS1_24adjacent_difference_implIS3_Lb1ELb0EPKjPjN6thrust23THRUST_200600_302600_NS4plusIjEEEE10hipError_tPvRmT2_T3_mT4_P12ihipStream_tbEUlT_E_NS1_11comp_targetILNS1_3genE8ELNS1_11target_archE1030ELNS1_3gpuE2ELNS1_3repE0EEENS1_30default_config_static_selectorELNS0_4arch9wavefront6targetE1EEEvT1_,@function
_ZN7rocprim17ROCPRIM_400000_NS6detail17trampoline_kernelINS0_14default_configENS1_35adjacent_difference_config_selectorILb1EjEEZNS1_24adjacent_difference_implIS3_Lb1ELb0EPKjPjN6thrust23THRUST_200600_302600_NS4plusIjEEEE10hipError_tPvRmT2_T3_mT4_P12ihipStream_tbEUlT_E_NS1_11comp_targetILNS1_3genE8ELNS1_11target_archE1030ELNS1_3gpuE2ELNS1_3repE0EEENS1_30default_config_static_selectorELNS0_4arch9wavefront6targetE1EEEvT1_: ; @_ZN7rocprim17ROCPRIM_400000_NS6detail17trampoline_kernelINS0_14default_configENS1_35adjacent_difference_config_selectorILb1EjEEZNS1_24adjacent_difference_implIS3_Lb1ELb0EPKjPjN6thrust23THRUST_200600_302600_NS4plusIjEEEE10hipError_tPvRmT2_T3_mT4_P12ihipStream_tbEUlT_E_NS1_11comp_targetILNS1_3genE8ELNS1_11target_archE1030ELNS1_3gpuE2ELNS1_3repE0EEENS1_30default_config_static_selectorELNS0_4arch9wavefront6targetE1EEEvT1_
; %bb.0:
	.section	.rodata,"a",@progbits
	.p2align	6, 0x0
	.amdhsa_kernel _ZN7rocprim17ROCPRIM_400000_NS6detail17trampoline_kernelINS0_14default_configENS1_35adjacent_difference_config_selectorILb1EjEEZNS1_24adjacent_difference_implIS3_Lb1ELb0EPKjPjN6thrust23THRUST_200600_302600_NS4plusIjEEEE10hipError_tPvRmT2_T3_mT4_P12ihipStream_tbEUlT_E_NS1_11comp_targetILNS1_3genE8ELNS1_11target_archE1030ELNS1_3gpuE2ELNS1_3repE0EEENS1_30default_config_static_selectorELNS0_4arch9wavefront6targetE1EEEvT1_
		.amdhsa_group_segment_fixed_size 0
		.amdhsa_private_segment_fixed_size 0
		.amdhsa_kernarg_size 56
		.amdhsa_user_sgpr_count 6
		.amdhsa_user_sgpr_private_segment_buffer 1
		.amdhsa_user_sgpr_dispatch_ptr 0
		.amdhsa_user_sgpr_queue_ptr 0
		.amdhsa_user_sgpr_kernarg_segment_ptr 1
		.amdhsa_user_sgpr_dispatch_id 0
		.amdhsa_user_sgpr_flat_scratch_init 0
		.amdhsa_user_sgpr_private_segment_size 0
		.amdhsa_uses_dynamic_stack 0
		.amdhsa_system_sgpr_private_segment_wavefront_offset 0
		.amdhsa_system_sgpr_workgroup_id_x 1
		.amdhsa_system_sgpr_workgroup_id_y 0
		.amdhsa_system_sgpr_workgroup_id_z 0
		.amdhsa_system_sgpr_workgroup_info 0
		.amdhsa_system_vgpr_workitem_id 0
		.amdhsa_next_free_vgpr 1
		.amdhsa_next_free_sgpr 0
		.amdhsa_reserve_vcc 0
		.amdhsa_reserve_flat_scratch 0
		.amdhsa_float_round_mode_32 0
		.amdhsa_float_round_mode_16_64 0
		.amdhsa_float_denorm_mode_32 3
		.amdhsa_float_denorm_mode_16_64 3
		.amdhsa_dx10_clamp 1
		.amdhsa_ieee_mode 1
		.amdhsa_fp16_overflow 0
		.amdhsa_exception_fp_ieee_invalid_op 0
		.amdhsa_exception_fp_denorm_src 0
		.amdhsa_exception_fp_ieee_div_zero 0
		.amdhsa_exception_fp_ieee_overflow 0
		.amdhsa_exception_fp_ieee_underflow 0
		.amdhsa_exception_fp_ieee_inexact 0
		.amdhsa_exception_int_div_zero 0
	.end_amdhsa_kernel
	.section	.text._ZN7rocprim17ROCPRIM_400000_NS6detail17trampoline_kernelINS0_14default_configENS1_35adjacent_difference_config_selectorILb1EjEEZNS1_24adjacent_difference_implIS3_Lb1ELb0EPKjPjN6thrust23THRUST_200600_302600_NS4plusIjEEEE10hipError_tPvRmT2_T3_mT4_P12ihipStream_tbEUlT_E_NS1_11comp_targetILNS1_3genE8ELNS1_11target_archE1030ELNS1_3gpuE2ELNS1_3repE0EEENS1_30default_config_static_selectorELNS0_4arch9wavefront6targetE1EEEvT1_,"axG",@progbits,_ZN7rocprim17ROCPRIM_400000_NS6detail17trampoline_kernelINS0_14default_configENS1_35adjacent_difference_config_selectorILb1EjEEZNS1_24adjacent_difference_implIS3_Lb1ELb0EPKjPjN6thrust23THRUST_200600_302600_NS4plusIjEEEE10hipError_tPvRmT2_T3_mT4_P12ihipStream_tbEUlT_E_NS1_11comp_targetILNS1_3genE8ELNS1_11target_archE1030ELNS1_3gpuE2ELNS1_3repE0EEENS1_30default_config_static_selectorELNS0_4arch9wavefront6targetE1EEEvT1_,comdat
.Lfunc_end672:
	.size	_ZN7rocprim17ROCPRIM_400000_NS6detail17trampoline_kernelINS0_14default_configENS1_35adjacent_difference_config_selectorILb1EjEEZNS1_24adjacent_difference_implIS3_Lb1ELb0EPKjPjN6thrust23THRUST_200600_302600_NS4plusIjEEEE10hipError_tPvRmT2_T3_mT4_P12ihipStream_tbEUlT_E_NS1_11comp_targetILNS1_3genE8ELNS1_11target_archE1030ELNS1_3gpuE2ELNS1_3repE0EEENS1_30default_config_static_selectorELNS0_4arch9wavefront6targetE1EEEvT1_, .Lfunc_end672-_ZN7rocprim17ROCPRIM_400000_NS6detail17trampoline_kernelINS0_14default_configENS1_35adjacent_difference_config_selectorILb1EjEEZNS1_24adjacent_difference_implIS3_Lb1ELb0EPKjPjN6thrust23THRUST_200600_302600_NS4plusIjEEEE10hipError_tPvRmT2_T3_mT4_P12ihipStream_tbEUlT_E_NS1_11comp_targetILNS1_3genE8ELNS1_11target_archE1030ELNS1_3gpuE2ELNS1_3repE0EEENS1_30default_config_static_selectorELNS0_4arch9wavefront6targetE1EEEvT1_
                                        ; -- End function
	.set _ZN7rocprim17ROCPRIM_400000_NS6detail17trampoline_kernelINS0_14default_configENS1_35adjacent_difference_config_selectorILb1EjEEZNS1_24adjacent_difference_implIS3_Lb1ELb0EPKjPjN6thrust23THRUST_200600_302600_NS4plusIjEEEE10hipError_tPvRmT2_T3_mT4_P12ihipStream_tbEUlT_E_NS1_11comp_targetILNS1_3genE8ELNS1_11target_archE1030ELNS1_3gpuE2ELNS1_3repE0EEENS1_30default_config_static_selectorELNS0_4arch9wavefront6targetE1EEEvT1_.num_vgpr, 0
	.set _ZN7rocprim17ROCPRIM_400000_NS6detail17trampoline_kernelINS0_14default_configENS1_35adjacent_difference_config_selectorILb1EjEEZNS1_24adjacent_difference_implIS3_Lb1ELb0EPKjPjN6thrust23THRUST_200600_302600_NS4plusIjEEEE10hipError_tPvRmT2_T3_mT4_P12ihipStream_tbEUlT_E_NS1_11comp_targetILNS1_3genE8ELNS1_11target_archE1030ELNS1_3gpuE2ELNS1_3repE0EEENS1_30default_config_static_selectorELNS0_4arch9wavefront6targetE1EEEvT1_.num_agpr, 0
	.set _ZN7rocprim17ROCPRIM_400000_NS6detail17trampoline_kernelINS0_14default_configENS1_35adjacent_difference_config_selectorILb1EjEEZNS1_24adjacent_difference_implIS3_Lb1ELb0EPKjPjN6thrust23THRUST_200600_302600_NS4plusIjEEEE10hipError_tPvRmT2_T3_mT4_P12ihipStream_tbEUlT_E_NS1_11comp_targetILNS1_3genE8ELNS1_11target_archE1030ELNS1_3gpuE2ELNS1_3repE0EEENS1_30default_config_static_selectorELNS0_4arch9wavefront6targetE1EEEvT1_.numbered_sgpr, 0
	.set _ZN7rocprim17ROCPRIM_400000_NS6detail17trampoline_kernelINS0_14default_configENS1_35adjacent_difference_config_selectorILb1EjEEZNS1_24adjacent_difference_implIS3_Lb1ELb0EPKjPjN6thrust23THRUST_200600_302600_NS4plusIjEEEE10hipError_tPvRmT2_T3_mT4_P12ihipStream_tbEUlT_E_NS1_11comp_targetILNS1_3genE8ELNS1_11target_archE1030ELNS1_3gpuE2ELNS1_3repE0EEENS1_30default_config_static_selectorELNS0_4arch9wavefront6targetE1EEEvT1_.num_named_barrier, 0
	.set _ZN7rocprim17ROCPRIM_400000_NS6detail17trampoline_kernelINS0_14default_configENS1_35adjacent_difference_config_selectorILb1EjEEZNS1_24adjacent_difference_implIS3_Lb1ELb0EPKjPjN6thrust23THRUST_200600_302600_NS4plusIjEEEE10hipError_tPvRmT2_T3_mT4_P12ihipStream_tbEUlT_E_NS1_11comp_targetILNS1_3genE8ELNS1_11target_archE1030ELNS1_3gpuE2ELNS1_3repE0EEENS1_30default_config_static_selectorELNS0_4arch9wavefront6targetE1EEEvT1_.private_seg_size, 0
	.set _ZN7rocprim17ROCPRIM_400000_NS6detail17trampoline_kernelINS0_14default_configENS1_35adjacent_difference_config_selectorILb1EjEEZNS1_24adjacent_difference_implIS3_Lb1ELb0EPKjPjN6thrust23THRUST_200600_302600_NS4plusIjEEEE10hipError_tPvRmT2_T3_mT4_P12ihipStream_tbEUlT_E_NS1_11comp_targetILNS1_3genE8ELNS1_11target_archE1030ELNS1_3gpuE2ELNS1_3repE0EEENS1_30default_config_static_selectorELNS0_4arch9wavefront6targetE1EEEvT1_.uses_vcc, 0
	.set _ZN7rocprim17ROCPRIM_400000_NS6detail17trampoline_kernelINS0_14default_configENS1_35adjacent_difference_config_selectorILb1EjEEZNS1_24adjacent_difference_implIS3_Lb1ELb0EPKjPjN6thrust23THRUST_200600_302600_NS4plusIjEEEE10hipError_tPvRmT2_T3_mT4_P12ihipStream_tbEUlT_E_NS1_11comp_targetILNS1_3genE8ELNS1_11target_archE1030ELNS1_3gpuE2ELNS1_3repE0EEENS1_30default_config_static_selectorELNS0_4arch9wavefront6targetE1EEEvT1_.uses_flat_scratch, 0
	.set _ZN7rocprim17ROCPRIM_400000_NS6detail17trampoline_kernelINS0_14default_configENS1_35adjacent_difference_config_selectorILb1EjEEZNS1_24adjacent_difference_implIS3_Lb1ELb0EPKjPjN6thrust23THRUST_200600_302600_NS4plusIjEEEE10hipError_tPvRmT2_T3_mT4_P12ihipStream_tbEUlT_E_NS1_11comp_targetILNS1_3genE8ELNS1_11target_archE1030ELNS1_3gpuE2ELNS1_3repE0EEENS1_30default_config_static_selectorELNS0_4arch9wavefront6targetE1EEEvT1_.has_dyn_sized_stack, 0
	.set _ZN7rocprim17ROCPRIM_400000_NS6detail17trampoline_kernelINS0_14default_configENS1_35adjacent_difference_config_selectorILb1EjEEZNS1_24adjacent_difference_implIS3_Lb1ELb0EPKjPjN6thrust23THRUST_200600_302600_NS4plusIjEEEE10hipError_tPvRmT2_T3_mT4_P12ihipStream_tbEUlT_E_NS1_11comp_targetILNS1_3genE8ELNS1_11target_archE1030ELNS1_3gpuE2ELNS1_3repE0EEENS1_30default_config_static_selectorELNS0_4arch9wavefront6targetE1EEEvT1_.has_recursion, 0
	.set _ZN7rocprim17ROCPRIM_400000_NS6detail17trampoline_kernelINS0_14default_configENS1_35adjacent_difference_config_selectorILb1EjEEZNS1_24adjacent_difference_implIS3_Lb1ELb0EPKjPjN6thrust23THRUST_200600_302600_NS4plusIjEEEE10hipError_tPvRmT2_T3_mT4_P12ihipStream_tbEUlT_E_NS1_11comp_targetILNS1_3genE8ELNS1_11target_archE1030ELNS1_3gpuE2ELNS1_3repE0EEENS1_30default_config_static_selectorELNS0_4arch9wavefront6targetE1EEEvT1_.has_indirect_call, 0
	.section	.AMDGPU.csdata,"",@progbits
; Kernel info:
; codeLenInByte = 0
; TotalNumSgprs: 4
; NumVgprs: 0
; ScratchSize: 0
; MemoryBound: 0
; FloatMode: 240
; IeeeMode: 1
; LDSByteSize: 0 bytes/workgroup (compile time only)
; SGPRBlocks: 0
; VGPRBlocks: 0
; NumSGPRsForWavesPerEU: 4
; NumVGPRsForWavesPerEU: 1
; Occupancy: 10
; WaveLimiterHint : 0
; COMPUTE_PGM_RSRC2:SCRATCH_EN: 0
; COMPUTE_PGM_RSRC2:USER_SGPR: 6
; COMPUTE_PGM_RSRC2:TRAP_HANDLER: 0
; COMPUTE_PGM_RSRC2:TGID_X_EN: 1
; COMPUTE_PGM_RSRC2:TGID_Y_EN: 0
; COMPUTE_PGM_RSRC2:TGID_Z_EN: 0
; COMPUTE_PGM_RSRC2:TIDIG_COMP_CNT: 0
	.section	.text._ZN7rocprim17ROCPRIM_400000_NS6detail17trampoline_kernelINS0_14default_configENS1_35adjacent_difference_config_selectorILb0EtEEZNS1_24adjacent_difference_implIS3_Lb0ELb0EPKtPtN6thrust23THRUST_200600_302600_NS4plusItEEEE10hipError_tPvRmT2_T3_mT4_P12ihipStream_tbEUlT_E_NS1_11comp_targetILNS1_3genE0ELNS1_11target_archE4294967295ELNS1_3gpuE0ELNS1_3repE0EEENS1_30default_config_static_selectorELNS0_4arch9wavefront6targetE1EEEvT1_,"axG",@progbits,_ZN7rocprim17ROCPRIM_400000_NS6detail17trampoline_kernelINS0_14default_configENS1_35adjacent_difference_config_selectorILb0EtEEZNS1_24adjacent_difference_implIS3_Lb0ELb0EPKtPtN6thrust23THRUST_200600_302600_NS4plusItEEEE10hipError_tPvRmT2_T3_mT4_P12ihipStream_tbEUlT_E_NS1_11comp_targetILNS1_3genE0ELNS1_11target_archE4294967295ELNS1_3gpuE0ELNS1_3repE0EEENS1_30default_config_static_selectorELNS0_4arch9wavefront6targetE1EEEvT1_,comdat
	.protected	_ZN7rocprim17ROCPRIM_400000_NS6detail17trampoline_kernelINS0_14default_configENS1_35adjacent_difference_config_selectorILb0EtEEZNS1_24adjacent_difference_implIS3_Lb0ELb0EPKtPtN6thrust23THRUST_200600_302600_NS4plusItEEEE10hipError_tPvRmT2_T3_mT4_P12ihipStream_tbEUlT_E_NS1_11comp_targetILNS1_3genE0ELNS1_11target_archE4294967295ELNS1_3gpuE0ELNS1_3repE0EEENS1_30default_config_static_selectorELNS0_4arch9wavefront6targetE1EEEvT1_ ; -- Begin function _ZN7rocprim17ROCPRIM_400000_NS6detail17trampoline_kernelINS0_14default_configENS1_35adjacent_difference_config_selectorILb0EtEEZNS1_24adjacent_difference_implIS3_Lb0ELb0EPKtPtN6thrust23THRUST_200600_302600_NS4plusItEEEE10hipError_tPvRmT2_T3_mT4_P12ihipStream_tbEUlT_E_NS1_11comp_targetILNS1_3genE0ELNS1_11target_archE4294967295ELNS1_3gpuE0ELNS1_3repE0EEENS1_30default_config_static_selectorELNS0_4arch9wavefront6targetE1EEEvT1_
	.globl	_ZN7rocprim17ROCPRIM_400000_NS6detail17trampoline_kernelINS0_14default_configENS1_35adjacent_difference_config_selectorILb0EtEEZNS1_24adjacent_difference_implIS3_Lb0ELb0EPKtPtN6thrust23THRUST_200600_302600_NS4plusItEEEE10hipError_tPvRmT2_T3_mT4_P12ihipStream_tbEUlT_E_NS1_11comp_targetILNS1_3genE0ELNS1_11target_archE4294967295ELNS1_3gpuE0ELNS1_3repE0EEENS1_30default_config_static_selectorELNS0_4arch9wavefront6targetE1EEEvT1_
	.p2align	8
	.type	_ZN7rocprim17ROCPRIM_400000_NS6detail17trampoline_kernelINS0_14default_configENS1_35adjacent_difference_config_selectorILb0EtEEZNS1_24adjacent_difference_implIS3_Lb0ELb0EPKtPtN6thrust23THRUST_200600_302600_NS4plusItEEEE10hipError_tPvRmT2_T3_mT4_P12ihipStream_tbEUlT_E_NS1_11comp_targetILNS1_3genE0ELNS1_11target_archE4294967295ELNS1_3gpuE0ELNS1_3repE0EEENS1_30default_config_static_selectorELNS0_4arch9wavefront6targetE1EEEvT1_,@function
_ZN7rocprim17ROCPRIM_400000_NS6detail17trampoline_kernelINS0_14default_configENS1_35adjacent_difference_config_selectorILb0EtEEZNS1_24adjacent_difference_implIS3_Lb0ELb0EPKtPtN6thrust23THRUST_200600_302600_NS4plusItEEEE10hipError_tPvRmT2_T3_mT4_P12ihipStream_tbEUlT_E_NS1_11comp_targetILNS1_3genE0ELNS1_11target_archE4294967295ELNS1_3gpuE0ELNS1_3repE0EEENS1_30default_config_static_selectorELNS0_4arch9wavefront6targetE1EEEvT1_: ; @_ZN7rocprim17ROCPRIM_400000_NS6detail17trampoline_kernelINS0_14default_configENS1_35adjacent_difference_config_selectorILb0EtEEZNS1_24adjacent_difference_implIS3_Lb0ELb0EPKtPtN6thrust23THRUST_200600_302600_NS4plusItEEEE10hipError_tPvRmT2_T3_mT4_P12ihipStream_tbEUlT_E_NS1_11comp_targetILNS1_3genE0ELNS1_11target_archE4294967295ELNS1_3gpuE0ELNS1_3repE0EEENS1_30default_config_static_selectorELNS0_4arch9wavefront6targetE1EEEvT1_
; %bb.0:
	.section	.rodata,"a",@progbits
	.p2align	6, 0x0
	.amdhsa_kernel _ZN7rocprim17ROCPRIM_400000_NS6detail17trampoline_kernelINS0_14default_configENS1_35adjacent_difference_config_selectorILb0EtEEZNS1_24adjacent_difference_implIS3_Lb0ELb0EPKtPtN6thrust23THRUST_200600_302600_NS4plusItEEEE10hipError_tPvRmT2_T3_mT4_P12ihipStream_tbEUlT_E_NS1_11comp_targetILNS1_3genE0ELNS1_11target_archE4294967295ELNS1_3gpuE0ELNS1_3repE0EEENS1_30default_config_static_selectorELNS0_4arch9wavefront6targetE1EEEvT1_
		.amdhsa_group_segment_fixed_size 0
		.amdhsa_private_segment_fixed_size 0
		.amdhsa_kernarg_size 56
		.amdhsa_user_sgpr_count 6
		.amdhsa_user_sgpr_private_segment_buffer 1
		.amdhsa_user_sgpr_dispatch_ptr 0
		.amdhsa_user_sgpr_queue_ptr 0
		.amdhsa_user_sgpr_kernarg_segment_ptr 1
		.amdhsa_user_sgpr_dispatch_id 0
		.amdhsa_user_sgpr_flat_scratch_init 0
		.amdhsa_user_sgpr_private_segment_size 0
		.amdhsa_uses_dynamic_stack 0
		.amdhsa_system_sgpr_private_segment_wavefront_offset 0
		.amdhsa_system_sgpr_workgroup_id_x 1
		.amdhsa_system_sgpr_workgroup_id_y 0
		.amdhsa_system_sgpr_workgroup_id_z 0
		.amdhsa_system_sgpr_workgroup_info 0
		.amdhsa_system_vgpr_workitem_id 0
		.amdhsa_next_free_vgpr 1
		.amdhsa_next_free_sgpr 0
		.amdhsa_reserve_vcc 0
		.amdhsa_reserve_flat_scratch 0
		.amdhsa_float_round_mode_32 0
		.amdhsa_float_round_mode_16_64 0
		.amdhsa_float_denorm_mode_32 3
		.amdhsa_float_denorm_mode_16_64 3
		.amdhsa_dx10_clamp 1
		.amdhsa_ieee_mode 1
		.amdhsa_fp16_overflow 0
		.amdhsa_exception_fp_ieee_invalid_op 0
		.amdhsa_exception_fp_denorm_src 0
		.amdhsa_exception_fp_ieee_div_zero 0
		.amdhsa_exception_fp_ieee_overflow 0
		.amdhsa_exception_fp_ieee_underflow 0
		.amdhsa_exception_fp_ieee_inexact 0
		.amdhsa_exception_int_div_zero 0
	.end_amdhsa_kernel
	.section	.text._ZN7rocprim17ROCPRIM_400000_NS6detail17trampoline_kernelINS0_14default_configENS1_35adjacent_difference_config_selectorILb0EtEEZNS1_24adjacent_difference_implIS3_Lb0ELb0EPKtPtN6thrust23THRUST_200600_302600_NS4plusItEEEE10hipError_tPvRmT2_T3_mT4_P12ihipStream_tbEUlT_E_NS1_11comp_targetILNS1_3genE0ELNS1_11target_archE4294967295ELNS1_3gpuE0ELNS1_3repE0EEENS1_30default_config_static_selectorELNS0_4arch9wavefront6targetE1EEEvT1_,"axG",@progbits,_ZN7rocprim17ROCPRIM_400000_NS6detail17trampoline_kernelINS0_14default_configENS1_35adjacent_difference_config_selectorILb0EtEEZNS1_24adjacent_difference_implIS3_Lb0ELb0EPKtPtN6thrust23THRUST_200600_302600_NS4plusItEEEE10hipError_tPvRmT2_T3_mT4_P12ihipStream_tbEUlT_E_NS1_11comp_targetILNS1_3genE0ELNS1_11target_archE4294967295ELNS1_3gpuE0ELNS1_3repE0EEENS1_30default_config_static_selectorELNS0_4arch9wavefront6targetE1EEEvT1_,comdat
.Lfunc_end673:
	.size	_ZN7rocprim17ROCPRIM_400000_NS6detail17trampoline_kernelINS0_14default_configENS1_35adjacent_difference_config_selectorILb0EtEEZNS1_24adjacent_difference_implIS3_Lb0ELb0EPKtPtN6thrust23THRUST_200600_302600_NS4plusItEEEE10hipError_tPvRmT2_T3_mT4_P12ihipStream_tbEUlT_E_NS1_11comp_targetILNS1_3genE0ELNS1_11target_archE4294967295ELNS1_3gpuE0ELNS1_3repE0EEENS1_30default_config_static_selectorELNS0_4arch9wavefront6targetE1EEEvT1_, .Lfunc_end673-_ZN7rocprim17ROCPRIM_400000_NS6detail17trampoline_kernelINS0_14default_configENS1_35adjacent_difference_config_selectorILb0EtEEZNS1_24adjacent_difference_implIS3_Lb0ELb0EPKtPtN6thrust23THRUST_200600_302600_NS4plusItEEEE10hipError_tPvRmT2_T3_mT4_P12ihipStream_tbEUlT_E_NS1_11comp_targetILNS1_3genE0ELNS1_11target_archE4294967295ELNS1_3gpuE0ELNS1_3repE0EEENS1_30default_config_static_selectorELNS0_4arch9wavefront6targetE1EEEvT1_
                                        ; -- End function
	.set _ZN7rocprim17ROCPRIM_400000_NS6detail17trampoline_kernelINS0_14default_configENS1_35adjacent_difference_config_selectorILb0EtEEZNS1_24adjacent_difference_implIS3_Lb0ELb0EPKtPtN6thrust23THRUST_200600_302600_NS4plusItEEEE10hipError_tPvRmT2_T3_mT4_P12ihipStream_tbEUlT_E_NS1_11comp_targetILNS1_3genE0ELNS1_11target_archE4294967295ELNS1_3gpuE0ELNS1_3repE0EEENS1_30default_config_static_selectorELNS0_4arch9wavefront6targetE1EEEvT1_.num_vgpr, 0
	.set _ZN7rocprim17ROCPRIM_400000_NS6detail17trampoline_kernelINS0_14default_configENS1_35adjacent_difference_config_selectorILb0EtEEZNS1_24adjacent_difference_implIS3_Lb0ELb0EPKtPtN6thrust23THRUST_200600_302600_NS4plusItEEEE10hipError_tPvRmT2_T3_mT4_P12ihipStream_tbEUlT_E_NS1_11comp_targetILNS1_3genE0ELNS1_11target_archE4294967295ELNS1_3gpuE0ELNS1_3repE0EEENS1_30default_config_static_selectorELNS0_4arch9wavefront6targetE1EEEvT1_.num_agpr, 0
	.set _ZN7rocprim17ROCPRIM_400000_NS6detail17trampoline_kernelINS0_14default_configENS1_35adjacent_difference_config_selectorILb0EtEEZNS1_24adjacent_difference_implIS3_Lb0ELb0EPKtPtN6thrust23THRUST_200600_302600_NS4plusItEEEE10hipError_tPvRmT2_T3_mT4_P12ihipStream_tbEUlT_E_NS1_11comp_targetILNS1_3genE0ELNS1_11target_archE4294967295ELNS1_3gpuE0ELNS1_3repE0EEENS1_30default_config_static_selectorELNS0_4arch9wavefront6targetE1EEEvT1_.numbered_sgpr, 0
	.set _ZN7rocprim17ROCPRIM_400000_NS6detail17trampoline_kernelINS0_14default_configENS1_35adjacent_difference_config_selectorILb0EtEEZNS1_24adjacent_difference_implIS3_Lb0ELb0EPKtPtN6thrust23THRUST_200600_302600_NS4plusItEEEE10hipError_tPvRmT2_T3_mT4_P12ihipStream_tbEUlT_E_NS1_11comp_targetILNS1_3genE0ELNS1_11target_archE4294967295ELNS1_3gpuE0ELNS1_3repE0EEENS1_30default_config_static_selectorELNS0_4arch9wavefront6targetE1EEEvT1_.num_named_barrier, 0
	.set _ZN7rocprim17ROCPRIM_400000_NS6detail17trampoline_kernelINS0_14default_configENS1_35adjacent_difference_config_selectorILb0EtEEZNS1_24adjacent_difference_implIS3_Lb0ELb0EPKtPtN6thrust23THRUST_200600_302600_NS4plusItEEEE10hipError_tPvRmT2_T3_mT4_P12ihipStream_tbEUlT_E_NS1_11comp_targetILNS1_3genE0ELNS1_11target_archE4294967295ELNS1_3gpuE0ELNS1_3repE0EEENS1_30default_config_static_selectorELNS0_4arch9wavefront6targetE1EEEvT1_.private_seg_size, 0
	.set _ZN7rocprim17ROCPRIM_400000_NS6detail17trampoline_kernelINS0_14default_configENS1_35adjacent_difference_config_selectorILb0EtEEZNS1_24adjacent_difference_implIS3_Lb0ELb0EPKtPtN6thrust23THRUST_200600_302600_NS4plusItEEEE10hipError_tPvRmT2_T3_mT4_P12ihipStream_tbEUlT_E_NS1_11comp_targetILNS1_3genE0ELNS1_11target_archE4294967295ELNS1_3gpuE0ELNS1_3repE0EEENS1_30default_config_static_selectorELNS0_4arch9wavefront6targetE1EEEvT1_.uses_vcc, 0
	.set _ZN7rocprim17ROCPRIM_400000_NS6detail17trampoline_kernelINS0_14default_configENS1_35adjacent_difference_config_selectorILb0EtEEZNS1_24adjacent_difference_implIS3_Lb0ELb0EPKtPtN6thrust23THRUST_200600_302600_NS4plusItEEEE10hipError_tPvRmT2_T3_mT4_P12ihipStream_tbEUlT_E_NS1_11comp_targetILNS1_3genE0ELNS1_11target_archE4294967295ELNS1_3gpuE0ELNS1_3repE0EEENS1_30default_config_static_selectorELNS0_4arch9wavefront6targetE1EEEvT1_.uses_flat_scratch, 0
	.set _ZN7rocprim17ROCPRIM_400000_NS6detail17trampoline_kernelINS0_14default_configENS1_35adjacent_difference_config_selectorILb0EtEEZNS1_24adjacent_difference_implIS3_Lb0ELb0EPKtPtN6thrust23THRUST_200600_302600_NS4plusItEEEE10hipError_tPvRmT2_T3_mT4_P12ihipStream_tbEUlT_E_NS1_11comp_targetILNS1_3genE0ELNS1_11target_archE4294967295ELNS1_3gpuE0ELNS1_3repE0EEENS1_30default_config_static_selectorELNS0_4arch9wavefront6targetE1EEEvT1_.has_dyn_sized_stack, 0
	.set _ZN7rocprim17ROCPRIM_400000_NS6detail17trampoline_kernelINS0_14default_configENS1_35adjacent_difference_config_selectorILb0EtEEZNS1_24adjacent_difference_implIS3_Lb0ELb0EPKtPtN6thrust23THRUST_200600_302600_NS4plusItEEEE10hipError_tPvRmT2_T3_mT4_P12ihipStream_tbEUlT_E_NS1_11comp_targetILNS1_3genE0ELNS1_11target_archE4294967295ELNS1_3gpuE0ELNS1_3repE0EEENS1_30default_config_static_selectorELNS0_4arch9wavefront6targetE1EEEvT1_.has_recursion, 0
	.set _ZN7rocprim17ROCPRIM_400000_NS6detail17trampoline_kernelINS0_14default_configENS1_35adjacent_difference_config_selectorILb0EtEEZNS1_24adjacent_difference_implIS3_Lb0ELb0EPKtPtN6thrust23THRUST_200600_302600_NS4plusItEEEE10hipError_tPvRmT2_T3_mT4_P12ihipStream_tbEUlT_E_NS1_11comp_targetILNS1_3genE0ELNS1_11target_archE4294967295ELNS1_3gpuE0ELNS1_3repE0EEENS1_30default_config_static_selectorELNS0_4arch9wavefront6targetE1EEEvT1_.has_indirect_call, 0
	.section	.AMDGPU.csdata,"",@progbits
; Kernel info:
; codeLenInByte = 0
; TotalNumSgprs: 4
; NumVgprs: 0
; ScratchSize: 0
; MemoryBound: 0
; FloatMode: 240
; IeeeMode: 1
; LDSByteSize: 0 bytes/workgroup (compile time only)
; SGPRBlocks: 0
; VGPRBlocks: 0
; NumSGPRsForWavesPerEU: 4
; NumVGPRsForWavesPerEU: 1
; Occupancy: 10
; WaveLimiterHint : 0
; COMPUTE_PGM_RSRC2:SCRATCH_EN: 0
; COMPUTE_PGM_RSRC2:USER_SGPR: 6
; COMPUTE_PGM_RSRC2:TRAP_HANDLER: 0
; COMPUTE_PGM_RSRC2:TGID_X_EN: 1
; COMPUTE_PGM_RSRC2:TGID_Y_EN: 0
; COMPUTE_PGM_RSRC2:TGID_Z_EN: 0
; COMPUTE_PGM_RSRC2:TIDIG_COMP_CNT: 0
	.section	.text._ZN7rocprim17ROCPRIM_400000_NS6detail17trampoline_kernelINS0_14default_configENS1_35adjacent_difference_config_selectorILb0EtEEZNS1_24adjacent_difference_implIS3_Lb0ELb0EPKtPtN6thrust23THRUST_200600_302600_NS4plusItEEEE10hipError_tPvRmT2_T3_mT4_P12ihipStream_tbEUlT_E_NS1_11comp_targetILNS1_3genE10ELNS1_11target_archE1201ELNS1_3gpuE5ELNS1_3repE0EEENS1_30default_config_static_selectorELNS0_4arch9wavefront6targetE1EEEvT1_,"axG",@progbits,_ZN7rocprim17ROCPRIM_400000_NS6detail17trampoline_kernelINS0_14default_configENS1_35adjacent_difference_config_selectorILb0EtEEZNS1_24adjacent_difference_implIS3_Lb0ELb0EPKtPtN6thrust23THRUST_200600_302600_NS4plusItEEEE10hipError_tPvRmT2_T3_mT4_P12ihipStream_tbEUlT_E_NS1_11comp_targetILNS1_3genE10ELNS1_11target_archE1201ELNS1_3gpuE5ELNS1_3repE0EEENS1_30default_config_static_selectorELNS0_4arch9wavefront6targetE1EEEvT1_,comdat
	.protected	_ZN7rocprim17ROCPRIM_400000_NS6detail17trampoline_kernelINS0_14default_configENS1_35adjacent_difference_config_selectorILb0EtEEZNS1_24adjacent_difference_implIS3_Lb0ELb0EPKtPtN6thrust23THRUST_200600_302600_NS4plusItEEEE10hipError_tPvRmT2_T3_mT4_P12ihipStream_tbEUlT_E_NS1_11comp_targetILNS1_3genE10ELNS1_11target_archE1201ELNS1_3gpuE5ELNS1_3repE0EEENS1_30default_config_static_selectorELNS0_4arch9wavefront6targetE1EEEvT1_ ; -- Begin function _ZN7rocprim17ROCPRIM_400000_NS6detail17trampoline_kernelINS0_14default_configENS1_35adjacent_difference_config_selectorILb0EtEEZNS1_24adjacent_difference_implIS3_Lb0ELb0EPKtPtN6thrust23THRUST_200600_302600_NS4plusItEEEE10hipError_tPvRmT2_T3_mT4_P12ihipStream_tbEUlT_E_NS1_11comp_targetILNS1_3genE10ELNS1_11target_archE1201ELNS1_3gpuE5ELNS1_3repE0EEENS1_30default_config_static_selectorELNS0_4arch9wavefront6targetE1EEEvT1_
	.globl	_ZN7rocprim17ROCPRIM_400000_NS6detail17trampoline_kernelINS0_14default_configENS1_35adjacent_difference_config_selectorILb0EtEEZNS1_24adjacent_difference_implIS3_Lb0ELb0EPKtPtN6thrust23THRUST_200600_302600_NS4plusItEEEE10hipError_tPvRmT2_T3_mT4_P12ihipStream_tbEUlT_E_NS1_11comp_targetILNS1_3genE10ELNS1_11target_archE1201ELNS1_3gpuE5ELNS1_3repE0EEENS1_30default_config_static_selectorELNS0_4arch9wavefront6targetE1EEEvT1_
	.p2align	8
	.type	_ZN7rocprim17ROCPRIM_400000_NS6detail17trampoline_kernelINS0_14default_configENS1_35adjacent_difference_config_selectorILb0EtEEZNS1_24adjacent_difference_implIS3_Lb0ELb0EPKtPtN6thrust23THRUST_200600_302600_NS4plusItEEEE10hipError_tPvRmT2_T3_mT4_P12ihipStream_tbEUlT_E_NS1_11comp_targetILNS1_3genE10ELNS1_11target_archE1201ELNS1_3gpuE5ELNS1_3repE0EEENS1_30default_config_static_selectorELNS0_4arch9wavefront6targetE1EEEvT1_,@function
_ZN7rocprim17ROCPRIM_400000_NS6detail17trampoline_kernelINS0_14default_configENS1_35adjacent_difference_config_selectorILb0EtEEZNS1_24adjacent_difference_implIS3_Lb0ELb0EPKtPtN6thrust23THRUST_200600_302600_NS4plusItEEEE10hipError_tPvRmT2_T3_mT4_P12ihipStream_tbEUlT_E_NS1_11comp_targetILNS1_3genE10ELNS1_11target_archE1201ELNS1_3gpuE5ELNS1_3repE0EEENS1_30default_config_static_selectorELNS0_4arch9wavefront6targetE1EEEvT1_: ; @_ZN7rocprim17ROCPRIM_400000_NS6detail17trampoline_kernelINS0_14default_configENS1_35adjacent_difference_config_selectorILb0EtEEZNS1_24adjacent_difference_implIS3_Lb0ELb0EPKtPtN6thrust23THRUST_200600_302600_NS4plusItEEEE10hipError_tPvRmT2_T3_mT4_P12ihipStream_tbEUlT_E_NS1_11comp_targetILNS1_3genE10ELNS1_11target_archE1201ELNS1_3gpuE5ELNS1_3repE0EEENS1_30default_config_static_selectorELNS0_4arch9wavefront6targetE1EEEvT1_
; %bb.0:
	.section	.rodata,"a",@progbits
	.p2align	6, 0x0
	.amdhsa_kernel _ZN7rocprim17ROCPRIM_400000_NS6detail17trampoline_kernelINS0_14default_configENS1_35adjacent_difference_config_selectorILb0EtEEZNS1_24adjacent_difference_implIS3_Lb0ELb0EPKtPtN6thrust23THRUST_200600_302600_NS4plusItEEEE10hipError_tPvRmT2_T3_mT4_P12ihipStream_tbEUlT_E_NS1_11comp_targetILNS1_3genE10ELNS1_11target_archE1201ELNS1_3gpuE5ELNS1_3repE0EEENS1_30default_config_static_selectorELNS0_4arch9wavefront6targetE1EEEvT1_
		.amdhsa_group_segment_fixed_size 0
		.amdhsa_private_segment_fixed_size 0
		.amdhsa_kernarg_size 56
		.amdhsa_user_sgpr_count 6
		.amdhsa_user_sgpr_private_segment_buffer 1
		.amdhsa_user_sgpr_dispatch_ptr 0
		.amdhsa_user_sgpr_queue_ptr 0
		.amdhsa_user_sgpr_kernarg_segment_ptr 1
		.amdhsa_user_sgpr_dispatch_id 0
		.amdhsa_user_sgpr_flat_scratch_init 0
		.amdhsa_user_sgpr_private_segment_size 0
		.amdhsa_uses_dynamic_stack 0
		.amdhsa_system_sgpr_private_segment_wavefront_offset 0
		.amdhsa_system_sgpr_workgroup_id_x 1
		.amdhsa_system_sgpr_workgroup_id_y 0
		.amdhsa_system_sgpr_workgroup_id_z 0
		.amdhsa_system_sgpr_workgroup_info 0
		.amdhsa_system_vgpr_workitem_id 0
		.amdhsa_next_free_vgpr 1
		.amdhsa_next_free_sgpr 0
		.amdhsa_reserve_vcc 0
		.amdhsa_reserve_flat_scratch 0
		.amdhsa_float_round_mode_32 0
		.amdhsa_float_round_mode_16_64 0
		.amdhsa_float_denorm_mode_32 3
		.amdhsa_float_denorm_mode_16_64 3
		.amdhsa_dx10_clamp 1
		.amdhsa_ieee_mode 1
		.amdhsa_fp16_overflow 0
		.amdhsa_exception_fp_ieee_invalid_op 0
		.amdhsa_exception_fp_denorm_src 0
		.amdhsa_exception_fp_ieee_div_zero 0
		.amdhsa_exception_fp_ieee_overflow 0
		.amdhsa_exception_fp_ieee_underflow 0
		.amdhsa_exception_fp_ieee_inexact 0
		.amdhsa_exception_int_div_zero 0
	.end_amdhsa_kernel
	.section	.text._ZN7rocprim17ROCPRIM_400000_NS6detail17trampoline_kernelINS0_14default_configENS1_35adjacent_difference_config_selectorILb0EtEEZNS1_24adjacent_difference_implIS3_Lb0ELb0EPKtPtN6thrust23THRUST_200600_302600_NS4plusItEEEE10hipError_tPvRmT2_T3_mT4_P12ihipStream_tbEUlT_E_NS1_11comp_targetILNS1_3genE10ELNS1_11target_archE1201ELNS1_3gpuE5ELNS1_3repE0EEENS1_30default_config_static_selectorELNS0_4arch9wavefront6targetE1EEEvT1_,"axG",@progbits,_ZN7rocprim17ROCPRIM_400000_NS6detail17trampoline_kernelINS0_14default_configENS1_35adjacent_difference_config_selectorILb0EtEEZNS1_24adjacent_difference_implIS3_Lb0ELb0EPKtPtN6thrust23THRUST_200600_302600_NS4plusItEEEE10hipError_tPvRmT2_T3_mT4_P12ihipStream_tbEUlT_E_NS1_11comp_targetILNS1_3genE10ELNS1_11target_archE1201ELNS1_3gpuE5ELNS1_3repE0EEENS1_30default_config_static_selectorELNS0_4arch9wavefront6targetE1EEEvT1_,comdat
.Lfunc_end674:
	.size	_ZN7rocprim17ROCPRIM_400000_NS6detail17trampoline_kernelINS0_14default_configENS1_35adjacent_difference_config_selectorILb0EtEEZNS1_24adjacent_difference_implIS3_Lb0ELb0EPKtPtN6thrust23THRUST_200600_302600_NS4plusItEEEE10hipError_tPvRmT2_T3_mT4_P12ihipStream_tbEUlT_E_NS1_11comp_targetILNS1_3genE10ELNS1_11target_archE1201ELNS1_3gpuE5ELNS1_3repE0EEENS1_30default_config_static_selectorELNS0_4arch9wavefront6targetE1EEEvT1_, .Lfunc_end674-_ZN7rocprim17ROCPRIM_400000_NS6detail17trampoline_kernelINS0_14default_configENS1_35adjacent_difference_config_selectorILb0EtEEZNS1_24adjacent_difference_implIS3_Lb0ELb0EPKtPtN6thrust23THRUST_200600_302600_NS4plusItEEEE10hipError_tPvRmT2_T3_mT4_P12ihipStream_tbEUlT_E_NS1_11comp_targetILNS1_3genE10ELNS1_11target_archE1201ELNS1_3gpuE5ELNS1_3repE0EEENS1_30default_config_static_selectorELNS0_4arch9wavefront6targetE1EEEvT1_
                                        ; -- End function
	.set _ZN7rocprim17ROCPRIM_400000_NS6detail17trampoline_kernelINS0_14default_configENS1_35adjacent_difference_config_selectorILb0EtEEZNS1_24adjacent_difference_implIS3_Lb0ELb0EPKtPtN6thrust23THRUST_200600_302600_NS4plusItEEEE10hipError_tPvRmT2_T3_mT4_P12ihipStream_tbEUlT_E_NS1_11comp_targetILNS1_3genE10ELNS1_11target_archE1201ELNS1_3gpuE5ELNS1_3repE0EEENS1_30default_config_static_selectorELNS0_4arch9wavefront6targetE1EEEvT1_.num_vgpr, 0
	.set _ZN7rocprim17ROCPRIM_400000_NS6detail17trampoline_kernelINS0_14default_configENS1_35adjacent_difference_config_selectorILb0EtEEZNS1_24adjacent_difference_implIS3_Lb0ELb0EPKtPtN6thrust23THRUST_200600_302600_NS4plusItEEEE10hipError_tPvRmT2_T3_mT4_P12ihipStream_tbEUlT_E_NS1_11comp_targetILNS1_3genE10ELNS1_11target_archE1201ELNS1_3gpuE5ELNS1_3repE0EEENS1_30default_config_static_selectorELNS0_4arch9wavefront6targetE1EEEvT1_.num_agpr, 0
	.set _ZN7rocprim17ROCPRIM_400000_NS6detail17trampoline_kernelINS0_14default_configENS1_35adjacent_difference_config_selectorILb0EtEEZNS1_24adjacent_difference_implIS3_Lb0ELb0EPKtPtN6thrust23THRUST_200600_302600_NS4plusItEEEE10hipError_tPvRmT2_T3_mT4_P12ihipStream_tbEUlT_E_NS1_11comp_targetILNS1_3genE10ELNS1_11target_archE1201ELNS1_3gpuE5ELNS1_3repE0EEENS1_30default_config_static_selectorELNS0_4arch9wavefront6targetE1EEEvT1_.numbered_sgpr, 0
	.set _ZN7rocprim17ROCPRIM_400000_NS6detail17trampoline_kernelINS0_14default_configENS1_35adjacent_difference_config_selectorILb0EtEEZNS1_24adjacent_difference_implIS3_Lb0ELb0EPKtPtN6thrust23THRUST_200600_302600_NS4plusItEEEE10hipError_tPvRmT2_T3_mT4_P12ihipStream_tbEUlT_E_NS1_11comp_targetILNS1_3genE10ELNS1_11target_archE1201ELNS1_3gpuE5ELNS1_3repE0EEENS1_30default_config_static_selectorELNS0_4arch9wavefront6targetE1EEEvT1_.num_named_barrier, 0
	.set _ZN7rocprim17ROCPRIM_400000_NS6detail17trampoline_kernelINS0_14default_configENS1_35adjacent_difference_config_selectorILb0EtEEZNS1_24adjacent_difference_implIS3_Lb0ELb0EPKtPtN6thrust23THRUST_200600_302600_NS4plusItEEEE10hipError_tPvRmT2_T3_mT4_P12ihipStream_tbEUlT_E_NS1_11comp_targetILNS1_3genE10ELNS1_11target_archE1201ELNS1_3gpuE5ELNS1_3repE0EEENS1_30default_config_static_selectorELNS0_4arch9wavefront6targetE1EEEvT1_.private_seg_size, 0
	.set _ZN7rocprim17ROCPRIM_400000_NS6detail17trampoline_kernelINS0_14default_configENS1_35adjacent_difference_config_selectorILb0EtEEZNS1_24adjacent_difference_implIS3_Lb0ELb0EPKtPtN6thrust23THRUST_200600_302600_NS4plusItEEEE10hipError_tPvRmT2_T3_mT4_P12ihipStream_tbEUlT_E_NS1_11comp_targetILNS1_3genE10ELNS1_11target_archE1201ELNS1_3gpuE5ELNS1_3repE0EEENS1_30default_config_static_selectorELNS0_4arch9wavefront6targetE1EEEvT1_.uses_vcc, 0
	.set _ZN7rocprim17ROCPRIM_400000_NS6detail17trampoline_kernelINS0_14default_configENS1_35adjacent_difference_config_selectorILb0EtEEZNS1_24adjacent_difference_implIS3_Lb0ELb0EPKtPtN6thrust23THRUST_200600_302600_NS4plusItEEEE10hipError_tPvRmT2_T3_mT4_P12ihipStream_tbEUlT_E_NS1_11comp_targetILNS1_3genE10ELNS1_11target_archE1201ELNS1_3gpuE5ELNS1_3repE0EEENS1_30default_config_static_selectorELNS0_4arch9wavefront6targetE1EEEvT1_.uses_flat_scratch, 0
	.set _ZN7rocprim17ROCPRIM_400000_NS6detail17trampoline_kernelINS0_14default_configENS1_35adjacent_difference_config_selectorILb0EtEEZNS1_24adjacent_difference_implIS3_Lb0ELb0EPKtPtN6thrust23THRUST_200600_302600_NS4plusItEEEE10hipError_tPvRmT2_T3_mT4_P12ihipStream_tbEUlT_E_NS1_11comp_targetILNS1_3genE10ELNS1_11target_archE1201ELNS1_3gpuE5ELNS1_3repE0EEENS1_30default_config_static_selectorELNS0_4arch9wavefront6targetE1EEEvT1_.has_dyn_sized_stack, 0
	.set _ZN7rocprim17ROCPRIM_400000_NS6detail17trampoline_kernelINS0_14default_configENS1_35adjacent_difference_config_selectorILb0EtEEZNS1_24adjacent_difference_implIS3_Lb0ELb0EPKtPtN6thrust23THRUST_200600_302600_NS4plusItEEEE10hipError_tPvRmT2_T3_mT4_P12ihipStream_tbEUlT_E_NS1_11comp_targetILNS1_3genE10ELNS1_11target_archE1201ELNS1_3gpuE5ELNS1_3repE0EEENS1_30default_config_static_selectorELNS0_4arch9wavefront6targetE1EEEvT1_.has_recursion, 0
	.set _ZN7rocprim17ROCPRIM_400000_NS6detail17trampoline_kernelINS0_14default_configENS1_35adjacent_difference_config_selectorILb0EtEEZNS1_24adjacent_difference_implIS3_Lb0ELb0EPKtPtN6thrust23THRUST_200600_302600_NS4plusItEEEE10hipError_tPvRmT2_T3_mT4_P12ihipStream_tbEUlT_E_NS1_11comp_targetILNS1_3genE10ELNS1_11target_archE1201ELNS1_3gpuE5ELNS1_3repE0EEENS1_30default_config_static_selectorELNS0_4arch9wavefront6targetE1EEEvT1_.has_indirect_call, 0
	.section	.AMDGPU.csdata,"",@progbits
; Kernel info:
; codeLenInByte = 0
; TotalNumSgprs: 4
; NumVgprs: 0
; ScratchSize: 0
; MemoryBound: 0
; FloatMode: 240
; IeeeMode: 1
; LDSByteSize: 0 bytes/workgroup (compile time only)
; SGPRBlocks: 0
; VGPRBlocks: 0
; NumSGPRsForWavesPerEU: 4
; NumVGPRsForWavesPerEU: 1
; Occupancy: 10
; WaveLimiterHint : 0
; COMPUTE_PGM_RSRC2:SCRATCH_EN: 0
; COMPUTE_PGM_RSRC2:USER_SGPR: 6
; COMPUTE_PGM_RSRC2:TRAP_HANDLER: 0
; COMPUTE_PGM_RSRC2:TGID_X_EN: 1
; COMPUTE_PGM_RSRC2:TGID_Y_EN: 0
; COMPUTE_PGM_RSRC2:TGID_Z_EN: 0
; COMPUTE_PGM_RSRC2:TIDIG_COMP_CNT: 0
	.section	.text._ZN7rocprim17ROCPRIM_400000_NS6detail17trampoline_kernelINS0_14default_configENS1_35adjacent_difference_config_selectorILb0EtEEZNS1_24adjacent_difference_implIS3_Lb0ELb0EPKtPtN6thrust23THRUST_200600_302600_NS4plusItEEEE10hipError_tPvRmT2_T3_mT4_P12ihipStream_tbEUlT_E_NS1_11comp_targetILNS1_3genE5ELNS1_11target_archE942ELNS1_3gpuE9ELNS1_3repE0EEENS1_30default_config_static_selectorELNS0_4arch9wavefront6targetE1EEEvT1_,"axG",@progbits,_ZN7rocprim17ROCPRIM_400000_NS6detail17trampoline_kernelINS0_14default_configENS1_35adjacent_difference_config_selectorILb0EtEEZNS1_24adjacent_difference_implIS3_Lb0ELb0EPKtPtN6thrust23THRUST_200600_302600_NS4plusItEEEE10hipError_tPvRmT2_T3_mT4_P12ihipStream_tbEUlT_E_NS1_11comp_targetILNS1_3genE5ELNS1_11target_archE942ELNS1_3gpuE9ELNS1_3repE0EEENS1_30default_config_static_selectorELNS0_4arch9wavefront6targetE1EEEvT1_,comdat
	.protected	_ZN7rocprim17ROCPRIM_400000_NS6detail17trampoline_kernelINS0_14default_configENS1_35adjacent_difference_config_selectorILb0EtEEZNS1_24adjacent_difference_implIS3_Lb0ELb0EPKtPtN6thrust23THRUST_200600_302600_NS4plusItEEEE10hipError_tPvRmT2_T3_mT4_P12ihipStream_tbEUlT_E_NS1_11comp_targetILNS1_3genE5ELNS1_11target_archE942ELNS1_3gpuE9ELNS1_3repE0EEENS1_30default_config_static_selectorELNS0_4arch9wavefront6targetE1EEEvT1_ ; -- Begin function _ZN7rocprim17ROCPRIM_400000_NS6detail17trampoline_kernelINS0_14default_configENS1_35adjacent_difference_config_selectorILb0EtEEZNS1_24adjacent_difference_implIS3_Lb0ELb0EPKtPtN6thrust23THRUST_200600_302600_NS4plusItEEEE10hipError_tPvRmT2_T3_mT4_P12ihipStream_tbEUlT_E_NS1_11comp_targetILNS1_3genE5ELNS1_11target_archE942ELNS1_3gpuE9ELNS1_3repE0EEENS1_30default_config_static_selectorELNS0_4arch9wavefront6targetE1EEEvT1_
	.globl	_ZN7rocprim17ROCPRIM_400000_NS6detail17trampoline_kernelINS0_14default_configENS1_35adjacent_difference_config_selectorILb0EtEEZNS1_24adjacent_difference_implIS3_Lb0ELb0EPKtPtN6thrust23THRUST_200600_302600_NS4plusItEEEE10hipError_tPvRmT2_T3_mT4_P12ihipStream_tbEUlT_E_NS1_11comp_targetILNS1_3genE5ELNS1_11target_archE942ELNS1_3gpuE9ELNS1_3repE0EEENS1_30default_config_static_selectorELNS0_4arch9wavefront6targetE1EEEvT1_
	.p2align	8
	.type	_ZN7rocprim17ROCPRIM_400000_NS6detail17trampoline_kernelINS0_14default_configENS1_35adjacent_difference_config_selectorILb0EtEEZNS1_24adjacent_difference_implIS3_Lb0ELb0EPKtPtN6thrust23THRUST_200600_302600_NS4plusItEEEE10hipError_tPvRmT2_T3_mT4_P12ihipStream_tbEUlT_E_NS1_11comp_targetILNS1_3genE5ELNS1_11target_archE942ELNS1_3gpuE9ELNS1_3repE0EEENS1_30default_config_static_selectorELNS0_4arch9wavefront6targetE1EEEvT1_,@function
_ZN7rocprim17ROCPRIM_400000_NS6detail17trampoline_kernelINS0_14default_configENS1_35adjacent_difference_config_selectorILb0EtEEZNS1_24adjacent_difference_implIS3_Lb0ELb0EPKtPtN6thrust23THRUST_200600_302600_NS4plusItEEEE10hipError_tPvRmT2_T3_mT4_P12ihipStream_tbEUlT_E_NS1_11comp_targetILNS1_3genE5ELNS1_11target_archE942ELNS1_3gpuE9ELNS1_3repE0EEENS1_30default_config_static_selectorELNS0_4arch9wavefront6targetE1EEEvT1_: ; @_ZN7rocprim17ROCPRIM_400000_NS6detail17trampoline_kernelINS0_14default_configENS1_35adjacent_difference_config_selectorILb0EtEEZNS1_24adjacent_difference_implIS3_Lb0ELb0EPKtPtN6thrust23THRUST_200600_302600_NS4plusItEEEE10hipError_tPvRmT2_T3_mT4_P12ihipStream_tbEUlT_E_NS1_11comp_targetILNS1_3genE5ELNS1_11target_archE942ELNS1_3gpuE9ELNS1_3repE0EEENS1_30default_config_static_selectorELNS0_4arch9wavefront6targetE1EEEvT1_
; %bb.0:
	.section	.rodata,"a",@progbits
	.p2align	6, 0x0
	.amdhsa_kernel _ZN7rocprim17ROCPRIM_400000_NS6detail17trampoline_kernelINS0_14default_configENS1_35adjacent_difference_config_selectorILb0EtEEZNS1_24adjacent_difference_implIS3_Lb0ELb0EPKtPtN6thrust23THRUST_200600_302600_NS4plusItEEEE10hipError_tPvRmT2_T3_mT4_P12ihipStream_tbEUlT_E_NS1_11comp_targetILNS1_3genE5ELNS1_11target_archE942ELNS1_3gpuE9ELNS1_3repE0EEENS1_30default_config_static_selectorELNS0_4arch9wavefront6targetE1EEEvT1_
		.amdhsa_group_segment_fixed_size 0
		.amdhsa_private_segment_fixed_size 0
		.amdhsa_kernarg_size 56
		.amdhsa_user_sgpr_count 6
		.amdhsa_user_sgpr_private_segment_buffer 1
		.amdhsa_user_sgpr_dispatch_ptr 0
		.amdhsa_user_sgpr_queue_ptr 0
		.amdhsa_user_sgpr_kernarg_segment_ptr 1
		.amdhsa_user_sgpr_dispatch_id 0
		.amdhsa_user_sgpr_flat_scratch_init 0
		.amdhsa_user_sgpr_private_segment_size 0
		.amdhsa_uses_dynamic_stack 0
		.amdhsa_system_sgpr_private_segment_wavefront_offset 0
		.amdhsa_system_sgpr_workgroup_id_x 1
		.amdhsa_system_sgpr_workgroup_id_y 0
		.amdhsa_system_sgpr_workgroup_id_z 0
		.amdhsa_system_sgpr_workgroup_info 0
		.amdhsa_system_vgpr_workitem_id 0
		.amdhsa_next_free_vgpr 1
		.amdhsa_next_free_sgpr 0
		.amdhsa_reserve_vcc 0
		.amdhsa_reserve_flat_scratch 0
		.amdhsa_float_round_mode_32 0
		.amdhsa_float_round_mode_16_64 0
		.amdhsa_float_denorm_mode_32 3
		.amdhsa_float_denorm_mode_16_64 3
		.amdhsa_dx10_clamp 1
		.amdhsa_ieee_mode 1
		.amdhsa_fp16_overflow 0
		.amdhsa_exception_fp_ieee_invalid_op 0
		.amdhsa_exception_fp_denorm_src 0
		.amdhsa_exception_fp_ieee_div_zero 0
		.amdhsa_exception_fp_ieee_overflow 0
		.amdhsa_exception_fp_ieee_underflow 0
		.amdhsa_exception_fp_ieee_inexact 0
		.amdhsa_exception_int_div_zero 0
	.end_amdhsa_kernel
	.section	.text._ZN7rocprim17ROCPRIM_400000_NS6detail17trampoline_kernelINS0_14default_configENS1_35adjacent_difference_config_selectorILb0EtEEZNS1_24adjacent_difference_implIS3_Lb0ELb0EPKtPtN6thrust23THRUST_200600_302600_NS4plusItEEEE10hipError_tPvRmT2_T3_mT4_P12ihipStream_tbEUlT_E_NS1_11comp_targetILNS1_3genE5ELNS1_11target_archE942ELNS1_3gpuE9ELNS1_3repE0EEENS1_30default_config_static_selectorELNS0_4arch9wavefront6targetE1EEEvT1_,"axG",@progbits,_ZN7rocprim17ROCPRIM_400000_NS6detail17trampoline_kernelINS0_14default_configENS1_35adjacent_difference_config_selectorILb0EtEEZNS1_24adjacent_difference_implIS3_Lb0ELb0EPKtPtN6thrust23THRUST_200600_302600_NS4plusItEEEE10hipError_tPvRmT2_T3_mT4_P12ihipStream_tbEUlT_E_NS1_11comp_targetILNS1_3genE5ELNS1_11target_archE942ELNS1_3gpuE9ELNS1_3repE0EEENS1_30default_config_static_selectorELNS0_4arch9wavefront6targetE1EEEvT1_,comdat
.Lfunc_end675:
	.size	_ZN7rocprim17ROCPRIM_400000_NS6detail17trampoline_kernelINS0_14default_configENS1_35adjacent_difference_config_selectorILb0EtEEZNS1_24adjacent_difference_implIS3_Lb0ELb0EPKtPtN6thrust23THRUST_200600_302600_NS4plusItEEEE10hipError_tPvRmT2_T3_mT4_P12ihipStream_tbEUlT_E_NS1_11comp_targetILNS1_3genE5ELNS1_11target_archE942ELNS1_3gpuE9ELNS1_3repE0EEENS1_30default_config_static_selectorELNS0_4arch9wavefront6targetE1EEEvT1_, .Lfunc_end675-_ZN7rocprim17ROCPRIM_400000_NS6detail17trampoline_kernelINS0_14default_configENS1_35adjacent_difference_config_selectorILb0EtEEZNS1_24adjacent_difference_implIS3_Lb0ELb0EPKtPtN6thrust23THRUST_200600_302600_NS4plusItEEEE10hipError_tPvRmT2_T3_mT4_P12ihipStream_tbEUlT_E_NS1_11comp_targetILNS1_3genE5ELNS1_11target_archE942ELNS1_3gpuE9ELNS1_3repE0EEENS1_30default_config_static_selectorELNS0_4arch9wavefront6targetE1EEEvT1_
                                        ; -- End function
	.set _ZN7rocprim17ROCPRIM_400000_NS6detail17trampoline_kernelINS0_14default_configENS1_35adjacent_difference_config_selectorILb0EtEEZNS1_24adjacent_difference_implIS3_Lb0ELb0EPKtPtN6thrust23THRUST_200600_302600_NS4plusItEEEE10hipError_tPvRmT2_T3_mT4_P12ihipStream_tbEUlT_E_NS1_11comp_targetILNS1_3genE5ELNS1_11target_archE942ELNS1_3gpuE9ELNS1_3repE0EEENS1_30default_config_static_selectorELNS0_4arch9wavefront6targetE1EEEvT1_.num_vgpr, 0
	.set _ZN7rocprim17ROCPRIM_400000_NS6detail17trampoline_kernelINS0_14default_configENS1_35adjacent_difference_config_selectorILb0EtEEZNS1_24adjacent_difference_implIS3_Lb0ELb0EPKtPtN6thrust23THRUST_200600_302600_NS4plusItEEEE10hipError_tPvRmT2_T3_mT4_P12ihipStream_tbEUlT_E_NS1_11comp_targetILNS1_3genE5ELNS1_11target_archE942ELNS1_3gpuE9ELNS1_3repE0EEENS1_30default_config_static_selectorELNS0_4arch9wavefront6targetE1EEEvT1_.num_agpr, 0
	.set _ZN7rocprim17ROCPRIM_400000_NS6detail17trampoline_kernelINS0_14default_configENS1_35adjacent_difference_config_selectorILb0EtEEZNS1_24adjacent_difference_implIS3_Lb0ELb0EPKtPtN6thrust23THRUST_200600_302600_NS4plusItEEEE10hipError_tPvRmT2_T3_mT4_P12ihipStream_tbEUlT_E_NS1_11comp_targetILNS1_3genE5ELNS1_11target_archE942ELNS1_3gpuE9ELNS1_3repE0EEENS1_30default_config_static_selectorELNS0_4arch9wavefront6targetE1EEEvT1_.numbered_sgpr, 0
	.set _ZN7rocprim17ROCPRIM_400000_NS6detail17trampoline_kernelINS0_14default_configENS1_35adjacent_difference_config_selectorILb0EtEEZNS1_24adjacent_difference_implIS3_Lb0ELb0EPKtPtN6thrust23THRUST_200600_302600_NS4plusItEEEE10hipError_tPvRmT2_T3_mT4_P12ihipStream_tbEUlT_E_NS1_11comp_targetILNS1_3genE5ELNS1_11target_archE942ELNS1_3gpuE9ELNS1_3repE0EEENS1_30default_config_static_selectorELNS0_4arch9wavefront6targetE1EEEvT1_.num_named_barrier, 0
	.set _ZN7rocprim17ROCPRIM_400000_NS6detail17trampoline_kernelINS0_14default_configENS1_35adjacent_difference_config_selectorILb0EtEEZNS1_24adjacent_difference_implIS3_Lb0ELb0EPKtPtN6thrust23THRUST_200600_302600_NS4plusItEEEE10hipError_tPvRmT2_T3_mT4_P12ihipStream_tbEUlT_E_NS1_11comp_targetILNS1_3genE5ELNS1_11target_archE942ELNS1_3gpuE9ELNS1_3repE0EEENS1_30default_config_static_selectorELNS0_4arch9wavefront6targetE1EEEvT1_.private_seg_size, 0
	.set _ZN7rocprim17ROCPRIM_400000_NS6detail17trampoline_kernelINS0_14default_configENS1_35adjacent_difference_config_selectorILb0EtEEZNS1_24adjacent_difference_implIS3_Lb0ELb0EPKtPtN6thrust23THRUST_200600_302600_NS4plusItEEEE10hipError_tPvRmT2_T3_mT4_P12ihipStream_tbEUlT_E_NS1_11comp_targetILNS1_3genE5ELNS1_11target_archE942ELNS1_3gpuE9ELNS1_3repE0EEENS1_30default_config_static_selectorELNS0_4arch9wavefront6targetE1EEEvT1_.uses_vcc, 0
	.set _ZN7rocprim17ROCPRIM_400000_NS6detail17trampoline_kernelINS0_14default_configENS1_35adjacent_difference_config_selectorILb0EtEEZNS1_24adjacent_difference_implIS3_Lb0ELb0EPKtPtN6thrust23THRUST_200600_302600_NS4plusItEEEE10hipError_tPvRmT2_T3_mT4_P12ihipStream_tbEUlT_E_NS1_11comp_targetILNS1_3genE5ELNS1_11target_archE942ELNS1_3gpuE9ELNS1_3repE0EEENS1_30default_config_static_selectorELNS0_4arch9wavefront6targetE1EEEvT1_.uses_flat_scratch, 0
	.set _ZN7rocprim17ROCPRIM_400000_NS6detail17trampoline_kernelINS0_14default_configENS1_35adjacent_difference_config_selectorILb0EtEEZNS1_24adjacent_difference_implIS3_Lb0ELb0EPKtPtN6thrust23THRUST_200600_302600_NS4plusItEEEE10hipError_tPvRmT2_T3_mT4_P12ihipStream_tbEUlT_E_NS1_11comp_targetILNS1_3genE5ELNS1_11target_archE942ELNS1_3gpuE9ELNS1_3repE0EEENS1_30default_config_static_selectorELNS0_4arch9wavefront6targetE1EEEvT1_.has_dyn_sized_stack, 0
	.set _ZN7rocprim17ROCPRIM_400000_NS6detail17trampoline_kernelINS0_14default_configENS1_35adjacent_difference_config_selectorILb0EtEEZNS1_24adjacent_difference_implIS3_Lb0ELb0EPKtPtN6thrust23THRUST_200600_302600_NS4plusItEEEE10hipError_tPvRmT2_T3_mT4_P12ihipStream_tbEUlT_E_NS1_11comp_targetILNS1_3genE5ELNS1_11target_archE942ELNS1_3gpuE9ELNS1_3repE0EEENS1_30default_config_static_selectorELNS0_4arch9wavefront6targetE1EEEvT1_.has_recursion, 0
	.set _ZN7rocprim17ROCPRIM_400000_NS6detail17trampoline_kernelINS0_14default_configENS1_35adjacent_difference_config_selectorILb0EtEEZNS1_24adjacent_difference_implIS3_Lb0ELb0EPKtPtN6thrust23THRUST_200600_302600_NS4plusItEEEE10hipError_tPvRmT2_T3_mT4_P12ihipStream_tbEUlT_E_NS1_11comp_targetILNS1_3genE5ELNS1_11target_archE942ELNS1_3gpuE9ELNS1_3repE0EEENS1_30default_config_static_selectorELNS0_4arch9wavefront6targetE1EEEvT1_.has_indirect_call, 0
	.section	.AMDGPU.csdata,"",@progbits
; Kernel info:
; codeLenInByte = 0
; TotalNumSgprs: 4
; NumVgprs: 0
; ScratchSize: 0
; MemoryBound: 0
; FloatMode: 240
; IeeeMode: 1
; LDSByteSize: 0 bytes/workgroup (compile time only)
; SGPRBlocks: 0
; VGPRBlocks: 0
; NumSGPRsForWavesPerEU: 4
; NumVGPRsForWavesPerEU: 1
; Occupancy: 10
; WaveLimiterHint : 0
; COMPUTE_PGM_RSRC2:SCRATCH_EN: 0
; COMPUTE_PGM_RSRC2:USER_SGPR: 6
; COMPUTE_PGM_RSRC2:TRAP_HANDLER: 0
; COMPUTE_PGM_RSRC2:TGID_X_EN: 1
; COMPUTE_PGM_RSRC2:TGID_Y_EN: 0
; COMPUTE_PGM_RSRC2:TGID_Z_EN: 0
; COMPUTE_PGM_RSRC2:TIDIG_COMP_CNT: 0
	.section	.text._ZN7rocprim17ROCPRIM_400000_NS6detail17trampoline_kernelINS0_14default_configENS1_35adjacent_difference_config_selectorILb0EtEEZNS1_24adjacent_difference_implIS3_Lb0ELb0EPKtPtN6thrust23THRUST_200600_302600_NS4plusItEEEE10hipError_tPvRmT2_T3_mT4_P12ihipStream_tbEUlT_E_NS1_11comp_targetILNS1_3genE4ELNS1_11target_archE910ELNS1_3gpuE8ELNS1_3repE0EEENS1_30default_config_static_selectorELNS0_4arch9wavefront6targetE1EEEvT1_,"axG",@progbits,_ZN7rocprim17ROCPRIM_400000_NS6detail17trampoline_kernelINS0_14default_configENS1_35adjacent_difference_config_selectorILb0EtEEZNS1_24adjacent_difference_implIS3_Lb0ELb0EPKtPtN6thrust23THRUST_200600_302600_NS4plusItEEEE10hipError_tPvRmT2_T3_mT4_P12ihipStream_tbEUlT_E_NS1_11comp_targetILNS1_3genE4ELNS1_11target_archE910ELNS1_3gpuE8ELNS1_3repE0EEENS1_30default_config_static_selectorELNS0_4arch9wavefront6targetE1EEEvT1_,comdat
	.protected	_ZN7rocprim17ROCPRIM_400000_NS6detail17trampoline_kernelINS0_14default_configENS1_35adjacent_difference_config_selectorILb0EtEEZNS1_24adjacent_difference_implIS3_Lb0ELb0EPKtPtN6thrust23THRUST_200600_302600_NS4plusItEEEE10hipError_tPvRmT2_T3_mT4_P12ihipStream_tbEUlT_E_NS1_11comp_targetILNS1_3genE4ELNS1_11target_archE910ELNS1_3gpuE8ELNS1_3repE0EEENS1_30default_config_static_selectorELNS0_4arch9wavefront6targetE1EEEvT1_ ; -- Begin function _ZN7rocprim17ROCPRIM_400000_NS6detail17trampoline_kernelINS0_14default_configENS1_35adjacent_difference_config_selectorILb0EtEEZNS1_24adjacent_difference_implIS3_Lb0ELb0EPKtPtN6thrust23THRUST_200600_302600_NS4plusItEEEE10hipError_tPvRmT2_T3_mT4_P12ihipStream_tbEUlT_E_NS1_11comp_targetILNS1_3genE4ELNS1_11target_archE910ELNS1_3gpuE8ELNS1_3repE0EEENS1_30default_config_static_selectorELNS0_4arch9wavefront6targetE1EEEvT1_
	.globl	_ZN7rocprim17ROCPRIM_400000_NS6detail17trampoline_kernelINS0_14default_configENS1_35adjacent_difference_config_selectorILb0EtEEZNS1_24adjacent_difference_implIS3_Lb0ELb0EPKtPtN6thrust23THRUST_200600_302600_NS4plusItEEEE10hipError_tPvRmT2_T3_mT4_P12ihipStream_tbEUlT_E_NS1_11comp_targetILNS1_3genE4ELNS1_11target_archE910ELNS1_3gpuE8ELNS1_3repE0EEENS1_30default_config_static_selectorELNS0_4arch9wavefront6targetE1EEEvT1_
	.p2align	8
	.type	_ZN7rocprim17ROCPRIM_400000_NS6detail17trampoline_kernelINS0_14default_configENS1_35adjacent_difference_config_selectorILb0EtEEZNS1_24adjacent_difference_implIS3_Lb0ELb0EPKtPtN6thrust23THRUST_200600_302600_NS4plusItEEEE10hipError_tPvRmT2_T3_mT4_P12ihipStream_tbEUlT_E_NS1_11comp_targetILNS1_3genE4ELNS1_11target_archE910ELNS1_3gpuE8ELNS1_3repE0EEENS1_30default_config_static_selectorELNS0_4arch9wavefront6targetE1EEEvT1_,@function
_ZN7rocprim17ROCPRIM_400000_NS6detail17trampoline_kernelINS0_14default_configENS1_35adjacent_difference_config_selectorILb0EtEEZNS1_24adjacent_difference_implIS3_Lb0ELb0EPKtPtN6thrust23THRUST_200600_302600_NS4plusItEEEE10hipError_tPvRmT2_T3_mT4_P12ihipStream_tbEUlT_E_NS1_11comp_targetILNS1_3genE4ELNS1_11target_archE910ELNS1_3gpuE8ELNS1_3repE0EEENS1_30default_config_static_selectorELNS0_4arch9wavefront6targetE1EEEvT1_: ; @_ZN7rocprim17ROCPRIM_400000_NS6detail17trampoline_kernelINS0_14default_configENS1_35adjacent_difference_config_selectorILb0EtEEZNS1_24adjacent_difference_implIS3_Lb0ELb0EPKtPtN6thrust23THRUST_200600_302600_NS4plusItEEEE10hipError_tPvRmT2_T3_mT4_P12ihipStream_tbEUlT_E_NS1_11comp_targetILNS1_3genE4ELNS1_11target_archE910ELNS1_3gpuE8ELNS1_3repE0EEENS1_30default_config_static_selectorELNS0_4arch9wavefront6targetE1EEEvT1_
; %bb.0:
	.section	.rodata,"a",@progbits
	.p2align	6, 0x0
	.amdhsa_kernel _ZN7rocprim17ROCPRIM_400000_NS6detail17trampoline_kernelINS0_14default_configENS1_35adjacent_difference_config_selectorILb0EtEEZNS1_24adjacent_difference_implIS3_Lb0ELb0EPKtPtN6thrust23THRUST_200600_302600_NS4plusItEEEE10hipError_tPvRmT2_T3_mT4_P12ihipStream_tbEUlT_E_NS1_11comp_targetILNS1_3genE4ELNS1_11target_archE910ELNS1_3gpuE8ELNS1_3repE0EEENS1_30default_config_static_selectorELNS0_4arch9wavefront6targetE1EEEvT1_
		.amdhsa_group_segment_fixed_size 0
		.amdhsa_private_segment_fixed_size 0
		.amdhsa_kernarg_size 56
		.amdhsa_user_sgpr_count 6
		.amdhsa_user_sgpr_private_segment_buffer 1
		.amdhsa_user_sgpr_dispatch_ptr 0
		.amdhsa_user_sgpr_queue_ptr 0
		.amdhsa_user_sgpr_kernarg_segment_ptr 1
		.amdhsa_user_sgpr_dispatch_id 0
		.amdhsa_user_sgpr_flat_scratch_init 0
		.amdhsa_user_sgpr_private_segment_size 0
		.amdhsa_uses_dynamic_stack 0
		.amdhsa_system_sgpr_private_segment_wavefront_offset 0
		.amdhsa_system_sgpr_workgroup_id_x 1
		.amdhsa_system_sgpr_workgroup_id_y 0
		.amdhsa_system_sgpr_workgroup_id_z 0
		.amdhsa_system_sgpr_workgroup_info 0
		.amdhsa_system_vgpr_workitem_id 0
		.amdhsa_next_free_vgpr 1
		.amdhsa_next_free_sgpr 0
		.amdhsa_reserve_vcc 0
		.amdhsa_reserve_flat_scratch 0
		.amdhsa_float_round_mode_32 0
		.amdhsa_float_round_mode_16_64 0
		.amdhsa_float_denorm_mode_32 3
		.amdhsa_float_denorm_mode_16_64 3
		.amdhsa_dx10_clamp 1
		.amdhsa_ieee_mode 1
		.amdhsa_fp16_overflow 0
		.amdhsa_exception_fp_ieee_invalid_op 0
		.amdhsa_exception_fp_denorm_src 0
		.amdhsa_exception_fp_ieee_div_zero 0
		.amdhsa_exception_fp_ieee_overflow 0
		.amdhsa_exception_fp_ieee_underflow 0
		.amdhsa_exception_fp_ieee_inexact 0
		.amdhsa_exception_int_div_zero 0
	.end_amdhsa_kernel
	.section	.text._ZN7rocprim17ROCPRIM_400000_NS6detail17trampoline_kernelINS0_14default_configENS1_35adjacent_difference_config_selectorILb0EtEEZNS1_24adjacent_difference_implIS3_Lb0ELb0EPKtPtN6thrust23THRUST_200600_302600_NS4plusItEEEE10hipError_tPvRmT2_T3_mT4_P12ihipStream_tbEUlT_E_NS1_11comp_targetILNS1_3genE4ELNS1_11target_archE910ELNS1_3gpuE8ELNS1_3repE0EEENS1_30default_config_static_selectorELNS0_4arch9wavefront6targetE1EEEvT1_,"axG",@progbits,_ZN7rocprim17ROCPRIM_400000_NS6detail17trampoline_kernelINS0_14default_configENS1_35adjacent_difference_config_selectorILb0EtEEZNS1_24adjacent_difference_implIS3_Lb0ELb0EPKtPtN6thrust23THRUST_200600_302600_NS4plusItEEEE10hipError_tPvRmT2_T3_mT4_P12ihipStream_tbEUlT_E_NS1_11comp_targetILNS1_3genE4ELNS1_11target_archE910ELNS1_3gpuE8ELNS1_3repE0EEENS1_30default_config_static_selectorELNS0_4arch9wavefront6targetE1EEEvT1_,comdat
.Lfunc_end676:
	.size	_ZN7rocprim17ROCPRIM_400000_NS6detail17trampoline_kernelINS0_14default_configENS1_35adjacent_difference_config_selectorILb0EtEEZNS1_24adjacent_difference_implIS3_Lb0ELb0EPKtPtN6thrust23THRUST_200600_302600_NS4plusItEEEE10hipError_tPvRmT2_T3_mT4_P12ihipStream_tbEUlT_E_NS1_11comp_targetILNS1_3genE4ELNS1_11target_archE910ELNS1_3gpuE8ELNS1_3repE0EEENS1_30default_config_static_selectorELNS0_4arch9wavefront6targetE1EEEvT1_, .Lfunc_end676-_ZN7rocprim17ROCPRIM_400000_NS6detail17trampoline_kernelINS0_14default_configENS1_35adjacent_difference_config_selectorILb0EtEEZNS1_24adjacent_difference_implIS3_Lb0ELb0EPKtPtN6thrust23THRUST_200600_302600_NS4plusItEEEE10hipError_tPvRmT2_T3_mT4_P12ihipStream_tbEUlT_E_NS1_11comp_targetILNS1_3genE4ELNS1_11target_archE910ELNS1_3gpuE8ELNS1_3repE0EEENS1_30default_config_static_selectorELNS0_4arch9wavefront6targetE1EEEvT1_
                                        ; -- End function
	.set _ZN7rocprim17ROCPRIM_400000_NS6detail17trampoline_kernelINS0_14default_configENS1_35adjacent_difference_config_selectorILb0EtEEZNS1_24adjacent_difference_implIS3_Lb0ELb0EPKtPtN6thrust23THRUST_200600_302600_NS4plusItEEEE10hipError_tPvRmT2_T3_mT4_P12ihipStream_tbEUlT_E_NS1_11comp_targetILNS1_3genE4ELNS1_11target_archE910ELNS1_3gpuE8ELNS1_3repE0EEENS1_30default_config_static_selectorELNS0_4arch9wavefront6targetE1EEEvT1_.num_vgpr, 0
	.set _ZN7rocprim17ROCPRIM_400000_NS6detail17trampoline_kernelINS0_14default_configENS1_35adjacent_difference_config_selectorILb0EtEEZNS1_24adjacent_difference_implIS3_Lb0ELb0EPKtPtN6thrust23THRUST_200600_302600_NS4plusItEEEE10hipError_tPvRmT2_T3_mT4_P12ihipStream_tbEUlT_E_NS1_11comp_targetILNS1_3genE4ELNS1_11target_archE910ELNS1_3gpuE8ELNS1_3repE0EEENS1_30default_config_static_selectorELNS0_4arch9wavefront6targetE1EEEvT1_.num_agpr, 0
	.set _ZN7rocprim17ROCPRIM_400000_NS6detail17trampoline_kernelINS0_14default_configENS1_35adjacent_difference_config_selectorILb0EtEEZNS1_24adjacent_difference_implIS3_Lb0ELb0EPKtPtN6thrust23THRUST_200600_302600_NS4plusItEEEE10hipError_tPvRmT2_T3_mT4_P12ihipStream_tbEUlT_E_NS1_11comp_targetILNS1_3genE4ELNS1_11target_archE910ELNS1_3gpuE8ELNS1_3repE0EEENS1_30default_config_static_selectorELNS0_4arch9wavefront6targetE1EEEvT1_.numbered_sgpr, 0
	.set _ZN7rocprim17ROCPRIM_400000_NS6detail17trampoline_kernelINS0_14default_configENS1_35adjacent_difference_config_selectorILb0EtEEZNS1_24adjacent_difference_implIS3_Lb0ELb0EPKtPtN6thrust23THRUST_200600_302600_NS4plusItEEEE10hipError_tPvRmT2_T3_mT4_P12ihipStream_tbEUlT_E_NS1_11comp_targetILNS1_3genE4ELNS1_11target_archE910ELNS1_3gpuE8ELNS1_3repE0EEENS1_30default_config_static_selectorELNS0_4arch9wavefront6targetE1EEEvT1_.num_named_barrier, 0
	.set _ZN7rocprim17ROCPRIM_400000_NS6detail17trampoline_kernelINS0_14default_configENS1_35adjacent_difference_config_selectorILb0EtEEZNS1_24adjacent_difference_implIS3_Lb0ELb0EPKtPtN6thrust23THRUST_200600_302600_NS4plusItEEEE10hipError_tPvRmT2_T3_mT4_P12ihipStream_tbEUlT_E_NS1_11comp_targetILNS1_3genE4ELNS1_11target_archE910ELNS1_3gpuE8ELNS1_3repE0EEENS1_30default_config_static_selectorELNS0_4arch9wavefront6targetE1EEEvT1_.private_seg_size, 0
	.set _ZN7rocprim17ROCPRIM_400000_NS6detail17trampoline_kernelINS0_14default_configENS1_35adjacent_difference_config_selectorILb0EtEEZNS1_24adjacent_difference_implIS3_Lb0ELb0EPKtPtN6thrust23THRUST_200600_302600_NS4plusItEEEE10hipError_tPvRmT2_T3_mT4_P12ihipStream_tbEUlT_E_NS1_11comp_targetILNS1_3genE4ELNS1_11target_archE910ELNS1_3gpuE8ELNS1_3repE0EEENS1_30default_config_static_selectorELNS0_4arch9wavefront6targetE1EEEvT1_.uses_vcc, 0
	.set _ZN7rocprim17ROCPRIM_400000_NS6detail17trampoline_kernelINS0_14default_configENS1_35adjacent_difference_config_selectorILb0EtEEZNS1_24adjacent_difference_implIS3_Lb0ELb0EPKtPtN6thrust23THRUST_200600_302600_NS4plusItEEEE10hipError_tPvRmT2_T3_mT4_P12ihipStream_tbEUlT_E_NS1_11comp_targetILNS1_3genE4ELNS1_11target_archE910ELNS1_3gpuE8ELNS1_3repE0EEENS1_30default_config_static_selectorELNS0_4arch9wavefront6targetE1EEEvT1_.uses_flat_scratch, 0
	.set _ZN7rocprim17ROCPRIM_400000_NS6detail17trampoline_kernelINS0_14default_configENS1_35adjacent_difference_config_selectorILb0EtEEZNS1_24adjacent_difference_implIS3_Lb0ELb0EPKtPtN6thrust23THRUST_200600_302600_NS4plusItEEEE10hipError_tPvRmT2_T3_mT4_P12ihipStream_tbEUlT_E_NS1_11comp_targetILNS1_3genE4ELNS1_11target_archE910ELNS1_3gpuE8ELNS1_3repE0EEENS1_30default_config_static_selectorELNS0_4arch9wavefront6targetE1EEEvT1_.has_dyn_sized_stack, 0
	.set _ZN7rocprim17ROCPRIM_400000_NS6detail17trampoline_kernelINS0_14default_configENS1_35adjacent_difference_config_selectorILb0EtEEZNS1_24adjacent_difference_implIS3_Lb0ELb0EPKtPtN6thrust23THRUST_200600_302600_NS4plusItEEEE10hipError_tPvRmT2_T3_mT4_P12ihipStream_tbEUlT_E_NS1_11comp_targetILNS1_3genE4ELNS1_11target_archE910ELNS1_3gpuE8ELNS1_3repE0EEENS1_30default_config_static_selectorELNS0_4arch9wavefront6targetE1EEEvT1_.has_recursion, 0
	.set _ZN7rocprim17ROCPRIM_400000_NS6detail17trampoline_kernelINS0_14default_configENS1_35adjacent_difference_config_selectorILb0EtEEZNS1_24adjacent_difference_implIS3_Lb0ELb0EPKtPtN6thrust23THRUST_200600_302600_NS4plusItEEEE10hipError_tPvRmT2_T3_mT4_P12ihipStream_tbEUlT_E_NS1_11comp_targetILNS1_3genE4ELNS1_11target_archE910ELNS1_3gpuE8ELNS1_3repE0EEENS1_30default_config_static_selectorELNS0_4arch9wavefront6targetE1EEEvT1_.has_indirect_call, 0
	.section	.AMDGPU.csdata,"",@progbits
; Kernel info:
; codeLenInByte = 0
; TotalNumSgprs: 4
; NumVgprs: 0
; ScratchSize: 0
; MemoryBound: 0
; FloatMode: 240
; IeeeMode: 1
; LDSByteSize: 0 bytes/workgroup (compile time only)
; SGPRBlocks: 0
; VGPRBlocks: 0
; NumSGPRsForWavesPerEU: 4
; NumVGPRsForWavesPerEU: 1
; Occupancy: 10
; WaveLimiterHint : 0
; COMPUTE_PGM_RSRC2:SCRATCH_EN: 0
; COMPUTE_PGM_RSRC2:USER_SGPR: 6
; COMPUTE_PGM_RSRC2:TRAP_HANDLER: 0
; COMPUTE_PGM_RSRC2:TGID_X_EN: 1
; COMPUTE_PGM_RSRC2:TGID_Y_EN: 0
; COMPUTE_PGM_RSRC2:TGID_Z_EN: 0
; COMPUTE_PGM_RSRC2:TIDIG_COMP_CNT: 0
	.section	.text._ZN7rocprim17ROCPRIM_400000_NS6detail17trampoline_kernelINS0_14default_configENS1_35adjacent_difference_config_selectorILb0EtEEZNS1_24adjacent_difference_implIS3_Lb0ELb0EPKtPtN6thrust23THRUST_200600_302600_NS4plusItEEEE10hipError_tPvRmT2_T3_mT4_P12ihipStream_tbEUlT_E_NS1_11comp_targetILNS1_3genE3ELNS1_11target_archE908ELNS1_3gpuE7ELNS1_3repE0EEENS1_30default_config_static_selectorELNS0_4arch9wavefront6targetE1EEEvT1_,"axG",@progbits,_ZN7rocprim17ROCPRIM_400000_NS6detail17trampoline_kernelINS0_14default_configENS1_35adjacent_difference_config_selectorILb0EtEEZNS1_24adjacent_difference_implIS3_Lb0ELb0EPKtPtN6thrust23THRUST_200600_302600_NS4plusItEEEE10hipError_tPvRmT2_T3_mT4_P12ihipStream_tbEUlT_E_NS1_11comp_targetILNS1_3genE3ELNS1_11target_archE908ELNS1_3gpuE7ELNS1_3repE0EEENS1_30default_config_static_selectorELNS0_4arch9wavefront6targetE1EEEvT1_,comdat
	.protected	_ZN7rocprim17ROCPRIM_400000_NS6detail17trampoline_kernelINS0_14default_configENS1_35adjacent_difference_config_selectorILb0EtEEZNS1_24adjacent_difference_implIS3_Lb0ELb0EPKtPtN6thrust23THRUST_200600_302600_NS4plusItEEEE10hipError_tPvRmT2_T3_mT4_P12ihipStream_tbEUlT_E_NS1_11comp_targetILNS1_3genE3ELNS1_11target_archE908ELNS1_3gpuE7ELNS1_3repE0EEENS1_30default_config_static_selectorELNS0_4arch9wavefront6targetE1EEEvT1_ ; -- Begin function _ZN7rocprim17ROCPRIM_400000_NS6detail17trampoline_kernelINS0_14default_configENS1_35adjacent_difference_config_selectorILb0EtEEZNS1_24adjacent_difference_implIS3_Lb0ELb0EPKtPtN6thrust23THRUST_200600_302600_NS4plusItEEEE10hipError_tPvRmT2_T3_mT4_P12ihipStream_tbEUlT_E_NS1_11comp_targetILNS1_3genE3ELNS1_11target_archE908ELNS1_3gpuE7ELNS1_3repE0EEENS1_30default_config_static_selectorELNS0_4arch9wavefront6targetE1EEEvT1_
	.globl	_ZN7rocprim17ROCPRIM_400000_NS6detail17trampoline_kernelINS0_14default_configENS1_35adjacent_difference_config_selectorILb0EtEEZNS1_24adjacent_difference_implIS3_Lb0ELb0EPKtPtN6thrust23THRUST_200600_302600_NS4plusItEEEE10hipError_tPvRmT2_T3_mT4_P12ihipStream_tbEUlT_E_NS1_11comp_targetILNS1_3genE3ELNS1_11target_archE908ELNS1_3gpuE7ELNS1_3repE0EEENS1_30default_config_static_selectorELNS0_4arch9wavefront6targetE1EEEvT1_
	.p2align	8
	.type	_ZN7rocprim17ROCPRIM_400000_NS6detail17trampoline_kernelINS0_14default_configENS1_35adjacent_difference_config_selectorILb0EtEEZNS1_24adjacent_difference_implIS3_Lb0ELb0EPKtPtN6thrust23THRUST_200600_302600_NS4plusItEEEE10hipError_tPvRmT2_T3_mT4_P12ihipStream_tbEUlT_E_NS1_11comp_targetILNS1_3genE3ELNS1_11target_archE908ELNS1_3gpuE7ELNS1_3repE0EEENS1_30default_config_static_selectorELNS0_4arch9wavefront6targetE1EEEvT1_,@function
_ZN7rocprim17ROCPRIM_400000_NS6detail17trampoline_kernelINS0_14default_configENS1_35adjacent_difference_config_selectorILb0EtEEZNS1_24adjacent_difference_implIS3_Lb0ELb0EPKtPtN6thrust23THRUST_200600_302600_NS4plusItEEEE10hipError_tPvRmT2_T3_mT4_P12ihipStream_tbEUlT_E_NS1_11comp_targetILNS1_3genE3ELNS1_11target_archE908ELNS1_3gpuE7ELNS1_3repE0EEENS1_30default_config_static_selectorELNS0_4arch9wavefront6targetE1EEEvT1_: ; @_ZN7rocprim17ROCPRIM_400000_NS6detail17trampoline_kernelINS0_14default_configENS1_35adjacent_difference_config_selectorILb0EtEEZNS1_24adjacent_difference_implIS3_Lb0ELb0EPKtPtN6thrust23THRUST_200600_302600_NS4plusItEEEE10hipError_tPvRmT2_T3_mT4_P12ihipStream_tbEUlT_E_NS1_11comp_targetILNS1_3genE3ELNS1_11target_archE908ELNS1_3gpuE7ELNS1_3repE0EEENS1_30default_config_static_selectorELNS0_4arch9wavefront6targetE1EEEvT1_
; %bb.0:
	.section	.rodata,"a",@progbits
	.p2align	6, 0x0
	.amdhsa_kernel _ZN7rocprim17ROCPRIM_400000_NS6detail17trampoline_kernelINS0_14default_configENS1_35adjacent_difference_config_selectorILb0EtEEZNS1_24adjacent_difference_implIS3_Lb0ELb0EPKtPtN6thrust23THRUST_200600_302600_NS4plusItEEEE10hipError_tPvRmT2_T3_mT4_P12ihipStream_tbEUlT_E_NS1_11comp_targetILNS1_3genE3ELNS1_11target_archE908ELNS1_3gpuE7ELNS1_3repE0EEENS1_30default_config_static_selectorELNS0_4arch9wavefront6targetE1EEEvT1_
		.amdhsa_group_segment_fixed_size 0
		.amdhsa_private_segment_fixed_size 0
		.amdhsa_kernarg_size 56
		.amdhsa_user_sgpr_count 6
		.amdhsa_user_sgpr_private_segment_buffer 1
		.amdhsa_user_sgpr_dispatch_ptr 0
		.amdhsa_user_sgpr_queue_ptr 0
		.amdhsa_user_sgpr_kernarg_segment_ptr 1
		.amdhsa_user_sgpr_dispatch_id 0
		.amdhsa_user_sgpr_flat_scratch_init 0
		.amdhsa_user_sgpr_private_segment_size 0
		.amdhsa_uses_dynamic_stack 0
		.amdhsa_system_sgpr_private_segment_wavefront_offset 0
		.amdhsa_system_sgpr_workgroup_id_x 1
		.amdhsa_system_sgpr_workgroup_id_y 0
		.amdhsa_system_sgpr_workgroup_id_z 0
		.amdhsa_system_sgpr_workgroup_info 0
		.amdhsa_system_vgpr_workitem_id 0
		.amdhsa_next_free_vgpr 1
		.amdhsa_next_free_sgpr 0
		.amdhsa_reserve_vcc 0
		.amdhsa_reserve_flat_scratch 0
		.amdhsa_float_round_mode_32 0
		.amdhsa_float_round_mode_16_64 0
		.amdhsa_float_denorm_mode_32 3
		.amdhsa_float_denorm_mode_16_64 3
		.amdhsa_dx10_clamp 1
		.amdhsa_ieee_mode 1
		.amdhsa_fp16_overflow 0
		.amdhsa_exception_fp_ieee_invalid_op 0
		.amdhsa_exception_fp_denorm_src 0
		.amdhsa_exception_fp_ieee_div_zero 0
		.amdhsa_exception_fp_ieee_overflow 0
		.amdhsa_exception_fp_ieee_underflow 0
		.amdhsa_exception_fp_ieee_inexact 0
		.amdhsa_exception_int_div_zero 0
	.end_amdhsa_kernel
	.section	.text._ZN7rocprim17ROCPRIM_400000_NS6detail17trampoline_kernelINS0_14default_configENS1_35adjacent_difference_config_selectorILb0EtEEZNS1_24adjacent_difference_implIS3_Lb0ELb0EPKtPtN6thrust23THRUST_200600_302600_NS4plusItEEEE10hipError_tPvRmT2_T3_mT4_P12ihipStream_tbEUlT_E_NS1_11comp_targetILNS1_3genE3ELNS1_11target_archE908ELNS1_3gpuE7ELNS1_3repE0EEENS1_30default_config_static_selectorELNS0_4arch9wavefront6targetE1EEEvT1_,"axG",@progbits,_ZN7rocprim17ROCPRIM_400000_NS6detail17trampoline_kernelINS0_14default_configENS1_35adjacent_difference_config_selectorILb0EtEEZNS1_24adjacent_difference_implIS3_Lb0ELb0EPKtPtN6thrust23THRUST_200600_302600_NS4plusItEEEE10hipError_tPvRmT2_T3_mT4_P12ihipStream_tbEUlT_E_NS1_11comp_targetILNS1_3genE3ELNS1_11target_archE908ELNS1_3gpuE7ELNS1_3repE0EEENS1_30default_config_static_selectorELNS0_4arch9wavefront6targetE1EEEvT1_,comdat
.Lfunc_end677:
	.size	_ZN7rocprim17ROCPRIM_400000_NS6detail17trampoline_kernelINS0_14default_configENS1_35adjacent_difference_config_selectorILb0EtEEZNS1_24adjacent_difference_implIS3_Lb0ELb0EPKtPtN6thrust23THRUST_200600_302600_NS4plusItEEEE10hipError_tPvRmT2_T3_mT4_P12ihipStream_tbEUlT_E_NS1_11comp_targetILNS1_3genE3ELNS1_11target_archE908ELNS1_3gpuE7ELNS1_3repE0EEENS1_30default_config_static_selectorELNS0_4arch9wavefront6targetE1EEEvT1_, .Lfunc_end677-_ZN7rocprim17ROCPRIM_400000_NS6detail17trampoline_kernelINS0_14default_configENS1_35adjacent_difference_config_selectorILb0EtEEZNS1_24adjacent_difference_implIS3_Lb0ELb0EPKtPtN6thrust23THRUST_200600_302600_NS4plusItEEEE10hipError_tPvRmT2_T3_mT4_P12ihipStream_tbEUlT_E_NS1_11comp_targetILNS1_3genE3ELNS1_11target_archE908ELNS1_3gpuE7ELNS1_3repE0EEENS1_30default_config_static_selectorELNS0_4arch9wavefront6targetE1EEEvT1_
                                        ; -- End function
	.set _ZN7rocprim17ROCPRIM_400000_NS6detail17trampoline_kernelINS0_14default_configENS1_35adjacent_difference_config_selectorILb0EtEEZNS1_24adjacent_difference_implIS3_Lb0ELb0EPKtPtN6thrust23THRUST_200600_302600_NS4plusItEEEE10hipError_tPvRmT2_T3_mT4_P12ihipStream_tbEUlT_E_NS1_11comp_targetILNS1_3genE3ELNS1_11target_archE908ELNS1_3gpuE7ELNS1_3repE0EEENS1_30default_config_static_selectorELNS0_4arch9wavefront6targetE1EEEvT1_.num_vgpr, 0
	.set _ZN7rocprim17ROCPRIM_400000_NS6detail17trampoline_kernelINS0_14default_configENS1_35adjacent_difference_config_selectorILb0EtEEZNS1_24adjacent_difference_implIS3_Lb0ELb0EPKtPtN6thrust23THRUST_200600_302600_NS4plusItEEEE10hipError_tPvRmT2_T3_mT4_P12ihipStream_tbEUlT_E_NS1_11comp_targetILNS1_3genE3ELNS1_11target_archE908ELNS1_3gpuE7ELNS1_3repE0EEENS1_30default_config_static_selectorELNS0_4arch9wavefront6targetE1EEEvT1_.num_agpr, 0
	.set _ZN7rocprim17ROCPRIM_400000_NS6detail17trampoline_kernelINS0_14default_configENS1_35adjacent_difference_config_selectorILb0EtEEZNS1_24adjacent_difference_implIS3_Lb0ELb0EPKtPtN6thrust23THRUST_200600_302600_NS4plusItEEEE10hipError_tPvRmT2_T3_mT4_P12ihipStream_tbEUlT_E_NS1_11comp_targetILNS1_3genE3ELNS1_11target_archE908ELNS1_3gpuE7ELNS1_3repE0EEENS1_30default_config_static_selectorELNS0_4arch9wavefront6targetE1EEEvT1_.numbered_sgpr, 0
	.set _ZN7rocprim17ROCPRIM_400000_NS6detail17trampoline_kernelINS0_14default_configENS1_35adjacent_difference_config_selectorILb0EtEEZNS1_24adjacent_difference_implIS3_Lb0ELb0EPKtPtN6thrust23THRUST_200600_302600_NS4plusItEEEE10hipError_tPvRmT2_T3_mT4_P12ihipStream_tbEUlT_E_NS1_11comp_targetILNS1_3genE3ELNS1_11target_archE908ELNS1_3gpuE7ELNS1_3repE0EEENS1_30default_config_static_selectorELNS0_4arch9wavefront6targetE1EEEvT1_.num_named_barrier, 0
	.set _ZN7rocprim17ROCPRIM_400000_NS6detail17trampoline_kernelINS0_14default_configENS1_35adjacent_difference_config_selectorILb0EtEEZNS1_24adjacent_difference_implIS3_Lb0ELb0EPKtPtN6thrust23THRUST_200600_302600_NS4plusItEEEE10hipError_tPvRmT2_T3_mT4_P12ihipStream_tbEUlT_E_NS1_11comp_targetILNS1_3genE3ELNS1_11target_archE908ELNS1_3gpuE7ELNS1_3repE0EEENS1_30default_config_static_selectorELNS0_4arch9wavefront6targetE1EEEvT1_.private_seg_size, 0
	.set _ZN7rocprim17ROCPRIM_400000_NS6detail17trampoline_kernelINS0_14default_configENS1_35adjacent_difference_config_selectorILb0EtEEZNS1_24adjacent_difference_implIS3_Lb0ELb0EPKtPtN6thrust23THRUST_200600_302600_NS4plusItEEEE10hipError_tPvRmT2_T3_mT4_P12ihipStream_tbEUlT_E_NS1_11comp_targetILNS1_3genE3ELNS1_11target_archE908ELNS1_3gpuE7ELNS1_3repE0EEENS1_30default_config_static_selectorELNS0_4arch9wavefront6targetE1EEEvT1_.uses_vcc, 0
	.set _ZN7rocprim17ROCPRIM_400000_NS6detail17trampoline_kernelINS0_14default_configENS1_35adjacent_difference_config_selectorILb0EtEEZNS1_24adjacent_difference_implIS3_Lb0ELb0EPKtPtN6thrust23THRUST_200600_302600_NS4plusItEEEE10hipError_tPvRmT2_T3_mT4_P12ihipStream_tbEUlT_E_NS1_11comp_targetILNS1_3genE3ELNS1_11target_archE908ELNS1_3gpuE7ELNS1_3repE0EEENS1_30default_config_static_selectorELNS0_4arch9wavefront6targetE1EEEvT1_.uses_flat_scratch, 0
	.set _ZN7rocprim17ROCPRIM_400000_NS6detail17trampoline_kernelINS0_14default_configENS1_35adjacent_difference_config_selectorILb0EtEEZNS1_24adjacent_difference_implIS3_Lb0ELb0EPKtPtN6thrust23THRUST_200600_302600_NS4plusItEEEE10hipError_tPvRmT2_T3_mT4_P12ihipStream_tbEUlT_E_NS1_11comp_targetILNS1_3genE3ELNS1_11target_archE908ELNS1_3gpuE7ELNS1_3repE0EEENS1_30default_config_static_selectorELNS0_4arch9wavefront6targetE1EEEvT1_.has_dyn_sized_stack, 0
	.set _ZN7rocprim17ROCPRIM_400000_NS6detail17trampoline_kernelINS0_14default_configENS1_35adjacent_difference_config_selectorILb0EtEEZNS1_24adjacent_difference_implIS3_Lb0ELb0EPKtPtN6thrust23THRUST_200600_302600_NS4plusItEEEE10hipError_tPvRmT2_T3_mT4_P12ihipStream_tbEUlT_E_NS1_11comp_targetILNS1_3genE3ELNS1_11target_archE908ELNS1_3gpuE7ELNS1_3repE0EEENS1_30default_config_static_selectorELNS0_4arch9wavefront6targetE1EEEvT1_.has_recursion, 0
	.set _ZN7rocprim17ROCPRIM_400000_NS6detail17trampoline_kernelINS0_14default_configENS1_35adjacent_difference_config_selectorILb0EtEEZNS1_24adjacent_difference_implIS3_Lb0ELb0EPKtPtN6thrust23THRUST_200600_302600_NS4plusItEEEE10hipError_tPvRmT2_T3_mT4_P12ihipStream_tbEUlT_E_NS1_11comp_targetILNS1_3genE3ELNS1_11target_archE908ELNS1_3gpuE7ELNS1_3repE0EEENS1_30default_config_static_selectorELNS0_4arch9wavefront6targetE1EEEvT1_.has_indirect_call, 0
	.section	.AMDGPU.csdata,"",@progbits
; Kernel info:
; codeLenInByte = 0
; TotalNumSgprs: 4
; NumVgprs: 0
; ScratchSize: 0
; MemoryBound: 0
; FloatMode: 240
; IeeeMode: 1
; LDSByteSize: 0 bytes/workgroup (compile time only)
; SGPRBlocks: 0
; VGPRBlocks: 0
; NumSGPRsForWavesPerEU: 4
; NumVGPRsForWavesPerEU: 1
; Occupancy: 10
; WaveLimiterHint : 0
; COMPUTE_PGM_RSRC2:SCRATCH_EN: 0
; COMPUTE_PGM_RSRC2:USER_SGPR: 6
; COMPUTE_PGM_RSRC2:TRAP_HANDLER: 0
; COMPUTE_PGM_RSRC2:TGID_X_EN: 1
; COMPUTE_PGM_RSRC2:TGID_Y_EN: 0
; COMPUTE_PGM_RSRC2:TGID_Z_EN: 0
; COMPUTE_PGM_RSRC2:TIDIG_COMP_CNT: 0
	.section	.text._ZN7rocprim17ROCPRIM_400000_NS6detail17trampoline_kernelINS0_14default_configENS1_35adjacent_difference_config_selectorILb0EtEEZNS1_24adjacent_difference_implIS3_Lb0ELb0EPKtPtN6thrust23THRUST_200600_302600_NS4plusItEEEE10hipError_tPvRmT2_T3_mT4_P12ihipStream_tbEUlT_E_NS1_11comp_targetILNS1_3genE2ELNS1_11target_archE906ELNS1_3gpuE6ELNS1_3repE0EEENS1_30default_config_static_selectorELNS0_4arch9wavefront6targetE1EEEvT1_,"axG",@progbits,_ZN7rocprim17ROCPRIM_400000_NS6detail17trampoline_kernelINS0_14default_configENS1_35adjacent_difference_config_selectorILb0EtEEZNS1_24adjacent_difference_implIS3_Lb0ELb0EPKtPtN6thrust23THRUST_200600_302600_NS4plusItEEEE10hipError_tPvRmT2_T3_mT4_P12ihipStream_tbEUlT_E_NS1_11comp_targetILNS1_3genE2ELNS1_11target_archE906ELNS1_3gpuE6ELNS1_3repE0EEENS1_30default_config_static_selectorELNS0_4arch9wavefront6targetE1EEEvT1_,comdat
	.protected	_ZN7rocprim17ROCPRIM_400000_NS6detail17trampoline_kernelINS0_14default_configENS1_35adjacent_difference_config_selectorILb0EtEEZNS1_24adjacent_difference_implIS3_Lb0ELb0EPKtPtN6thrust23THRUST_200600_302600_NS4plusItEEEE10hipError_tPvRmT2_T3_mT4_P12ihipStream_tbEUlT_E_NS1_11comp_targetILNS1_3genE2ELNS1_11target_archE906ELNS1_3gpuE6ELNS1_3repE0EEENS1_30default_config_static_selectorELNS0_4arch9wavefront6targetE1EEEvT1_ ; -- Begin function _ZN7rocprim17ROCPRIM_400000_NS6detail17trampoline_kernelINS0_14default_configENS1_35adjacent_difference_config_selectorILb0EtEEZNS1_24adjacent_difference_implIS3_Lb0ELb0EPKtPtN6thrust23THRUST_200600_302600_NS4plusItEEEE10hipError_tPvRmT2_T3_mT4_P12ihipStream_tbEUlT_E_NS1_11comp_targetILNS1_3genE2ELNS1_11target_archE906ELNS1_3gpuE6ELNS1_3repE0EEENS1_30default_config_static_selectorELNS0_4arch9wavefront6targetE1EEEvT1_
	.globl	_ZN7rocprim17ROCPRIM_400000_NS6detail17trampoline_kernelINS0_14default_configENS1_35adjacent_difference_config_selectorILb0EtEEZNS1_24adjacent_difference_implIS3_Lb0ELb0EPKtPtN6thrust23THRUST_200600_302600_NS4plusItEEEE10hipError_tPvRmT2_T3_mT4_P12ihipStream_tbEUlT_E_NS1_11comp_targetILNS1_3genE2ELNS1_11target_archE906ELNS1_3gpuE6ELNS1_3repE0EEENS1_30default_config_static_selectorELNS0_4arch9wavefront6targetE1EEEvT1_
	.p2align	8
	.type	_ZN7rocprim17ROCPRIM_400000_NS6detail17trampoline_kernelINS0_14default_configENS1_35adjacent_difference_config_selectorILb0EtEEZNS1_24adjacent_difference_implIS3_Lb0ELb0EPKtPtN6thrust23THRUST_200600_302600_NS4plusItEEEE10hipError_tPvRmT2_T3_mT4_P12ihipStream_tbEUlT_E_NS1_11comp_targetILNS1_3genE2ELNS1_11target_archE906ELNS1_3gpuE6ELNS1_3repE0EEENS1_30default_config_static_selectorELNS0_4arch9wavefront6targetE1EEEvT1_,@function
_ZN7rocprim17ROCPRIM_400000_NS6detail17trampoline_kernelINS0_14default_configENS1_35adjacent_difference_config_selectorILb0EtEEZNS1_24adjacent_difference_implIS3_Lb0ELb0EPKtPtN6thrust23THRUST_200600_302600_NS4plusItEEEE10hipError_tPvRmT2_T3_mT4_P12ihipStream_tbEUlT_E_NS1_11comp_targetILNS1_3genE2ELNS1_11target_archE906ELNS1_3gpuE6ELNS1_3repE0EEENS1_30default_config_static_selectorELNS0_4arch9wavefront6targetE1EEEvT1_: ; @_ZN7rocprim17ROCPRIM_400000_NS6detail17trampoline_kernelINS0_14default_configENS1_35adjacent_difference_config_selectorILb0EtEEZNS1_24adjacent_difference_implIS3_Lb0ELb0EPKtPtN6thrust23THRUST_200600_302600_NS4plusItEEEE10hipError_tPvRmT2_T3_mT4_P12ihipStream_tbEUlT_E_NS1_11comp_targetILNS1_3genE2ELNS1_11target_archE906ELNS1_3gpuE6ELNS1_3repE0EEENS1_30default_config_static_selectorELNS0_4arch9wavefront6targetE1EEEvT1_
; %bb.0:
	s_load_dwordx8 s[8:15], s[4:5], 0x0
	s_load_dwordx2 s[0:1], s[4:5], 0x30
	s_mul_i32 s16, s6, 0x1c0
	s_mov_b32 s17, 0
	s_waitcnt lgkmcnt(0)
	s_lshl_b64 s[10:11], s[10:11], 1
	s_add_u32 s20, s8, s10
	s_addc_u32 s21, s9, s11
	s_lshr_b64 s[2:3], s[14:15], 6
	s_lshr_b32 s5, s15, 6
	s_mul_hi_u32 s3, s2, 0x24924924
	s_mul_i32 s4, s2, 0x24924924
	s_mul_i32 s8, s5, 0x92492493
	s_mul_hi_u32 s2, s2, 0x92492493
	s_mul_hi_u32 s7, s5, 0x92492493
	s_add_u32 s2, s8, s2
	s_addc_u32 s7, s7, 0
	s_add_u32 s2, s4, s2
	s_addc_u32 s2, s3, 0
	;; [unrolled: 2-line block ×3, first 2 shown]
	s_mul_hi_u32 s4, s5, 0x24924924
	s_mul_i32 s5, s5, 0x24924924
	s_add_u32 s5, s5, s2
	s_addc_u32 s4, s4, s3
	s_mul_i32 s2, s4, 0x1c0
	s_mul_hi_u32 s3, s5, 0x1c0
	s_add_i32 s3, s3, s2
	s_mul_i32 s2, s5, 0x1c0
	s_sub_u32 s2, s14, s2
	s_subb_u32 s3, s15, s3
	s_cmp_lg_u64 s[2:3], 0
	s_cselect_b64 s[2:3], -1, 0
	v_cndmask_b32_e64 v1, 0, 1, s[2:3]
	v_readfirstlane_b32 s2, v1
	s_add_u32 s2, s5, s2
	s_addc_u32 s3, s4, 0
	s_add_u32 s4, s0, s6
	s_addc_u32 s5, s1, 0
	s_add_u32 s6, s2, -1
	s_addc_u32 s7, s3, -1
	v_mov_b32_e32 v1, s6
	v_mov_b32_e32 v2, s7
	v_cmp_ge_u64_e64 s[0:1], s[4:5], v[1:2]
	s_mov_b64 s[8:9], -1
	s_and_b64 vcc, exec, s[0:1]
	s_mul_i32 s15, s6, 0xfffffe40
	s_cbranch_vccz .LBB678_16
; %bb.1:
	s_add_i32 s22, s15, s14
	s_lshl_b64 s[8:9], s[16:17], 1
	s_add_u32 s8, s20, s8
	v_mov_b32_e32 v1, 0
	s_addc_u32 s9, s21, s9
	v_cmp_gt_u32_e32 vcc, s22, v0
	v_mov_b32_e32 v2, v1
	v_mov_b32_e32 v3, v1
	;; [unrolled: 1-line block ×3, first 2 shown]
	s_and_saveexec_b64 s[18:19], vcc
	s_cbranch_execz .LBB678_3
; %bb.2:
	v_lshlrev_b32_e32 v2, 1, v0
	global_load_ushort v2, v2, s[8:9]
	v_mov_b32_e32 v3, v1
	v_mov_b32_e32 v4, v1
	;; [unrolled: 1-line block ×3, first 2 shown]
	s_waitcnt vmcnt(0)
	v_and_b32_e32 v2, 0xffff, v2
	v_mov_b32_e32 v1, v2
	v_mov_b32_e32 v2, v3
	;; [unrolled: 1-line block ×4, first 2 shown]
.LBB678_3:
	s_or_b64 exec, exec, s[18:19]
	v_or_b32_e32 v5, 64, v0
	v_cmp_gt_u32_e32 vcc, s22, v5
	s_and_saveexec_b64 s[18:19], vcc
	s_cbranch_execz .LBB678_5
; %bb.4:
	v_lshlrev_b32_e32 v5, 1, v0
	global_load_ushort v5, v5, s[8:9] offset:128
	s_mov_b32 s17, 0x5040100
	s_waitcnt vmcnt(0)
	v_perm_b32 v1, v5, v1, s17
.LBB678_5:
	s_or_b64 exec, exec, s[18:19]
	v_or_b32_e32 v5, 0x80, v0
	v_cmp_gt_u32_e32 vcc, s22, v5
	s_and_saveexec_b64 s[18:19], vcc
	s_cbranch_execz .LBB678_7
; %bb.6:
	v_lshlrev_b32_e32 v5, 1, v0
	global_load_ushort v5, v5, s[8:9] offset:256
	s_mov_b32 s17, 0xffff
	s_waitcnt vmcnt(0)
	v_bfi_b32 v2, s17, v5, v2
.LBB678_7:
	s_or_b64 exec, exec, s[18:19]
	v_or_b32_e32 v5, 0xc0, v0
	v_cmp_gt_u32_e32 vcc, s22, v5
	s_and_saveexec_b64 s[18:19], vcc
	s_cbranch_execz .LBB678_9
; %bb.8:
	v_lshlrev_b32_e32 v5, 1, v0
	global_load_ushort v5, v5, s[8:9] offset:384
	s_mov_b32 s17, 0x5040100
	s_waitcnt vmcnt(0)
	v_perm_b32 v2, v5, v2, s17
.LBB678_9:
	s_or_b64 exec, exec, s[18:19]
	v_or_b32_e32 v5, 0x100, v0
	v_cmp_gt_u32_e32 vcc, s22, v5
	s_and_saveexec_b64 s[18:19], vcc
	s_cbranch_execz .LBB678_11
; %bb.10:
	v_lshlrev_b32_e32 v5, 1, v0
	global_load_ushort v5, v5, s[8:9] offset:512
	s_mov_b32 s17, 0xffff
	s_waitcnt vmcnt(0)
	v_bfi_b32 v3, s17, v5, v3
.LBB678_11:
	s_or_b64 exec, exec, s[18:19]
	v_or_b32_e32 v5, 0x140, v0
	v_cmp_gt_u32_e32 vcc, s22, v5
	s_and_saveexec_b64 s[18:19], vcc
	s_cbranch_execz .LBB678_13
; %bb.12:
	v_lshlrev_b32_e32 v5, 1, v0
	global_load_ushort v5, v5, s[8:9] offset:640
	s_mov_b32 s17, 0x5040100
	s_waitcnt vmcnt(0)
	v_perm_b32 v3, v5, v3, s17
.LBB678_13:
	s_or_b64 exec, exec, s[18:19]
	v_or_b32_e32 v5, 0x180, v0
	v_cmp_gt_u32_e32 vcc, s22, v5
	s_and_saveexec_b64 s[18:19], vcc
	s_cbranch_execz .LBB678_15
; %bb.14:
	v_lshlrev_b32_e32 v4, 1, v0
	global_load_ushort v4, v4, s[8:9] offset:768
.LBB678_15:
	s_or_b64 exec, exec, s[18:19]
	v_lshlrev_b32_e32 v5, 1, v0
	s_mov_b64 s[8:9], 0
	ds_write_b16 v5, v1
	ds_write_b16_d16_hi v5, v1 offset:128
	ds_write_b16 v5, v2 offset:256
	ds_write_b16_d16_hi v5, v2 offset:384
	ds_write_b16 v5, v3 offset:512
	ds_write_b16_d16_hi v5, v3 offset:640
	s_waitcnt vmcnt(0)
	ds_write_b16 v5, v4 offset:768
	s_waitcnt lgkmcnt(0)
	; wave barrier
.LBB678_16:
	s_and_b64 vcc, exec, s[8:9]
	v_lshlrev_b32_e32 v7, 1, v0
	s_cbranch_vccz .LBB678_18
; %bb.17:
	s_mov_b32 s17, 0
	s_lshl_b64 s[8:9], s[16:17], 1
	s_add_u32 s8, s20, s8
	s_addc_u32 s9, s21, s9
	global_load_ushort v1, v7, s[8:9]
	global_load_ushort v2, v7, s[8:9] offset:128
	global_load_ushort v3, v7, s[8:9] offset:256
	;; [unrolled: 1-line block ×6, first 2 shown]
	s_waitcnt vmcnt(6)
	ds_write_b16 v7, v1
	s_waitcnt vmcnt(5)
	ds_write_b16 v7, v2 offset:128
	s_waitcnt vmcnt(4)
	ds_write_b16 v7, v3 offset:256
	;; [unrolled: 2-line block ×6, first 2 shown]
	s_waitcnt lgkmcnt(0)
	; wave barrier
.LBB678_18:
	v_mul_u32_u24_e32 v8, 14, v0
	ds_read_b96 v[4:6], v8 offset:2
	ds_read_b32 v9, v8
	s_cmp_eq_u64 s[4:5], 0
	s_waitcnt lgkmcnt(0)
	; wave barrier
	v_lshrrev_b32_e32 v11, 16, v4
	v_lshrrev_b32_e32 v12, 16, v5
	;; [unrolled: 1-line block ×3, first 2 shown]
	s_cbranch_scc1 .LBB678_23
; %bb.19:
	s_mov_b32 s17, 0
	s_lshl_b64 s[8:9], s[16:17], 1
	s_add_u32 s8, s20, s8
	s_addc_u32 s9, s21, s9
	v_mov_b32_e32 v1, 0
	global_load_ushort v15, v1, s[8:9] offset:-2
	s_cmp_eq_u64 s[4:5], s[6:7]
	s_cbranch_scc1 .LBB678_24
; %bb.20:
	v_alignbit_b32 v1, v6, v5, 16
	v_pk_add_u16 v10, v6, v1
	v_alignbit_b32 v1, v5, v4, 16
	s_mov_b32 s5, 0xffff
	v_pk_add_u16 v3, v5, v1
	v_bfi_b32 v1, s5, v9, v4
	v_pk_add_u16 v2, v4, v1 op_sel_hi:[0,1]
	v_cmp_ne_u32_e32 vcc, 0, v0
	s_waitcnt vmcnt(0)
	v_mov_b32_e32 v14, v15
	ds_write_b16 v7, v13
	s_waitcnt lgkmcnt(0)
	; wave barrier
	s_and_saveexec_b64 s[6:7], vcc
; %bb.21:
	v_add_u32_e32 v1, -2, v7
	ds_read_u16 v14, v1
; %bb.22:
	s_or_b64 exec, exec, s[6:7]
	v_lshlrev_b32_e32 v1, 16, v2
	v_alignbit_b32 v2, v3, v2, 16
	v_alignbit_b32 v3, v10, v3, 16
	v_lshrrev_b32_e32 v10, 16, v10
	s_cbranch_execz .LBB678_25
	s_branch .LBB678_28
.LBB678_23:
	s_mov_b64 s[18:19], 0
                                        ; implicit-def: $vgpr3
                                        ; implicit-def: $vgpr14
                                        ; implicit-def: $vgpr10
	s_branch .LBB678_29
.LBB678_24:
                                        ; implicit-def: $vgpr10
                                        ; implicit-def: $vgpr3
                                        ; implicit-def: $vgpr14
.LBB678_25:
	s_waitcnt lgkmcnt(0)
	v_mul_u32_u24_e32 v14, 7, v0
	v_cmp_ne_u32_e32 vcc, 0, v0
	ds_write_b16 v7, v13
	s_waitcnt lgkmcnt(0)
	; wave barrier
	s_and_saveexec_b64 s[6:7], vcc
	s_cbranch_execz .LBB678_27
; %bb.26:
	v_add_u32_e32 v1, -2, v7
	s_waitcnt vmcnt(0)
	ds_read_u16 v15, v1
.LBB678_27:
	s_or_b64 exec, exec, s[6:7]
	s_mulk_i32 s4, 0xfe40
	s_add_i32 s4, s4, s14
	v_add_u32_e32 v1, 6, v14
	v_alignbit_b32 v3, s0, v6, 16
	v_alignbit_b32 v2, s0, v6, 16
	v_pk_add_u16 v3, v3, v6
	v_cmp_gt_u32_e32 vcc, s4, v1
	v_cndmask_b32_e32 v10, v2, v3, vcc
	v_alignbit_b32 v3, s0, v5, 16
	v_add_u32_e32 v1, 5, v14
	v_pk_add_u16 v16, v6, v3
	v_lshlrev_b32_e32 v2, 16, v6
	v_lshlrev_b32_e32 v16, 16, v16
	v_cmp_gt_u32_e32 vcc, s4, v1
	v_cndmask_b32_e32 v1, v2, v16, vcc
	v_add_u32_e32 v2, 4, v14
	s_mov_b32 s5, 0xffff
	v_pk_add_u16 v3, v3, v5
	v_bfi_b32 v16, s5, v12, v1
	v_bfi_b32 v1, s5, v3, v1
	v_cmp_gt_u32_e32 vcc, s4, v2
	v_cndmask_b32_e32 v3, v16, v1, vcc
	v_alignbit_b32 v16, s0, v4, 16
	v_add_u32_e32 v1, 3, v14
	v_pk_add_u16 v17, v5, v16
	v_lshlrev_b32_e32 v2, 16, v5
	v_lshlrev_b32_e32 v17, 16, v17
	v_cmp_gt_u32_e32 vcc, s4, v1
	v_cndmask_b32_e32 v1, v2, v17, vcc
	v_add_u32_e32 v2, 2, v14
	v_pk_add_u16 v16, v16, v4
	v_bfi_b32 v17, s5, v11, v1
	v_bfi_b32 v1, s5, v16, v1
	v_cmp_gt_u32_e32 vcc, s4, v2
	v_cndmask_b32_e32 v2, v17, v1, vcc
	v_add_u32_e32 v1, 1, v14
	s_mov_b32 s5, 0x5040100
	v_pk_add_u16 v17, v4, v9
	v_perm_b32 v16, v4, 0, s5
	v_perm_b32 v17, v17, 0, s5
	v_cmp_gt_u32_e32 vcc, s4, v1
	v_cndmask_b32_e32 v1, v16, v17, vcc
	v_cmp_gt_u32_e32 vcc, s4, v14
	s_waitcnt vmcnt(0) lgkmcnt(0)
	v_cndmask_b32_e32 v14, 0, v15, vcc
.LBB678_28:
	s_mov_b64 s[18:19], -1
	s_cbranch_execnz .LBB678_37
.LBB678_29:
	s_cmp_lg_u64 s[2:3], 1
	s_waitcnt vmcnt(0)
	v_pk_add_u16 v15, v4, v9
	v_cmp_ne_u32_e32 vcc, 0, v0
	s_cbranch_scc0 .LBB678_33
; %bb.30:
	v_alignbit_b32 v1, v6, v5, 16
	v_pk_add_u16 v10, v6, v1
	v_alignbit_b32 v1, v5, v4, 16
	v_pk_add_u16 v3, v5, v1
	s_mov_b32 s4, 0x5040100
	ds_write_b16 v7, v13
	s_waitcnt lgkmcnt(0)
	; wave barrier
                                        ; implicit-def: $vgpr14
	s_and_saveexec_b64 s[2:3], vcc
; %bb.31:
	v_add_u32_e32 v1, -2, v7
	ds_read_u16 v14, v1
	s_or_b64 s[18:19], s[18:19], exec
; %bb.32:
	s_or_b64 exec, exec, s[2:3]
	v_perm_b32 v1, v15, v9, s4
	v_alignbit_b32 v2, v3, v15, 16
	v_alignbit_b32 v3, v10, v3, 16
	v_lshrrev_b32_e32 v10, 16, v10
	s_branch .LBB678_37
.LBB678_33:
                                        ; implicit-def: $vgpr10
                                        ; implicit-def: $vgpr3
                                        ; implicit-def: $vgpr14
	s_cbranch_execz .LBB678_37
; %bb.34:
	v_mul_u32_u24_e32 v10, 7, v0
	v_add_u32_e32 v2, 6, v10
	v_cmp_gt_u32_e32 vcc, s14, v2
	v_alignbit_b32 v2, s0, v6, 16
	s_waitcnt lgkmcnt(0)
	v_alignbit_b32 v14, s0, v5, 16
	ds_write_b16 v7, v13
	v_alignbit_b32 v1, s0, v6, 16
	v_pk_add_u16 v2, v2, v6
	v_add_u32_e32 v3, 5, v10
	v_lshlrev_b32_e32 v13, 16, v6
	v_pk_add_u16 v6, v6, v14
	v_lshlrev_b32_e32 v6, 16, v6
	v_cmp_gt_u32_e64 s[2:3], s14, v3
	v_cndmask_b32_e64 v6, v13, v6, s[2:3]
	s_mov_b32 s17, 0xffff
	v_add_u32_e32 v13, 4, v10
	v_bfi_b32 v3, s17, v12, v6
	v_pk_add_u16 v12, v14, v5
	v_alignbit_b32 v14, s0, v4, 16
	v_cmp_gt_u32_e64 s[2:3], s14, v13
	v_bfi_b32 v6, s17, v12, v6
	v_add_u32_e32 v12, 3, v10
	v_lshlrev_b32_e32 v13, 16, v5
	v_pk_add_u16 v5, v5, v14
	v_lshlrev_b32_e32 v5, 16, v5
	v_cmp_gt_u32_e64 s[4:5], s14, v12
	v_cndmask_b32_e64 v12, v13, v5, s[4:5]
	v_bfi_b32 v5, s17, v11, v12
	v_pk_add_u16 v11, v14, v4
	v_add_u32_e32 v13, 2, v10
	v_bfi_b32 v11, s17, v11, v12
	v_add_u32_e32 v12, 1, v10
	s_mov_b32 s6, 0x5040100
	v_cmp_gt_u32_e64 s[4:5], s14, v13
	v_perm_b32 v4, v4, 0, s6
	v_lshlrev_b32_e32 v13, 16, v15
	v_cmp_gt_u32_e64 s[6:7], s14, v12
	v_cndmask_b32_e64 v4, v4, v13, s[6:7]
	v_cmp_ne_u32_e64 s[6:7], 0, v0
	v_cmp_gt_u32_e64 s[8:9], s14, v10
	s_and_b64 s[8:9], s[6:7], s[8:9]
	s_waitcnt lgkmcnt(0)
	; wave barrier
                                        ; implicit-def: $vgpr14
	s_and_saveexec_b64 s[6:7], s[8:9]
; %bb.35:
	v_add_u32_e32 v10, -2, v7
	ds_read_u16 v14, v10
	s_or_b64 s[18:19], s[18:19], exec
; %bb.36:
	s_or_b64 exec, exec, s[6:7]
	v_cndmask_b32_e32 v10, v1, v2, vcc
	v_cndmask_b32_e64 v3, v3, v6, s[2:3]
	v_cndmask_b32_e64 v2, v5, v11, s[4:5]
	v_bfi_b32 v1, s17, v9, v4
.LBB678_37:
	s_and_saveexec_b64 s[2:3], s[18:19]
	s_cbranch_execz .LBB678_39
; %bb.38:
	s_waitcnt lgkmcnt(0)
	v_add_u16_e32 v4, v14, v9
	s_mov_b32 s4, 0xffff
	v_bfi_b32 v1, s4, v4, v1
.LBB678_39:
	s_or_b64 exec, exec, s[2:3]
	s_add_u32 s4, s12, s10
	s_addc_u32 s5, s13, s11
	s_and_b64 vcc, exec, s[0:1]
	v_mul_i32_i24_e32 v6, -12, v0
	s_waitcnt lgkmcnt(0)
	; wave barrier
	s_cbranch_vccz .LBB678_53
; %bb.40:
	v_mad_u32_u24 v4, v0, 14, v6
	ds_write_b96 v8, v[1:3]
	ds_write_b16 v8, v10 offset:12
	s_waitcnt vmcnt(0) lgkmcnt(0)
	; wave barrier
	ds_read_u16 v15, v4 offset:128
	ds_read_u16 v14, v4 offset:256
	;; [unrolled: 1-line block ×6, first 2 shown]
	s_mov_b32 s17, 0
	s_add_i32 s15, s15, s14
	s_lshl_b64 s[0:1], s[16:17], 1
	s_add_u32 s0, s4, s0
	s_addc_u32 s1, s5, s1
	v_mov_b32_e32 v5, s1
	v_add_co_u32_e32 v4, vcc, s0, v7
	v_addc_co_u32_e32 v5, vcc, 0, v5, vcc
	v_cmp_gt_u32_e32 vcc, s15, v0
	s_and_saveexec_b64 s[0:1], vcc
	s_cbranch_execz .LBB678_42
; %bb.41:
	v_add_u32_e32 v16, v8, v6
	ds_read_u16 v16, v16
	s_waitcnt lgkmcnt(0)
	global_store_short v[4:5], v16, off
.LBB678_42:
	s_or_b64 exec, exec, s[0:1]
	v_or_b32_e32 v16, 64, v0
	v_cmp_gt_u32_e32 vcc, s15, v16
	s_and_saveexec_b64 s[0:1], vcc
	s_cbranch_execz .LBB678_44
; %bb.43:
	s_waitcnt lgkmcnt(5)
	global_store_short v[4:5], v15, off offset:128
.LBB678_44:
	s_or_b64 exec, exec, s[0:1]
	s_waitcnt lgkmcnt(5)
	v_or_b32_e32 v15, 0x80, v0
	v_cmp_gt_u32_e32 vcc, s15, v15
	s_and_saveexec_b64 s[0:1], vcc
	s_cbranch_execz .LBB678_46
; %bb.45:
	s_waitcnt lgkmcnt(4)
	global_store_short v[4:5], v14, off offset:256
.LBB678_46:
	s_or_b64 exec, exec, s[0:1]
	s_waitcnt lgkmcnt(4)
	;; [unrolled: 10-line block ×5, first 2 shown]
	v_or_b32_e32 v11, 0x180, v0
	v_cmp_gt_u32_e64 s[0:1], s15, v11
	s_branch .LBB678_55
.LBB678_53:
	s_mov_b64 s[0:1], 0
                                        ; implicit-def: $vgpr9
                                        ; implicit-def: $vgpr4_vgpr5
	s_cbranch_execz .LBB678_55
; %bb.54:
	s_mov_b32 s17, 0
	s_lshl_b64 s[2:3], s[16:17], 1
	v_mad_u32_u24 v0, v0, 14, v6
	s_add_u32 s2, s4, s2
	ds_write_b96 v8, v[1:3]
	ds_write_b16 v8, v10 offset:12
	s_waitcnt lgkmcnt(0)
	; wave barrier
	ds_read_u16 v1, v0
	ds_read_u16 v2, v0 offset:128
	ds_read_u16 v3, v0 offset:256
	;; [unrolled: 1-line block ×6, first 2 shown]
	s_addc_u32 s3, s5, s3
	v_mov_b32_e32 v0, s3
	v_add_co_u32_e32 v4, vcc, s2, v7
	v_addc_co_u32_e32 v5, vcc, 0, v0, vcc
	s_or_b64 s[0:1], s[0:1], exec
	s_waitcnt lgkmcnt(6)
	global_store_short v7, v1, s[2:3]
	s_waitcnt lgkmcnt(5)
	global_store_short v7, v2, s[2:3] offset:128
	s_waitcnt lgkmcnt(4)
	global_store_short v7, v3, s[2:3] offset:256
	;; [unrolled: 2-line block ×5, first 2 shown]
.LBB678_55:
	s_and_saveexec_b64 s[2:3], s[0:1]
	s_cbranch_execnz .LBB678_57
; %bb.56:
	s_endpgm
.LBB678_57:
	s_waitcnt lgkmcnt(0)
	global_store_short v[4:5], v9, off offset:768
	s_endpgm
	.section	.rodata,"a",@progbits
	.p2align	6, 0x0
	.amdhsa_kernel _ZN7rocprim17ROCPRIM_400000_NS6detail17trampoline_kernelINS0_14default_configENS1_35adjacent_difference_config_selectorILb0EtEEZNS1_24adjacent_difference_implIS3_Lb0ELb0EPKtPtN6thrust23THRUST_200600_302600_NS4plusItEEEE10hipError_tPvRmT2_T3_mT4_P12ihipStream_tbEUlT_E_NS1_11comp_targetILNS1_3genE2ELNS1_11target_archE906ELNS1_3gpuE6ELNS1_3repE0EEENS1_30default_config_static_selectorELNS0_4arch9wavefront6targetE1EEEvT1_
		.amdhsa_group_segment_fixed_size 896
		.amdhsa_private_segment_fixed_size 0
		.amdhsa_kernarg_size 56
		.amdhsa_user_sgpr_count 6
		.amdhsa_user_sgpr_private_segment_buffer 1
		.amdhsa_user_sgpr_dispatch_ptr 0
		.amdhsa_user_sgpr_queue_ptr 0
		.amdhsa_user_sgpr_kernarg_segment_ptr 1
		.amdhsa_user_sgpr_dispatch_id 0
		.amdhsa_user_sgpr_flat_scratch_init 0
		.amdhsa_user_sgpr_private_segment_size 0
		.amdhsa_uses_dynamic_stack 0
		.amdhsa_system_sgpr_private_segment_wavefront_offset 0
		.amdhsa_system_sgpr_workgroup_id_x 1
		.amdhsa_system_sgpr_workgroup_id_y 0
		.amdhsa_system_sgpr_workgroup_id_z 0
		.amdhsa_system_sgpr_workgroup_info 0
		.amdhsa_system_vgpr_workitem_id 0
		.amdhsa_next_free_vgpr 18
		.amdhsa_next_free_sgpr 23
		.amdhsa_reserve_vcc 1
		.amdhsa_reserve_flat_scratch 0
		.amdhsa_float_round_mode_32 0
		.amdhsa_float_round_mode_16_64 0
		.amdhsa_float_denorm_mode_32 3
		.amdhsa_float_denorm_mode_16_64 3
		.amdhsa_dx10_clamp 1
		.amdhsa_ieee_mode 1
		.amdhsa_fp16_overflow 0
		.amdhsa_exception_fp_ieee_invalid_op 0
		.amdhsa_exception_fp_denorm_src 0
		.amdhsa_exception_fp_ieee_div_zero 0
		.amdhsa_exception_fp_ieee_overflow 0
		.amdhsa_exception_fp_ieee_underflow 0
		.amdhsa_exception_fp_ieee_inexact 0
		.amdhsa_exception_int_div_zero 0
	.end_amdhsa_kernel
	.section	.text._ZN7rocprim17ROCPRIM_400000_NS6detail17trampoline_kernelINS0_14default_configENS1_35adjacent_difference_config_selectorILb0EtEEZNS1_24adjacent_difference_implIS3_Lb0ELb0EPKtPtN6thrust23THRUST_200600_302600_NS4plusItEEEE10hipError_tPvRmT2_T3_mT4_P12ihipStream_tbEUlT_E_NS1_11comp_targetILNS1_3genE2ELNS1_11target_archE906ELNS1_3gpuE6ELNS1_3repE0EEENS1_30default_config_static_selectorELNS0_4arch9wavefront6targetE1EEEvT1_,"axG",@progbits,_ZN7rocprim17ROCPRIM_400000_NS6detail17trampoline_kernelINS0_14default_configENS1_35adjacent_difference_config_selectorILb0EtEEZNS1_24adjacent_difference_implIS3_Lb0ELb0EPKtPtN6thrust23THRUST_200600_302600_NS4plusItEEEE10hipError_tPvRmT2_T3_mT4_P12ihipStream_tbEUlT_E_NS1_11comp_targetILNS1_3genE2ELNS1_11target_archE906ELNS1_3gpuE6ELNS1_3repE0EEENS1_30default_config_static_selectorELNS0_4arch9wavefront6targetE1EEEvT1_,comdat
.Lfunc_end678:
	.size	_ZN7rocprim17ROCPRIM_400000_NS6detail17trampoline_kernelINS0_14default_configENS1_35adjacent_difference_config_selectorILb0EtEEZNS1_24adjacent_difference_implIS3_Lb0ELb0EPKtPtN6thrust23THRUST_200600_302600_NS4plusItEEEE10hipError_tPvRmT2_T3_mT4_P12ihipStream_tbEUlT_E_NS1_11comp_targetILNS1_3genE2ELNS1_11target_archE906ELNS1_3gpuE6ELNS1_3repE0EEENS1_30default_config_static_selectorELNS0_4arch9wavefront6targetE1EEEvT1_, .Lfunc_end678-_ZN7rocprim17ROCPRIM_400000_NS6detail17trampoline_kernelINS0_14default_configENS1_35adjacent_difference_config_selectorILb0EtEEZNS1_24adjacent_difference_implIS3_Lb0ELb0EPKtPtN6thrust23THRUST_200600_302600_NS4plusItEEEE10hipError_tPvRmT2_T3_mT4_P12ihipStream_tbEUlT_E_NS1_11comp_targetILNS1_3genE2ELNS1_11target_archE906ELNS1_3gpuE6ELNS1_3repE0EEENS1_30default_config_static_selectorELNS0_4arch9wavefront6targetE1EEEvT1_
                                        ; -- End function
	.set _ZN7rocprim17ROCPRIM_400000_NS6detail17trampoline_kernelINS0_14default_configENS1_35adjacent_difference_config_selectorILb0EtEEZNS1_24adjacent_difference_implIS3_Lb0ELb0EPKtPtN6thrust23THRUST_200600_302600_NS4plusItEEEE10hipError_tPvRmT2_T3_mT4_P12ihipStream_tbEUlT_E_NS1_11comp_targetILNS1_3genE2ELNS1_11target_archE906ELNS1_3gpuE6ELNS1_3repE0EEENS1_30default_config_static_selectorELNS0_4arch9wavefront6targetE1EEEvT1_.num_vgpr, 18
	.set _ZN7rocprim17ROCPRIM_400000_NS6detail17trampoline_kernelINS0_14default_configENS1_35adjacent_difference_config_selectorILb0EtEEZNS1_24adjacent_difference_implIS3_Lb0ELb0EPKtPtN6thrust23THRUST_200600_302600_NS4plusItEEEE10hipError_tPvRmT2_T3_mT4_P12ihipStream_tbEUlT_E_NS1_11comp_targetILNS1_3genE2ELNS1_11target_archE906ELNS1_3gpuE6ELNS1_3repE0EEENS1_30default_config_static_selectorELNS0_4arch9wavefront6targetE1EEEvT1_.num_agpr, 0
	.set _ZN7rocprim17ROCPRIM_400000_NS6detail17trampoline_kernelINS0_14default_configENS1_35adjacent_difference_config_selectorILb0EtEEZNS1_24adjacent_difference_implIS3_Lb0ELb0EPKtPtN6thrust23THRUST_200600_302600_NS4plusItEEEE10hipError_tPvRmT2_T3_mT4_P12ihipStream_tbEUlT_E_NS1_11comp_targetILNS1_3genE2ELNS1_11target_archE906ELNS1_3gpuE6ELNS1_3repE0EEENS1_30default_config_static_selectorELNS0_4arch9wavefront6targetE1EEEvT1_.numbered_sgpr, 23
	.set _ZN7rocprim17ROCPRIM_400000_NS6detail17trampoline_kernelINS0_14default_configENS1_35adjacent_difference_config_selectorILb0EtEEZNS1_24adjacent_difference_implIS3_Lb0ELb0EPKtPtN6thrust23THRUST_200600_302600_NS4plusItEEEE10hipError_tPvRmT2_T3_mT4_P12ihipStream_tbEUlT_E_NS1_11comp_targetILNS1_3genE2ELNS1_11target_archE906ELNS1_3gpuE6ELNS1_3repE0EEENS1_30default_config_static_selectorELNS0_4arch9wavefront6targetE1EEEvT1_.num_named_barrier, 0
	.set _ZN7rocprim17ROCPRIM_400000_NS6detail17trampoline_kernelINS0_14default_configENS1_35adjacent_difference_config_selectorILb0EtEEZNS1_24adjacent_difference_implIS3_Lb0ELb0EPKtPtN6thrust23THRUST_200600_302600_NS4plusItEEEE10hipError_tPvRmT2_T3_mT4_P12ihipStream_tbEUlT_E_NS1_11comp_targetILNS1_3genE2ELNS1_11target_archE906ELNS1_3gpuE6ELNS1_3repE0EEENS1_30default_config_static_selectorELNS0_4arch9wavefront6targetE1EEEvT1_.private_seg_size, 0
	.set _ZN7rocprim17ROCPRIM_400000_NS6detail17trampoline_kernelINS0_14default_configENS1_35adjacent_difference_config_selectorILb0EtEEZNS1_24adjacent_difference_implIS3_Lb0ELb0EPKtPtN6thrust23THRUST_200600_302600_NS4plusItEEEE10hipError_tPvRmT2_T3_mT4_P12ihipStream_tbEUlT_E_NS1_11comp_targetILNS1_3genE2ELNS1_11target_archE906ELNS1_3gpuE6ELNS1_3repE0EEENS1_30default_config_static_selectorELNS0_4arch9wavefront6targetE1EEEvT1_.uses_vcc, 1
	.set _ZN7rocprim17ROCPRIM_400000_NS6detail17trampoline_kernelINS0_14default_configENS1_35adjacent_difference_config_selectorILb0EtEEZNS1_24adjacent_difference_implIS3_Lb0ELb0EPKtPtN6thrust23THRUST_200600_302600_NS4plusItEEEE10hipError_tPvRmT2_T3_mT4_P12ihipStream_tbEUlT_E_NS1_11comp_targetILNS1_3genE2ELNS1_11target_archE906ELNS1_3gpuE6ELNS1_3repE0EEENS1_30default_config_static_selectorELNS0_4arch9wavefront6targetE1EEEvT1_.uses_flat_scratch, 0
	.set _ZN7rocprim17ROCPRIM_400000_NS6detail17trampoline_kernelINS0_14default_configENS1_35adjacent_difference_config_selectorILb0EtEEZNS1_24adjacent_difference_implIS3_Lb0ELb0EPKtPtN6thrust23THRUST_200600_302600_NS4plusItEEEE10hipError_tPvRmT2_T3_mT4_P12ihipStream_tbEUlT_E_NS1_11comp_targetILNS1_3genE2ELNS1_11target_archE906ELNS1_3gpuE6ELNS1_3repE0EEENS1_30default_config_static_selectorELNS0_4arch9wavefront6targetE1EEEvT1_.has_dyn_sized_stack, 0
	.set _ZN7rocprim17ROCPRIM_400000_NS6detail17trampoline_kernelINS0_14default_configENS1_35adjacent_difference_config_selectorILb0EtEEZNS1_24adjacent_difference_implIS3_Lb0ELb0EPKtPtN6thrust23THRUST_200600_302600_NS4plusItEEEE10hipError_tPvRmT2_T3_mT4_P12ihipStream_tbEUlT_E_NS1_11comp_targetILNS1_3genE2ELNS1_11target_archE906ELNS1_3gpuE6ELNS1_3repE0EEENS1_30default_config_static_selectorELNS0_4arch9wavefront6targetE1EEEvT1_.has_recursion, 0
	.set _ZN7rocprim17ROCPRIM_400000_NS6detail17trampoline_kernelINS0_14default_configENS1_35adjacent_difference_config_selectorILb0EtEEZNS1_24adjacent_difference_implIS3_Lb0ELb0EPKtPtN6thrust23THRUST_200600_302600_NS4plusItEEEE10hipError_tPvRmT2_T3_mT4_P12ihipStream_tbEUlT_E_NS1_11comp_targetILNS1_3genE2ELNS1_11target_archE906ELNS1_3gpuE6ELNS1_3repE0EEENS1_30default_config_static_selectorELNS0_4arch9wavefront6targetE1EEEvT1_.has_indirect_call, 0
	.section	.AMDGPU.csdata,"",@progbits
; Kernel info:
; codeLenInByte = 2560
; TotalNumSgprs: 27
; NumVgprs: 18
; ScratchSize: 0
; MemoryBound: 0
; FloatMode: 240
; IeeeMode: 1
; LDSByteSize: 896 bytes/workgroup (compile time only)
; SGPRBlocks: 3
; VGPRBlocks: 4
; NumSGPRsForWavesPerEU: 27
; NumVGPRsForWavesPerEU: 18
; Occupancy: 10
; WaveLimiterHint : 1
; COMPUTE_PGM_RSRC2:SCRATCH_EN: 0
; COMPUTE_PGM_RSRC2:USER_SGPR: 6
; COMPUTE_PGM_RSRC2:TRAP_HANDLER: 0
; COMPUTE_PGM_RSRC2:TGID_X_EN: 1
; COMPUTE_PGM_RSRC2:TGID_Y_EN: 0
; COMPUTE_PGM_RSRC2:TGID_Z_EN: 0
; COMPUTE_PGM_RSRC2:TIDIG_COMP_CNT: 0
	.section	.text._ZN7rocprim17ROCPRIM_400000_NS6detail17trampoline_kernelINS0_14default_configENS1_35adjacent_difference_config_selectorILb0EtEEZNS1_24adjacent_difference_implIS3_Lb0ELb0EPKtPtN6thrust23THRUST_200600_302600_NS4plusItEEEE10hipError_tPvRmT2_T3_mT4_P12ihipStream_tbEUlT_E_NS1_11comp_targetILNS1_3genE9ELNS1_11target_archE1100ELNS1_3gpuE3ELNS1_3repE0EEENS1_30default_config_static_selectorELNS0_4arch9wavefront6targetE1EEEvT1_,"axG",@progbits,_ZN7rocprim17ROCPRIM_400000_NS6detail17trampoline_kernelINS0_14default_configENS1_35adjacent_difference_config_selectorILb0EtEEZNS1_24adjacent_difference_implIS3_Lb0ELb0EPKtPtN6thrust23THRUST_200600_302600_NS4plusItEEEE10hipError_tPvRmT2_T3_mT4_P12ihipStream_tbEUlT_E_NS1_11comp_targetILNS1_3genE9ELNS1_11target_archE1100ELNS1_3gpuE3ELNS1_3repE0EEENS1_30default_config_static_selectorELNS0_4arch9wavefront6targetE1EEEvT1_,comdat
	.protected	_ZN7rocprim17ROCPRIM_400000_NS6detail17trampoline_kernelINS0_14default_configENS1_35adjacent_difference_config_selectorILb0EtEEZNS1_24adjacent_difference_implIS3_Lb0ELb0EPKtPtN6thrust23THRUST_200600_302600_NS4plusItEEEE10hipError_tPvRmT2_T3_mT4_P12ihipStream_tbEUlT_E_NS1_11comp_targetILNS1_3genE9ELNS1_11target_archE1100ELNS1_3gpuE3ELNS1_3repE0EEENS1_30default_config_static_selectorELNS0_4arch9wavefront6targetE1EEEvT1_ ; -- Begin function _ZN7rocprim17ROCPRIM_400000_NS6detail17trampoline_kernelINS0_14default_configENS1_35adjacent_difference_config_selectorILb0EtEEZNS1_24adjacent_difference_implIS3_Lb0ELb0EPKtPtN6thrust23THRUST_200600_302600_NS4plusItEEEE10hipError_tPvRmT2_T3_mT4_P12ihipStream_tbEUlT_E_NS1_11comp_targetILNS1_3genE9ELNS1_11target_archE1100ELNS1_3gpuE3ELNS1_3repE0EEENS1_30default_config_static_selectorELNS0_4arch9wavefront6targetE1EEEvT1_
	.globl	_ZN7rocprim17ROCPRIM_400000_NS6detail17trampoline_kernelINS0_14default_configENS1_35adjacent_difference_config_selectorILb0EtEEZNS1_24adjacent_difference_implIS3_Lb0ELb0EPKtPtN6thrust23THRUST_200600_302600_NS4plusItEEEE10hipError_tPvRmT2_T3_mT4_P12ihipStream_tbEUlT_E_NS1_11comp_targetILNS1_3genE9ELNS1_11target_archE1100ELNS1_3gpuE3ELNS1_3repE0EEENS1_30default_config_static_selectorELNS0_4arch9wavefront6targetE1EEEvT1_
	.p2align	8
	.type	_ZN7rocprim17ROCPRIM_400000_NS6detail17trampoline_kernelINS0_14default_configENS1_35adjacent_difference_config_selectorILb0EtEEZNS1_24adjacent_difference_implIS3_Lb0ELb0EPKtPtN6thrust23THRUST_200600_302600_NS4plusItEEEE10hipError_tPvRmT2_T3_mT4_P12ihipStream_tbEUlT_E_NS1_11comp_targetILNS1_3genE9ELNS1_11target_archE1100ELNS1_3gpuE3ELNS1_3repE0EEENS1_30default_config_static_selectorELNS0_4arch9wavefront6targetE1EEEvT1_,@function
_ZN7rocprim17ROCPRIM_400000_NS6detail17trampoline_kernelINS0_14default_configENS1_35adjacent_difference_config_selectorILb0EtEEZNS1_24adjacent_difference_implIS3_Lb0ELb0EPKtPtN6thrust23THRUST_200600_302600_NS4plusItEEEE10hipError_tPvRmT2_T3_mT4_P12ihipStream_tbEUlT_E_NS1_11comp_targetILNS1_3genE9ELNS1_11target_archE1100ELNS1_3gpuE3ELNS1_3repE0EEENS1_30default_config_static_selectorELNS0_4arch9wavefront6targetE1EEEvT1_: ; @_ZN7rocprim17ROCPRIM_400000_NS6detail17trampoline_kernelINS0_14default_configENS1_35adjacent_difference_config_selectorILb0EtEEZNS1_24adjacent_difference_implIS3_Lb0ELb0EPKtPtN6thrust23THRUST_200600_302600_NS4plusItEEEE10hipError_tPvRmT2_T3_mT4_P12ihipStream_tbEUlT_E_NS1_11comp_targetILNS1_3genE9ELNS1_11target_archE1100ELNS1_3gpuE3ELNS1_3repE0EEENS1_30default_config_static_selectorELNS0_4arch9wavefront6targetE1EEEvT1_
; %bb.0:
	.section	.rodata,"a",@progbits
	.p2align	6, 0x0
	.amdhsa_kernel _ZN7rocprim17ROCPRIM_400000_NS6detail17trampoline_kernelINS0_14default_configENS1_35adjacent_difference_config_selectorILb0EtEEZNS1_24adjacent_difference_implIS3_Lb0ELb0EPKtPtN6thrust23THRUST_200600_302600_NS4plusItEEEE10hipError_tPvRmT2_T3_mT4_P12ihipStream_tbEUlT_E_NS1_11comp_targetILNS1_3genE9ELNS1_11target_archE1100ELNS1_3gpuE3ELNS1_3repE0EEENS1_30default_config_static_selectorELNS0_4arch9wavefront6targetE1EEEvT1_
		.amdhsa_group_segment_fixed_size 0
		.amdhsa_private_segment_fixed_size 0
		.amdhsa_kernarg_size 56
		.amdhsa_user_sgpr_count 6
		.amdhsa_user_sgpr_private_segment_buffer 1
		.amdhsa_user_sgpr_dispatch_ptr 0
		.amdhsa_user_sgpr_queue_ptr 0
		.amdhsa_user_sgpr_kernarg_segment_ptr 1
		.amdhsa_user_sgpr_dispatch_id 0
		.amdhsa_user_sgpr_flat_scratch_init 0
		.amdhsa_user_sgpr_private_segment_size 0
		.amdhsa_uses_dynamic_stack 0
		.amdhsa_system_sgpr_private_segment_wavefront_offset 0
		.amdhsa_system_sgpr_workgroup_id_x 1
		.amdhsa_system_sgpr_workgroup_id_y 0
		.amdhsa_system_sgpr_workgroup_id_z 0
		.amdhsa_system_sgpr_workgroup_info 0
		.amdhsa_system_vgpr_workitem_id 0
		.amdhsa_next_free_vgpr 1
		.amdhsa_next_free_sgpr 0
		.amdhsa_reserve_vcc 0
		.amdhsa_reserve_flat_scratch 0
		.amdhsa_float_round_mode_32 0
		.amdhsa_float_round_mode_16_64 0
		.amdhsa_float_denorm_mode_32 3
		.amdhsa_float_denorm_mode_16_64 3
		.amdhsa_dx10_clamp 1
		.amdhsa_ieee_mode 1
		.amdhsa_fp16_overflow 0
		.amdhsa_exception_fp_ieee_invalid_op 0
		.amdhsa_exception_fp_denorm_src 0
		.amdhsa_exception_fp_ieee_div_zero 0
		.amdhsa_exception_fp_ieee_overflow 0
		.amdhsa_exception_fp_ieee_underflow 0
		.amdhsa_exception_fp_ieee_inexact 0
		.amdhsa_exception_int_div_zero 0
	.end_amdhsa_kernel
	.section	.text._ZN7rocprim17ROCPRIM_400000_NS6detail17trampoline_kernelINS0_14default_configENS1_35adjacent_difference_config_selectorILb0EtEEZNS1_24adjacent_difference_implIS3_Lb0ELb0EPKtPtN6thrust23THRUST_200600_302600_NS4plusItEEEE10hipError_tPvRmT2_T3_mT4_P12ihipStream_tbEUlT_E_NS1_11comp_targetILNS1_3genE9ELNS1_11target_archE1100ELNS1_3gpuE3ELNS1_3repE0EEENS1_30default_config_static_selectorELNS0_4arch9wavefront6targetE1EEEvT1_,"axG",@progbits,_ZN7rocprim17ROCPRIM_400000_NS6detail17trampoline_kernelINS0_14default_configENS1_35adjacent_difference_config_selectorILb0EtEEZNS1_24adjacent_difference_implIS3_Lb0ELb0EPKtPtN6thrust23THRUST_200600_302600_NS4plusItEEEE10hipError_tPvRmT2_T3_mT4_P12ihipStream_tbEUlT_E_NS1_11comp_targetILNS1_3genE9ELNS1_11target_archE1100ELNS1_3gpuE3ELNS1_3repE0EEENS1_30default_config_static_selectorELNS0_4arch9wavefront6targetE1EEEvT1_,comdat
.Lfunc_end679:
	.size	_ZN7rocprim17ROCPRIM_400000_NS6detail17trampoline_kernelINS0_14default_configENS1_35adjacent_difference_config_selectorILb0EtEEZNS1_24adjacent_difference_implIS3_Lb0ELb0EPKtPtN6thrust23THRUST_200600_302600_NS4plusItEEEE10hipError_tPvRmT2_T3_mT4_P12ihipStream_tbEUlT_E_NS1_11comp_targetILNS1_3genE9ELNS1_11target_archE1100ELNS1_3gpuE3ELNS1_3repE0EEENS1_30default_config_static_selectorELNS0_4arch9wavefront6targetE1EEEvT1_, .Lfunc_end679-_ZN7rocprim17ROCPRIM_400000_NS6detail17trampoline_kernelINS0_14default_configENS1_35adjacent_difference_config_selectorILb0EtEEZNS1_24adjacent_difference_implIS3_Lb0ELb0EPKtPtN6thrust23THRUST_200600_302600_NS4plusItEEEE10hipError_tPvRmT2_T3_mT4_P12ihipStream_tbEUlT_E_NS1_11comp_targetILNS1_3genE9ELNS1_11target_archE1100ELNS1_3gpuE3ELNS1_3repE0EEENS1_30default_config_static_selectorELNS0_4arch9wavefront6targetE1EEEvT1_
                                        ; -- End function
	.set _ZN7rocprim17ROCPRIM_400000_NS6detail17trampoline_kernelINS0_14default_configENS1_35adjacent_difference_config_selectorILb0EtEEZNS1_24adjacent_difference_implIS3_Lb0ELb0EPKtPtN6thrust23THRUST_200600_302600_NS4plusItEEEE10hipError_tPvRmT2_T3_mT4_P12ihipStream_tbEUlT_E_NS1_11comp_targetILNS1_3genE9ELNS1_11target_archE1100ELNS1_3gpuE3ELNS1_3repE0EEENS1_30default_config_static_selectorELNS0_4arch9wavefront6targetE1EEEvT1_.num_vgpr, 0
	.set _ZN7rocprim17ROCPRIM_400000_NS6detail17trampoline_kernelINS0_14default_configENS1_35adjacent_difference_config_selectorILb0EtEEZNS1_24adjacent_difference_implIS3_Lb0ELb0EPKtPtN6thrust23THRUST_200600_302600_NS4plusItEEEE10hipError_tPvRmT2_T3_mT4_P12ihipStream_tbEUlT_E_NS1_11comp_targetILNS1_3genE9ELNS1_11target_archE1100ELNS1_3gpuE3ELNS1_3repE0EEENS1_30default_config_static_selectorELNS0_4arch9wavefront6targetE1EEEvT1_.num_agpr, 0
	.set _ZN7rocprim17ROCPRIM_400000_NS6detail17trampoline_kernelINS0_14default_configENS1_35adjacent_difference_config_selectorILb0EtEEZNS1_24adjacent_difference_implIS3_Lb0ELb0EPKtPtN6thrust23THRUST_200600_302600_NS4plusItEEEE10hipError_tPvRmT2_T3_mT4_P12ihipStream_tbEUlT_E_NS1_11comp_targetILNS1_3genE9ELNS1_11target_archE1100ELNS1_3gpuE3ELNS1_3repE0EEENS1_30default_config_static_selectorELNS0_4arch9wavefront6targetE1EEEvT1_.numbered_sgpr, 0
	.set _ZN7rocprim17ROCPRIM_400000_NS6detail17trampoline_kernelINS0_14default_configENS1_35adjacent_difference_config_selectorILb0EtEEZNS1_24adjacent_difference_implIS3_Lb0ELb0EPKtPtN6thrust23THRUST_200600_302600_NS4plusItEEEE10hipError_tPvRmT2_T3_mT4_P12ihipStream_tbEUlT_E_NS1_11comp_targetILNS1_3genE9ELNS1_11target_archE1100ELNS1_3gpuE3ELNS1_3repE0EEENS1_30default_config_static_selectorELNS0_4arch9wavefront6targetE1EEEvT1_.num_named_barrier, 0
	.set _ZN7rocprim17ROCPRIM_400000_NS6detail17trampoline_kernelINS0_14default_configENS1_35adjacent_difference_config_selectorILb0EtEEZNS1_24adjacent_difference_implIS3_Lb0ELb0EPKtPtN6thrust23THRUST_200600_302600_NS4plusItEEEE10hipError_tPvRmT2_T3_mT4_P12ihipStream_tbEUlT_E_NS1_11comp_targetILNS1_3genE9ELNS1_11target_archE1100ELNS1_3gpuE3ELNS1_3repE0EEENS1_30default_config_static_selectorELNS0_4arch9wavefront6targetE1EEEvT1_.private_seg_size, 0
	.set _ZN7rocprim17ROCPRIM_400000_NS6detail17trampoline_kernelINS0_14default_configENS1_35adjacent_difference_config_selectorILb0EtEEZNS1_24adjacent_difference_implIS3_Lb0ELb0EPKtPtN6thrust23THRUST_200600_302600_NS4plusItEEEE10hipError_tPvRmT2_T3_mT4_P12ihipStream_tbEUlT_E_NS1_11comp_targetILNS1_3genE9ELNS1_11target_archE1100ELNS1_3gpuE3ELNS1_3repE0EEENS1_30default_config_static_selectorELNS0_4arch9wavefront6targetE1EEEvT1_.uses_vcc, 0
	.set _ZN7rocprim17ROCPRIM_400000_NS6detail17trampoline_kernelINS0_14default_configENS1_35adjacent_difference_config_selectorILb0EtEEZNS1_24adjacent_difference_implIS3_Lb0ELb0EPKtPtN6thrust23THRUST_200600_302600_NS4plusItEEEE10hipError_tPvRmT2_T3_mT4_P12ihipStream_tbEUlT_E_NS1_11comp_targetILNS1_3genE9ELNS1_11target_archE1100ELNS1_3gpuE3ELNS1_3repE0EEENS1_30default_config_static_selectorELNS0_4arch9wavefront6targetE1EEEvT1_.uses_flat_scratch, 0
	.set _ZN7rocprim17ROCPRIM_400000_NS6detail17trampoline_kernelINS0_14default_configENS1_35adjacent_difference_config_selectorILb0EtEEZNS1_24adjacent_difference_implIS3_Lb0ELb0EPKtPtN6thrust23THRUST_200600_302600_NS4plusItEEEE10hipError_tPvRmT2_T3_mT4_P12ihipStream_tbEUlT_E_NS1_11comp_targetILNS1_3genE9ELNS1_11target_archE1100ELNS1_3gpuE3ELNS1_3repE0EEENS1_30default_config_static_selectorELNS0_4arch9wavefront6targetE1EEEvT1_.has_dyn_sized_stack, 0
	.set _ZN7rocprim17ROCPRIM_400000_NS6detail17trampoline_kernelINS0_14default_configENS1_35adjacent_difference_config_selectorILb0EtEEZNS1_24adjacent_difference_implIS3_Lb0ELb0EPKtPtN6thrust23THRUST_200600_302600_NS4plusItEEEE10hipError_tPvRmT2_T3_mT4_P12ihipStream_tbEUlT_E_NS1_11comp_targetILNS1_3genE9ELNS1_11target_archE1100ELNS1_3gpuE3ELNS1_3repE0EEENS1_30default_config_static_selectorELNS0_4arch9wavefront6targetE1EEEvT1_.has_recursion, 0
	.set _ZN7rocprim17ROCPRIM_400000_NS6detail17trampoline_kernelINS0_14default_configENS1_35adjacent_difference_config_selectorILb0EtEEZNS1_24adjacent_difference_implIS3_Lb0ELb0EPKtPtN6thrust23THRUST_200600_302600_NS4plusItEEEE10hipError_tPvRmT2_T3_mT4_P12ihipStream_tbEUlT_E_NS1_11comp_targetILNS1_3genE9ELNS1_11target_archE1100ELNS1_3gpuE3ELNS1_3repE0EEENS1_30default_config_static_selectorELNS0_4arch9wavefront6targetE1EEEvT1_.has_indirect_call, 0
	.section	.AMDGPU.csdata,"",@progbits
; Kernel info:
; codeLenInByte = 0
; TotalNumSgprs: 4
; NumVgprs: 0
; ScratchSize: 0
; MemoryBound: 0
; FloatMode: 240
; IeeeMode: 1
; LDSByteSize: 0 bytes/workgroup (compile time only)
; SGPRBlocks: 0
; VGPRBlocks: 0
; NumSGPRsForWavesPerEU: 4
; NumVGPRsForWavesPerEU: 1
; Occupancy: 10
; WaveLimiterHint : 0
; COMPUTE_PGM_RSRC2:SCRATCH_EN: 0
; COMPUTE_PGM_RSRC2:USER_SGPR: 6
; COMPUTE_PGM_RSRC2:TRAP_HANDLER: 0
; COMPUTE_PGM_RSRC2:TGID_X_EN: 1
; COMPUTE_PGM_RSRC2:TGID_Y_EN: 0
; COMPUTE_PGM_RSRC2:TGID_Z_EN: 0
; COMPUTE_PGM_RSRC2:TIDIG_COMP_CNT: 0
	.section	.text._ZN7rocprim17ROCPRIM_400000_NS6detail17trampoline_kernelINS0_14default_configENS1_35adjacent_difference_config_selectorILb0EtEEZNS1_24adjacent_difference_implIS3_Lb0ELb0EPKtPtN6thrust23THRUST_200600_302600_NS4plusItEEEE10hipError_tPvRmT2_T3_mT4_P12ihipStream_tbEUlT_E_NS1_11comp_targetILNS1_3genE8ELNS1_11target_archE1030ELNS1_3gpuE2ELNS1_3repE0EEENS1_30default_config_static_selectorELNS0_4arch9wavefront6targetE1EEEvT1_,"axG",@progbits,_ZN7rocprim17ROCPRIM_400000_NS6detail17trampoline_kernelINS0_14default_configENS1_35adjacent_difference_config_selectorILb0EtEEZNS1_24adjacent_difference_implIS3_Lb0ELb0EPKtPtN6thrust23THRUST_200600_302600_NS4plusItEEEE10hipError_tPvRmT2_T3_mT4_P12ihipStream_tbEUlT_E_NS1_11comp_targetILNS1_3genE8ELNS1_11target_archE1030ELNS1_3gpuE2ELNS1_3repE0EEENS1_30default_config_static_selectorELNS0_4arch9wavefront6targetE1EEEvT1_,comdat
	.protected	_ZN7rocprim17ROCPRIM_400000_NS6detail17trampoline_kernelINS0_14default_configENS1_35adjacent_difference_config_selectorILb0EtEEZNS1_24adjacent_difference_implIS3_Lb0ELb0EPKtPtN6thrust23THRUST_200600_302600_NS4plusItEEEE10hipError_tPvRmT2_T3_mT4_P12ihipStream_tbEUlT_E_NS1_11comp_targetILNS1_3genE8ELNS1_11target_archE1030ELNS1_3gpuE2ELNS1_3repE0EEENS1_30default_config_static_selectorELNS0_4arch9wavefront6targetE1EEEvT1_ ; -- Begin function _ZN7rocprim17ROCPRIM_400000_NS6detail17trampoline_kernelINS0_14default_configENS1_35adjacent_difference_config_selectorILb0EtEEZNS1_24adjacent_difference_implIS3_Lb0ELb0EPKtPtN6thrust23THRUST_200600_302600_NS4plusItEEEE10hipError_tPvRmT2_T3_mT4_P12ihipStream_tbEUlT_E_NS1_11comp_targetILNS1_3genE8ELNS1_11target_archE1030ELNS1_3gpuE2ELNS1_3repE0EEENS1_30default_config_static_selectorELNS0_4arch9wavefront6targetE1EEEvT1_
	.globl	_ZN7rocprim17ROCPRIM_400000_NS6detail17trampoline_kernelINS0_14default_configENS1_35adjacent_difference_config_selectorILb0EtEEZNS1_24adjacent_difference_implIS3_Lb0ELb0EPKtPtN6thrust23THRUST_200600_302600_NS4plusItEEEE10hipError_tPvRmT2_T3_mT4_P12ihipStream_tbEUlT_E_NS1_11comp_targetILNS1_3genE8ELNS1_11target_archE1030ELNS1_3gpuE2ELNS1_3repE0EEENS1_30default_config_static_selectorELNS0_4arch9wavefront6targetE1EEEvT1_
	.p2align	8
	.type	_ZN7rocprim17ROCPRIM_400000_NS6detail17trampoline_kernelINS0_14default_configENS1_35adjacent_difference_config_selectorILb0EtEEZNS1_24adjacent_difference_implIS3_Lb0ELb0EPKtPtN6thrust23THRUST_200600_302600_NS4plusItEEEE10hipError_tPvRmT2_T3_mT4_P12ihipStream_tbEUlT_E_NS1_11comp_targetILNS1_3genE8ELNS1_11target_archE1030ELNS1_3gpuE2ELNS1_3repE0EEENS1_30default_config_static_selectorELNS0_4arch9wavefront6targetE1EEEvT1_,@function
_ZN7rocprim17ROCPRIM_400000_NS6detail17trampoline_kernelINS0_14default_configENS1_35adjacent_difference_config_selectorILb0EtEEZNS1_24adjacent_difference_implIS3_Lb0ELb0EPKtPtN6thrust23THRUST_200600_302600_NS4plusItEEEE10hipError_tPvRmT2_T3_mT4_P12ihipStream_tbEUlT_E_NS1_11comp_targetILNS1_3genE8ELNS1_11target_archE1030ELNS1_3gpuE2ELNS1_3repE0EEENS1_30default_config_static_selectorELNS0_4arch9wavefront6targetE1EEEvT1_: ; @_ZN7rocprim17ROCPRIM_400000_NS6detail17trampoline_kernelINS0_14default_configENS1_35adjacent_difference_config_selectorILb0EtEEZNS1_24adjacent_difference_implIS3_Lb0ELb0EPKtPtN6thrust23THRUST_200600_302600_NS4plusItEEEE10hipError_tPvRmT2_T3_mT4_P12ihipStream_tbEUlT_E_NS1_11comp_targetILNS1_3genE8ELNS1_11target_archE1030ELNS1_3gpuE2ELNS1_3repE0EEENS1_30default_config_static_selectorELNS0_4arch9wavefront6targetE1EEEvT1_
; %bb.0:
	.section	.rodata,"a",@progbits
	.p2align	6, 0x0
	.amdhsa_kernel _ZN7rocprim17ROCPRIM_400000_NS6detail17trampoline_kernelINS0_14default_configENS1_35adjacent_difference_config_selectorILb0EtEEZNS1_24adjacent_difference_implIS3_Lb0ELb0EPKtPtN6thrust23THRUST_200600_302600_NS4plusItEEEE10hipError_tPvRmT2_T3_mT4_P12ihipStream_tbEUlT_E_NS1_11comp_targetILNS1_3genE8ELNS1_11target_archE1030ELNS1_3gpuE2ELNS1_3repE0EEENS1_30default_config_static_selectorELNS0_4arch9wavefront6targetE1EEEvT1_
		.amdhsa_group_segment_fixed_size 0
		.amdhsa_private_segment_fixed_size 0
		.amdhsa_kernarg_size 56
		.amdhsa_user_sgpr_count 6
		.amdhsa_user_sgpr_private_segment_buffer 1
		.amdhsa_user_sgpr_dispatch_ptr 0
		.amdhsa_user_sgpr_queue_ptr 0
		.amdhsa_user_sgpr_kernarg_segment_ptr 1
		.amdhsa_user_sgpr_dispatch_id 0
		.amdhsa_user_sgpr_flat_scratch_init 0
		.amdhsa_user_sgpr_private_segment_size 0
		.amdhsa_uses_dynamic_stack 0
		.amdhsa_system_sgpr_private_segment_wavefront_offset 0
		.amdhsa_system_sgpr_workgroup_id_x 1
		.amdhsa_system_sgpr_workgroup_id_y 0
		.amdhsa_system_sgpr_workgroup_id_z 0
		.amdhsa_system_sgpr_workgroup_info 0
		.amdhsa_system_vgpr_workitem_id 0
		.amdhsa_next_free_vgpr 1
		.amdhsa_next_free_sgpr 0
		.amdhsa_reserve_vcc 0
		.amdhsa_reserve_flat_scratch 0
		.amdhsa_float_round_mode_32 0
		.amdhsa_float_round_mode_16_64 0
		.amdhsa_float_denorm_mode_32 3
		.amdhsa_float_denorm_mode_16_64 3
		.amdhsa_dx10_clamp 1
		.amdhsa_ieee_mode 1
		.amdhsa_fp16_overflow 0
		.amdhsa_exception_fp_ieee_invalid_op 0
		.amdhsa_exception_fp_denorm_src 0
		.amdhsa_exception_fp_ieee_div_zero 0
		.amdhsa_exception_fp_ieee_overflow 0
		.amdhsa_exception_fp_ieee_underflow 0
		.amdhsa_exception_fp_ieee_inexact 0
		.amdhsa_exception_int_div_zero 0
	.end_amdhsa_kernel
	.section	.text._ZN7rocprim17ROCPRIM_400000_NS6detail17trampoline_kernelINS0_14default_configENS1_35adjacent_difference_config_selectorILb0EtEEZNS1_24adjacent_difference_implIS3_Lb0ELb0EPKtPtN6thrust23THRUST_200600_302600_NS4plusItEEEE10hipError_tPvRmT2_T3_mT4_P12ihipStream_tbEUlT_E_NS1_11comp_targetILNS1_3genE8ELNS1_11target_archE1030ELNS1_3gpuE2ELNS1_3repE0EEENS1_30default_config_static_selectorELNS0_4arch9wavefront6targetE1EEEvT1_,"axG",@progbits,_ZN7rocprim17ROCPRIM_400000_NS6detail17trampoline_kernelINS0_14default_configENS1_35adjacent_difference_config_selectorILb0EtEEZNS1_24adjacent_difference_implIS3_Lb0ELb0EPKtPtN6thrust23THRUST_200600_302600_NS4plusItEEEE10hipError_tPvRmT2_T3_mT4_P12ihipStream_tbEUlT_E_NS1_11comp_targetILNS1_3genE8ELNS1_11target_archE1030ELNS1_3gpuE2ELNS1_3repE0EEENS1_30default_config_static_selectorELNS0_4arch9wavefront6targetE1EEEvT1_,comdat
.Lfunc_end680:
	.size	_ZN7rocprim17ROCPRIM_400000_NS6detail17trampoline_kernelINS0_14default_configENS1_35adjacent_difference_config_selectorILb0EtEEZNS1_24adjacent_difference_implIS3_Lb0ELb0EPKtPtN6thrust23THRUST_200600_302600_NS4plusItEEEE10hipError_tPvRmT2_T3_mT4_P12ihipStream_tbEUlT_E_NS1_11comp_targetILNS1_3genE8ELNS1_11target_archE1030ELNS1_3gpuE2ELNS1_3repE0EEENS1_30default_config_static_selectorELNS0_4arch9wavefront6targetE1EEEvT1_, .Lfunc_end680-_ZN7rocprim17ROCPRIM_400000_NS6detail17trampoline_kernelINS0_14default_configENS1_35adjacent_difference_config_selectorILb0EtEEZNS1_24adjacent_difference_implIS3_Lb0ELb0EPKtPtN6thrust23THRUST_200600_302600_NS4plusItEEEE10hipError_tPvRmT2_T3_mT4_P12ihipStream_tbEUlT_E_NS1_11comp_targetILNS1_3genE8ELNS1_11target_archE1030ELNS1_3gpuE2ELNS1_3repE0EEENS1_30default_config_static_selectorELNS0_4arch9wavefront6targetE1EEEvT1_
                                        ; -- End function
	.set _ZN7rocprim17ROCPRIM_400000_NS6detail17trampoline_kernelINS0_14default_configENS1_35adjacent_difference_config_selectorILb0EtEEZNS1_24adjacent_difference_implIS3_Lb0ELb0EPKtPtN6thrust23THRUST_200600_302600_NS4plusItEEEE10hipError_tPvRmT2_T3_mT4_P12ihipStream_tbEUlT_E_NS1_11comp_targetILNS1_3genE8ELNS1_11target_archE1030ELNS1_3gpuE2ELNS1_3repE0EEENS1_30default_config_static_selectorELNS0_4arch9wavefront6targetE1EEEvT1_.num_vgpr, 0
	.set _ZN7rocprim17ROCPRIM_400000_NS6detail17trampoline_kernelINS0_14default_configENS1_35adjacent_difference_config_selectorILb0EtEEZNS1_24adjacent_difference_implIS3_Lb0ELb0EPKtPtN6thrust23THRUST_200600_302600_NS4plusItEEEE10hipError_tPvRmT2_T3_mT4_P12ihipStream_tbEUlT_E_NS1_11comp_targetILNS1_3genE8ELNS1_11target_archE1030ELNS1_3gpuE2ELNS1_3repE0EEENS1_30default_config_static_selectorELNS0_4arch9wavefront6targetE1EEEvT1_.num_agpr, 0
	.set _ZN7rocprim17ROCPRIM_400000_NS6detail17trampoline_kernelINS0_14default_configENS1_35adjacent_difference_config_selectorILb0EtEEZNS1_24adjacent_difference_implIS3_Lb0ELb0EPKtPtN6thrust23THRUST_200600_302600_NS4plusItEEEE10hipError_tPvRmT2_T3_mT4_P12ihipStream_tbEUlT_E_NS1_11comp_targetILNS1_3genE8ELNS1_11target_archE1030ELNS1_3gpuE2ELNS1_3repE0EEENS1_30default_config_static_selectorELNS0_4arch9wavefront6targetE1EEEvT1_.numbered_sgpr, 0
	.set _ZN7rocprim17ROCPRIM_400000_NS6detail17trampoline_kernelINS0_14default_configENS1_35adjacent_difference_config_selectorILb0EtEEZNS1_24adjacent_difference_implIS3_Lb0ELb0EPKtPtN6thrust23THRUST_200600_302600_NS4plusItEEEE10hipError_tPvRmT2_T3_mT4_P12ihipStream_tbEUlT_E_NS1_11comp_targetILNS1_3genE8ELNS1_11target_archE1030ELNS1_3gpuE2ELNS1_3repE0EEENS1_30default_config_static_selectorELNS0_4arch9wavefront6targetE1EEEvT1_.num_named_barrier, 0
	.set _ZN7rocprim17ROCPRIM_400000_NS6detail17trampoline_kernelINS0_14default_configENS1_35adjacent_difference_config_selectorILb0EtEEZNS1_24adjacent_difference_implIS3_Lb0ELb0EPKtPtN6thrust23THRUST_200600_302600_NS4plusItEEEE10hipError_tPvRmT2_T3_mT4_P12ihipStream_tbEUlT_E_NS1_11comp_targetILNS1_3genE8ELNS1_11target_archE1030ELNS1_3gpuE2ELNS1_3repE0EEENS1_30default_config_static_selectorELNS0_4arch9wavefront6targetE1EEEvT1_.private_seg_size, 0
	.set _ZN7rocprim17ROCPRIM_400000_NS6detail17trampoline_kernelINS0_14default_configENS1_35adjacent_difference_config_selectorILb0EtEEZNS1_24adjacent_difference_implIS3_Lb0ELb0EPKtPtN6thrust23THRUST_200600_302600_NS4plusItEEEE10hipError_tPvRmT2_T3_mT4_P12ihipStream_tbEUlT_E_NS1_11comp_targetILNS1_3genE8ELNS1_11target_archE1030ELNS1_3gpuE2ELNS1_3repE0EEENS1_30default_config_static_selectorELNS0_4arch9wavefront6targetE1EEEvT1_.uses_vcc, 0
	.set _ZN7rocprim17ROCPRIM_400000_NS6detail17trampoline_kernelINS0_14default_configENS1_35adjacent_difference_config_selectorILb0EtEEZNS1_24adjacent_difference_implIS3_Lb0ELb0EPKtPtN6thrust23THRUST_200600_302600_NS4plusItEEEE10hipError_tPvRmT2_T3_mT4_P12ihipStream_tbEUlT_E_NS1_11comp_targetILNS1_3genE8ELNS1_11target_archE1030ELNS1_3gpuE2ELNS1_3repE0EEENS1_30default_config_static_selectorELNS0_4arch9wavefront6targetE1EEEvT1_.uses_flat_scratch, 0
	.set _ZN7rocprim17ROCPRIM_400000_NS6detail17trampoline_kernelINS0_14default_configENS1_35adjacent_difference_config_selectorILb0EtEEZNS1_24adjacent_difference_implIS3_Lb0ELb0EPKtPtN6thrust23THRUST_200600_302600_NS4plusItEEEE10hipError_tPvRmT2_T3_mT4_P12ihipStream_tbEUlT_E_NS1_11comp_targetILNS1_3genE8ELNS1_11target_archE1030ELNS1_3gpuE2ELNS1_3repE0EEENS1_30default_config_static_selectorELNS0_4arch9wavefront6targetE1EEEvT1_.has_dyn_sized_stack, 0
	.set _ZN7rocprim17ROCPRIM_400000_NS6detail17trampoline_kernelINS0_14default_configENS1_35adjacent_difference_config_selectorILb0EtEEZNS1_24adjacent_difference_implIS3_Lb0ELb0EPKtPtN6thrust23THRUST_200600_302600_NS4plusItEEEE10hipError_tPvRmT2_T3_mT4_P12ihipStream_tbEUlT_E_NS1_11comp_targetILNS1_3genE8ELNS1_11target_archE1030ELNS1_3gpuE2ELNS1_3repE0EEENS1_30default_config_static_selectorELNS0_4arch9wavefront6targetE1EEEvT1_.has_recursion, 0
	.set _ZN7rocprim17ROCPRIM_400000_NS6detail17trampoline_kernelINS0_14default_configENS1_35adjacent_difference_config_selectorILb0EtEEZNS1_24adjacent_difference_implIS3_Lb0ELb0EPKtPtN6thrust23THRUST_200600_302600_NS4plusItEEEE10hipError_tPvRmT2_T3_mT4_P12ihipStream_tbEUlT_E_NS1_11comp_targetILNS1_3genE8ELNS1_11target_archE1030ELNS1_3gpuE2ELNS1_3repE0EEENS1_30default_config_static_selectorELNS0_4arch9wavefront6targetE1EEEvT1_.has_indirect_call, 0
	.section	.AMDGPU.csdata,"",@progbits
; Kernel info:
; codeLenInByte = 0
; TotalNumSgprs: 4
; NumVgprs: 0
; ScratchSize: 0
; MemoryBound: 0
; FloatMode: 240
; IeeeMode: 1
; LDSByteSize: 0 bytes/workgroup (compile time only)
; SGPRBlocks: 0
; VGPRBlocks: 0
; NumSGPRsForWavesPerEU: 4
; NumVGPRsForWavesPerEU: 1
; Occupancy: 10
; WaveLimiterHint : 0
; COMPUTE_PGM_RSRC2:SCRATCH_EN: 0
; COMPUTE_PGM_RSRC2:USER_SGPR: 6
; COMPUTE_PGM_RSRC2:TRAP_HANDLER: 0
; COMPUTE_PGM_RSRC2:TGID_X_EN: 1
; COMPUTE_PGM_RSRC2:TGID_Y_EN: 0
; COMPUTE_PGM_RSRC2:TGID_Z_EN: 0
; COMPUTE_PGM_RSRC2:TIDIG_COMP_CNT: 0
	.section	.text._ZN7rocprim17ROCPRIM_400000_NS6detail17trampoline_kernelINS0_14default_configENS1_25transform_config_selectorItLb0EEEZNS1_14transform_implILb0ES3_S5_NS0_18transform_iteratorINS0_17counting_iteratorImlEEZNS1_24adjacent_difference_implIS3_Lb1ELb0EPKtPtN6thrust23THRUST_200600_302600_NS4plusItEEEE10hipError_tPvRmT2_T3_mT4_P12ihipStream_tbEUlmE_tEESD_NS0_8identityIvEEEESI_SL_SM_mSN_SP_bEUlT_E_NS1_11comp_targetILNS1_3genE0ELNS1_11target_archE4294967295ELNS1_3gpuE0ELNS1_3repE0EEENS1_30default_config_static_selectorELNS0_4arch9wavefront6targetE1EEEvT1_,"axG",@progbits,_ZN7rocprim17ROCPRIM_400000_NS6detail17trampoline_kernelINS0_14default_configENS1_25transform_config_selectorItLb0EEEZNS1_14transform_implILb0ES3_S5_NS0_18transform_iteratorINS0_17counting_iteratorImlEEZNS1_24adjacent_difference_implIS3_Lb1ELb0EPKtPtN6thrust23THRUST_200600_302600_NS4plusItEEEE10hipError_tPvRmT2_T3_mT4_P12ihipStream_tbEUlmE_tEESD_NS0_8identityIvEEEESI_SL_SM_mSN_SP_bEUlT_E_NS1_11comp_targetILNS1_3genE0ELNS1_11target_archE4294967295ELNS1_3gpuE0ELNS1_3repE0EEENS1_30default_config_static_selectorELNS0_4arch9wavefront6targetE1EEEvT1_,comdat
	.protected	_ZN7rocprim17ROCPRIM_400000_NS6detail17trampoline_kernelINS0_14default_configENS1_25transform_config_selectorItLb0EEEZNS1_14transform_implILb0ES3_S5_NS0_18transform_iteratorINS0_17counting_iteratorImlEEZNS1_24adjacent_difference_implIS3_Lb1ELb0EPKtPtN6thrust23THRUST_200600_302600_NS4plusItEEEE10hipError_tPvRmT2_T3_mT4_P12ihipStream_tbEUlmE_tEESD_NS0_8identityIvEEEESI_SL_SM_mSN_SP_bEUlT_E_NS1_11comp_targetILNS1_3genE0ELNS1_11target_archE4294967295ELNS1_3gpuE0ELNS1_3repE0EEENS1_30default_config_static_selectorELNS0_4arch9wavefront6targetE1EEEvT1_ ; -- Begin function _ZN7rocprim17ROCPRIM_400000_NS6detail17trampoline_kernelINS0_14default_configENS1_25transform_config_selectorItLb0EEEZNS1_14transform_implILb0ES3_S5_NS0_18transform_iteratorINS0_17counting_iteratorImlEEZNS1_24adjacent_difference_implIS3_Lb1ELb0EPKtPtN6thrust23THRUST_200600_302600_NS4plusItEEEE10hipError_tPvRmT2_T3_mT4_P12ihipStream_tbEUlmE_tEESD_NS0_8identityIvEEEESI_SL_SM_mSN_SP_bEUlT_E_NS1_11comp_targetILNS1_3genE0ELNS1_11target_archE4294967295ELNS1_3gpuE0ELNS1_3repE0EEENS1_30default_config_static_selectorELNS0_4arch9wavefront6targetE1EEEvT1_
	.globl	_ZN7rocprim17ROCPRIM_400000_NS6detail17trampoline_kernelINS0_14default_configENS1_25transform_config_selectorItLb0EEEZNS1_14transform_implILb0ES3_S5_NS0_18transform_iteratorINS0_17counting_iteratorImlEEZNS1_24adjacent_difference_implIS3_Lb1ELb0EPKtPtN6thrust23THRUST_200600_302600_NS4plusItEEEE10hipError_tPvRmT2_T3_mT4_P12ihipStream_tbEUlmE_tEESD_NS0_8identityIvEEEESI_SL_SM_mSN_SP_bEUlT_E_NS1_11comp_targetILNS1_3genE0ELNS1_11target_archE4294967295ELNS1_3gpuE0ELNS1_3repE0EEENS1_30default_config_static_selectorELNS0_4arch9wavefront6targetE1EEEvT1_
	.p2align	8
	.type	_ZN7rocprim17ROCPRIM_400000_NS6detail17trampoline_kernelINS0_14default_configENS1_25transform_config_selectorItLb0EEEZNS1_14transform_implILb0ES3_S5_NS0_18transform_iteratorINS0_17counting_iteratorImlEEZNS1_24adjacent_difference_implIS3_Lb1ELb0EPKtPtN6thrust23THRUST_200600_302600_NS4plusItEEEE10hipError_tPvRmT2_T3_mT4_P12ihipStream_tbEUlmE_tEESD_NS0_8identityIvEEEESI_SL_SM_mSN_SP_bEUlT_E_NS1_11comp_targetILNS1_3genE0ELNS1_11target_archE4294967295ELNS1_3gpuE0ELNS1_3repE0EEENS1_30default_config_static_selectorELNS0_4arch9wavefront6targetE1EEEvT1_,@function
_ZN7rocprim17ROCPRIM_400000_NS6detail17trampoline_kernelINS0_14default_configENS1_25transform_config_selectorItLb0EEEZNS1_14transform_implILb0ES3_S5_NS0_18transform_iteratorINS0_17counting_iteratorImlEEZNS1_24adjacent_difference_implIS3_Lb1ELb0EPKtPtN6thrust23THRUST_200600_302600_NS4plusItEEEE10hipError_tPvRmT2_T3_mT4_P12ihipStream_tbEUlmE_tEESD_NS0_8identityIvEEEESI_SL_SM_mSN_SP_bEUlT_E_NS1_11comp_targetILNS1_3genE0ELNS1_11target_archE4294967295ELNS1_3gpuE0ELNS1_3repE0EEENS1_30default_config_static_selectorELNS0_4arch9wavefront6targetE1EEEvT1_: ; @_ZN7rocprim17ROCPRIM_400000_NS6detail17trampoline_kernelINS0_14default_configENS1_25transform_config_selectorItLb0EEEZNS1_14transform_implILb0ES3_S5_NS0_18transform_iteratorINS0_17counting_iteratorImlEEZNS1_24adjacent_difference_implIS3_Lb1ELb0EPKtPtN6thrust23THRUST_200600_302600_NS4plusItEEEE10hipError_tPvRmT2_T3_mT4_P12ihipStream_tbEUlmE_tEESD_NS0_8identityIvEEEESI_SL_SM_mSN_SP_bEUlT_E_NS1_11comp_targetILNS1_3genE0ELNS1_11target_archE4294967295ELNS1_3gpuE0ELNS1_3repE0EEENS1_30default_config_static_selectorELNS0_4arch9wavefront6targetE1EEEvT1_
; %bb.0:
	.section	.rodata,"a",@progbits
	.p2align	6, 0x0
	.amdhsa_kernel _ZN7rocprim17ROCPRIM_400000_NS6detail17trampoline_kernelINS0_14default_configENS1_25transform_config_selectorItLb0EEEZNS1_14transform_implILb0ES3_S5_NS0_18transform_iteratorINS0_17counting_iteratorImlEEZNS1_24adjacent_difference_implIS3_Lb1ELb0EPKtPtN6thrust23THRUST_200600_302600_NS4plusItEEEE10hipError_tPvRmT2_T3_mT4_P12ihipStream_tbEUlmE_tEESD_NS0_8identityIvEEEESI_SL_SM_mSN_SP_bEUlT_E_NS1_11comp_targetILNS1_3genE0ELNS1_11target_archE4294967295ELNS1_3gpuE0ELNS1_3repE0EEENS1_30default_config_static_selectorELNS0_4arch9wavefront6targetE1EEEvT1_
		.amdhsa_group_segment_fixed_size 0
		.amdhsa_private_segment_fixed_size 0
		.amdhsa_kernarg_size 56
		.amdhsa_user_sgpr_count 6
		.amdhsa_user_sgpr_private_segment_buffer 1
		.amdhsa_user_sgpr_dispatch_ptr 0
		.amdhsa_user_sgpr_queue_ptr 0
		.amdhsa_user_sgpr_kernarg_segment_ptr 1
		.amdhsa_user_sgpr_dispatch_id 0
		.amdhsa_user_sgpr_flat_scratch_init 0
		.amdhsa_user_sgpr_private_segment_size 0
		.amdhsa_uses_dynamic_stack 0
		.amdhsa_system_sgpr_private_segment_wavefront_offset 0
		.amdhsa_system_sgpr_workgroup_id_x 1
		.amdhsa_system_sgpr_workgroup_id_y 0
		.amdhsa_system_sgpr_workgroup_id_z 0
		.amdhsa_system_sgpr_workgroup_info 0
		.amdhsa_system_vgpr_workitem_id 0
		.amdhsa_next_free_vgpr 1
		.amdhsa_next_free_sgpr 0
		.amdhsa_reserve_vcc 0
		.amdhsa_reserve_flat_scratch 0
		.amdhsa_float_round_mode_32 0
		.amdhsa_float_round_mode_16_64 0
		.amdhsa_float_denorm_mode_32 3
		.amdhsa_float_denorm_mode_16_64 3
		.amdhsa_dx10_clamp 1
		.amdhsa_ieee_mode 1
		.amdhsa_fp16_overflow 0
		.amdhsa_exception_fp_ieee_invalid_op 0
		.amdhsa_exception_fp_denorm_src 0
		.amdhsa_exception_fp_ieee_div_zero 0
		.amdhsa_exception_fp_ieee_overflow 0
		.amdhsa_exception_fp_ieee_underflow 0
		.amdhsa_exception_fp_ieee_inexact 0
		.amdhsa_exception_int_div_zero 0
	.end_amdhsa_kernel
	.section	.text._ZN7rocprim17ROCPRIM_400000_NS6detail17trampoline_kernelINS0_14default_configENS1_25transform_config_selectorItLb0EEEZNS1_14transform_implILb0ES3_S5_NS0_18transform_iteratorINS0_17counting_iteratorImlEEZNS1_24adjacent_difference_implIS3_Lb1ELb0EPKtPtN6thrust23THRUST_200600_302600_NS4plusItEEEE10hipError_tPvRmT2_T3_mT4_P12ihipStream_tbEUlmE_tEESD_NS0_8identityIvEEEESI_SL_SM_mSN_SP_bEUlT_E_NS1_11comp_targetILNS1_3genE0ELNS1_11target_archE4294967295ELNS1_3gpuE0ELNS1_3repE0EEENS1_30default_config_static_selectorELNS0_4arch9wavefront6targetE1EEEvT1_,"axG",@progbits,_ZN7rocprim17ROCPRIM_400000_NS6detail17trampoline_kernelINS0_14default_configENS1_25transform_config_selectorItLb0EEEZNS1_14transform_implILb0ES3_S5_NS0_18transform_iteratorINS0_17counting_iteratorImlEEZNS1_24adjacent_difference_implIS3_Lb1ELb0EPKtPtN6thrust23THRUST_200600_302600_NS4plusItEEEE10hipError_tPvRmT2_T3_mT4_P12ihipStream_tbEUlmE_tEESD_NS0_8identityIvEEEESI_SL_SM_mSN_SP_bEUlT_E_NS1_11comp_targetILNS1_3genE0ELNS1_11target_archE4294967295ELNS1_3gpuE0ELNS1_3repE0EEENS1_30default_config_static_selectorELNS0_4arch9wavefront6targetE1EEEvT1_,comdat
.Lfunc_end681:
	.size	_ZN7rocprim17ROCPRIM_400000_NS6detail17trampoline_kernelINS0_14default_configENS1_25transform_config_selectorItLb0EEEZNS1_14transform_implILb0ES3_S5_NS0_18transform_iteratorINS0_17counting_iteratorImlEEZNS1_24adjacent_difference_implIS3_Lb1ELb0EPKtPtN6thrust23THRUST_200600_302600_NS4plusItEEEE10hipError_tPvRmT2_T3_mT4_P12ihipStream_tbEUlmE_tEESD_NS0_8identityIvEEEESI_SL_SM_mSN_SP_bEUlT_E_NS1_11comp_targetILNS1_3genE0ELNS1_11target_archE4294967295ELNS1_3gpuE0ELNS1_3repE0EEENS1_30default_config_static_selectorELNS0_4arch9wavefront6targetE1EEEvT1_, .Lfunc_end681-_ZN7rocprim17ROCPRIM_400000_NS6detail17trampoline_kernelINS0_14default_configENS1_25transform_config_selectorItLb0EEEZNS1_14transform_implILb0ES3_S5_NS0_18transform_iteratorINS0_17counting_iteratorImlEEZNS1_24adjacent_difference_implIS3_Lb1ELb0EPKtPtN6thrust23THRUST_200600_302600_NS4plusItEEEE10hipError_tPvRmT2_T3_mT4_P12ihipStream_tbEUlmE_tEESD_NS0_8identityIvEEEESI_SL_SM_mSN_SP_bEUlT_E_NS1_11comp_targetILNS1_3genE0ELNS1_11target_archE4294967295ELNS1_3gpuE0ELNS1_3repE0EEENS1_30default_config_static_selectorELNS0_4arch9wavefront6targetE1EEEvT1_
                                        ; -- End function
	.set _ZN7rocprim17ROCPRIM_400000_NS6detail17trampoline_kernelINS0_14default_configENS1_25transform_config_selectorItLb0EEEZNS1_14transform_implILb0ES3_S5_NS0_18transform_iteratorINS0_17counting_iteratorImlEEZNS1_24adjacent_difference_implIS3_Lb1ELb0EPKtPtN6thrust23THRUST_200600_302600_NS4plusItEEEE10hipError_tPvRmT2_T3_mT4_P12ihipStream_tbEUlmE_tEESD_NS0_8identityIvEEEESI_SL_SM_mSN_SP_bEUlT_E_NS1_11comp_targetILNS1_3genE0ELNS1_11target_archE4294967295ELNS1_3gpuE0ELNS1_3repE0EEENS1_30default_config_static_selectorELNS0_4arch9wavefront6targetE1EEEvT1_.num_vgpr, 0
	.set _ZN7rocprim17ROCPRIM_400000_NS6detail17trampoline_kernelINS0_14default_configENS1_25transform_config_selectorItLb0EEEZNS1_14transform_implILb0ES3_S5_NS0_18transform_iteratorINS0_17counting_iteratorImlEEZNS1_24adjacent_difference_implIS3_Lb1ELb0EPKtPtN6thrust23THRUST_200600_302600_NS4plusItEEEE10hipError_tPvRmT2_T3_mT4_P12ihipStream_tbEUlmE_tEESD_NS0_8identityIvEEEESI_SL_SM_mSN_SP_bEUlT_E_NS1_11comp_targetILNS1_3genE0ELNS1_11target_archE4294967295ELNS1_3gpuE0ELNS1_3repE0EEENS1_30default_config_static_selectorELNS0_4arch9wavefront6targetE1EEEvT1_.num_agpr, 0
	.set _ZN7rocprim17ROCPRIM_400000_NS6detail17trampoline_kernelINS0_14default_configENS1_25transform_config_selectorItLb0EEEZNS1_14transform_implILb0ES3_S5_NS0_18transform_iteratorINS0_17counting_iteratorImlEEZNS1_24adjacent_difference_implIS3_Lb1ELb0EPKtPtN6thrust23THRUST_200600_302600_NS4plusItEEEE10hipError_tPvRmT2_T3_mT4_P12ihipStream_tbEUlmE_tEESD_NS0_8identityIvEEEESI_SL_SM_mSN_SP_bEUlT_E_NS1_11comp_targetILNS1_3genE0ELNS1_11target_archE4294967295ELNS1_3gpuE0ELNS1_3repE0EEENS1_30default_config_static_selectorELNS0_4arch9wavefront6targetE1EEEvT1_.numbered_sgpr, 0
	.set _ZN7rocprim17ROCPRIM_400000_NS6detail17trampoline_kernelINS0_14default_configENS1_25transform_config_selectorItLb0EEEZNS1_14transform_implILb0ES3_S5_NS0_18transform_iteratorINS0_17counting_iteratorImlEEZNS1_24adjacent_difference_implIS3_Lb1ELb0EPKtPtN6thrust23THRUST_200600_302600_NS4plusItEEEE10hipError_tPvRmT2_T3_mT4_P12ihipStream_tbEUlmE_tEESD_NS0_8identityIvEEEESI_SL_SM_mSN_SP_bEUlT_E_NS1_11comp_targetILNS1_3genE0ELNS1_11target_archE4294967295ELNS1_3gpuE0ELNS1_3repE0EEENS1_30default_config_static_selectorELNS0_4arch9wavefront6targetE1EEEvT1_.num_named_barrier, 0
	.set _ZN7rocprim17ROCPRIM_400000_NS6detail17trampoline_kernelINS0_14default_configENS1_25transform_config_selectorItLb0EEEZNS1_14transform_implILb0ES3_S5_NS0_18transform_iteratorINS0_17counting_iteratorImlEEZNS1_24adjacent_difference_implIS3_Lb1ELb0EPKtPtN6thrust23THRUST_200600_302600_NS4plusItEEEE10hipError_tPvRmT2_T3_mT4_P12ihipStream_tbEUlmE_tEESD_NS0_8identityIvEEEESI_SL_SM_mSN_SP_bEUlT_E_NS1_11comp_targetILNS1_3genE0ELNS1_11target_archE4294967295ELNS1_3gpuE0ELNS1_3repE0EEENS1_30default_config_static_selectorELNS0_4arch9wavefront6targetE1EEEvT1_.private_seg_size, 0
	.set _ZN7rocprim17ROCPRIM_400000_NS6detail17trampoline_kernelINS0_14default_configENS1_25transform_config_selectorItLb0EEEZNS1_14transform_implILb0ES3_S5_NS0_18transform_iteratorINS0_17counting_iteratorImlEEZNS1_24adjacent_difference_implIS3_Lb1ELb0EPKtPtN6thrust23THRUST_200600_302600_NS4plusItEEEE10hipError_tPvRmT2_T3_mT4_P12ihipStream_tbEUlmE_tEESD_NS0_8identityIvEEEESI_SL_SM_mSN_SP_bEUlT_E_NS1_11comp_targetILNS1_3genE0ELNS1_11target_archE4294967295ELNS1_3gpuE0ELNS1_3repE0EEENS1_30default_config_static_selectorELNS0_4arch9wavefront6targetE1EEEvT1_.uses_vcc, 0
	.set _ZN7rocprim17ROCPRIM_400000_NS6detail17trampoline_kernelINS0_14default_configENS1_25transform_config_selectorItLb0EEEZNS1_14transform_implILb0ES3_S5_NS0_18transform_iteratorINS0_17counting_iteratorImlEEZNS1_24adjacent_difference_implIS3_Lb1ELb0EPKtPtN6thrust23THRUST_200600_302600_NS4plusItEEEE10hipError_tPvRmT2_T3_mT4_P12ihipStream_tbEUlmE_tEESD_NS0_8identityIvEEEESI_SL_SM_mSN_SP_bEUlT_E_NS1_11comp_targetILNS1_3genE0ELNS1_11target_archE4294967295ELNS1_3gpuE0ELNS1_3repE0EEENS1_30default_config_static_selectorELNS0_4arch9wavefront6targetE1EEEvT1_.uses_flat_scratch, 0
	.set _ZN7rocprim17ROCPRIM_400000_NS6detail17trampoline_kernelINS0_14default_configENS1_25transform_config_selectorItLb0EEEZNS1_14transform_implILb0ES3_S5_NS0_18transform_iteratorINS0_17counting_iteratorImlEEZNS1_24adjacent_difference_implIS3_Lb1ELb0EPKtPtN6thrust23THRUST_200600_302600_NS4plusItEEEE10hipError_tPvRmT2_T3_mT4_P12ihipStream_tbEUlmE_tEESD_NS0_8identityIvEEEESI_SL_SM_mSN_SP_bEUlT_E_NS1_11comp_targetILNS1_3genE0ELNS1_11target_archE4294967295ELNS1_3gpuE0ELNS1_3repE0EEENS1_30default_config_static_selectorELNS0_4arch9wavefront6targetE1EEEvT1_.has_dyn_sized_stack, 0
	.set _ZN7rocprim17ROCPRIM_400000_NS6detail17trampoline_kernelINS0_14default_configENS1_25transform_config_selectorItLb0EEEZNS1_14transform_implILb0ES3_S5_NS0_18transform_iteratorINS0_17counting_iteratorImlEEZNS1_24adjacent_difference_implIS3_Lb1ELb0EPKtPtN6thrust23THRUST_200600_302600_NS4plusItEEEE10hipError_tPvRmT2_T3_mT4_P12ihipStream_tbEUlmE_tEESD_NS0_8identityIvEEEESI_SL_SM_mSN_SP_bEUlT_E_NS1_11comp_targetILNS1_3genE0ELNS1_11target_archE4294967295ELNS1_3gpuE0ELNS1_3repE0EEENS1_30default_config_static_selectorELNS0_4arch9wavefront6targetE1EEEvT1_.has_recursion, 0
	.set _ZN7rocprim17ROCPRIM_400000_NS6detail17trampoline_kernelINS0_14default_configENS1_25transform_config_selectorItLb0EEEZNS1_14transform_implILb0ES3_S5_NS0_18transform_iteratorINS0_17counting_iteratorImlEEZNS1_24adjacent_difference_implIS3_Lb1ELb0EPKtPtN6thrust23THRUST_200600_302600_NS4plusItEEEE10hipError_tPvRmT2_T3_mT4_P12ihipStream_tbEUlmE_tEESD_NS0_8identityIvEEEESI_SL_SM_mSN_SP_bEUlT_E_NS1_11comp_targetILNS1_3genE0ELNS1_11target_archE4294967295ELNS1_3gpuE0ELNS1_3repE0EEENS1_30default_config_static_selectorELNS0_4arch9wavefront6targetE1EEEvT1_.has_indirect_call, 0
	.section	.AMDGPU.csdata,"",@progbits
; Kernel info:
; codeLenInByte = 0
; TotalNumSgprs: 4
; NumVgprs: 0
; ScratchSize: 0
; MemoryBound: 0
; FloatMode: 240
; IeeeMode: 1
; LDSByteSize: 0 bytes/workgroup (compile time only)
; SGPRBlocks: 0
; VGPRBlocks: 0
; NumSGPRsForWavesPerEU: 4
; NumVGPRsForWavesPerEU: 1
; Occupancy: 10
; WaveLimiterHint : 0
; COMPUTE_PGM_RSRC2:SCRATCH_EN: 0
; COMPUTE_PGM_RSRC2:USER_SGPR: 6
; COMPUTE_PGM_RSRC2:TRAP_HANDLER: 0
; COMPUTE_PGM_RSRC2:TGID_X_EN: 1
; COMPUTE_PGM_RSRC2:TGID_Y_EN: 0
; COMPUTE_PGM_RSRC2:TGID_Z_EN: 0
; COMPUTE_PGM_RSRC2:TIDIG_COMP_CNT: 0
	.section	.text._ZN7rocprim17ROCPRIM_400000_NS6detail17trampoline_kernelINS0_14default_configENS1_25transform_config_selectorItLb0EEEZNS1_14transform_implILb0ES3_S5_NS0_18transform_iteratorINS0_17counting_iteratorImlEEZNS1_24adjacent_difference_implIS3_Lb1ELb0EPKtPtN6thrust23THRUST_200600_302600_NS4plusItEEEE10hipError_tPvRmT2_T3_mT4_P12ihipStream_tbEUlmE_tEESD_NS0_8identityIvEEEESI_SL_SM_mSN_SP_bEUlT_E_NS1_11comp_targetILNS1_3genE5ELNS1_11target_archE942ELNS1_3gpuE9ELNS1_3repE0EEENS1_30default_config_static_selectorELNS0_4arch9wavefront6targetE1EEEvT1_,"axG",@progbits,_ZN7rocprim17ROCPRIM_400000_NS6detail17trampoline_kernelINS0_14default_configENS1_25transform_config_selectorItLb0EEEZNS1_14transform_implILb0ES3_S5_NS0_18transform_iteratorINS0_17counting_iteratorImlEEZNS1_24adjacent_difference_implIS3_Lb1ELb0EPKtPtN6thrust23THRUST_200600_302600_NS4plusItEEEE10hipError_tPvRmT2_T3_mT4_P12ihipStream_tbEUlmE_tEESD_NS0_8identityIvEEEESI_SL_SM_mSN_SP_bEUlT_E_NS1_11comp_targetILNS1_3genE5ELNS1_11target_archE942ELNS1_3gpuE9ELNS1_3repE0EEENS1_30default_config_static_selectorELNS0_4arch9wavefront6targetE1EEEvT1_,comdat
	.protected	_ZN7rocprim17ROCPRIM_400000_NS6detail17trampoline_kernelINS0_14default_configENS1_25transform_config_selectorItLb0EEEZNS1_14transform_implILb0ES3_S5_NS0_18transform_iteratorINS0_17counting_iteratorImlEEZNS1_24adjacent_difference_implIS3_Lb1ELb0EPKtPtN6thrust23THRUST_200600_302600_NS4plusItEEEE10hipError_tPvRmT2_T3_mT4_P12ihipStream_tbEUlmE_tEESD_NS0_8identityIvEEEESI_SL_SM_mSN_SP_bEUlT_E_NS1_11comp_targetILNS1_3genE5ELNS1_11target_archE942ELNS1_3gpuE9ELNS1_3repE0EEENS1_30default_config_static_selectorELNS0_4arch9wavefront6targetE1EEEvT1_ ; -- Begin function _ZN7rocprim17ROCPRIM_400000_NS6detail17trampoline_kernelINS0_14default_configENS1_25transform_config_selectorItLb0EEEZNS1_14transform_implILb0ES3_S5_NS0_18transform_iteratorINS0_17counting_iteratorImlEEZNS1_24adjacent_difference_implIS3_Lb1ELb0EPKtPtN6thrust23THRUST_200600_302600_NS4plusItEEEE10hipError_tPvRmT2_T3_mT4_P12ihipStream_tbEUlmE_tEESD_NS0_8identityIvEEEESI_SL_SM_mSN_SP_bEUlT_E_NS1_11comp_targetILNS1_3genE5ELNS1_11target_archE942ELNS1_3gpuE9ELNS1_3repE0EEENS1_30default_config_static_selectorELNS0_4arch9wavefront6targetE1EEEvT1_
	.globl	_ZN7rocprim17ROCPRIM_400000_NS6detail17trampoline_kernelINS0_14default_configENS1_25transform_config_selectorItLb0EEEZNS1_14transform_implILb0ES3_S5_NS0_18transform_iteratorINS0_17counting_iteratorImlEEZNS1_24adjacent_difference_implIS3_Lb1ELb0EPKtPtN6thrust23THRUST_200600_302600_NS4plusItEEEE10hipError_tPvRmT2_T3_mT4_P12ihipStream_tbEUlmE_tEESD_NS0_8identityIvEEEESI_SL_SM_mSN_SP_bEUlT_E_NS1_11comp_targetILNS1_3genE5ELNS1_11target_archE942ELNS1_3gpuE9ELNS1_3repE0EEENS1_30default_config_static_selectorELNS0_4arch9wavefront6targetE1EEEvT1_
	.p2align	8
	.type	_ZN7rocprim17ROCPRIM_400000_NS6detail17trampoline_kernelINS0_14default_configENS1_25transform_config_selectorItLb0EEEZNS1_14transform_implILb0ES3_S5_NS0_18transform_iteratorINS0_17counting_iteratorImlEEZNS1_24adjacent_difference_implIS3_Lb1ELb0EPKtPtN6thrust23THRUST_200600_302600_NS4plusItEEEE10hipError_tPvRmT2_T3_mT4_P12ihipStream_tbEUlmE_tEESD_NS0_8identityIvEEEESI_SL_SM_mSN_SP_bEUlT_E_NS1_11comp_targetILNS1_3genE5ELNS1_11target_archE942ELNS1_3gpuE9ELNS1_3repE0EEENS1_30default_config_static_selectorELNS0_4arch9wavefront6targetE1EEEvT1_,@function
_ZN7rocprim17ROCPRIM_400000_NS6detail17trampoline_kernelINS0_14default_configENS1_25transform_config_selectorItLb0EEEZNS1_14transform_implILb0ES3_S5_NS0_18transform_iteratorINS0_17counting_iteratorImlEEZNS1_24adjacent_difference_implIS3_Lb1ELb0EPKtPtN6thrust23THRUST_200600_302600_NS4plusItEEEE10hipError_tPvRmT2_T3_mT4_P12ihipStream_tbEUlmE_tEESD_NS0_8identityIvEEEESI_SL_SM_mSN_SP_bEUlT_E_NS1_11comp_targetILNS1_3genE5ELNS1_11target_archE942ELNS1_3gpuE9ELNS1_3repE0EEENS1_30default_config_static_selectorELNS0_4arch9wavefront6targetE1EEEvT1_: ; @_ZN7rocprim17ROCPRIM_400000_NS6detail17trampoline_kernelINS0_14default_configENS1_25transform_config_selectorItLb0EEEZNS1_14transform_implILb0ES3_S5_NS0_18transform_iteratorINS0_17counting_iteratorImlEEZNS1_24adjacent_difference_implIS3_Lb1ELb0EPKtPtN6thrust23THRUST_200600_302600_NS4plusItEEEE10hipError_tPvRmT2_T3_mT4_P12ihipStream_tbEUlmE_tEESD_NS0_8identityIvEEEESI_SL_SM_mSN_SP_bEUlT_E_NS1_11comp_targetILNS1_3genE5ELNS1_11target_archE942ELNS1_3gpuE9ELNS1_3repE0EEENS1_30default_config_static_selectorELNS0_4arch9wavefront6targetE1EEEvT1_
; %bb.0:
	.section	.rodata,"a",@progbits
	.p2align	6, 0x0
	.amdhsa_kernel _ZN7rocprim17ROCPRIM_400000_NS6detail17trampoline_kernelINS0_14default_configENS1_25transform_config_selectorItLb0EEEZNS1_14transform_implILb0ES3_S5_NS0_18transform_iteratorINS0_17counting_iteratorImlEEZNS1_24adjacent_difference_implIS3_Lb1ELb0EPKtPtN6thrust23THRUST_200600_302600_NS4plusItEEEE10hipError_tPvRmT2_T3_mT4_P12ihipStream_tbEUlmE_tEESD_NS0_8identityIvEEEESI_SL_SM_mSN_SP_bEUlT_E_NS1_11comp_targetILNS1_3genE5ELNS1_11target_archE942ELNS1_3gpuE9ELNS1_3repE0EEENS1_30default_config_static_selectorELNS0_4arch9wavefront6targetE1EEEvT1_
		.amdhsa_group_segment_fixed_size 0
		.amdhsa_private_segment_fixed_size 0
		.amdhsa_kernarg_size 56
		.amdhsa_user_sgpr_count 6
		.amdhsa_user_sgpr_private_segment_buffer 1
		.amdhsa_user_sgpr_dispatch_ptr 0
		.amdhsa_user_sgpr_queue_ptr 0
		.amdhsa_user_sgpr_kernarg_segment_ptr 1
		.amdhsa_user_sgpr_dispatch_id 0
		.amdhsa_user_sgpr_flat_scratch_init 0
		.amdhsa_user_sgpr_private_segment_size 0
		.amdhsa_uses_dynamic_stack 0
		.amdhsa_system_sgpr_private_segment_wavefront_offset 0
		.amdhsa_system_sgpr_workgroup_id_x 1
		.amdhsa_system_sgpr_workgroup_id_y 0
		.amdhsa_system_sgpr_workgroup_id_z 0
		.amdhsa_system_sgpr_workgroup_info 0
		.amdhsa_system_vgpr_workitem_id 0
		.amdhsa_next_free_vgpr 1
		.amdhsa_next_free_sgpr 0
		.amdhsa_reserve_vcc 0
		.amdhsa_reserve_flat_scratch 0
		.amdhsa_float_round_mode_32 0
		.amdhsa_float_round_mode_16_64 0
		.amdhsa_float_denorm_mode_32 3
		.amdhsa_float_denorm_mode_16_64 3
		.amdhsa_dx10_clamp 1
		.amdhsa_ieee_mode 1
		.amdhsa_fp16_overflow 0
		.amdhsa_exception_fp_ieee_invalid_op 0
		.amdhsa_exception_fp_denorm_src 0
		.amdhsa_exception_fp_ieee_div_zero 0
		.amdhsa_exception_fp_ieee_overflow 0
		.amdhsa_exception_fp_ieee_underflow 0
		.amdhsa_exception_fp_ieee_inexact 0
		.amdhsa_exception_int_div_zero 0
	.end_amdhsa_kernel
	.section	.text._ZN7rocprim17ROCPRIM_400000_NS6detail17trampoline_kernelINS0_14default_configENS1_25transform_config_selectorItLb0EEEZNS1_14transform_implILb0ES3_S5_NS0_18transform_iteratorINS0_17counting_iteratorImlEEZNS1_24adjacent_difference_implIS3_Lb1ELb0EPKtPtN6thrust23THRUST_200600_302600_NS4plusItEEEE10hipError_tPvRmT2_T3_mT4_P12ihipStream_tbEUlmE_tEESD_NS0_8identityIvEEEESI_SL_SM_mSN_SP_bEUlT_E_NS1_11comp_targetILNS1_3genE5ELNS1_11target_archE942ELNS1_3gpuE9ELNS1_3repE0EEENS1_30default_config_static_selectorELNS0_4arch9wavefront6targetE1EEEvT1_,"axG",@progbits,_ZN7rocprim17ROCPRIM_400000_NS6detail17trampoline_kernelINS0_14default_configENS1_25transform_config_selectorItLb0EEEZNS1_14transform_implILb0ES3_S5_NS0_18transform_iteratorINS0_17counting_iteratorImlEEZNS1_24adjacent_difference_implIS3_Lb1ELb0EPKtPtN6thrust23THRUST_200600_302600_NS4plusItEEEE10hipError_tPvRmT2_T3_mT4_P12ihipStream_tbEUlmE_tEESD_NS0_8identityIvEEEESI_SL_SM_mSN_SP_bEUlT_E_NS1_11comp_targetILNS1_3genE5ELNS1_11target_archE942ELNS1_3gpuE9ELNS1_3repE0EEENS1_30default_config_static_selectorELNS0_4arch9wavefront6targetE1EEEvT1_,comdat
.Lfunc_end682:
	.size	_ZN7rocprim17ROCPRIM_400000_NS6detail17trampoline_kernelINS0_14default_configENS1_25transform_config_selectorItLb0EEEZNS1_14transform_implILb0ES3_S5_NS0_18transform_iteratorINS0_17counting_iteratorImlEEZNS1_24adjacent_difference_implIS3_Lb1ELb0EPKtPtN6thrust23THRUST_200600_302600_NS4plusItEEEE10hipError_tPvRmT2_T3_mT4_P12ihipStream_tbEUlmE_tEESD_NS0_8identityIvEEEESI_SL_SM_mSN_SP_bEUlT_E_NS1_11comp_targetILNS1_3genE5ELNS1_11target_archE942ELNS1_3gpuE9ELNS1_3repE0EEENS1_30default_config_static_selectorELNS0_4arch9wavefront6targetE1EEEvT1_, .Lfunc_end682-_ZN7rocprim17ROCPRIM_400000_NS6detail17trampoline_kernelINS0_14default_configENS1_25transform_config_selectorItLb0EEEZNS1_14transform_implILb0ES3_S5_NS0_18transform_iteratorINS0_17counting_iteratorImlEEZNS1_24adjacent_difference_implIS3_Lb1ELb0EPKtPtN6thrust23THRUST_200600_302600_NS4plusItEEEE10hipError_tPvRmT2_T3_mT4_P12ihipStream_tbEUlmE_tEESD_NS0_8identityIvEEEESI_SL_SM_mSN_SP_bEUlT_E_NS1_11comp_targetILNS1_3genE5ELNS1_11target_archE942ELNS1_3gpuE9ELNS1_3repE0EEENS1_30default_config_static_selectorELNS0_4arch9wavefront6targetE1EEEvT1_
                                        ; -- End function
	.set _ZN7rocprim17ROCPRIM_400000_NS6detail17trampoline_kernelINS0_14default_configENS1_25transform_config_selectorItLb0EEEZNS1_14transform_implILb0ES3_S5_NS0_18transform_iteratorINS0_17counting_iteratorImlEEZNS1_24adjacent_difference_implIS3_Lb1ELb0EPKtPtN6thrust23THRUST_200600_302600_NS4plusItEEEE10hipError_tPvRmT2_T3_mT4_P12ihipStream_tbEUlmE_tEESD_NS0_8identityIvEEEESI_SL_SM_mSN_SP_bEUlT_E_NS1_11comp_targetILNS1_3genE5ELNS1_11target_archE942ELNS1_3gpuE9ELNS1_3repE0EEENS1_30default_config_static_selectorELNS0_4arch9wavefront6targetE1EEEvT1_.num_vgpr, 0
	.set _ZN7rocprim17ROCPRIM_400000_NS6detail17trampoline_kernelINS0_14default_configENS1_25transform_config_selectorItLb0EEEZNS1_14transform_implILb0ES3_S5_NS0_18transform_iteratorINS0_17counting_iteratorImlEEZNS1_24adjacent_difference_implIS3_Lb1ELb0EPKtPtN6thrust23THRUST_200600_302600_NS4plusItEEEE10hipError_tPvRmT2_T3_mT4_P12ihipStream_tbEUlmE_tEESD_NS0_8identityIvEEEESI_SL_SM_mSN_SP_bEUlT_E_NS1_11comp_targetILNS1_3genE5ELNS1_11target_archE942ELNS1_3gpuE9ELNS1_3repE0EEENS1_30default_config_static_selectorELNS0_4arch9wavefront6targetE1EEEvT1_.num_agpr, 0
	.set _ZN7rocprim17ROCPRIM_400000_NS6detail17trampoline_kernelINS0_14default_configENS1_25transform_config_selectorItLb0EEEZNS1_14transform_implILb0ES3_S5_NS0_18transform_iteratorINS0_17counting_iteratorImlEEZNS1_24adjacent_difference_implIS3_Lb1ELb0EPKtPtN6thrust23THRUST_200600_302600_NS4plusItEEEE10hipError_tPvRmT2_T3_mT4_P12ihipStream_tbEUlmE_tEESD_NS0_8identityIvEEEESI_SL_SM_mSN_SP_bEUlT_E_NS1_11comp_targetILNS1_3genE5ELNS1_11target_archE942ELNS1_3gpuE9ELNS1_3repE0EEENS1_30default_config_static_selectorELNS0_4arch9wavefront6targetE1EEEvT1_.numbered_sgpr, 0
	.set _ZN7rocprim17ROCPRIM_400000_NS6detail17trampoline_kernelINS0_14default_configENS1_25transform_config_selectorItLb0EEEZNS1_14transform_implILb0ES3_S5_NS0_18transform_iteratorINS0_17counting_iteratorImlEEZNS1_24adjacent_difference_implIS3_Lb1ELb0EPKtPtN6thrust23THRUST_200600_302600_NS4plusItEEEE10hipError_tPvRmT2_T3_mT4_P12ihipStream_tbEUlmE_tEESD_NS0_8identityIvEEEESI_SL_SM_mSN_SP_bEUlT_E_NS1_11comp_targetILNS1_3genE5ELNS1_11target_archE942ELNS1_3gpuE9ELNS1_3repE0EEENS1_30default_config_static_selectorELNS0_4arch9wavefront6targetE1EEEvT1_.num_named_barrier, 0
	.set _ZN7rocprim17ROCPRIM_400000_NS6detail17trampoline_kernelINS0_14default_configENS1_25transform_config_selectorItLb0EEEZNS1_14transform_implILb0ES3_S5_NS0_18transform_iteratorINS0_17counting_iteratorImlEEZNS1_24adjacent_difference_implIS3_Lb1ELb0EPKtPtN6thrust23THRUST_200600_302600_NS4plusItEEEE10hipError_tPvRmT2_T3_mT4_P12ihipStream_tbEUlmE_tEESD_NS0_8identityIvEEEESI_SL_SM_mSN_SP_bEUlT_E_NS1_11comp_targetILNS1_3genE5ELNS1_11target_archE942ELNS1_3gpuE9ELNS1_3repE0EEENS1_30default_config_static_selectorELNS0_4arch9wavefront6targetE1EEEvT1_.private_seg_size, 0
	.set _ZN7rocprim17ROCPRIM_400000_NS6detail17trampoline_kernelINS0_14default_configENS1_25transform_config_selectorItLb0EEEZNS1_14transform_implILb0ES3_S5_NS0_18transform_iteratorINS0_17counting_iteratorImlEEZNS1_24adjacent_difference_implIS3_Lb1ELb0EPKtPtN6thrust23THRUST_200600_302600_NS4plusItEEEE10hipError_tPvRmT2_T3_mT4_P12ihipStream_tbEUlmE_tEESD_NS0_8identityIvEEEESI_SL_SM_mSN_SP_bEUlT_E_NS1_11comp_targetILNS1_3genE5ELNS1_11target_archE942ELNS1_3gpuE9ELNS1_3repE0EEENS1_30default_config_static_selectorELNS0_4arch9wavefront6targetE1EEEvT1_.uses_vcc, 0
	.set _ZN7rocprim17ROCPRIM_400000_NS6detail17trampoline_kernelINS0_14default_configENS1_25transform_config_selectorItLb0EEEZNS1_14transform_implILb0ES3_S5_NS0_18transform_iteratorINS0_17counting_iteratorImlEEZNS1_24adjacent_difference_implIS3_Lb1ELb0EPKtPtN6thrust23THRUST_200600_302600_NS4plusItEEEE10hipError_tPvRmT2_T3_mT4_P12ihipStream_tbEUlmE_tEESD_NS0_8identityIvEEEESI_SL_SM_mSN_SP_bEUlT_E_NS1_11comp_targetILNS1_3genE5ELNS1_11target_archE942ELNS1_3gpuE9ELNS1_3repE0EEENS1_30default_config_static_selectorELNS0_4arch9wavefront6targetE1EEEvT1_.uses_flat_scratch, 0
	.set _ZN7rocprim17ROCPRIM_400000_NS6detail17trampoline_kernelINS0_14default_configENS1_25transform_config_selectorItLb0EEEZNS1_14transform_implILb0ES3_S5_NS0_18transform_iteratorINS0_17counting_iteratorImlEEZNS1_24adjacent_difference_implIS3_Lb1ELb0EPKtPtN6thrust23THRUST_200600_302600_NS4plusItEEEE10hipError_tPvRmT2_T3_mT4_P12ihipStream_tbEUlmE_tEESD_NS0_8identityIvEEEESI_SL_SM_mSN_SP_bEUlT_E_NS1_11comp_targetILNS1_3genE5ELNS1_11target_archE942ELNS1_3gpuE9ELNS1_3repE0EEENS1_30default_config_static_selectorELNS0_4arch9wavefront6targetE1EEEvT1_.has_dyn_sized_stack, 0
	.set _ZN7rocprim17ROCPRIM_400000_NS6detail17trampoline_kernelINS0_14default_configENS1_25transform_config_selectorItLb0EEEZNS1_14transform_implILb0ES3_S5_NS0_18transform_iteratorINS0_17counting_iteratorImlEEZNS1_24adjacent_difference_implIS3_Lb1ELb0EPKtPtN6thrust23THRUST_200600_302600_NS4plusItEEEE10hipError_tPvRmT2_T3_mT4_P12ihipStream_tbEUlmE_tEESD_NS0_8identityIvEEEESI_SL_SM_mSN_SP_bEUlT_E_NS1_11comp_targetILNS1_3genE5ELNS1_11target_archE942ELNS1_3gpuE9ELNS1_3repE0EEENS1_30default_config_static_selectorELNS0_4arch9wavefront6targetE1EEEvT1_.has_recursion, 0
	.set _ZN7rocprim17ROCPRIM_400000_NS6detail17trampoline_kernelINS0_14default_configENS1_25transform_config_selectorItLb0EEEZNS1_14transform_implILb0ES3_S5_NS0_18transform_iteratorINS0_17counting_iteratorImlEEZNS1_24adjacent_difference_implIS3_Lb1ELb0EPKtPtN6thrust23THRUST_200600_302600_NS4plusItEEEE10hipError_tPvRmT2_T3_mT4_P12ihipStream_tbEUlmE_tEESD_NS0_8identityIvEEEESI_SL_SM_mSN_SP_bEUlT_E_NS1_11comp_targetILNS1_3genE5ELNS1_11target_archE942ELNS1_3gpuE9ELNS1_3repE0EEENS1_30default_config_static_selectorELNS0_4arch9wavefront6targetE1EEEvT1_.has_indirect_call, 0
	.section	.AMDGPU.csdata,"",@progbits
; Kernel info:
; codeLenInByte = 0
; TotalNumSgprs: 4
; NumVgprs: 0
; ScratchSize: 0
; MemoryBound: 0
; FloatMode: 240
; IeeeMode: 1
; LDSByteSize: 0 bytes/workgroup (compile time only)
; SGPRBlocks: 0
; VGPRBlocks: 0
; NumSGPRsForWavesPerEU: 4
; NumVGPRsForWavesPerEU: 1
; Occupancy: 10
; WaveLimiterHint : 0
; COMPUTE_PGM_RSRC2:SCRATCH_EN: 0
; COMPUTE_PGM_RSRC2:USER_SGPR: 6
; COMPUTE_PGM_RSRC2:TRAP_HANDLER: 0
; COMPUTE_PGM_RSRC2:TGID_X_EN: 1
; COMPUTE_PGM_RSRC2:TGID_Y_EN: 0
; COMPUTE_PGM_RSRC2:TGID_Z_EN: 0
; COMPUTE_PGM_RSRC2:TIDIG_COMP_CNT: 0
	.section	.text._ZN7rocprim17ROCPRIM_400000_NS6detail17trampoline_kernelINS0_14default_configENS1_25transform_config_selectorItLb0EEEZNS1_14transform_implILb0ES3_S5_NS0_18transform_iteratorINS0_17counting_iteratorImlEEZNS1_24adjacent_difference_implIS3_Lb1ELb0EPKtPtN6thrust23THRUST_200600_302600_NS4plusItEEEE10hipError_tPvRmT2_T3_mT4_P12ihipStream_tbEUlmE_tEESD_NS0_8identityIvEEEESI_SL_SM_mSN_SP_bEUlT_E_NS1_11comp_targetILNS1_3genE4ELNS1_11target_archE910ELNS1_3gpuE8ELNS1_3repE0EEENS1_30default_config_static_selectorELNS0_4arch9wavefront6targetE1EEEvT1_,"axG",@progbits,_ZN7rocprim17ROCPRIM_400000_NS6detail17trampoline_kernelINS0_14default_configENS1_25transform_config_selectorItLb0EEEZNS1_14transform_implILb0ES3_S5_NS0_18transform_iteratorINS0_17counting_iteratorImlEEZNS1_24adjacent_difference_implIS3_Lb1ELb0EPKtPtN6thrust23THRUST_200600_302600_NS4plusItEEEE10hipError_tPvRmT2_T3_mT4_P12ihipStream_tbEUlmE_tEESD_NS0_8identityIvEEEESI_SL_SM_mSN_SP_bEUlT_E_NS1_11comp_targetILNS1_3genE4ELNS1_11target_archE910ELNS1_3gpuE8ELNS1_3repE0EEENS1_30default_config_static_selectorELNS0_4arch9wavefront6targetE1EEEvT1_,comdat
	.protected	_ZN7rocprim17ROCPRIM_400000_NS6detail17trampoline_kernelINS0_14default_configENS1_25transform_config_selectorItLb0EEEZNS1_14transform_implILb0ES3_S5_NS0_18transform_iteratorINS0_17counting_iteratorImlEEZNS1_24adjacent_difference_implIS3_Lb1ELb0EPKtPtN6thrust23THRUST_200600_302600_NS4plusItEEEE10hipError_tPvRmT2_T3_mT4_P12ihipStream_tbEUlmE_tEESD_NS0_8identityIvEEEESI_SL_SM_mSN_SP_bEUlT_E_NS1_11comp_targetILNS1_3genE4ELNS1_11target_archE910ELNS1_3gpuE8ELNS1_3repE0EEENS1_30default_config_static_selectorELNS0_4arch9wavefront6targetE1EEEvT1_ ; -- Begin function _ZN7rocprim17ROCPRIM_400000_NS6detail17trampoline_kernelINS0_14default_configENS1_25transform_config_selectorItLb0EEEZNS1_14transform_implILb0ES3_S5_NS0_18transform_iteratorINS0_17counting_iteratorImlEEZNS1_24adjacent_difference_implIS3_Lb1ELb0EPKtPtN6thrust23THRUST_200600_302600_NS4plusItEEEE10hipError_tPvRmT2_T3_mT4_P12ihipStream_tbEUlmE_tEESD_NS0_8identityIvEEEESI_SL_SM_mSN_SP_bEUlT_E_NS1_11comp_targetILNS1_3genE4ELNS1_11target_archE910ELNS1_3gpuE8ELNS1_3repE0EEENS1_30default_config_static_selectorELNS0_4arch9wavefront6targetE1EEEvT1_
	.globl	_ZN7rocprim17ROCPRIM_400000_NS6detail17trampoline_kernelINS0_14default_configENS1_25transform_config_selectorItLb0EEEZNS1_14transform_implILb0ES3_S5_NS0_18transform_iteratorINS0_17counting_iteratorImlEEZNS1_24adjacent_difference_implIS3_Lb1ELb0EPKtPtN6thrust23THRUST_200600_302600_NS4plusItEEEE10hipError_tPvRmT2_T3_mT4_P12ihipStream_tbEUlmE_tEESD_NS0_8identityIvEEEESI_SL_SM_mSN_SP_bEUlT_E_NS1_11comp_targetILNS1_3genE4ELNS1_11target_archE910ELNS1_3gpuE8ELNS1_3repE0EEENS1_30default_config_static_selectorELNS0_4arch9wavefront6targetE1EEEvT1_
	.p2align	8
	.type	_ZN7rocprim17ROCPRIM_400000_NS6detail17trampoline_kernelINS0_14default_configENS1_25transform_config_selectorItLb0EEEZNS1_14transform_implILb0ES3_S5_NS0_18transform_iteratorINS0_17counting_iteratorImlEEZNS1_24adjacent_difference_implIS3_Lb1ELb0EPKtPtN6thrust23THRUST_200600_302600_NS4plusItEEEE10hipError_tPvRmT2_T3_mT4_P12ihipStream_tbEUlmE_tEESD_NS0_8identityIvEEEESI_SL_SM_mSN_SP_bEUlT_E_NS1_11comp_targetILNS1_3genE4ELNS1_11target_archE910ELNS1_3gpuE8ELNS1_3repE0EEENS1_30default_config_static_selectorELNS0_4arch9wavefront6targetE1EEEvT1_,@function
_ZN7rocprim17ROCPRIM_400000_NS6detail17trampoline_kernelINS0_14default_configENS1_25transform_config_selectorItLb0EEEZNS1_14transform_implILb0ES3_S5_NS0_18transform_iteratorINS0_17counting_iteratorImlEEZNS1_24adjacent_difference_implIS3_Lb1ELb0EPKtPtN6thrust23THRUST_200600_302600_NS4plusItEEEE10hipError_tPvRmT2_T3_mT4_P12ihipStream_tbEUlmE_tEESD_NS0_8identityIvEEEESI_SL_SM_mSN_SP_bEUlT_E_NS1_11comp_targetILNS1_3genE4ELNS1_11target_archE910ELNS1_3gpuE8ELNS1_3repE0EEENS1_30default_config_static_selectorELNS0_4arch9wavefront6targetE1EEEvT1_: ; @_ZN7rocprim17ROCPRIM_400000_NS6detail17trampoline_kernelINS0_14default_configENS1_25transform_config_selectorItLb0EEEZNS1_14transform_implILb0ES3_S5_NS0_18transform_iteratorINS0_17counting_iteratorImlEEZNS1_24adjacent_difference_implIS3_Lb1ELb0EPKtPtN6thrust23THRUST_200600_302600_NS4plusItEEEE10hipError_tPvRmT2_T3_mT4_P12ihipStream_tbEUlmE_tEESD_NS0_8identityIvEEEESI_SL_SM_mSN_SP_bEUlT_E_NS1_11comp_targetILNS1_3genE4ELNS1_11target_archE910ELNS1_3gpuE8ELNS1_3repE0EEENS1_30default_config_static_selectorELNS0_4arch9wavefront6targetE1EEEvT1_
; %bb.0:
	.section	.rodata,"a",@progbits
	.p2align	6, 0x0
	.amdhsa_kernel _ZN7rocprim17ROCPRIM_400000_NS6detail17trampoline_kernelINS0_14default_configENS1_25transform_config_selectorItLb0EEEZNS1_14transform_implILb0ES3_S5_NS0_18transform_iteratorINS0_17counting_iteratorImlEEZNS1_24adjacent_difference_implIS3_Lb1ELb0EPKtPtN6thrust23THRUST_200600_302600_NS4plusItEEEE10hipError_tPvRmT2_T3_mT4_P12ihipStream_tbEUlmE_tEESD_NS0_8identityIvEEEESI_SL_SM_mSN_SP_bEUlT_E_NS1_11comp_targetILNS1_3genE4ELNS1_11target_archE910ELNS1_3gpuE8ELNS1_3repE0EEENS1_30default_config_static_selectorELNS0_4arch9wavefront6targetE1EEEvT1_
		.amdhsa_group_segment_fixed_size 0
		.amdhsa_private_segment_fixed_size 0
		.amdhsa_kernarg_size 56
		.amdhsa_user_sgpr_count 6
		.amdhsa_user_sgpr_private_segment_buffer 1
		.amdhsa_user_sgpr_dispatch_ptr 0
		.amdhsa_user_sgpr_queue_ptr 0
		.amdhsa_user_sgpr_kernarg_segment_ptr 1
		.amdhsa_user_sgpr_dispatch_id 0
		.amdhsa_user_sgpr_flat_scratch_init 0
		.amdhsa_user_sgpr_private_segment_size 0
		.amdhsa_uses_dynamic_stack 0
		.amdhsa_system_sgpr_private_segment_wavefront_offset 0
		.amdhsa_system_sgpr_workgroup_id_x 1
		.amdhsa_system_sgpr_workgroup_id_y 0
		.amdhsa_system_sgpr_workgroup_id_z 0
		.amdhsa_system_sgpr_workgroup_info 0
		.amdhsa_system_vgpr_workitem_id 0
		.amdhsa_next_free_vgpr 1
		.amdhsa_next_free_sgpr 0
		.amdhsa_reserve_vcc 0
		.amdhsa_reserve_flat_scratch 0
		.amdhsa_float_round_mode_32 0
		.amdhsa_float_round_mode_16_64 0
		.amdhsa_float_denorm_mode_32 3
		.amdhsa_float_denorm_mode_16_64 3
		.amdhsa_dx10_clamp 1
		.amdhsa_ieee_mode 1
		.amdhsa_fp16_overflow 0
		.amdhsa_exception_fp_ieee_invalid_op 0
		.amdhsa_exception_fp_denorm_src 0
		.amdhsa_exception_fp_ieee_div_zero 0
		.amdhsa_exception_fp_ieee_overflow 0
		.amdhsa_exception_fp_ieee_underflow 0
		.amdhsa_exception_fp_ieee_inexact 0
		.amdhsa_exception_int_div_zero 0
	.end_amdhsa_kernel
	.section	.text._ZN7rocprim17ROCPRIM_400000_NS6detail17trampoline_kernelINS0_14default_configENS1_25transform_config_selectorItLb0EEEZNS1_14transform_implILb0ES3_S5_NS0_18transform_iteratorINS0_17counting_iteratorImlEEZNS1_24adjacent_difference_implIS3_Lb1ELb0EPKtPtN6thrust23THRUST_200600_302600_NS4plusItEEEE10hipError_tPvRmT2_T3_mT4_P12ihipStream_tbEUlmE_tEESD_NS0_8identityIvEEEESI_SL_SM_mSN_SP_bEUlT_E_NS1_11comp_targetILNS1_3genE4ELNS1_11target_archE910ELNS1_3gpuE8ELNS1_3repE0EEENS1_30default_config_static_selectorELNS0_4arch9wavefront6targetE1EEEvT1_,"axG",@progbits,_ZN7rocprim17ROCPRIM_400000_NS6detail17trampoline_kernelINS0_14default_configENS1_25transform_config_selectorItLb0EEEZNS1_14transform_implILb0ES3_S5_NS0_18transform_iteratorINS0_17counting_iteratorImlEEZNS1_24adjacent_difference_implIS3_Lb1ELb0EPKtPtN6thrust23THRUST_200600_302600_NS4plusItEEEE10hipError_tPvRmT2_T3_mT4_P12ihipStream_tbEUlmE_tEESD_NS0_8identityIvEEEESI_SL_SM_mSN_SP_bEUlT_E_NS1_11comp_targetILNS1_3genE4ELNS1_11target_archE910ELNS1_3gpuE8ELNS1_3repE0EEENS1_30default_config_static_selectorELNS0_4arch9wavefront6targetE1EEEvT1_,comdat
.Lfunc_end683:
	.size	_ZN7rocprim17ROCPRIM_400000_NS6detail17trampoline_kernelINS0_14default_configENS1_25transform_config_selectorItLb0EEEZNS1_14transform_implILb0ES3_S5_NS0_18transform_iteratorINS0_17counting_iteratorImlEEZNS1_24adjacent_difference_implIS3_Lb1ELb0EPKtPtN6thrust23THRUST_200600_302600_NS4plusItEEEE10hipError_tPvRmT2_T3_mT4_P12ihipStream_tbEUlmE_tEESD_NS0_8identityIvEEEESI_SL_SM_mSN_SP_bEUlT_E_NS1_11comp_targetILNS1_3genE4ELNS1_11target_archE910ELNS1_3gpuE8ELNS1_3repE0EEENS1_30default_config_static_selectorELNS0_4arch9wavefront6targetE1EEEvT1_, .Lfunc_end683-_ZN7rocprim17ROCPRIM_400000_NS6detail17trampoline_kernelINS0_14default_configENS1_25transform_config_selectorItLb0EEEZNS1_14transform_implILb0ES3_S5_NS0_18transform_iteratorINS0_17counting_iteratorImlEEZNS1_24adjacent_difference_implIS3_Lb1ELb0EPKtPtN6thrust23THRUST_200600_302600_NS4plusItEEEE10hipError_tPvRmT2_T3_mT4_P12ihipStream_tbEUlmE_tEESD_NS0_8identityIvEEEESI_SL_SM_mSN_SP_bEUlT_E_NS1_11comp_targetILNS1_3genE4ELNS1_11target_archE910ELNS1_3gpuE8ELNS1_3repE0EEENS1_30default_config_static_selectorELNS0_4arch9wavefront6targetE1EEEvT1_
                                        ; -- End function
	.set _ZN7rocprim17ROCPRIM_400000_NS6detail17trampoline_kernelINS0_14default_configENS1_25transform_config_selectorItLb0EEEZNS1_14transform_implILb0ES3_S5_NS0_18transform_iteratorINS0_17counting_iteratorImlEEZNS1_24adjacent_difference_implIS3_Lb1ELb0EPKtPtN6thrust23THRUST_200600_302600_NS4plusItEEEE10hipError_tPvRmT2_T3_mT4_P12ihipStream_tbEUlmE_tEESD_NS0_8identityIvEEEESI_SL_SM_mSN_SP_bEUlT_E_NS1_11comp_targetILNS1_3genE4ELNS1_11target_archE910ELNS1_3gpuE8ELNS1_3repE0EEENS1_30default_config_static_selectorELNS0_4arch9wavefront6targetE1EEEvT1_.num_vgpr, 0
	.set _ZN7rocprim17ROCPRIM_400000_NS6detail17trampoline_kernelINS0_14default_configENS1_25transform_config_selectorItLb0EEEZNS1_14transform_implILb0ES3_S5_NS0_18transform_iteratorINS0_17counting_iteratorImlEEZNS1_24adjacent_difference_implIS3_Lb1ELb0EPKtPtN6thrust23THRUST_200600_302600_NS4plusItEEEE10hipError_tPvRmT2_T3_mT4_P12ihipStream_tbEUlmE_tEESD_NS0_8identityIvEEEESI_SL_SM_mSN_SP_bEUlT_E_NS1_11comp_targetILNS1_3genE4ELNS1_11target_archE910ELNS1_3gpuE8ELNS1_3repE0EEENS1_30default_config_static_selectorELNS0_4arch9wavefront6targetE1EEEvT1_.num_agpr, 0
	.set _ZN7rocprim17ROCPRIM_400000_NS6detail17trampoline_kernelINS0_14default_configENS1_25transform_config_selectorItLb0EEEZNS1_14transform_implILb0ES3_S5_NS0_18transform_iteratorINS0_17counting_iteratorImlEEZNS1_24adjacent_difference_implIS3_Lb1ELb0EPKtPtN6thrust23THRUST_200600_302600_NS4plusItEEEE10hipError_tPvRmT2_T3_mT4_P12ihipStream_tbEUlmE_tEESD_NS0_8identityIvEEEESI_SL_SM_mSN_SP_bEUlT_E_NS1_11comp_targetILNS1_3genE4ELNS1_11target_archE910ELNS1_3gpuE8ELNS1_3repE0EEENS1_30default_config_static_selectorELNS0_4arch9wavefront6targetE1EEEvT1_.numbered_sgpr, 0
	.set _ZN7rocprim17ROCPRIM_400000_NS6detail17trampoline_kernelINS0_14default_configENS1_25transform_config_selectorItLb0EEEZNS1_14transform_implILb0ES3_S5_NS0_18transform_iteratorINS0_17counting_iteratorImlEEZNS1_24adjacent_difference_implIS3_Lb1ELb0EPKtPtN6thrust23THRUST_200600_302600_NS4plusItEEEE10hipError_tPvRmT2_T3_mT4_P12ihipStream_tbEUlmE_tEESD_NS0_8identityIvEEEESI_SL_SM_mSN_SP_bEUlT_E_NS1_11comp_targetILNS1_3genE4ELNS1_11target_archE910ELNS1_3gpuE8ELNS1_3repE0EEENS1_30default_config_static_selectorELNS0_4arch9wavefront6targetE1EEEvT1_.num_named_barrier, 0
	.set _ZN7rocprim17ROCPRIM_400000_NS6detail17trampoline_kernelINS0_14default_configENS1_25transform_config_selectorItLb0EEEZNS1_14transform_implILb0ES3_S5_NS0_18transform_iteratorINS0_17counting_iteratorImlEEZNS1_24adjacent_difference_implIS3_Lb1ELb0EPKtPtN6thrust23THRUST_200600_302600_NS4plusItEEEE10hipError_tPvRmT2_T3_mT4_P12ihipStream_tbEUlmE_tEESD_NS0_8identityIvEEEESI_SL_SM_mSN_SP_bEUlT_E_NS1_11comp_targetILNS1_3genE4ELNS1_11target_archE910ELNS1_3gpuE8ELNS1_3repE0EEENS1_30default_config_static_selectorELNS0_4arch9wavefront6targetE1EEEvT1_.private_seg_size, 0
	.set _ZN7rocprim17ROCPRIM_400000_NS6detail17trampoline_kernelINS0_14default_configENS1_25transform_config_selectorItLb0EEEZNS1_14transform_implILb0ES3_S5_NS0_18transform_iteratorINS0_17counting_iteratorImlEEZNS1_24adjacent_difference_implIS3_Lb1ELb0EPKtPtN6thrust23THRUST_200600_302600_NS4plusItEEEE10hipError_tPvRmT2_T3_mT4_P12ihipStream_tbEUlmE_tEESD_NS0_8identityIvEEEESI_SL_SM_mSN_SP_bEUlT_E_NS1_11comp_targetILNS1_3genE4ELNS1_11target_archE910ELNS1_3gpuE8ELNS1_3repE0EEENS1_30default_config_static_selectorELNS0_4arch9wavefront6targetE1EEEvT1_.uses_vcc, 0
	.set _ZN7rocprim17ROCPRIM_400000_NS6detail17trampoline_kernelINS0_14default_configENS1_25transform_config_selectorItLb0EEEZNS1_14transform_implILb0ES3_S5_NS0_18transform_iteratorINS0_17counting_iteratorImlEEZNS1_24adjacent_difference_implIS3_Lb1ELb0EPKtPtN6thrust23THRUST_200600_302600_NS4plusItEEEE10hipError_tPvRmT2_T3_mT4_P12ihipStream_tbEUlmE_tEESD_NS0_8identityIvEEEESI_SL_SM_mSN_SP_bEUlT_E_NS1_11comp_targetILNS1_3genE4ELNS1_11target_archE910ELNS1_3gpuE8ELNS1_3repE0EEENS1_30default_config_static_selectorELNS0_4arch9wavefront6targetE1EEEvT1_.uses_flat_scratch, 0
	.set _ZN7rocprim17ROCPRIM_400000_NS6detail17trampoline_kernelINS0_14default_configENS1_25transform_config_selectorItLb0EEEZNS1_14transform_implILb0ES3_S5_NS0_18transform_iteratorINS0_17counting_iteratorImlEEZNS1_24adjacent_difference_implIS3_Lb1ELb0EPKtPtN6thrust23THRUST_200600_302600_NS4plusItEEEE10hipError_tPvRmT2_T3_mT4_P12ihipStream_tbEUlmE_tEESD_NS0_8identityIvEEEESI_SL_SM_mSN_SP_bEUlT_E_NS1_11comp_targetILNS1_3genE4ELNS1_11target_archE910ELNS1_3gpuE8ELNS1_3repE0EEENS1_30default_config_static_selectorELNS0_4arch9wavefront6targetE1EEEvT1_.has_dyn_sized_stack, 0
	.set _ZN7rocprim17ROCPRIM_400000_NS6detail17trampoline_kernelINS0_14default_configENS1_25transform_config_selectorItLb0EEEZNS1_14transform_implILb0ES3_S5_NS0_18transform_iteratorINS0_17counting_iteratorImlEEZNS1_24adjacent_difference_implIS3_Lb1ELb0EPKtPtN6thrust23THRUST_200600_302600_NS4plusItEEEE10hipError_tPvRmT2_T3_mT4_P12ihipStream_tbEUlmE_tEESD_NS0_8identityIvEEEESI_SL_SM_mSN_SP_bEUlT_E_NS1_11comp_targetILNS1_3genE4ELNS1_11target_archE910ELNS1_3gpuE8ELNS1_3repE0EEENS1_30default_config_static_selectorELNS0_4arch9wavefront6targetE1EEEvT1_.has_recursion, 0
	.set _ZN7rocprim17ROCPRIM_400000_NS6detail17trampoline_kernelINS0_14default_configENS1_25transform_config_selectorItLb0EEEZNS1_14transform_implILb0ES3_S5_NS0_18transform_iteratorINS0_17counting_iteratorImlEEZNS1_24adjacent_difference_implIS3_Lb1ELb0EPKtPtN6thrust23THRUST_200600_302600_NS4plusItEEEE10hipError_tPvRmT2_T3_mT4_P12ihipStream_tbEUlmE_tEESD_NS0_8identityIvEEEESI_SL_SM_mSN_SP_bEUlT_E_NS1_11comp_targetILNS1_3genE4ELNS1_11target_archE910ELNS1_3gpuE8ELNS1_3repE0EEENS1_30default_config_static_selectorELNS0_4arch9wavefront6targetE1EEEvT1_.has_indirect_call, 0
	.section	.AMDGPU.csdata,"",@progbits
; Kernel info:
; codeLenInByte = 0
; TotalNumSgprs: 4
; NumVgprs: 0
; ScratchSize: 0
; MemoryBound: 0
; FloatMode: 240
; IeeeMode: 1
; LDSByteSize: 0 bytes/workgroup (compile time only)
; SGPRBlocks: 0
; VGPRBlocks: 0
; NumSGPRsForWavesPerEU: 4
; NumVGPRsForWavesPerEU: 1
; Occupancy: 10
; WaveLimiterHint : 0
; COMPUTE_PGM_RSRC2:SCRATCH_EN: 0
; COMPUTE_PGM_RSRC2:USER_SGPR: 6
; COMPUTE_PGM_RSRC2:TRAP_HANDLER: 0
; COMPUTE_PGM_RSRC2:TGID_X_EN: 1
; COMPUTE_PGM_RSRC2:TGID_Y_EN: 0
; COMPUTE_PGM_RSRC2:TGID_Z_EN: 0
; COMPUTE_PGM_RSRC2:TIDIG_COMP_CNT: 0
	.section	.text._ZN7rocprim17ROCPRIM_400000_NS6detail17trampoline_kernelINS0_14default_configENS1_25transform_config_selectorItLb0EEEZNS1_14transform_implILb0ES3_S5_NS0_18transform_iteratorINS0_17counting_iteratorImlEEZNS1_24adjacent_difference_implIS3_Lb1ELb0EPKtPtN6thrust23THRUST_200600_302600_NS4plusItEEEE10hipError_tPvRmT2_T3_mT4_P12ihipStream_tbEUlmE_tEESD_NS0_8identityIvEEEESI_SL_SM_mSN_SP_bEUlT_E_NS1_11comp_targetILNS1_3genE3ELNS1_11target_archE908ELNS1_3gpuE7ELNS1_3repE0EEENS1_30default_config_static_selectorELNS0_4arch9wavefront6targetE1EEEvT1_,"axG",@progbits,_ZN7rocprim17ROCPRIM_400000_NS6detail17trampoline_kernelINS0_14default_configENS1_25transform_config_selectorItLb0EEEZNS1_14transform_implILb0ES3_S5_NS0_18transform_iteratorINS0_17counting_iteratorImlEEZNS1_24adjacent_difference_implIS3_Lb1ELb0EPKtPtN6thrust23THRUST_200600_302600_NS4plusItEEEE10hipError_tPvRmT2_T3_mT4_P12ihipStream_tbEUlmE_tEESD_NS0_8identityIvEEEESI_SL_SM_mSN_SP_bEUlT_E_NS1_11comp_targetILNS1_3genE3ELNS1_11target_archE908ELNS1_3gpuE7ELNS1_3repE0EEENS1_30default_config_static_selectorELNS0_4arch9wavefront6targetE1EEEvT1_,comdat
	.protected	_ZN7rocprim17ROCPRIM_400000_NS6detail17trampoline_kernelINS0_14default_configENS1_25transform_config_selectorItLb0EEEZNS1_14transform_implILb0ES3_S5_NS0_18transform_iteratorINS0_17counting_iteratorImlEEZNS1_24adjacent_difference_implIS3_Lb1ELb0EPKtPtN6thrust23THRUST_200600_302600_NS4plusItEEEE10hipError_tPvRmT2_T3_mT4_P12ihipStream_tbEUlmE_tEESD_NS0_8identityIvEEEESI_SL_SM_mSN_SP_bEUlT_E_NS1_11comp_targetILNS1_3genE3ELNS1_11target_archE908ELNS1_3gpuE7ELNS1_3repE0EEENS1_30default_config_static_selectorELNS0_4arch9wavefront6targetE1EEEvT1_ ; -- Begin function _ZN7rocprim17ROCPRIM_400000_NS6detail17trampoline_kernelINS0_14default_configENS1_25transform_config_selectorItLb0EEEZNS1_14transform_implILb0ES3_S5_NS0_18transform_iteratorINS0_17counting_iteratorImlEEZNS1_24adjacent_difference_implIS3_Lb1ELb0EPKtPtN6thrust23THRUST_200600_302600_NS4plusItEEEE10hipError_tPvRmT2_T3_mT4_P12ihipStream_tbEUlmE_tEESD_NS0_8identityIvEEEESI_SL_SM_mSN_SP_bEUlT_E_NS1_11comp_targetILNS1_3genE3ELNS1_11target_archE908ELNS1_3gpuE7ELNS1_3repE0EEENS1_30default_config_static_selectorELNS0_4arch9wavefront6targetE1EEEvT1_
	.globl	_ZN7rocprim17ROCPRIM_400000_NS6detail17trampoline_kernelINS0_14default_configENS1_25transform_config_selectorItLb0EEEZNS1_14transform_implILb0ES3_S5_NS0_18transform_iteratorINS0_17counting_iteratorImlEEZNS1_24adjacent_difference_implIS3_Lb1ELb0EPKtPtN6thrust23THRUST_200600_302600_NS4plusItEEEE10hipError_tPvRmT2_T3_mT4_P12ihipStream_tbEUlmE_tEESD_NS0_8identityIvEEEESI_SL_SM_mSN_SP_bEUlT_E_NS1_11comp_targetILNS1_3genE3ELNS1_11target_archE908ELNS1_3gpuE7ELNS1_3repE0EEENS1_30default_config_static_selectorELNS0_4arch9wavefront6targetE1EEEvT1_
	.p2align	8
	.type	_ZN7rocprim17ROCPRIM_400000_NS6detail17trampoline_kernelINS0_14default_configENS1_25transform_config_selectorItLb0EEEZNS1_14transform_implILb0ES3_S5_NS0_18transform_iteratorINS0_17counting_iteratorImlEEZNS1_24adjacent_difference_implIS3_Lb1ELb0EPKtPtN6thrust23THRUST_200600_302600_NS4plusItEEEE10hipError_tPvRmT2_T3_mT4_P12ihipStream_tbEUlmE_tEESD_NS0_8identityIvEEEESI_SL_SM_mSN_SP_bEUlT_E_NS1_11comp_targetILNS1_3genE3ELNS1_11target_archE908ELNS1_3gpuE7ELNS1_3repE0EEENS1_30default_config_static_selectorELNS0_4arch9wavefront6targetE1EEEvT1_,@function
_ZN7rocprim17ROCPRIM_400000_NS6detail17trampoline_kernelINS0_14default_configENS1_25transform_config_selectorItLb0EEEZNS1_14transform_implILb0ES3_S5_NS0_18transform_iteratorINS0_17counting_iteratorImlEEZNS1_24adjacent_difference_implIS3_Lb1ELb0EPKtPtN6thrust23THRUST_200600_302600_NS4plusItEEEE10hipError_tPvRmT2_T3_mT4_P12ihipStream_tbEUlmE_tEESD_NS0_8identityIvEEEESI_SL_SM_mSN_SP_bEUlT_E_NS1_11comp_targetILNS1_3genE3ELNS1_11target_archE908ELNS1_3gpuE7ELNS1_3repE0EEENS1_30default_config_static_selectorELNS0_4arch9wavefront6targetE1EEEvT1_: ; @_ZN7rocprim17ROCPRIM_400000_NS6detail17trampoline_kernelINS0_14default_configENS1_25transform_config_selectorItLb0EEEZNS1_14transform_implILb0ES3_S5_NS0_18transform_iteratorINS0_17counting_iteratorImlEEZNS1_24adjacent_difference_implIS3_Lb1ELb0EPKtPtN6thrust23THRUST_200600_302600_NS4plusItEEEE10hipError_tPvRmT2_T3_mT4_P12ihipStream_tbEUlmE_tEESD_NS0_8identityIvEEEESI_SL_SM_mSN_SP_bEUlT_E_NS1_11comp_targetILNS1_3genE3ELNS1_11target_archE908ELNS1_3gpuE7ELNS1_3repE0EEENS1_30default_config_static_selectorELNS0_4arch9wavefront6targetE1EEEvT1_
; %bb.0:
	.section	.rodata,"a",@progbits
	.p2align	6, 0x0
	.amdhsa_kernel _ZN7rocprim17ROCPRIM_400000_NS6detail17trampoline_kernelINS0_14default_configENS1_25transform_config_selectorItLb0EEEZNS1_14transform_implILb0ES3_S5_NS0_18transform_iteratorINS0_17counting_iteratorImlEEZNS1_24adjacent_difference_implIS3_Lb1ELb0EPKtPtN6thrust23THRUST_200600_302600_NS4plusItEEEE10hipError_tPvRmT2_T3_mT4_P12ihipStream_tbEUlmE_tEESD_NS0_8identityIvEEEESI_SL_SM_mSN_SP_bEUlT_E_NS1_11comp_targetILNS1_3genE3ELNS1_11target_archE908ELNS1_3gpuE7ELNS1_3repE0EEENS1_30default_config_static_selectorELNS0_4arch9wavefront6targetE1EEEvT1_
		.amdhsa_group_segment_fixed_size 0
		.amdhsa_private_segment_fixed_size 0
		.amdhsa_kernarg_size 56
		.amdhsa_user_sgpr_count 6
		.amdhsa_user_sgpr_private_segment_buffer 1
		.amdhsa_user_sgpr_dispatch_ptr 0
		.amdhsa_user_sgpr_queue_ptr 0
		.amdhsa_user_sgpr_kernarg_segment_ptr 1
		.amdhsa_user_sgpr_dispatch_id 0
		.amdhsa_user_sgpr_flat_scratch_init 0
		.amdhsa_user_sgpr_private_segment_size 0
		.amdhsa_uses_dynamic_stack 0
		.amdhsa_system_sgpr_private_segment_wavefront_offset 0
		.amdhsa_system_sgpr_workgroup_id_x 1
		.amdhsa_system_sgpr_workgroup_id_y 0
		.amdhsa_system_sgpr_workgroup_id_z 0
		.amdhsa_system_sgpr_workgroup_info 0
		.amdhsa_system_vgpr_workitem_id 0
		.amdhsa_next_free_vgpr 1
		.amdhsa_next_free_sgpr 0
		.amdhsa_reserve_vcc 0
		.amdhsa_reserve_flat_scratch 0
		.amdhsa_float_round_mode_32 0
		.amdhsa_float_round_mode_16_64 0
		.amdhsa_float_denorm_mode_32 3
		.amdhsa_float_denorm_mode_16_64 3
		.amdhsa_dx10_clamp 1
		.amdhsa_ieee_mode 1
		.amdhsa_fp16_overflow 0
		.amdhsa_exception_fp_ieee_invalid_op 0
		.amdhsa_exception_fp_denorm_src 0
		.amdhsa_exception_fp_ieee_div_zero 0
		.amdhsa_exception_fp_ieee_overflow 0
		.amdhsa_exception_fp_ieee_underflow 0
		.amdhsa_exception_fp_ieee_inexact 0
		.amdhsa_exception_int_div_zero 0
	.end_amdhsa_kernel
	.section	.text._ZN7rocprim17ROCPRIM_400000_NS6detail17trampoline_kernelINS0_14default_configENS1_25transform_config_selectorItLb0EEEZNS1_14transform_implILb0ES3_S5_NS0_18transform_iteratorINS0_17counting_iteratorImlEEZNS1_24adjacent_difference_implIS3_Lb1ELb0EPKtPtN6thrust23THRUST_200600_302600_NS4plusItEEEE10hipError_tPvRmT2_T3_mT4_P12ihipStream_tbEUlmE_tEESD_NS0_8identityIvEEEESI_SL_SM_mSN_SP_bEUlT_E_NS1_11comp_targetILNS1_3genE3ELNS1_11target_archE908ELNS1_3gpuE7ELNS1_3repE0EEENS1_30default_config_static_selectorELNS0_4arch9wavefront6targetE1EEEvT1_,"axG",@progbits,_ZN7rocprim17ROCPRIM_400000_NS6detail17trampoline_kernelINS0_14default_configENS1_25transform_config_selectorItLb0EEEZNS1_14transform_implILb0ES3_S5_NS0_18transform_iteratorINS0_17counting_iteratorImlEEZNS1_24adjacent_difference_implIS3_Lb1ELb0EPKtPtN6thrust23THRUST_200600_302600_NS4plusItEEEE10hipError_tPvRmT2_T3_mT4_P12ihipStream_tbEUlmE_tEESD_NS0_8identityIvEEEESI_SL_SM_mSN_SP_bEUlT_E_NS1_11comp_targetILNS1_3genE3ELNS1_11target_archE908ELNS1_3gpuE7ELNS1_3repE0EEENS1_30default_config_static_selectorELNS0_4arch9wavefront6targetE1EEEvT1_,comdat
.Lfunc_end684:
	.size	_ZN7rocprim17ROCPRIM_400000_NS6detail17trampoline_kernelINS0_14default_configENS1_25transform_config_selectorItLb0EEEZNS1_14transform_implILb0ES3_S5_NS0_18transform_iteratorINS0_17counting_iteratorImlEEZNS1_24adjacent_difference_implIS3_Lb1ELb0EPKtPtN6thrust23THRUST_200600_302600_NS4plusItEEEE10hipError_tPvRmT2_T3_mT4_P12ihipStream_tbEUlmE_tEESD_NS0_8identityIvEEEESI_SL_SM_mSN_SP_bEUlT_E_NS1_11comp_targetILNS1_3genE3ELNS1_11target_archE908ELNS1_3gpuE7ELNS1_3repE0EEENS1_30default_config_static_selectorELNS0_4arch9wavefront6targetE1EEEvT1_, .Lfunc_end684-_ZN7rocprim17ROCPRIM_400000_NS6detail17trampoline_kernelINS0_14default_configENS1_25transform_config_selectorItLb0EEEZNS1_14transform_implILb0ES3_S5_NS0_18transform_iteratorINS0_17counting_iteratorImlEEZNS1_24adjacent_difference_implIS3_Lb1ELb0EPKtPtN6thrust23THRUST_200600_302600_NS4plusItEEEE10hipError_tPvRmT2_T3_mT4_P12ihipStream_tbEUlmE_tEESD_NS0_8identityIvEEEESI_SL_SM_mSN_SP_bEUlT_E_NS1_11comp_targetILNS1_3genE3ELNS1_11target_archE908ELNS1_3gpuE7ELNS1_3repE0EEENS1_30default_config_static_selectorELNS0_4arch9wavefront6targetE1EEEvT1_
                                        ; -- End function
	.set _ZN7rocprim17ROCPRIM_400000_NS6detail17trampoline_kernelINS0_14default_configENS1_25transform_config_selectorItLb0EEEZNS1_14transform_implILb0ES3_S5_NS0_18transform_iteratorINS0_17counting_iteratorImlEEZNS1_24adjacent_difference_implIS3_Lb1ELb0EPKtPtN6thrust23THRUST_200600_302600_NS4plusItEEEE10hipError_tPvRmT2_T3_mT4_P12ihipStream_tbEUlmE_tEESD_NS0_8identityIvEEEESI_SL_SM_mSN_SP_bEUlT_E_NS1_11comp_targetILNS1_3genE3ELNS1_11target_archE908ELNS1_3gpuE7ELNS1_3repE0EEENS1_30default_config_static_selectorELNS0_4arch9wavefront6targetE1EEEvT1_.num_vgpr, 0
	.set _ZN7rocprim17ROCPRIM_400000_NS6detail17trampoline_kernelINS0_14default_configENS1_25transform_config_selectorItLb0EEEZNS1_14transform_implILb0ES3_S5_NS0_18transform_iteratorINS0_17counting_iteratorImlEEZNS1_24adjacent_difference_implIS3_Lb1ELb0EPKtPtN6thrust23THRUST_200600_302600_NS4plusItEEEE10hipError_tPvRmT2_T3_mT4_P12ihipStream_tbEUlmE_tEESD_NS0_8identityIvEEEESI_SL_SM_mSN_SP_bEUlT_E_NS1_11comp_targetILNS1_3genE3ELNS1_11target_archE908ELNS1_3gpuE7ELNS1_3repE0EEENS1_30default_config_static_selectorELNS0_4arch9wavefront6targetE1EEEvT1_.num_agpr, 0
	.set _ZN7rocprim17ROCPRIM_400000_NS6detail17trampoline_kernelINS0_14default_configENS1_25transform_config_selectorItLb0EEEZNS1_14transform_implILb0ES3_S5_NS0_18transform_iteratorINS0_17counting_iteratorImlEEZNS1_24adjacent_difference_implIS3_Lb1ELb0EPKtPtN6thrust23THRUST_200600_302600_NS4plusItEEEE10hipError_tPvRmT2_T3_mT4_P12ihipStream_tbEUlmE_tEESD_NS0_8identityIvEEEESI_SL_SM_mSN_SP_bEUlT_E_NS1_11comp_targetILNS1_3genE3ELNS1_11target_archE908ELNS1_3gpuE7ELNS1_3repE0EEENS1_30default_config_static_selectorELNS0_4arch9wavefront6targetE1EEEvT1_.numbered_sgpr, 0
	.set _ZN7rocprim17ROCPRIM_400000_NS6detail17trampoline_kernelINS0_14default_configENS1_25transform_config_selectorItLb0EEEZNS1_14transform_implILb0ES3_S5_NS0_18transform_iteratorINS0_17counting_iteratorImlEEZNS1_24adjacent_difference_implIS3_Lb1ELb0EPKtPtN6thrust23THRUST_200600_302600_NS4plusItEEEE10hipError_tPvRmT2_T3_mT4_P12ihipStream_tbEUlmE_tEESD_NS0_8identityIvEEEESI_SL_SM_mSN_SP_bEUlT_E_NS1_11comp_targetILNS1_3genE3ELNS1_11target_archE908ELNS1_3gpuE7ELNS1_3repE0EEENS1_30default_config_static_selectorELNS0_4arch9wavefront6targetE1EEEvT1_.num_named_barrier, 0
	.set _ZN7rocprim17ROCPRIM_400000_NS6detail17trampoline_kernelINS0_14default_configENS1_25transform_config_selectorItLb0EEEZNS1_14transform_implILb0ES3_S5_NS0_18transform_iteratorINS0_17counting_iteratorImlEEZNS1_24adjacent_difference_implIS3_Lb1ELb0EPKtPtN6thrust23THRUST_200600_302600_NS4plusItEEEE10hipError_tPvRmT2_T3_mT4_P12ihipStream_tbEUlmE_tEESD_NS0_8identityIvEEEESI_SL_SM_mSN_SP_bEUlT_E_NS1_11comp_targetILNS1_3genE3ELNS1_11target_archE908ELNS1_3gpuE7ELNS1_3repE0EEENS1_30default_config_static_selectorELNS0_4arch9wavefront6targetE1EEEvT1_.private_seg_size, 0
	.set _ZN7rocprim17ROCPRIM_400000_NS6detail17trampoline_kernelINS0_14default_configENS1_25transform_config_selectorItLb0EEEZNS1_14transform_implILb0ES3_S5_NS0_18transform_iteratorINS0_17counting_iteratorImlEEZNS1_24adjacent_difference_implIS3_Lb1ELb0EPKtPtN6thrust23THRUST_200600_302600_NS4plusItEEEE10hipError_tPvRmT2_T3_mT4_P12ihipStream_tbEUlmE_tEESD_NS0_8identityIvEEEESI_SL_SM_mSN_SP_bEUlT_E_NS1_11comp_targetILNS1_3genE3ELNS1_11target_archE908ELNS1_3gpuE7ELNS1_3repE0EEENS1_30default_config_static_selectorELNS0_4arch9wavefront6targetE1EEEvT1_.uses_vcc, 0
	.set _ZN7rocprim17ROCPRIM_400000_NS6detail17trampoline_kernelINS0_14default_configENS1_25transform_config_selectorItLb0EEEZNS1_14transform_implILb0ES3_S5_NS0_18transform_iteratorINS0_17counting_iteratorImlEEZNS1_24adjacent_difference_implIS3_Lb1ELb0EPKtPtN6thrust23THRUST_200600_302600_NS4plusItEEEE10hipError_tPvRmT2_T3_mT4_P12ihipStream_tbEUlmE_tEESD_NS0_8identityIvEEEESI_SL_SM_mSN_SP_bEUlT_E_NS1_11comp_targetILNS1_3genE3ELNS1_11target_archE908ELNS1_3gpuE7ELNS1_3repE0EEENS1_30default_config_static_selectorELNS0_4arch9wavefront6targetE1EEEvT1_.uses_flat_scratch, 0
	.set _ZN7rocprim17ROCPRIM_400000_NS6detail17trampoline_kernelINS0_14default_configENS1_25transform_config_selectorItLb0EEEZNS1_14transform_implILb0ES3_S5_NS0_18transform_iteratorINS0_17counting_iteratorImlEEZNS1_24adjacent_difference_implIS3_Lb1ELb0EPKtPtN6thrust23THRUST_200600_302600_NS4plusItEEEE10hipError_tPvRmT2_T3_mT4_P12ihipStream_tbEUlmE_tEESD_NS0_8identityIvEEEESI_SL_SM_mSN_SP_bEUlT_E_NS1_11comp_targetILNS1_3genE3ELNS1_11target_archE908ELNS1_3gpuE7ELNS1_3repE0EEENS1_30default_config_static_selectorELNS0_4arch9wavefront6targetE1EEEvT1_.has_dyn_sized_stack, 0
	.set _ZN7rocprim17ROCPRIM_400000_NS6detail17trampoline_kernelINS0_14default_configENS1_25transform_config_selectorItLb0EEEZNS1_14transform_implILb0ES3_S5_NS0_18transform_iteratorINS0_17counting_iteratorImlEEZNS1_24adjacent_difference_implIS3_Lb1ELb0EPKtPtN6thrust23THRUST_200600_302600_NS4plusItEEEE10hipError_tPvRmT2_T3_mT4_P12ihipStream_tbEUlmE_tEESD_NS0_8identityIvEEEESI_SL_SM_mSN_SP_bEUlT_E_NS1_11comp_targetILNS1_3genE3ELNS1_11target_archE908ELNS1_3gpuE7ELNS1_3repE0EEENS1_30default_config_static_selectorELNS0_4arch9wavefront6targetE1EEEvT1_.has_recursion, 0
	.set _ZN7rocprim17ROCPRIM_400000_NS6detail17trampoline_kernelINS0_14default_configENS1_25transform_config_selectorItLb0EEEZNS1_14transform_implILb0ES3_S5_NS0_18transform_iteratorINS0_17counting_iteratorImlEEZNS1_24adjacent_difference_implIS3_Lb1ELb0EPKtPtN6thrust23THRUST_200600_302600_NS4plusItEEEE10hipError_tPvRmT2_T3_mT4_P12ihipStream_tbEUlmE_tEESD_NS0_8identityIvEEEESI_SL_SM_mSN_SP_bEUlT_E_NS1_11comp_targetILNS1_3genE3ELNS1_11target_archE908ELNS1_3gpuE7ELNS1_3repE0EEENS1_30default_config_static_selectorELNS0_4arch9wavefront6targetE1EEEvT1_.has_indirect_call, 0
	.section	.AMDGPU.csdata,"",@progbits
; Kernel info:
; codeLenInByte = 0
; TotalNumSgprs: 4
; NumVgprs: 0
; ScratchSize: 0
; MemoryBound: 0
; FloatMode: 240
; IeeeMode: 1
; LDSByteSize: 0 bytes/workgroup (compile time only)
; SGPRBlocks: 0
; VGPRBlocks: 0
; NumSGPRsForWavesPerEU: 4
; NumVGPRsForWavesPerEU: 1
; Occupancy: 10
; WaveLimiterHint : 0
; COMPUTE_PGM_RSRC2:SCRATCH_EN: 0
; COMPUTE_PGM_RSRC2:USER_SGPR: 6
; COMPUTE_PGM_RSRC2:TRAP_HANDLER: 0
; COMPUTE_PGM_RSRC2:TGID_X_EN: 1
; COMPUTE_PGM_RSRC2:TGID_Y_EN: 0
; COMPUTE_PGM_RSRC2:TGID_Z_EN: 0
; COMPUTE_PGM_RSRC2:TIDIG_COMP_CNT: 0
	.section	.text._ZN7rocprim17ROCPRIM_400000_NS6detail17trampoline_kernelINS0_14default_configENS1_25transform_config_selectorItLb0EEEZNS1_14transform_implILb0ES3_S5_NS0_18transform_iteratorINS0_17counting_iteratorImlEEZNS1_24adjacent_difference_implIS3_Lb1ELb0EPKtPtN6thrust23THRUST_200600_302600_NS4plusItEEEE10hipError_tPvRmT2_T3_mT4_P12ihipStream_tbEUlmE_tEESD_NS0_8identityIvEEEESI_SL_SM_mSN_SP_bEUlT_E_NS1_11comp_targetILNS1_3genE2ELNS1_11target_archE906ELNS1_3gpuE6ELNS1_3repE0EEENS1_30default_config_static_selectorELNS0_4arch9wavefront6targetE1EEEvT1_,"axG",@progbits,_ZN7rocprim17ROCPRIM_400000_NS6detail17trampoline_kernelINS0_14default_configENS1_25transform_config_selectorItLb0EEEZNS1_14transform_implILb0ES3_S5_NS0_18transform_iteratorINS0_17counting_iteratorImlEEZNS1_24adjacent_difference_implIS3_Lb1ELb0EPKtPtN6thrust23THRUST_200600_302600_NS4plusItEEEE10hipError_tPvRmT2_T3_mT4_P12ihipStream_tbEUlmE_tEESD_NS0_8identityIvEEEESI_SL_SM_mSN_SP_bEUlT_E_NS1_11comp_targetILNS1_3genE2ELNS1_11target_archE906ELNS1_3gpuE6ELNS1_3repE0EEENS1_30default_config_static_selectorELNS0_4arch9wavefront6targetE1EEEvT1_,comdat
	.protected	_ZN7rocprim17ROCPRIM_400000_NS6detail17trampoline_kernelINS0_14default_configENS1_25transform_config_selectorItLb0EEEZNS1_14transform_implILb0ES3_S5_NS0_18transform_iteratorINS0_17counting_iteratorImlEEZNS1_24adjacent_difference_implIS3_Lb1ELb0EPKtPtN6thrust23THRUST_200600_302600_NS4plusItEEEE10hipError_tPvRmT2_T3_mT4_P12ihipStream_tbEUlmE_tEESD_NS0_8identityIvEEEESI_SL_SM_mSN_SP_bEUlT_E_NS1_11comp_targetILNS1_3genE2ELNS1_11target_archE906ELNS1_3gpuE6ELNS1_3repE0EEENS1_30default_config_static_selectorELNS0_4arch9wavefront6targetE1EEEvT1_ ; -- Begin function _ZN7rocprim17ROCPRIM_400000_NS6detail17trampoline_kernelINS0_14default_configENS1_25transform_config_selectorItLb0EEEZNS1_14transform_implILb0ES3_S5_NS0_18transform_iteratorINS0_17counting_iteratorImlEEZNS1_24adjacent_difference_implIS3_Lb1ELb0EPKtPtN6thrust23THRUST_200600_302600_NS4plusItEEEE10hipError_tPvRmT2_T3_mT4_P12ihipStream_tbEUlmE_tEESD_NS0_8identityIvEEEESI_SL_SM_mSN_SP_bEUlT_E_NS1_11comp_targetILNS1_3genE2ELNS1_11target_archE906ELNS1_3gpuE6ELNS1_3repE0EEENS1_30default_config_static_selectorELNS0_4arch9wavefront6targetE1EEEvT1_
	.globl	_ZN7rocprim17ROCPRIM_400000_NS6detail17trampoline_kernelINS0_14default_configENS1_25transform_config_selectorItLb0EEEZNS1_14transform_implILb0ES3_S5_NS0_18transform_iteratorINS0_17counting_iteratorImlEEZNS1_24adjacent_difference_implIS3_Lb1ELb0EPKtPtN6thrust23THRUST_200600_302600_NS4plusItEEEE10hipError_tPvRmT2_T3_mT4_P12ihipStream_tbEUlmE_tEESD_NS0_8identityIvEEEESI_SL_SM_mSN_SP_bEUlT_E_NS1_11comp_targetILNS1_3genE2ELNS1_11target_archE906ELNS1_3gpuE6ELNS1_3repE0EEENS1_30default_config_static_selectorELNS0_4arch9wavefront6targetE1EEEvT1_
	.p2align	8
	.type	_ZN7rocprim17ROCPRIM_400000_NS6detail17trampoline_kernelINS0_14default_configENS1_25transform_config_selectorItLb0EEEZNS1_14transform_implILb0ES3_S5_NS0_18transform_iteratorINS0_17counting_iteratorImlEEZNS1_24adjacent_difference_implIS3_Lb1ELb0EPKtPtN6thrust23THRUST_200600_302600_NS4plusItEEEE10hipError_tPvRmT2_T3_mT4_P12ihipStream_tbEUlmE_tEESD_NS0_8identityIvEEEESI_SL_SM_mSN_SP_bEUlT_E_NS1_11comp_targetILNS1_3genE2ELNS1_11target_archE906ELNS1_3gpuE6ELNS1_3repE0EEENS1_30default_config_static_selectorELNS0_4arch9wavefront6targetE1EEEvT1_,@function
_ZN7rocprim17ROCPRIM_400000_NS6detail17trampoline_kernelINS0_14default_configENS1_25transform_config_selectorItLb0EEEZNS1_14transform_implILb0ES3_S5_NS0_18transform_iteratorINS0_17counting_iteratorImlEEZNS1_24adjacent_difference_implIS3_Lb1ELb0EPKtPtN6thrust23THRUST_200600_302600_NS4plusItEEEE10hipError_tPvRmT2_T3_mT4_P12ihipStream_tbEUlmE_tEESD_NS0_8identityIvEEEESI_SL_SM_mSN_SP_bEUlT_E_NS1_11comp_targetILNS1_3genE2ELNS1_11target_archE906ELNS1_3gpuE6ELNS1_3repE0EEENS1_30default_config_static_selectorELNS0_4arch9wavefront6targetE1EEEvT1_: ; @_ZN7rocprim17ROCPRIM_400000_NS6detail17trampoline_kernelINS0_14default_configENS1_25transform_config_selectorItLb0EEEZNS1_14transform_implILb0ES3_S5_NS0_18transform_iteratorINS0_17counting_iteratorImlEEZNS1_24adjacent_difference_implIS3_Lb1ELb0EPKtPtN6thrust23THRUST_200600_302600_NS4plusItEEEE10hipError_tPvRmT2_T3_mT4_P12ihipStream_tbEUlmE_tEESD_NS0_8identityIvEEEESI_SL_SM_mSN_SP_bEUlT_E_NS1_11comp_targetILNS1_3genE2ELNS1_11target_archE906ELNS1_3gpuE6ELNS1_3repE0EEENS1_30default_config_static_selectorELNS0_4arch9wavefront6targetE1EEEvT1_
; %bb.0:
	s_load_dwordx4 s[0:3], s[4:5], 0x18
	s_load_dwordx2 s[12:13], s[4:5], 0x28
	s_load_dwordx4 s[8:11], s[4:5], 0x0
	s_load_dword s14, s[4:5], 0x10
	s_waitcnt lgkmcnt(0)
	s_load_dword s3, s[4:5], 0x38
                                        ; kill: killed $sgpr4_sgpr5
	s_lshl_b64 s[4:5], s[0:1], 1
	s_add_u32 s18, s12, s4
	s_addc_u32 s19, s13, s5
	s_lshl_b32 s12, s6, 11
	s_waitcnt lgkmcnt(0)
	s_add_i32 s3, s3, -1
	s_add_u32 s4, s8, s12
	s_addc_u32 s5, s9, 0
	s_add_u32 s20, s4, s0
	s_addc_u32 s21, s5, s1
	s_mov_b32 s13, 0
	s_cmp_lg_u32 s6, s3
	v_lshlrev_b32_e32 v5, 1, v0
	s_cbranch_scc0 .LBB685_2
; %bb.1:
	v_mov_b32_e32 v1, s21
	v_add_co_u32_e32 v2, vcc, s20, v0
	v_addc_co_u32_e32 v3, vcc, 0, v1, vcc
	v_mad_u64_u32 v[1:2], s[0:1], v2, s14, 0
	s_mov_b32 s15, s13
	s_lshl_b64 s[4:5], s[12:13], 1
	v_mad_u64_u32 v[2:3], s[0:1], v3, s14, v[2:3]
	v_mov_b32_e32 v3, s11
	s_lshl_b64 s[0:1], s[14:15], 10
	v_lshlrev_b64 v[1:2], 1, v[1:2]
	v_mov_b32_e32 v8, s1
	v_add_co_u32_e32 v1, vcc, s10, v1
	v_addc_co_u32_e32 v2, vcc, v3, v2, vcc
	v_add_co_u32_e32 v3, vcc, s0, v1
	v_addc_co_u32_e32 v4, vcc, v2, v8, vcc
	;; [unrolled: 2-line block ×3, first 2 shown]
	global_load_ushort v9, v[1:2], off
	global_load_ushort v10, v[3:4], off
	;; [unrolled: 1-line block ×3, first 2 shown]
	v_add_co_u32_e32 v1, vcc, s0, v6
	v_addc_co_u32_e32 v2, vcc, v7, v8, vcc
	global_load_ushort v1, v[1:2], off
	s_add_u32 s4, s18, s4
	s_addc_u32 s5, s19, s5
	v_mov_b32_e32 v2, s5
	v_add_co_u32_e32 v3, vcc, s4, v5
	v_addc_co_u32_e32 v4, vcc, 0, v2, vcc
	s_mov_b64 s[8:9], -1
	s_waitcnt vmcnt(3)
	global_store_short v5, v9, s[4:5]
	s_waitcnt vmcnt(3)
	global_store_short v5, v10, s[4:5] offset:1024
	s_waitcnt vmcnt(3)
	global_store_short v5, v11, s[4:5] offset:2048
	s_cbranch_execz .LBB685_3
	s_branch .LBB685_17
.LBB685_2:
	s_mov_b64 s[8:9], 0
                                        ; implicit-def: $vgpr1
                                        ; implicit-def: $vgpr3_vgpr4
.LBB685_3:
	s_sub_i32 s15, s2, s12
	s_waitcnt vmcnt(3)
	v_mov_b32_e32 v1, 0
	v_cmp_gt_u32_e32 vcc, s15, v0
	v_mov_b32_e32 v2, v1
	s_and_saveexec_b64 s[2:3], vcc
	s_cbranch_execz .LBB685_5
; %bb.4:
	v_mov_b32_e32 v2, s21
	v_add_co_u32_e64 v3, s[0:1], s20, v0
	v_addc_co_u32_e64 v4, s[0:1], 0, v2, s[0:1]
	v_mad_u64_u32 v[2:3], s[0:1], v3, s14, 0
	v_mad_u64_u32 v[3:4], s[0:1], v4, s14, v[3:4]
	v_mov_b32_e32 v4, s11
	v_lshlrev_b64 v[2:3], 1, v[2:3]
	v_add_co_u32_e64 v2, s[0:1], s10, v2
	v_addc_co_u32_e64 v3, s[0:1], v4, v3, s[0:1]
	global_load_ushort v2, v[2:3], off
	v_mov_b32_e32 v3, v1
	s_waitcnt vmcnt(0)
	v_and_b32_e32 v2, 0xffff, v2
	v_mov_b32_e32 v1, v2
	v_mov_b32_e32 v2, v3
.LBB685_5:
	s_or_b64 exec, exec, s[2:3]
	v_or_b32_e32 v3, 0x200, v0
	v_cmp_gt_u32_e64 s[0:1], s15, v3
	s_and_saveexec_b64 s[4:5], s[0:1]
	s_cbranch_execz .LBB685_7
; %bb.6:
	v_mov_b32_e32 v4, s21
	v_add_co_u32_e64 v3, s[2:3], s20, v3
	v_addc_co_u32_e64 v6, s[2:3], 0, v4, s[2:3]
	v_mad_u64_u32 v[3:4], s[2:3], v3, s14, 0
	v_mad_u64_u32 v[6:7], s[2:3], v6, s14, v[4:5]
	v_mov_b32_e32 v4, v6
	v_lshlrev_b64 v[3:4], 1, v[3:4]
	v_mov_b32_e32 v6, s11
	v_add_co_u32_e64 v3, s[2:3], s10, v3
	v_addc_co_u32_e64 v4, s[2:3], v6, v4, s[2:3]
	global_load_ushort v3, v[3:4], off
	s_mov_b32 s2, 0x5040100
	s_waitcnt vmcnt(0)
	v_perm_b32 v1, v3, v1, s2
.LBB685_7:
	s_or_b64 exec, exec, s[4:5]
	v_or_b32_e32 v3, 0x400, v0
	v_cmp_gt_u32_e64 s[2:3], s15, v3
	s_and_saveexec_b64 s[6:7], s[2:3]
	s_cbranch_execz .LBB685_9
; %bb.8:
	v_mov_b32_e32 v4, s21
	v_add_co_u32_e64 v3, s[4:5], s20, v3
	v_addc_co_u32_e64 v6, s[4:5], 0, v4, s[4:5]
	v_mad_u64_u32 v[3:4], s[4:5], v3, s14, 0
	v_mad_u64_u32 v[6:7], s[4:5], v6, s14, v[4:5]
	v_mov_b32_e32 v4, v6
	v_lshlrev_b64 v[3:4], 1, v[3:4]
	v_mov_b32_e32 v6, s11
	v_add_co_u32_e64 v3, s[4:5], s10, v3
	v_addc_co_u32_e64 v4, s[4:5], v6, v4, s[4:5]
	global_load_ushort v3, v[3:4], off
	s_mov_b32 s4, 0xffff
	s_waitcnt vmcnt(0)
	v_bfi_b32 v2, s4, v3, v2
.LBB685_9:
	s_or_b64 exec, exec, s[6:7]
	v_or_b32_e32 v0, 0x600, v0
	v_cmp_gt_u32_e64 s[4:5], s15, v0
	s_and_saveexec_b64 s[16:17], s[4:5]
	s_cbranch_execz .LBB685_11
; %bb.10:
	v_mov_b32_e32 v3, s21
	v_add_co_u32_e64 v0, s[6:7], s20, v0
	v_addc_co_u32_e64 v6, s[6:7], 0, v3, s[6:7]
	v_mad_u64_u32 v[3:4], s[6:7], v0, s14, 0
	v_mov_b32_e32 v0, v4
	v_mad_u64_u32 v[6:7], s[6:7], v6, s14, v[0:1]
	v_mov_b32_e32 v0, s11
	v_mov_b32_e32 v4, v6
	v_lshlrev_b64 v[3:4], 1, v[3:4]
	v_add_co_u32_e64 v3, s[6:7], s10, v3
	v_addc_co_u32_e64 v4, s[6:7], v0, v4, s[6:7]
	global_load_ushort v0, v[3:4], off
	s_mov_b32 s6, 0x5040100
	s_waitcnt vmcnt(0)
	v_perm_b32 v2, v0, v2, s6
.LBB685_11:
	s_or_b64 exec, exec, s[16:17]
	s_lshl_b64 s[6:7], s[12:13], 1
	s_add_u32 s6, s18, s6
	s_addc_u32 s7, s19, s7
	v_mov_b32_e32 v0, 0
	v_mov_b32_e32 v4, s7
	v_add_co_u32_e64 v3, s[6:7], s6, v5
	v_cndmask_b32_sdwa v0, v0, v1, vcc dst_sel:DWORD dst_unused:UNUSED_PAD src0_sel:DWORD src1_sel:WORD_0
	v_addc_co_u32_e64 v4, s[6:7], 0, v4, s[6:7]
	s_and_saveexec_b64 s[6:7], vcc
	s_cbranch_execnz .LBB685_20
; %bb.12:
	s_or_b64 exec, exec, s[6:7]
	v_cndmask_b32_e64 v0, v0, v1, s[0:1]
	s_and_saveexec_b64 s[6:7], s[0:1]
	s_cbranch_execnz .LBB685_21
.LBB685_13:
	s_or_b64 exec, exec, s[6:7]
	s_and_saveexec_b64 s[0:1], s[2:3]
	s_cbranch_execnz .LBB685_22
.LBB685_14:
	s_or_b64 exec, exec, s[0:1]
                                        ; implicit-def: $vgpr1
	s_and_saveexec_b64 s[0:1], s[4:5]
.LBB685_15:
	v_cndmask_b32_e64 v0, 0, v2, s[4:5]
	v_lshrrev_b32_e32 v1, 16, v0
	s_or_b64 s[8:9], s[8:9], exec
.LBB685_16:
	s_or_b64 exec, exec, s[0:1]
.LBB685_17:
	s_and_saveexec_b64 s[0:1], s[8:9]
	s_cbranch_execnz .LBB685_19
; %bb.18:
	s_endpgm
.LBB685_19:
	s_waitcnt vmcnt(3)
	global_store_short v[3:4], v1, off offset:3072
	s_endpgm
.LBB685_20:
	global_store_short v[3:4], v0, off
	s_or_b64 exec, exec, s[6:7]
	v_cndmask_b32_e64 v0, v0, v1, s[0:1]
	s_and_saveexec_b64 s[6:7], s[0:1]
	s_cbranch_execz .LBB685_13
.LBB685_21:
	global_store_short_d16_hi v[3:4], v0, off offset:1024
	s_or_b64 exec, exec, s[6:7]
	s_and_saveexec_b64 s[0:1], s[2:3]
	s_cbranch_execz .LBB685_14
.LBB685_22:
	v_cndmask_b32_e64 v0, 0, v2, s[2:3]
	global_store_short v[3:4], v0, off offset:2048
	s_or_b64 exec, exec, s[0:1]
                                        ; implicit-def: $vgpr1
	s_and_saveexec_b64 s[0:1], s[4:5]
	s_cbranch_execnz .LBB685_15
	s_branch .LBB685_16
	.section	.rodata,"a",@progbits
	.p2align	6, 0x0
	.amdhsa_kernel _ZN7rocprim17ROCPRIM_400000_NS6detail17trampoline_kernelINS0_14default_configENS1_25transform_config_selectorItLb0EEEZNS1_14transform_implILb0ES3_S5_NS0_18transform_iteratorINS0_17counting_iteratorImlEEZNS1_24adjacent_difference_implIS3_Lb1ELb0EPKtPtN6thrust23THRUST_200600_302600_NS4plusItEEEE10hipError_tPvRmT2_T3_mT4_P12ihipStream_tbEUlmE_tEESD_NS0_8identityIvEEEESI_SL_SM_mSN_SP_bEUlT_E_NS1_11comp_targetILNS1_3genE2ELNS1_11target_archE906ELNS1_3gpuE6ELNS1_3repE0EEENS1_30default_config_static_selectorELNS0_4arch9wavefront6targetE1EEEvT1_
		.amdhsa_group_segment_fixed_size 0
		.amdhsa_private_segment_fixed_size 0
		.amdhsa_kernarg_size 312
		.amdhsa_user_sgpr_count 6
		.amdhsa_user_sgpr_private_segment_buffer 1
		.amdhsa_user_sgpr_dispatch_ptr 0
		.amdhsa_user_sgpr_queue_ptr 0
		.amdhsa_user_sgpr_kernarg_segment_ptr 1
		.amdhsa_user_sgpr_dispatch_id 0
		.amdhsa_user_sgpr_flat_scratch_init 0
		.amdhsa_user_sgpr_private_segment_size 0
		.amdhsa_uses_dynamic_stack 0
		.amdhsa_system_sgpr_private_segment_wavefront_offset 0
		.amdhsa_system_sgpr_workgroup_id_x 1
		.amdhsa_system_sgpr_workgroup_id_y 0
		.amdhsa_system_sgpr_workgroup_id_z 0
		.amdhsa_system_sgpr_workgroup_info 0
		.amdhsa_system_vgpr_workitem_id 0
		.amdhsa_next_free_vgpr 12
		.amdhsa_next_free_sgpr 22
		.amdhsa_reserve_vcc 1
		.amdhsa_reserve_flat_scratch 0
		.amdhsa_float_round_mode_32 0
		.amdhsa_float_round_mode_16_64 0
		.amdhsa_float_denorm_mode_32 3
		.amdhsa_float_denorm_mode_16_64 3
		.amdhsa_dx10_clamp 1
		.amdhsa_ieee_mode 1
		.amdhsa_fp16_overflow 0
		.amdhsa_exception_fp_ieee_invalid_op 0
		.amdhsa_exception_fp_denorm_src 0
		.amdhsa_exception_fp_ieee_div_zero 0
		.amdhsa_exception_fp_ieee_overflow 0
		.amdhsa_exception_fp_ieee_underflow 0
		.amdhsa_exception_fp_ieee_inexact 0
		.amdhsa_exception_int_div_zero 0
	.end_amdhsa_kernel
	.section	.text._ZN7rocprim17ROCPRIM_400000_NS6detail17trampoline_kernelINS0_14default_configENS1_25transform_config_selectorItLb0EEEZNS1_14transform_implILb0ES3_S5_NS0_18transform_iteratorINS0_17counting_iteratorImlEEZNS1_24adjacent_difference_implIS3_Lb1ELb0EPKtPtN6thrust23THRUST_200600_302600_NS4plusItEEEE10hipError_tPvRmT2_T3_mT4_P12ihipStream_tbEUlmE_tEESD_NS0_8identityIvEEEESI_SL_SM_mSN_SP_bEUlT_E_NS1_11comp_targetILNS1_3genE2ELNS1_11target_archE906ELNS1_3gpuE6ELNS1_3repE0EEENS1_30default_config_static_selectorELNS0_4arch9wavefront6targetE1EEEvT1_,"axG",@progbits,_ZN7rocprim17ROCPRIM_400000_NS6detail17trampoline_kernelINS0_14default_configENS1_25transform_config_selectorItLb0EEEZNS1_14transform_implILb0ES3_S5_NS0_18transform_iteratorINS0_17counting_iteratorImlEEZNS1_24adjacent_difference_implIS3_Lb1ELb0EPKtPtN6thrust23THRUST_200600_302600_NS4plusItEEEE10hipError_tPvRmT2_T3_mT4_P12ihipStream_tbEUlmE_tEESD_NS0_8identityIvEEEESI_SL_SM_mSN_SP_bEUlT_E_NS1_11comp_targetILNS1_3genE2ELNS1_11target_archE906ELNS1_3gpuE6ELNS1_3repE0EEENS1_30default_config_static_selectorELNS0_4arch9wavefront6targetE1EEEvT1_,comdat
.Lfunc_end685:
	.size	_ZN7rocprim17ROCPRIM_400000_NS6detail17trampoline_kernelINS0_14default_configENS1_25transform_config_selectorItLb0EEEZNS1_14transform_implILb0ES3_S5_NS0_18transform_iteratorINS0_17counting_iteratorImlEEZNS1_24adjacent_difference_implIS3_Lb1ELb0EPKtPtN6thrust23THRUST_200600_302600_NS4plusItEEEE10hipError_tPvRmT2_T3_mT4_P12ihipStream_tbEUlmE_tEESD_NS0_8identityIvEEEESI_SL_SM_mSN_SP_bEUlT_E_NS1_11comp_targetILNS1_3genE2ELNS1_11target_archE906ELNS1_3gpuE6ELNS1_3repE0EEENS1_30default_config_static_selectorELNS0_4arch9wavefront6targetE1EEEvT1_, .Lfunc_end685-_ZN7rocprim17ROCPRIM_400000_NS6detail17trampoline_kernelINS0_14default_configENS1_25transform_config_selectorItLb0EEEZNS1_14transform_implILb0ES3_S5_NS0_18transform_iteratorINS0_17counting_iteratorImlEEZNS1_24adjacent_difference_implIS3_Lb1ELb0EPKtPtN6thrust23THRUST_200600_302600_NS4plusItEEEE10hipError_tPvRmT2_T3_mT4_P12ihipStream_tbEUlmE_tEESD_NS0_8identityIvEEEESI_SL_SM_mSN_SP_bEUlT_E_NS1_11comp_targetILNS1_3genE2ELNS1_11target_archE906ELNS1_3gpuE6ELNS1_3repE0EEENS1_30default_config_static_selectorELNS0_4arch9wavefront6targetE1EEEvT1_
                                        ; -- End function
	.set _ZN7rocprim17ROCPRIM_400000_NS6detail17trampoline_kernelINS0_14default_configENS1_25transform_config_selectorItLb0EEEZNS1_14transform_implILb0ES3_S5_NS0_18transform_iteratorINS0_17counting_iteratorImlEEZNS1_24adjacent_difference_implIS3_Lb1ELb0EPKtPtN6thrust23THRUST_200600_302600_NS4plusItEEEE10hipError_tPvRmT2_T3_mT4_P12ihipStream_tbEUlmE_tEESD_NS0_8identityIvEEEESI_SL_SM_mSN_SP_bEUlT_E_NS1_11comp_targetILNS1_3genE2ELNS1_11target_archE906ELNS1_3gpuE6ELNS1_3repE0EEENS1_30default_config_static_selectorELNS0_4arch9wavefront6targetE1EEEvT1_.num_vgpr, 12
	.set _ZN7rocprim17ROCPRIM_400000_NS6detail17trampoline_kernelINS0_14default_configENS1_25transform_config_selectorItLb0EEEZNS1_14transform_implILb0ES3_S5_NS0_18transform_iteratorINS0_17counting_iteratorImlEEZNS1_24adjacent_difference_implIS3_Lb1ELb0EPKtPtN6thrust23THRUST_200600_302600_NS4plusItEEEE10hipError_tPvRmT2_T3_mT4_P12ihipStream_tbEUlmE_tEESD_NS0_8identityIvEEEESI_SL_SM_mSN_SP_bEUlT_E_NS1_11comp_targetILNS1_3genE2ELNS1_11target_archE906ELNS1_3gpuE6ELNS1_3repE0EEENS1_30default_config_static_selectorELNS0_4arch9wavefront6targetE1EEEvT1_.num_agpr, 0
	.set _ZN7rocprim17ROCPRIM_400000_NS6detail17trampoline_kernelINS0_14default_configENS1_25transform_config_selectorItLb0EEEZNS1_14transform_implILb0ES3_S5_NS0_18transform_iteratorINS0_17counting_iteratorImlEEZNS1_24adjacent_difference_implIS3_Lb1ELb0EPKtPtN6thrust23THRUST_200600_302600_NS4plusItEEEE10hipError_tPvRmT2_T3_mT4_P12ihipStream_tbEUlmE_tEESD_NS0_8identityIvEEEESI_SL_SM_mSN_SP_bEUlT_E_NS1_11comp_targetILNS1_3genE2ELNS1_11target_archE906ELNS1_3gpuE6ELNS1_3repE0EEENS1_30default_config_static_selectorELNS0_4arch9wavefront6targetE1EEEvT1_.numbered_sgpr, 22
	.set _ZN7rocprim17ROCPRIM_400000_NS6detail17trampoline_kernelINS0_14default_configENS1_25transform_config_selectorItLb0EEEZNS1_14transform_implILb0ES3_S5_NS0_18transform_iteratorINS0_17counting_iteratorImlEEZNS1_24adjacent_difference_implIS3_Lb1ELb0EPKtPtN6thrust23THRUST_200600_302600_NS4plusItEEEE10hipError_tPvRmT2_T3_mT4_P12ihipStream_tbEUlmE_tEESD_NS0_8identityIvEEEESI_SL_SM_mSN_SP_bEUlT_E_NS1_11comp_targetILNS1_3genE2ELNS1_11target_archE906ELNS1_3gpuE6ELNS1_3repE0EEENS1_30default_config_static_selectorELNS0_4arch9wavefront6targetE1EEEvT1_.num_named_barrier, 0
	.set _ZN7rocprim17ROCPRIM_400000_NS6detail17trampoline_kernelINS0_14default_configENS1_25transform_config_selectorItLb0EEEZNS1_14transform_implILb0ES3_S5_NS0_18transform_iteratorINS0_17counting_iteratorImlEEZNS1_24adjacent_difference_implIS3_Lb1ELb0EPKtPtN6thrust23THRUST_200600_302600_NS4plusItEEEE10hipError_tPvRmT2_T3_mT4_P12ihipStream_tbEUlmE_tEESD_NS0_8identityIvEEEESI_SL_SM_mSN_SP_bEUlT_E_NS1_11comp_targetILNS1_3genE2ELNS1_11target_archE906ELNS1_3gpuE6ELNS1_3repE0EEENS1_30default_config_static_selectorELNS0_4arch9wavefront6targetE1EEEvT1_.private_seg_size, 0
	.set _ZN7rocprim17ROCPRIM_400000_NS6detail17trampoline_kernelINS0_14default_configENS1_25transform_config_selectorItLb0EEEZNS1_14transform_implILb0ES3_S5_NS0_18transform_iteratorINS0_17counting_iteratorImlEEZNS1_24adjacent_difference_implIS3_Lb1ELb0EPKtPtN6thrust23THRUST_200600_302600_NS4plusItEEEE10hipError_tPvRmT2_T3_mT4_P12ihipStream_tbEUlmE_tEESD_NS0_8identityIvEEEESI_SL_SM_mSN_SP_bEUlT_E_NS1_11comp_targetILNS1_3genE2ELNS1_11target_archE906ELNS1_3gpuE6ELNS1_3repE0EEENS1_30default_config_static_selectorELNS0_4arch9wavefront6targetE1EEEvT1_.uses_vcc, 1
	.set _ZN7rocprim17ROCPRIM_400000_NS6detail17trampoline_kernelINS0_14default_configENS1_25transform_config_selectorItLb0EEEZNS1_14transform_implILb0ES3_S5_NS0_18transform_iteratorINS0_17counting_iteratorImlEEZNS1_24adjacent_difference_implIS3_Lb1ELb0EPKtPtN6thrust23THRUST_200600_302600_NS4plusItEEEE10hipError_tPvRmT2_T3_mT4_P12ihipStream_tbEUlmE_tEESD_NS0_8identityIvEEEESI_SL_SM_mSN_SP_bEUlT_E_NS1_11comp_targetILNS1_3genE2ELNS1_11target_archE906ELNS1_3gpuE6ELNS1_3repE0EEENS1_30default_config_static_selectorELNS0_4arch9wavefront6targetE1EEEvT1_.uses_flat_scratch, 0
	.set _ZN7rocprim17ROCPRIM_400000_NS6detail17trampoline_kernelINS0_14default_configENS1_25transform_config_selectorItLb0EEEZNS1_14transform_implILb0ES3_S5_NS0_18transform_iteratorINS0_17counting_iteratorImlEEZNS1_24adjacent_difference_implIS3_Lb1ELb0EPKtPtN6thrust23THRUST_200600_302600_NS4plusItEEEE10hipError_tPvRmT2_T3_mT4_P12ihipStream_tbEUlmE_tEESD_NS0_8identityIvEEEESI_SL_SM_mSN_SP_bEUlT_E_NS1_11comp_targetILNS1_3genE2ELNS1_11target_archE906ELNS1_3gpuE6ELNS1_3repE0EEENS1_30default_config_static_selectorELNS0_4arch9wavefront6targetE1EEEvT1_.has_dyn_sized_stack, 0
	.set _ZN7rocprim17ROCPRIM_400000_NS6detail17trampoline_kernelINS0_14default_configENS1_25transform_config_selectorItLb0EEEZNS1_14transform_implILb0ES3_S5_NS0_18transform_iteratorINS0_17counting_iteratorImlEEZNS1_24adjacent_difference_implIS3_Lb1ELb0EPKtPtN6thrust23THRUST_200600_302600_NS4plusItEEEE10hipError_tPvRmT2_T3_mT4_P12ihipStream_tbEUlmE_tEESD_NS0_8identityIvEEEESI_SL_SM_mSN_SP_bEUlT_E_NS1_11comp_targetILNS1_3genE2ELNS1_11target_archE906ELNS1_3gpuE6ELNS1_3repE0EEENS1_30default_config_static_selectorELNS0_4arch9wavefront6targetE1EEEvT1_.has_recursion, 0
	.set _ZN7rocprim17ROCPRIM_400000_NS6detail17trampoline_kernelINS0_14default_configENS1_25transform_config_selectorItLb0EEEZNS1_14transform_implILb0ES3_S5_NS0_18transform_iteratorINS0_17counting_iteratorImlEEZNS1_24adjacent_difference_implIS3_Lb1ELb0EPKtPtN6thrust23THRUST_200600_302600_NS4plusItEEEE10hipError_tPvRmT2_T3_mT4_P12ihipStream_tbEUlmE_tEESD_NS0_8identityIvEEEESI_SL_SM_mSN_SP_bEUlT_E_NS1_11comp_targetILNS1_3genE2ELNS1_11target_archE906ELNS1_3gpuE6ELNS1_3repE0EEENS1_30default_config_static_selectorELNS0_4arch9wavefront6targetE1EEEvT1_.has_indirect_call, 0
	.section	.AMDGPU.csdata,"",@progbits
; Kernel info:
; codeLenInByte = 1016
; TotalNumSgprs: 26
; NumVgprs: 12
; ScratchSize: 0
; MemoryBound: 0
; FloatMode: 240
; IeeeMode: 1
; LDSByteSize: 0 bytes/workgroup (compile time only)
; SGPRBlocks: 3
; VGPRBlocks: 2
; NumSGPRsForWavesPerEU: 26
; NumVGPRsForWavesPerEU: 12
; Occupancy: 10
; WaveLimiterHint : 1
; COMPUTE_PGM_RSRC2:SCRATCH_EN: 0
; COMPUTE_PGM_RSRC2:USER_SGPR: 6
; COMPUTE_PGM_RSRC2:TRAP_HANDLER: 0
; COMPUTE_PGM_RSRC2:TGID_X_EN: 1
; COMPUTE_PGM_RSRC2:TGID_Y_EN: 0
; COMPUTE_PGM_RSRC2:TGID_Z_EN: 0
; COMPUTE_PGM_RSRC2:TIDIG_COMP_CNT: 0
	.section	.text._ZN7rocprim17ROCPRIM_400000_NS6detail17trampoline_kernelINS0_14default_configENS1_25transform_config_selectorItLb0EEEZNS1_14transform_implILb0ES3_S5_NS0_18transform_iteratorINS0_17counting_iteratorImlEEZNS1_24adjacent_difference_implIS3_Lb1ELb0EPKtPtN6thrust23THRUST_200600_302600_NS4plusItEEEE10hipError_tPvRmT2_T3_mT4_P12ihipStream_tbEUlmE_tEESD_NS0_8identityIvEEEESI_SL_SM_mSN_SP_bEUlT_E_NS1_11comp_targetILNS1_3genE10ELNS1_11target_archE1201ELNS1_3gpuE5ELNS1_3repE0EEENS1_30default_config_static_selectorELNS0_4arch9wavefront6targetE1EEEvT1_,"axG",@progbits,_ZN7rocprim17ROCPRIM_400000_NS6detail17trampoline_kernelINS0_14default_configENS1_25transform_config_selectorItLb0EEEZNS1_14transform_implILb0ES3_S5_NS0_18transform_iteratorINS0_17counting_iteratorImlEEZNS1_24adjacent_difference_implIS3_Lb1ELb0EPKtPtN6thrust23THRUST_200600_302600_NS4plusItEEEE10hipError_tPvRmT2_T3_mT4_P12ihipStream_tbEUlmE_tEESD_NS0_8identityIvEEEESI_SL_SM_mSN_SP_bEUlT_E_NS1_11comp_targetILNS1_3genE10ELNS1_11target_archE1201ELNS1_3gpuE5ELNS1_3repE0EEENS1_30default_config_static_selectorELNS0_4arch9wavefront6targetE1EEEvT1_,comdat
	.protected	_ZN7rocprim17ROCPRIM_400000_NS6detail17trampoline_kernelINS0_14default_configENS1_25transform_config_selectorItLb0EEEZNS1_14transform_implILb0ES3_S5_NS0_18transform_iteratorINS0_17counting_iteratorImlEEZNS1_24adjacent_difference_implIS3_Lb1ELb0EPKtPtN6thrust23THRUST_200600_302600_NS4plusItEEEE10hipError_tPvRmT2_T3_mT4_P12ihipStream_tbEUlmE_tEESD_NS0_8identityIvEEEESI_SL_SM_mSN_SP_bEUlT_E_NS1_11comp_targetILNS1_3genE10ELNS1_11target_archE1201ELNS1_3gpuE5ELNS1_3repE0EEENS1_30default_config_static_selectorELNS0_4arch9wavefront6targetE1EEEvT1_ ; -- Begin function _ZN7rocprim17ROCPRIM_400000_NS6detail17trampoline_kernelINS0_14default_configENS1_25transform_config_selectorItLb0EEEZNS1_14transform_implILb0ES3_S5_NS0_18transform_iteratorINS0_17counting_iteratorImlEEZNS1_24adjacent_difference_implIS3_Lb1ELb0EPKtPtN6thrust23THRUST_200600_302600_NS4plusItEEEE10hipError_tPvRmT2_T3_mT4_P12ihipStream_tbEUlmE_tEESD_NS0_8identityIvEEEESI_SL_SM_mSN_SP_bEUlT_E_NS1_11comp_targetILNS1_3genE10ELNS1_11target_archE1201ELNS1_3gpuE5ELNS1_3repE0EEENS1_30default_config_static_selectorELNS0_4arch9wavefront6targetE1EEEvT1_
	.globl	_ZN7rocprim17ROCPRIM_400000_NS6detail17trampoline_kernelINS0_14default_configENS1_25transform_config_selectorItLb0EEEZNS1_14transform_implILb0ES3_S5_NS0_18transform_iteratorINS0_17counting_iteratorImlEEZNS1_24adjacent_difference_implIS3_Lb1ELb0EPKtPtN6thrust23THRUST_200600_302600_NS4plusItEEEE10hipError_tPvRmT2_T3_mT4_P12ihipStream_tbEUlmE_tEESD_NS0_8identityIvEEEESI_SL_SM_mSN_SP_bEUlT_E_NS1_11comp_targetILNS1_3genE10ELNS1_11target_archE1201ELNS1_3gpuE5ELNS1_3repE0EEENS1_30default_config_static_selectorELNS0_4arch9wavefront6targetE1EEEvT1_
	.p2align	8
	.type	_ZN7rocprim17ROCPRIM_400000_NS6detail17trampoline_kernelINS0_14default_configENS1_25transform_config_selectorItLb0EEEZNS1_14transform_implILb0ES3_S5_NS0_18transform_iteratorINS0_17counting_iteratorImlEEZNS1_24adjacent_difference_implIS3_Lb1ELb0EPKtPtN6thrust23THRUST_200600_302600_NS4plusItEEEE10hipError_tPvRmT2_T3_mT4_P12ihipStream_tbEUlmE_tEESD_NS0_8identityIvEEEESI_SL_SM_mSN_SP_bEUlT_E_NS1_11comp_targetILNS1_3genE10ELNS1_11target_archE1201ELNS1_3gpuE5ELNS1_3repE0EEENS1_30default_config_static_selectorELNS0_4arch9wavefront6targetE1EEEvT1_,@function
_ZN7rocprim17ROCPRIM_400000_NS6detail17trampoline_kernelINS0_14default_configENS1_25transform_config_selectorItLb0EEEZNS1_14transform_implILb0ES3_S5_NS0_18transform_iteratorINS0_17counting_iteratorImlEEZNS1_24adjacent_difference_implIS3_Lb1ELb0EPKtPtN6thrust23THRUST_200600_302600_NS4plusItEEEE10hipError_tPvRmT2_T3_mT4_P12ihipStream_tbEUlmE_tEESD_NS0_8identityIvEEEESI_SL_SM_mSN_SP_bEUlT_E_NS1_11comp_targetILNS1_3genE10ELNS1_11target_archE1201ELNS1_3gpuE5ELNS1_3repE0EEENS1_30default_config_static_selectorELNS0_4arch9wavefront6targetE1EEEvT1_: ; @_ZN7rocprim17ROCPRIM_400000_NS6detail17trampoline_kernelINS0_14default_configENS1_25transform_config_selectorItLb0EEEZNS1_14transform_implILb0ES3_S5_NS0_18transform_iteratorINS0_17counting_iteratorImlEEZNS1_24adjacent_difference_implIS3_Lb1ELb0EPKtPtN6thrust23THRUST_200600_302600_NS4plusItEEEE10hipError_tPvRmT2_T3_mT4_P12ihipStream_tbEUlmE_tEESD_NS0_8identityIvEEEESI_SL_SM_mSN_SP_bEUlT_E_NS1_11comp_targetILNS1_3genE10ELNS1_11target_archE1201ELNS1_3gpuE5ELNS1_3repE0EEENS1_30default_config_static_selectorELNS0_4arch9wavefront6targetE1EEEvT1_
; %bb.0:
	.section	.rodata,"a",@progbits
	.p2align	6, 0x0
	.amdhsa_kernel _ZN7rocprim17ROCPRIM_400000_NS6detail17trampoline_kernelINS0_14default_configENS1_25transform_config_selectorItLb0EEEZNS1_14transform_implILb0ES3_S5_NS0_18transform_iteratorINS0_17counting_iteratorImlEEZNS1_24adjacent_difference_implIS3_Lb1ELb0EPKtPtN6thrust23THRUST_200600_302600_NS4plusItEEEE10hipError_tPvRmT2_T3_mT4_P12ihipStream_tbEUlmE_tEESD_NS0_8identityIvEEEESI_SL_SM_mSN_SP_bEUlT_E_NS1_11comp_targetILNS1_3genE10ELNS1_11target_archE1201ELNS1_3gpuE5ELNS1_3repE0EEENS1_30default_config_static_selectorELNS0_4arch9wavefront6targetE1EEEvT1_
		.amdhsa_group_segment_fixed_size 0
		.amdhsa_private_segment_fixed_size 0
		.amdhsa_kernarg_size 56
		.amdhsa_user_sgpr_count 6
		.amdhsa_user_sgpr_private_segment_buffer 1
		.amdhsa_user_sgpr_dispatch_ptr 0
		.amdhsa_user_sgpr_queue_ptr 0
		.amdhsa_user_sgpr_kernarg_segment_ptr 1
		.amdhsa_user_sgpr_dispatch_id 0
		.amdhsa_user_sgpr_flat_scratch_init 0
		.amdhsa_user_sgpr_private_segment_size 0
		.amdhsa_uses_dynamic_stack 0
		.amdhsa_system_sgpr_private_segment_wavefront_offset 0
		.amdhsa_system_sgpr_workgroup_id_x 1
		.amdhsa_system_sgpr_workgroup_id_y 0
		.amdhsa_system_sgpr_workgroup_id_z 0
		.amdhsa_system_sgpr_workgroup_info 0
		.amdhsa_system_vgpr_workitem_id 0
		.amdhsa_next_free_vgpr 1
		.amdhsa_next_free_sgpr 0
		.amdhsa_reserve_vcc 0
		.amdhsa_reserve_flat_scratch 0
		.amdhsa_float_round_mode_32 0
		.amdhsa_float_round_mode_16_64 0
		.amdhsa_float_denorm_mode_32 3
		.amdhsa_float_denorm_mode_16_64 3
		.amdhsa_dx10_clamp 1
		.amdhsa_ieee_mode 1
		.amdhsa_fp16_overflow 0
		.amdhsa_exception_fp_ieee_invalid_op 0
		.amdhsa_exception_fp_denorm_src 0
		.amdhsa_exception_fp_ieee_div_zero 0
		.amdhsa_exception_fp_ieee_overflow 0
		.amdhsa_exception_fp_ieee_underflow 0
		.amdhsa_exception_fp_ieee_inexact 0
		.amdhsa_exception_int_div_zero 0
	.end_amdhsa_kernel
	.section	.text._ZN7rocprim17ROCPRIM_400000_NS6detail17trampoline_kernelINS0_14default_configENS1_25transform_config_selectorItLb0EEEZNS1_14transform_implILb0ES3_S5_NS0_18transform_iteratorINS0_17counting_iteratorImlEEZNS1_24adjacent_difference_implIS3_Lb1ELb0EPKtPtN6thrust23THRUST_200600_302600_NS4plusItEEEE10hipError_tPvRmT2_T3_mT4_P12ihipStream_tbEUlmE_tEESD_NS0_8identityIvEEEESI_SL_SM_mSN_SP_bEUlT_E_NS1_11comp_targetILNS1_3genE10ELNS1_11target_archE1201ELNS1_3gpuE5ELNS1_3repE0EEENS1_30default_config_static_selectorELNS0_4arch9wavefront6targetE1EEEvT1_,"axG",@progbits,_ZN7rocprim17ROCPRIM_400000_NS6detail17trampoline_kernelINS0_14default_configENS1_25transform_config_selectorItLb0EEEZNS1_14transform_implILb0ES3_S5_NS0_18transform_iteratorINS0_17counting_iteratorImlEEZNS1_24adjacent_difference_implIS3_Lb1ELb0EPKtPtN6thrust23THRUST_200600_302600_NS4plusItEEEE10hipError_tPvRmT2_T3_mT4_P12ihipStream_tbEUlmE_tEESD_NS0_8identityIvEEEESI_SL_SM_mSN_SP_bEUlT_E_NS1_11comp_targetILNS1_3genE10ELNS1_11target_archE1201ELNS1_3gpuE5ELNS1_3repE0EEENS1_30default_config_static_selectorELNS0_4arch9wavefront6targetE1EEEvT1_,comdat
.Lfunc_end686:
	.size	_ZN7rocprim17ROCPRIM_400000_NS6detail17trampoline_kernelINS0_14default_configENS1_25transform_config_selectorItLb0EEEZNS1_14transform_implILb0ES3_S5_NS0_18transform_iteratorINS0_17counting_iteratorImlEEZNS1_24adjacent_difference_implIS3_Lb1ELb0EPKtPtN6thrust23THRUST_200600_302600_NS4plusItEEEE10hipError_tPvRmT2_T3_mT4_P12ihipStream_tbEUlmE_tEESD_NS0_8identityIvEEEESI_SL_SM_mSN_SP_bEUlT_E_NS1_11comp_targetILNS1_3genE10ELNS1_11target_archE1201ELNS1_3gpuE5ELNS1_3repE0EEENS1_30default_config_static_selectorELNS0_4arch9wavefront6targetE1EEEvT1_, .Lfunc_end686-_ZN7rocprim17ROCPRIM_400000_NS6detail17trampoline_kernelINS0_14default_configENS1_25transform_config_selectorItLb0EEEZNS1_14transform_implILb0ES3_S5_NS0_18transform_iteratorINS0_17counting_iteratorImlEEZNS1_24adjacent_difference_implIS3_Lb1ELb0EPKtPtN6thrust23THRUST_200600_302600_NS4plusItEEEE10hipError_tPvRmT2_T3_mT4_P12ihipStream_tbEUlmE_tEESD_NS0_8identityIvEEEESI_SL_SM_mSN_SP_bEUlT_E_NS1_11comp_targetILNS1_3genE10ELNS1_11target_archE1201ELNS1_3gpuE5ELNS1_3repE0EEENS1_30default_config_static_selectorELNS0_4arch9wavefront6targetE1EEEvT1_
                                        ; -- End function
	.set _ZN7rocprim17ROCPRIM_400000_NS6detail17trampoline_kernelINS0_14default_configENS1_25transform_config_selectorItLb0EEEZNS1_14transform_implILb0ES3_S5_NS0_18transform_iteratorINS0_17counting_iteratorImlEEZNS1_24adjacent_difference_implIS3_Lb1ELb0EPKtPtN6thrust23THRUST_200600_302600_NS4plusItEEEE10hipError_tPvRmT2_T3_mT4_P12ihipStream_tbEUlmE_tEESD_NS0_8identityIvEEEESI_SL_SM_mSN_SP_bEUlT_E_NS1_11comp_targetILNS1_3genE10ELNS1_11target_archE1201ELNS1_3gpuE5ELNS1_3repE0EEENS1_30default_config_static_selectorELNS0_4arch9wavefront6targetE1EEEvT1_.num_vgpr, 0
	.set _ZN7rocprim17ROCPRIM_400000_NS6detail17trampoline_kernelINS0_14default_configENS1_25transform_config_selectorItLb0EEEZNS1_14transform_implILb0ES3_S5_NS0_18transform_iteratorINS0_17counting_iteratorImlEEZNS1_24adjacent_difference_implIS3_Lb1ELb0EPKtPtN6thrust23THRUST_200600_302600_NS4plusItEEEE10hipError_tPvRmT2_T3_mT4_P12ihipStream_tbEUlmE_tEESD_NS0_8identityIvEEEESI_SL_SM_mSN_SP_bEUlT_E_NS1_11comp_targetILNS1_3genE10ELNS1_11target_archE1201ELNS1_3gpuE5ELNS1_3repE0EEENS1_30default_config_static_selectorELNS0_4arch9wavefront6targetE1EEEvT1_.num_agpr, 0
	.set _ZN7rocprim17ROCPRIM_400000_NS6detail17trampoline_kernelINS0_14default_configENS1_25transform_config_selectorItLb0EEEZNS1_14transform_implILb0ES3_S5_NS0_18transform_iteratorINS0_17counting_iteratorImlEEZNS1_24adjacent_difference_implIS3_Lb1ELb0EPKtPtN6thrust23THRUST_200600_302600_NS4plusItEEEE10hipError_tPvRmT2_T3_mT4_P12ihipStream_tbEUlmE_tEESD_NS0_8identityIvEEEESI_SL_SM_mSN_SP_bEUlT_E_NS1_11comp_targetILNS1_3genE10ELNS1_11target_archE1201ELNS1_3gpuE5ELNS1_3repE0EEENS1_30default_config_static_selectorELNS0_4arch9wavefront6targetE1EEEvT1_.numbered_sgpr, 0
	.set _ZN7rocprim17ROCPRIM_400000_NS6detail17trampoline_kernelINS0_14default_configENS1_25transform_config_selectorItLb0EEEZNS1_14transform_implILb0ES3_S5_NS0_18transform_iteratorINS0_17counting_iteratorImlEEZNS1_24adjacent_difference_implIS3_Lb1ELb0EPKtPtN6thrust23THRUST_200600_302600_NS4plusItEEEE10hipError_tPvRmT2_T3_mT4_P12ihipStream_tbEUlmE_tEESD_NS0_8identityIvEEEESI_SL_SM_mSN_SP_bEUlT_E_NS1_11comp_targetILNS1_3genE10ELNS1_11target_archE1201ELNS1_3gpuE5ELNS1_3repE0EEENS1_30default_config_static_selectorELNS0_4arch9wavefront6targetE1EEEvT1_.num_named_barrier, 0
	.set _ZN7rocprim17ROCPRIM_400000_NS6detail17trampoline_kernelINS0_14default_configENS1_25transform_config_selectorItLb0EEEZNS1_14transform_implILb0ES3_S5_NS0_18transform_iteratorINS0_17counting_iteratorImlEEZNS1_24adjacent_difference_implIS3_Lb1ELb0EPKtPtN6thrust23THRUST_200600_302600_NS4plusItEEEE10hipError_tPvRmT2_T3_mT4_P12ihipStream_tbEUlmE_tEESD_NS0_8identityIvEEEESI_SL_SM_mSN_SP_bEUlT_E_NS1_11comp_targetILNS1_3genE10ELNS1_11target_archE1201ELNS1_3gpuE5ELNS1_3repE0EEENS1_30default_config_static_selectorELNS0_4arch9wavefront6targetE1EEEvT1_.private_seg_size, 0
	.set _ZN7rocprim17ROCPRIM_400000_NS6detail17trampoline_kernelINS0_14default_configENS1_25transform_config_selectorItLb0EEEZNS1_14transform_implILb0ES3_S5_NS0_18transform_iteratorINS0_17counting_iteratorImlEEZNS1_24adjacent_difference_implIS3_Lb1ELb0EPKtPtN6thrust23THRUST_200600_302600_NS4plusItEEEE10hipError_tPvRmT2_T3_mT4_P12ihipStream_tbEUlmE_tEESD_NS0_8identityIvEEEESI_SL_SM_mSN_SP_bEUlT_E_NS1_11comp_targetILNS1_3genE10ELNS1_11target_archE1201ELNS1_3gpuE5ELNS1_3repE0EEENS1_30default_config_static_selectorELNS0_4arch9wavefront6targetE1EEEvT1_.uses_vcc, 0
	.set _ZN7rocprim17ROCPRIM_400000_NS6detail17trampoline_kernelINS0_14default_configENS1_25transform_config_selectorItLb0EEEZNS1_14transform_implILb0ES3_S5_NS0_18transform_iteratorINS0_17counting_iteratorImlEEZNS1_24adjacent_difference_implIS3_Lb1ELb0EPKtPtN6thrust23THRUST_200600_302600_NS4plusItEEEE10hipError_tPvRmT2_T3_mT4_P12ihipStream_tbEUlmE_tEESD_NS0_8identityIvEEEESI_SL_SM_mSN_SP_bEUlT_E_NS1_11comp_targetILNS1_3genE10ELNS1_11target_archE1201ELNS1_3gpuE5ELNS1_3repE0EEENS1_30default_config_static_selectorELNS0_4arch9wavefront6targetE1EEEvT1_.uses_flat_scratch, 0
	.set _ZN7rocprim17ROCPRIM_400000_NS6detail17trampoline_kernelINS0_14default_configENS1_25transform_config_selectorItLb0EEEZNS1_14transform_implILb0ES3_S5_NS0_18transform_iteratorINS0_17counting_iteratorImlEEZNS1_24adjacent_difference_implIS3_Lb1ELb0EPKtPtN6thrust23THRUST_200600_302600_NS4plusItEEEE10hipError_tPvRmT2_T3_mT4_P12ihipStream_tbEUlmE_tEESD_NS0_8identityIvEEEESI_SL_SM_mSN_SP_bEUlT_E_NS1_11comp_targetILNS1_3genE10ELNS1_11target_archE1201ELNS1_3gpuE5ELNS1_3repE0EEENS1_30default_config_static_selectorELNS0_4arch9wavefront6targetE1EEEvT1_.has_dyn_sized_stack, 0
	.set _ZN7rocprim17ROCPRIM_400000_NS6detail17trampoline_kernelINS0_14default_configENS1_25transform_config_selectorItLb0EEEZNS1_14transform_implILb0ES3_S5_NS0_18transform_iteratorINS0_17counting_iteratorImlEEZNS1_24adjacent_difference_implIS3_Lb1ELb0EPKtPtN6thrust23THRUST_200600_302600_NS4plusItEEEE10hipError_tPvRmT2_T3_mT4_P12ihipStream_tbEUlmE_tEESD_NS0_8identityIvEEEESI_SL_SM_mSN_SP_bEUlT_E_NS1_11comp_targetILNS1_3genE10ELNS1_11target_archE1201ELNS1_3gpuE5ELNS1_3repE0EEENS1_30default_config_static_selectorELNS0_4arch9wavefront6targetE1EEEvT1_.has_recursion, 0
	.set _ZN7rocprim17ROCPRIM_400000_NS6detail17trampoline_kernelINS0_14default_configENS1_25transform_config_selectorItLb0EEEZNS1_14transform_implILb0ES3_S5_NS0_18transform_iteratorINS0_17counting_iteratorImlEEZNS1_24adjacent_difference_implIS3_Lb1ELb0EPKtPtN6thrust23THRUST_200600_302600_NS4plusItEEEE10hipError_tPvRmT2_T3_mT4_P12ihipStream_tbEUlmE_tEESD_NS0_8identityIvEEEESI_SL_SM_mSN_SP_bEUlT_E_NS1_11comp_targetILNS1_3genE10ELNS1_11target_archE1201ELNS1_3gpuE5ELNS1_3repE0EEENS1_30default_config_static_selectorELNS0_4arch9wavefront6targetE1EEEvT1_.has_indirect_call, 0
	.section	.AMDGPU.csdata,"",@progbits
; Kernel info:
; codeLenInByte = 0
; TotalNumSgprs: 4
; NumVgprs: 0
; ScratchSize: 0
; MemoryBound: 0
; FloatMode: 240
; IeeeMode: 1
; LDSByteSize: 0 bytes/workgroup (compile time only)
; SGPRBlocks: 0
; VGPRBlocks: 0
; NumSGPRsForWavesPerEU: 4
; NumVGPRsForWavesPerEU: 1
; Occupancy: 10
; WaveLimiterHint : 0
; COMPUTE_PGM_RSRC2:SCRATCH_EN: 0
; COMPUTE_PGM_RSRC2:USER_SGPR: 6
; COMPUTE_PGM_RSRC2:TRAP_HANDLER: 0
; COMPUTE_PGM_RSRC2:TGID_X_EN: 1
; COMPUTE_PGM_RSRC2:TGID_Y_EN: 0
; COMPUTE_PGM_RSRC2:TGID_Z_EN: 0
; COMPUTE_PGM_RSRC2:TIDIG_COMP_CNT: 0
	.section	.text._ZN7rocprim17ROCPRIM_400000_NS6detail17trampoline_kernelINS0_14default_configENS1_25transform_config_selectorItLb0EEEZNS1_14transform_implILb0ES3_S5_NS0_18transform_iteratorINS0_17counting_iteratorImlEEZNS1_24adjacent_difference_implIS3_Lb1ELb0EPKtPtN6thrust23THRUST_200600_302600_NS4plusItEEEE10hipError_tPvRmT2_T3_mT4_P12ihipStream_tbEUlmE_tEESD_NS0_8identityIvEEEESI_SL_SM_mSN_SP_bEUlT_E_NS1_11comp_targetILNS1_3genE10ELNS1_11target_archE1200ELNS1_3gpuE4ELNS1_3repE0EEENS1_30default_config_static_selectorELNS0_4arch9wavefront6targetE1EEEvT1_,"axG",@progbits,_ZN7rocprim17ROCPRIM_400000_NS6detail17trampoline_kernelINS0_14default_configENS1_25transform_config_selectorItLb0EEEZNS1_14transform_implILb0ES3_S5_NS0_18transform_iteratorINS0_17counting_iteratorImlEEZNS1_24adjacent_difference_implIS3_Lb1ELb0EPKtPtN6thrust23THRUST_200600_302600_NS4plusItEEEE10hipError_tPvRmT2_T3_mT4_P12ihipStream_tbEUlmE_tEESD_NS0_8identityIvEEEESI_SL_SM_mSN_SP_bEUlT_E_NS1_11comp_targetILNS1_3genE10ELNS1_11target_archE1200ELNS1_3gpuE4ELNS1_3repE0EEENS1_30default_config_static_selectorELNS0_4arch9wavefront6targetE1EEEvT1_,comdat
	.protected	_ZN7rocprim17ROCPRIM_400000_NS6detail17trampoline_kernelINS0_14default_configENS1_25transform_config_selectorItLb0EEEZNS1_14transform_implILb0ES3_S5_NS0_18transform_iteratorINS0_17counting_iteratorImlEEZNS1_24adjacent_difference_implIS3_Lb1ELb0EPKtPtN6thrust23THRUST_200600_302600_NS4plusItEEEE10hipError_tPvRmT2_T3_mT4_P12ihipStream_tbEUlmE_tEESD_NS0_8identityIvEEEESI_SL_SM_mSN_SP_bEUlT_E_NS1_11comp_targetILNS1_3genE10ELNS1_11target_archE1200ELNS1_3gpuE4ELNS1_3repE0EEENS1_30default_config_static_selectorELNS0_4arch9wavefront6targetE1EEEvT1_ ; -- Begin function _ZN7rocprim17ROCPRIM_400000_NS6detail17trampoline_kernelINS0_14default_configENS1_25transform_config_selectorItLb0EEEZNS1_14transform_implILb0ES3_S5_NS0_18transform_iteratorINS0_17counting_iteratorImlEEZNS1_24adjacent_difference_implIS3_Lb1ELb0EPKtPtN6thrust23THRUST_200600_302600_NS4plusItEEEE10hipError_tPvRmT2_T3_mT4_P12ihipStream_tbEUlmE_tEESD_NS0_8identityIvEEEESI_SL_SM_mSN_SP_bEUlT_E_NS1_11comp_targetILNS1_3genE10ELNS1_11target_archE1200ELNS1_3gpuE4ELNS1_3repE0EEENS1_30default_config_static_selectorELNS0_4arch9wavefront6targetE1EEEvT1_
	.globl	_ZN7rocprim17ROCPRIM_400000_NS6detail17trampoline_kernelINS0_14default_configENS1_25transform_config_selectorItLb0EEEZNS1_14transform_implILb0ES3_S5_NS0_18transform_iteratorINS0_17counting_iteratorImlEEZNS1_24adjacent_difference_implIS3_Lb1ELb0EPKtPtN6thrust23THRUST_200600_302600_NS4plusItEEEE10hipError_tPvRmT2_T3_mT4_P12ihipStream_tbEUlmE_tEESD_NS0_8identityIvEEEESI_SL_SM_mSN_SP_bEUlT_E_NS1_11comp_targetILNS1_3genE10ELNS1_11target_archE1200ELNS1_3gpuE4ELNS1_3repE0EEENS1_30default_config_static_selectorELNS0_4arch9wavefront6targetE1EEEvT1_
	.p2align	8
	.type	_ZN7rocprim17ROCPRIM_400000_NS6detail17trampoline_kernelINS0_14default_configENS1_25transform_config_selectorItLb0EEEZNS1_14transform_implILb0ES3_S5_NS0_18transform_iteratorINS0_17counting_iteratorImlEEZNS1_24adjacent_difference_implIS3_Lb1ELb0EPKtPtN6thrust23THRUST_200600_302600_NS4plusItEEEE10hipError_tPvRmT2_T3_mT4_P12ihipStream_tbEUlmE_tEESD_NS0_8identityIvEEEESI_SL_SM_mSN_SP_bEUlT_E_NS1_11comp_targetILNS1_3genE10ELNS1_11target_archE1200ELNS1_3gpuE4ELNS1_3repE0EEENS1_30default_config_static_selectorELNS0_4arch9wavefront6targetE1EEEvT1_,@function
_ZN7rocprim17ROCPRIM_400000_NS6detail17trampoline_kernelINS0_14default_configENS1_25transform_config_selectorItLb0EEEZNS1_14transform_implILb0ES3_S5_NS0_18transform_iteratorINS0_17counting_iteratorImlEEZNS1_24adjacent_difference_implIS3_Lb1ELb0EPKtPtN6thrust23THRUST_200600_302600_NS4plusItEEEE10hipError_tPvRmT2_T3_mT4_P12ihipStream_tbEUlmE_tEESD_NS0_8identityIvEEEESI_SL_SM_mSN_SP_bEUlT_E_NS1_11comp_targetILNS1_3genE10ELNS1_11target_archE1200ELNS1_3gpuE4ELNS1_3repE0EEENS1_30default_config_static_selectorELNS0_4arch9wavefront6targetE1EEEvT1_: ; @_ZN7rocprim17ROCPRIM_400000_NS6detail17trampoline_kernelINS0_14default_configENS1_25transform_config_selectorItLb0EEEZNS1_14transform_implILb0ES3_S5_NS0_18transform_iteratorINS0_17counting_iteratorImlEEZNS1_24adjacent_difference_implIS3_Lb1ELb0EPKtPtN6thrust23THRUST_200600_302600_NS4plusItEEEE10hipError_tPvRmT2_T3_mT4_P12ihipStream_tbEUlmE_tEESD_NS0_8identityIvEEEESI_SL_SM_mSN_SP_bEUlT_E_NS1_11comp_targetILNS1_3genE10ELNS1_11target_archE1200ELNS1_3gpuE4ELNS1_3repE0EEENS1_30default_config_static_selectorELNS0_4arch9wavefront6targetE1EEEvT1_
; %bb.0:
	.section	.rodata,"a",@progbits
	.p2align	6, 0x0
	.amdhsa_kernel _ZN7rocprim17ROCPRIM_400000_NS6detail17trampoline_kernelINS0_14default_configENS1_25transform_config_selectorItLb0EEEZNS1_14transform_implILb0ES3_S5_NS0_18transform_iteratorINS0_17counting_iteratorImlEEZNS1_24adjacent_difference_implIS3_Lb1ELb0EPKtPtN6thrust23THRUST_200600_302600_NS4plusItEEEE10hipError_tPvRmT2_T3_mT4_P12ihipStream_tbEUlmE_tEESD_NS0_8identityIvEEEESI_SL_SM_mSN_SP_bEUlT_E_NS1_11comp_targetILNS1_3genE10ELNS1_11target_archE1200ELNS1_3gpuE4ELNS1_3repE0EEENS1_30default_config_static_selectorELNS0_4arch9wavefront6targetE1EEEvT1_
		.amdhsa_group_segment_fixed_size 0
		.amdhsa_private_segment_fixed_size 0
		.amdhsa_kernarg_size 56
		.amdhsa_user_sgpr_count 6
		.amdhsa_user_sgpr_private_segment_buffer 1
		.amdhsa_user_sgpr_dispatch_ptr 0
		.amdhsa_user_sgpr_queue_ptr 0
		.amdhsa_user_sgpr_kernarg_segment_ptr 1
		.amdhsa_user_sgpr_dispatch_id 0
		.amdhsa_user_sgpr_flat_scratch_init 0
		.amdhsa_user_sgpr_private_segment_size 0
		.amdhsa_uses_dynamic_stack 0
		.amdhsa_system_sgpr_private_segment_wavefront_offset 0
		.amdhsa_system_sgpr_workgroup_id_x 1
		.amdhsa_system_sgpr_workgroup_id_y 0
		.amdhsa_system_sgpr_workgroup_id_z 0
		.amdhsa_system_sgpr_workgroup_info 0
		.amdhsa_system_vgpr_workitem_id 0
		.amdhsa_next_free_vgpr 1
		.amdhsa_next_free_sgpr 0
		.amdhsa_reserve_vcc 0
		.amdhsa_reserve_flat_scratch 0
		.amdhsa_float_round_mode_32 0
		.amdhsa_float_round_mode_16_64 0
		.amdhsa_float_denorm_mode_32 3
		.amdhsa_float_denorm_mode_16_64 3
		.amdhsa_dx10_clamp 1
		.amdhsa_ieee_mode 1
		.amdhsa_fp16_overflow 0
		.amdhsa_exception_fp_ieee_invalid_op 0
		.amdhsa_exception_fp_denorm_src 0
		.amdhsa_exception_fp_ieee_div_zero 0
		.amdhsa_exception_fp_ieee_overflow 0
		.amdhsa_exception_fp_ieee_underflow 0
		.amdhsa_exception_fp_ieee_inexact 0
		.amdhsa_exception_int_div_zero 0
	.end_amdhsa_kernel
	.section	.text._ZN7rocprim17ROCPRIM_400000_NS6detail17trampoline_kernelINS0_14default_configENS1_25transform_config_selectorItLb0EEEZNS1_14transform_implILb0ES3_S5_NS0_18transform_iteratorINS0_17counting_iteratorImlEEZNS1_24adjacent_difference_implIS3_Lb1ELb0EPKtPtN6thrust23THRUST_200600_302600_NS4plusItEEEE10hipError_tPvRmT2_T3_mT4_P12ihipStream_tbEUlmE_tEESD_NS0_8identityIvEEEESI_SL_SM_mSN_SP_bEUlT_E_NS1_11comp_targetILNS1_3genE10ELNS1_11target_archE1200ELNS1_3gpuE4ELNS1_3repE0EEENS1_30default_config_static_selectorELNS0_4arch9wavefront6targetE1EEEvT1_,"axG",@progbits,_ZN7rocprim17ROCPRIM_400000_NS6detail17trampoline_kernelINS0_14default_configENS1_25transform_config_selectorItLb0EEEZNS1_14transform_implILb0ES3_S5_NS0_18transform_iteratorINS0_17counting_iteratorImlEEZNS1_24adjacent_difference_implIS3_Lb1ELb0EPKtPtN6thrust23THRUST_200600_302600_NS4plusItEEEE10hipError_tPvRmT2_T3_mT4_P12ihipStream_tbEUlmE_tEESD_NS0_8identityIvEEEESI_SL_SM_mSN_SP_bEUlT_E_NS1_11comp_targetILNS1_3genE10ELNS1_11target_archE1200ELNS1_3gpuE4ELNS1_3repE0EEENS1_30default_config_static_selectorELNS0_4arch9wavefront6targetE1EEEvT1_,comdat
.Lfunc_end687:
	.size	_ZN7rocprim17ROCPRIM_400000_NS6detail17trampoline_kernelINS0_14default_configENS1_25transform_config_selectorItLb0EEEZNS1_14transform_implILb0ES3_S5_NS0_18transform_iteratorINS0_17counting_iteratorImlEEZNS1_24adjacent_difference_implIS3_Lb1ELb0EPKtPtN6thrust23THRUST_200600_302600_NS4plusItEEEE10hipError_tPvRmT2_T3_mT4_P12ihipStream_tbEUlmE_tEESD_NS0_8identityIvEEEESI_SL_SM_mSN_SP_bEUlT_E_NS1_11comp_targetILNS1_3genE10ELNS1_11target_archE1200ELNS1_3gpuE4ELNS1_3repE0EEENS1_30default_config_static_selectorELNS0_4arch9wavefront6targetE1EEEvT1_, .Lfunc_end687-_ZN7rocprim17ROCPRIM_400000_NS6detail17trampoline_kernelINS0_14default_configENS1_25transform_config_selectorItLb0EEEZNS1_14transform_implILb0ES3_S5_NS0_18transform_iteratorINS0_17counting_iteratorImlEEZNS1_24adjacent_difference_implIS3_Lb1ELb0EPKtPtN6thrust23THRUST_200600_302600_NS4plusItEEEE10hipError_tPvRmT2_T3_mT4_P12ihipStream_tbEUlmE_tEESD_NS0_8identityIvEEEESI_SL_SM_mSN_SP_bEUlT_E_NS1_11comp_targetILNS1_3genE10ELNS1_11target_archE1200ELNS1_3gpuE4ELNS1_3repE0EEENS1_30default_config_static_selectorELNS0_4arch9wavefront6targetE1EEEvT1_
                                        ; -- End function
	.set _ZN7rocprim17ROCPRIM_400000_NS6detail17trampoline_kernelINS0_14default_configENS1_25transform_config_selectorItLb0EEEZNS1_14transform_implILb0ES3_S5_NS0_18transform_iteratorINS0_17counting_iteratorImlEEZNS1_24adjacent_difference_implIS3_Lb1ELb0EPKtPtN6thrust23THRUST_200600_302600_NS4plusItEEEE10hipError_tPvRmT2_T3_mT4_P12ihipStream_tbEUlmE_tEESD_NS0_8identityIvEEEESI_SL_SM_mSN_SP_bEUlT_E_NS1_11comp_targetILNS1_3genE10ELNS1_11target_archE1200ELNS1_3gpuE4ELNS1_3repE0EEENS1_30default_config_static_selectorELNS0_4arch9wavefront6targetE1EEEvT1_.num_vgpr, 0
	.set _ZN7rocprim17ROCPRIM_400000_NS6detail17trampoline_kernelINS0_14default_configENS1_25transform_config_selectorItLb0EEEZNS1_14transform_implILb0ES3_S5_NS0_18transform_iteratorINS0_17counting_iteratorImlEEZNS1_24adjacent_difference_implIS3_Lb1ELb0EPKtPtN6thrust23THRUST_200600_302600_NS4plusItEEEE10hipError_tPvRmT2_T3_mT4_P12ihipStream_tbEUlmE_tEESD_NS0_8identityIvEEEESI_SL_SM_mSN_SP_bEUlT_E_NS1_11comp_targetILNS1_3genE10ELNS1_11target_archE1200ELNS1_3gpuE4ELNS1_3repE0EEENS1_30default_config_static_selectorELNS0_4arch9wavefront6targetE1EEEvT1_.num_agpr, 0
	.set _ZN7rocprim17ROCPRIM_400000_NS6detail17trampoline_kernelINS0_14default_configENS1_25transform_config_selectorItLb0EEEZNS1_14transform_implILb0ES3_S5_NS0_18transform_iteratorINS0_17counting_iteratorImlEEZNS1_24adjacent_difference_implIS3_Lb1ELb0EPKtPtN6thrust23THRUST_200600_302600_NS4plusItEEEE10hipError_tPvRmT2_T3_mT4_P12ihipStream_tbEUlmE_tEESD_NS0_8identityIvEEEESI_SL_SM_mSN_SP_bEUlT_E_NS1_11comp_targetILNS1_3genE10ELNS1_11target_archE1200ELNS1_3gpuE4ELNS1_3repE0EEENS1_30default_config_static_selectorELNS0_4arch9wavefront6targetE1EEEvT1_.numbered_sgpr, 0
	.set _ZN7rocprim17ROCPRIM_400000_NS6detail17trampoline_kernelINS0_14default_configENS1_25transform_config_selectorItLb0EEEZNS1_14transform_implILb0ES3_S5_NS0_18transform_iteratorINS0_17counting_iteratorImlEEZNS1_24adjacent_difference_implIS3_Lb1ELb0EPKtPtN6thrust23THRUST_200600_302600_NS4plusItEEEE10hipError_tPvRmT2_T3_mT4_P12ihipStream_tbEUlmE_tEESD_NS0_8identityIvEEEESI_SL_SM_mSN_SP_bEUlT_E_NS1_11comp_targetILNS1_3genE10ELNS1_11target_archE1200ELNS1_3gpuE4ELNS1_3repE0EEENS1_30default_config_static_selectorELNS0_4arch9wavefront6targetE1EEEvT1_.num_named_barrier, 0
	.set _ZN7rocprim17ROCPRIM_400000_NS6detail17trampoline_kernelINS0_14default_configENS1_25transform_config_selectorItLb0EEEZNS1_14transform_implILb0ES3_S5_NS0_18transform_iteratorINS0_17counting_iteratorImlEEZNS1_24adjacent_difference_implIS3_Lb1ELb0EPKtPtN6thrust23THRUST_200600_302600_NS4plusItEEEE10hipError_tPvRmT2_T3_mT4_P12ihipStream_tbEUlmE_tEESD_NS0_8identityIvEEEESI_SL_SM_mSN_SP_bEUlT_E_NS1_11comp_targetILNS1_3genE10ELNS1_11target_archE1200ELNS1_3gpuE4ELNS1_3repE0EEENS1_30default_config_static_selectorELNS0_4arch9wavefront6targetE1EEEvT1_.private_seg_size, 0
	.set _ZN7rocprim17ROCPRIM_400000_NS6detail17trampoline_kernelINS0_14default_configENS1_25transform_config_selectorItLb0EEEZNS1_14transform_implILb0ES3_S5_NS0_18transform_iteratorINS0_17counting_iteratorImlEEZNS1_24adjacent_difference_implIS3_Lb1ELb0EPKtPtN6thrust23THRUST_200600_302600_NS4plusItEEEE10hipError_tPvRmT2_T3_mT4_P12ihipStream_tbEUlmE_tEESD_NS0_8identityIvEEEESI_SL_SM_mSN_SP_bEUlT_E_NS1_11comp_targetILNS1_3genE10ELNS1_11target_archE1200ELNS1_3gpuE4ELNS1_3repE0EEENS1_30default_config_static_selectorELNS0_4arch9wavefront6targetE1EEEvT1_.uses_vcc, 0
	.set _ZN7rocprim17ROCPRIM_400000_NS6detail17trampoline_kernelINS0_14default_configENS1_25transform_config_selectorItLb0EEEZNS1_14transform_implILb0ES3_S5_NS0_18transform_iteratorINS0_17counting_iteratorImlEEZNS1_24adjacent_difference_implIS3_Lb1ELb0EPKtPtN6thrust23THRUST_200600_302600_NS4plusItEEEE10hipError_tPvRmT2_T3_mT4_P12ihipStream_tbEUlmE_tEESD_NS0_8identityIvEEEESI_SL_SM_mSN_SP_bEUlT_E_NS1_11comp_targetILNS1_3genE10ELNS1_11target_archE1200ELNS1_3gpuE4ELNS1_3repE0EEENS1_30default_config_static_selectorELNS0_4arch9wavefront6targetE1EEEvT1_.uses_flat_scratch, 0
	.set _ZN7rocprim17ROCPRIM_400000_NS6detail17trampoline_kernelINS0_14default_configENS1_25transform_config_selectorItLb0EEEZNS1_14transform_implILb0ES3_S5_NS0_18transform_iteratorINS0_17counting_iteratorImlEEZNS1_24adjacent_difference_implIS3_Lb1ELb0EPKtPtN6thrust23THRUST_200600_302600_NS4plusItEEEE10hipError_tPvRmT2_T3_mT4_P12ihipStream_tbEUlmE_tEESD_NS0_8identityIvEEEESI_SL_SM_mSN_SP_bEUlT_E_NS1_11comp_targetILNS1_3genE10ELNS1_11target_archE1200ELNS1_3gpuE4ELNS1_3repE0EEENS1_30default_config_static_selectorELNS0_4arch9wavefront6targetE1EEEvT1_.has_dyn_sized_stack, 0
	.set _ZN7rocprim17ROCPRIM_400000_NS6detail17trampoline_kernelINS0_14default_configENS1_25transform_config_selectorItLb0EEEZNS1_14transform_implILb0ES3_S5_NS0_18transform_iteratorINS0_17counting_iteratorImlEEZNS1_24adjacent_difference_implIS3_Lb1ELb0EPKtPtN6thrust23THRUST_200600_302600_NS4plusItEEEE10hipError_tPvRmT2_T3_mT4_P12ihipStream_tbEUlmE_tEESD_NS0_8identityIvEEEESI_SL_SM_mSN_SP_bEUlT_E_NS1_11comp_targetILNS1_3genE10ELNS1_11target_archE1200ELNS1_3gpuE4ELNS1_3repE0EEENS1_30default_config_static_selectorELNS0_4arch9wavefront6targetE1EEEvT1_.has_recursion, 0
	.set _ZN7rocprim17ROCPRIM_400000_NS6detail17trampoline_kernelINS0_14default_configENS1_25transform_config_selectorItLb0EEEZNS1_14transform_implILb0ES3_S5_NS0_18transform_iteratorINS0_17counting_iteratorImlEEZNS1_24adjacent_difference_implIS3_Lb1ELb0EPKtPtN6thrust23THRUST_200600_302600_NS4plusItEEEE10hipError_tPvRmT2_T3_mT4_P12ihipStream_tbEUlmE_tEESD_NS0_8identityIvEEEESI_SL_SM_mSN_SP_bEUlT_E_NS1_11comp_targetILNS1_3genE10ELNS1_11target_archE1200ELNS1_3gpuE4ELNS1_3repE0EEENS1_30default_config_static_selectorELNS0_4arch9wavefront6targetE1EEEvT1_.has_indirect_call, 0
	.section	.AMDGPU.csdata,"",@progbits
; Kernel info:
; codeLenInByte = 0
; TotalNumSgprs: 4
; NumVgprs: 0
; ScratchSize: 0
; MemoryBound: 0
; FloatMode: 240
; IeeeMode: 1
; LDSByteSize: 0 bytes/workgroup (compile time only)
; SGPRBlocks: 0
; VGPRBlocks: 0
; NumSGPRsForWavesPerEU: 4
; NumVGPRsForWavesPerEU: 1
; Occupancy: 10
; WaveLimiterHint : 0
; COMPUTE_PGM_RSRC2:SCRATCH_EN: 0
; COMPUTE_PGM_RSRC2:USER_SGPR: 6
; COMPUTE_PGM_RSRC2:TRAP_HANDLER: 0
; COMPUTE_PGM_RSRC2:TGID_X_EN: 1
; COMPUTE_PGM_RSRC2:TGID_Y_EN: 0
; COMPUTE_PGM_RSRC2:TGID_Z_EN: 0
; COMPUTE_PGM_RSRC2:TIDIG_COMP_CNT: 0
	.section	.text._ZN7rocprim17ROCPRIM_400000_NS6detail17trampoline_kernelINS0_14default_configENS1_25transform_config_selectorItLb0EEEZNS1_14transform_implILb0ES3_S5_NS0_18transform_iteratorINS0_17counting_iteratorImlEEZNS1_24adjacent_difference_implIS3_Lb1ELb0EPKtPtN6thrust23THRUST_200600_302600_NS4plusItEEEE10hipError_tPvRmT2_T3_mT4_P12ihipStream_tbEUlmE_tEESD_NS0_8identityIvEEEESI_SL_SM_mSN_SP_bEUlT_E_NS1_11comp_targetILNS1_3genE9ELNS1_11target_archE1100ELNS1_3gpuE3ELNS1_3repE0EEENS1_30default_config_static_selectorELNS0_4arch9wavefront6targetE1EEEvT1_,"axG",@progbits,_ZN7rocprim17ROCPRIM_400000_NS6detail17trampoline_kernelINS0_14default_configENS1_25transform_config_selectorItLb0EEEZNS1_14transform_implILb0ES3_S5_NS0_18transform_iteratorINS0_17counting_iteratorImlEEZNS1_24adjacent_difference_implIS3_Lb1ELb0EPKtPtN6thrust23THRUST_200600_302600_NS4plusItEEEE10hipError_tPvRmT2_T3_mT4_P12ihipStream_tbEUlmE_tEESD_NS0_8identityIvEEEESI_SL_SM_mSN_SP_bEUlT_E_NS1_11comp_targetILNS1_3genE9ELNS1_11target_archE1100ELNS1_3gpuE3ELNS1_3repE0EEENS1_30default_config_static_selectorELNS0_4arch9wavefront6targetE1EEEvT1_,comdat
	.protected	_ZN7rocprim17ROCPRIM_400000_NS6detail17trampoline_kernelINS0_14default_configENS1_25transform_config_selectorItLb0EEEZNS1_14transform_implILb0ES3_S5_NS0_18transform_iteratorINS0_17counting_iteratorImlEEZNS1_24adjacent_difference_implIS3_Lb1ELb0EPKtPtN6thrust23THRUST_200600_302600_NS4plusItEEEE10hipError_tPvRmT2_T3_mT4_P12ihipStream_tbEUlmE_tEESD_NS0_8identityIvEEEESI_SL_SM_mSN_SP_bEUlT_E_NS1_11comp_targetILNS1_3genE9ELNS1_11target_archE1100ELNS1_3gpuE3ELNS1_3repE0EEENS1_30default_config_static_selectorELNS0_4arch9wavefront6targetE1EEEvT1_ ; -- Begin function _ZN7rocprim17ROCPRIM_400000_NS6detail17trampoline_kernelINS0_14default_configENS1_25transform_config_selectorItLb0EEEZNS1_14transform_implILb0ES3_S5_NS0_18transform_iteratorINS0_17counting_iteratorImlEEZNS1_24adjacent_difference_implIS3_Lb1ELb0EPKtPtN6thrust23THRUST_200600_302600_NS4plusItEEEE10hipError_tPvRmT2_T3_mT4_P12ihipStream_tbEUlmE_tEESD_NS0_8identityIvEEEESI_SL_SM_mSN_SP_bEUlT_E_NS1_11comp_targetILNS1_3genE9ELNS1_11target_archE1100ELNS1_3gpuE3ELNS1_3repE0EEENS1_30default_config_static_selectorELNS0_4arch9wavefront6targetE1EEEvT1_
	.globl	_ZN7rocprim17ROCPRIM_400000_NS6detail17trampoline_kernelINS0_14default_configENS1_25transform_config_selectorItLb0EEEZNS1_14transform_implILb0ES3_S5_NS0_18transform_iteratorINS0_17counting_iteratorImlEEZNS1_24adjacent_difference_implIS3_Lb1ELb0EPKtPtN6thrust23THRUST_200600_302600_NS4plusItEEEE10hipError_tPvRmT2_T3_mT4_P12ihipStream_tbEUlmE_tEESD_NS0_8identityIvEEEESI_SL_SM_mSN_SP_bEUlT_E_NS1_11comp_targetILNS1_3genE9ELNS1_11target_archE1100ELNS1_3gpuE3ELNS1_3repE0EEENS1_30default_config_static_selectorELNS0_4arch9wavefront6targetE1EEEvT1_
	.p2align	8
	.type	_ZN7rocprim17ROCPRIM_400000_NS6detail17trampoline_kernelINS0_14default_configENS1_25transform_config_selectorItLb0EEEZNS1_14transform_implILb0ES3_S5_NS0_18transform_iteratorINS0_17counting_iteratorImlEEZNS1_24adjacent_difference_implIS3_Lb1ELb0EPKtPtN6thrust23THRUST_200600_302600_NS4plusItEEEE10hipError_tPvRmT2_T3_mT4_P12ihipStream_tbEUlmE_tEESD_NS0_8identityIvEEEESI_SL_SM_mSN_SP_bEUlT_E_NS1_11comp_targetILNS1_3genE9ELNS1_11target_archE1100ELNS1_3gpuE3ELNS1_3repE0EEENS1_30default_config_static_selectorELNS0_4arch9wavefront6targetE1EEEvT1_,@function
_ZN7rocprim17ROCPRIM_400000_NS6detail17trampoline_kernelINS0_14default_configENS1_25transform_config_selectorItLb0EEEZNS1_14transform_implILb0ES3_S5_NS0_18transform_iteratorINS0_17counting_iteratorImlEEZNS1_24adjacent_difference_implIS3_Lb1ELb0EPKtPtN6thrust23THRUST_200600_302600_NS4plusItEEEE10hipError_tPvRmT2_T3_mT4_P12ihipStream_tbEUlmE_tEESD_NS0_8identityIvEEEESI_SL_SM_mSN_SP_bEUlT_E_NS1_11comp_targetILNS1_3genE9ELNS1_11target_archE1100ELNS1_3gpuE3ELNS1_3repE0EEENS1_30default_config_static_selectorELNS0_4arch9wavefront6targetE1EEEvT1_: ; @_ZN7rocprim17ROCPRIM_400000_NS6detail17trampoline_kernelINS0_14default_configENS1_25transform_config_selectorItLb0EEEZNS1_14transform_implILb0ES3_S5_NS0_18transform_iteratorINS0_17counting_iteratorImlEEZNS1_24adjacent_difference_implIS3_Lb1ELb0EPKtPtN6thrust23THRUST_200600_302600_NS4plusItEEEE10hipError_tPvRmT2_T3_mT4_P12ihipStream_tbEUlmE_tEESD_NS0_8identityIvEEEESI_SL_SM_mSN_SP_bEUlT_E_NS1_11comp_targetILNS1_3genE9ELNS1_11target_archE1100ELNS1_3gpuE3ELNS1_3repE0EEENS1_30default_config_static_selectorELNS0_4arch9wavefront6targetE1EEEvT1_
; %bb.0:
	.section	.rodata,"a",@progbits
	.p2align	6, 0x0
	.amdhsa_kernel _ZN7rocprim17ROCPRIM_400000_NS6detail17trampoline_kernelINS0_14default_configENS1_25transform_config_selectorItLb0EEEZNS1_14transform_implILb0ES3_S5_NS0_18transform_iteratorINS0_17counting_iteratorImlEEZNS1_24adjacent_difference_implIS3_Lb1ELb0EPKtPtN6thrust23THRUST_200600_302600_NS4plusItEEEE10hipError_tPvRmT2_T3_mT4_P12ihipStream_tbEUlmE_tEESD_NS0_8identityIvEEEESI_SL_SM_mSN_SP_bEUlT_E_NS1_11comp_targetILNS1_3genE9ELNS1_11target_archE1100ELNS1_3gpuE3ELNS1_3repE0EEENS1_30default_config_static_selectorELNS0_4arch9wavefront6targetE1EEEvT1_
		.amdhsa_group_segment_fixed_size 0
		.amdhsa_private_segment_fixed_size 0
		.amdhsa_kernarg_size 56
		.amdhsa_user_sgpr_count 6
		.amdhsa_user_sgpr_private_segment_buffer 1
		.amdhsa_user_sgpr_dispatch_ptr 0
		.amdhsa_user_sgpr_queue_ptr 0
		.amdhsa_user_sgpr_kernarg_segment_ptr 1
		.amdhsa_user_sgpr_dispatch_id 0
		.amdhsa_user_sgpr_flat_scratch_init 0
		.amdhsa_user_sgpr_private_segment_size 0
		.amdhsa_uses_dynamic_stack 0
		.amdhsa_system_sgpr_private_segment_wavefront_offset 0
		.amdhsa_system_sgpr_workgroup_id_x 1
		.amdhsa_system_sgpr_workgroup_id_y 0
		.amdhsa_system_sgpr_workgroup_id_z 0
		.amdhsa_system_sgpr_workgroup_info 0
		.amdhsa_system_vgpr_workitem_id 0
		.amdhsa_next_free_vgpr 1
		.amdhsa_next_free_sgpr 0
		.amdhsa_reserve_vcc 0
		.amdhsa_reserve_flat_scratch 0
		.amdhsa_float_round_mode_32 0
		.amdhsa_float_round_mode_16_64 0
		.amdhsa_float_denorm_mode_32 3
		.amdhsa_float_denorm_mode_16_64 3
		.amdhsa_dx10_clamp 1
		.amdhsa_ieee_mode 1
		.amdhsa_fp16_overflow 0
		.amdhsa_exception_fp_ieee_invalid_op 0
		.amdhsa_exception_fp_denorm_src 0
		.amdhsa_exception_fp_ieee_div_zero 0
		.amdhsa_exception_fp_ieee_overflow 0
		.amdhsa_exception_fp_ieee_underflow 0
		.amdhsa_exception_fp_ieee_inexact 0
		.amdhsa_exception_int_div_zero 0
	.end_amdhsa_kernel
	.section	.text._ZN7rocprim17ROCPRIM_400000_NS6detail17trampoline_kernelINS0_14default_configENS1_25transform_config_selectorItLb0EEEZNS1_14transform_implILb0ES3_S5_NS0_18transform_iteratorINS0_17counting_iteratorImlEEZNS1_24adjacent_difference_implIS3_Lb1ELb0EPKtPtN6thrust23THRUST_200600_302600_NS4plusItEEEE10hipError_tPvRmT2_T3_mT4_P12ihipStream_tbEUlmE_tEESD_NS0_8identityIvEEEESI_SL_SM_mSN_SP_bEUlT_E_NS1_11comp_targetILNS1_3genE9ELNS1_11target_archE1100ELNS1_3gpuE3ELNS1_3repE0EEENS1_30default_config_static_selectorELNS0_4arch9wavefront6targetE1EEEvT1_,"axG",@progbits,_ZN7rocprim17ROCPRIM_400000_NS6detail17trampoline_kernelINS0_14default_configENS1_25transform_config_selectorItLb0EEEZNS1_14transform_implILb0ES3_S5_NS0_18transform_iteratorINS0_17counting_iteratorImlEEZNS1_24adjacent_difference_implIS3_Lb1ELb0EPKtPtN6thrust23THRUST_200600_302600_NS4plusItEEEE10hipError_tPvRmT2_T3_mT4_P12ihipStream_tbEUlmE_tEESD_NS0_8identityIvEEEESI_SL_SM_mSN_SP_bEUlT_E_NS1_11comp_targetILNS1_3genE9ELNS1_11target_archE1100ELNS1_3gpuE3ELNS1_3repE0EEENS1_30default_config_static_selectorELNS0_4arch9wavefront6targetE1EEEvT1_,comdat
.Lfunc_end688:
	.size	_ZN7rocprim17ROCPRIM_400000_NS6detail17trampoline_kernelINS0_14default_configENS1_25transform_config_selectorItLb0EEEZNS1_14transform_implILb0ES3_S5_NS0_18transform_iteratorINS0_17counting_iteratorImlEEZNS1_24adjacent_difference_implIS3_Lb1ELb0EPKtPtN6thrust23THRUST_200600_302600_NS4plusItEEEE10hipError_tPvRmT2_T3_mT4_P12ihipStream_tbEUlmE_tEESD_NS0_8identityIvEEEESI_SL_SM_mSN_SP_bEUlT_E_NS1_11comp_targetILNS1_3genE9ELNS1_11target_archE1100ELNS1_3gpuE3ELNS1_3repE0EEENS1_30default_config_static_selectorELNS0_4arch9wavefront6targetE1EEEvT1_, .Lfunc_end688-_ZN7rocprim17ROCPRIM_400000_NS6detail17trampoline_kernelINS0_14default_configENS1_25transform_config_selectorItLb0EEEZNS1_14transform_implILb0ES3_S5_NS0_18transform_iteratorINS0_17counting_iteratorImlEEZNS1_24adjacent_difference_implIS3_Lb1ELb0EPKtPtN6thrust23THRUST_200600_302600_NS4plusItEEEE10hipError_tPvRmT2_T3_mT4_P12ihipStream_tbEUlmE_tEESD_NS0_8identityIvEEEESI_SL_SM_mSN_SP_bEUlT_E_NS1_11comp_targetILNS1_3genE9ELNS1_11target_archE1100ELNS1_3gpuE3ELNS1_3repE0EEENS1_30default_config_static_selectorELNS0_4arch9wavefront6targetE1EEEvT1_
                                        ; -- End function
	.set _ZN7rocprim17ROCPRIM_400000_NS6detail17trampoline_kernelINS0_14default_configENS1_25transform_config_selectorItLb0EEEZNS1_14transform_implILb0ES3_S5_NS0_18transform_iteratorINS0_17counting_iteratorImlEEZNS1_24adjacent_difference_implIS3_Lb1ELb0EPKtPtN6thrust23THRUST_200600_302600_NS4plusItEEEE10hipError_tPvRmT2_T3_mT4_P12ihipStream_tbEUlmE_tEESD_NS0_8identityIvEEEESI_SL_SM_mSN_SP_bEUlT_E_NS1_11comp_targetILNS1_3genE9ELNS1_11target_archE1100ELNS1_3gpuE3ELNS1_3repE0EEENS1_30default_config_static_selectorELNS0_4arch9wavefront6targetE1EEEvT1_.num_vgpr, 0
	.set _ZN7rocprim17ROCPRIM_400000_NS6detail17trampoline_kernelINS0_14default_configENS1_25transform_config_selectorItLb0EEEZNS1_14transform_implILb0ES3_S5_NS0_18transform_iteratorINS0_17counting_iteratorImlEEZNS1_24adjacent_difference_implIS3_Lb1ELb0EPKtPtN6thrust23THRUST_200600_302600_NS4plusItEEEE10hipError_tPvRmT2_T3_mT4_P12ihipStream_tbEUlmE_tEESD_NS0_8identityIvEEEESI_SL_SM_mSN_SP_bEUlT_E_NS1_11comp_targetILNS1_3genE9ELNS1_11target_archE1100ELNS1_3gpuE3ELNS1_3repE0EEENS1_30default_config_static_selectorELNS0_4arch9wavefront6targetE1EEEvT1_.num_agpr, 0
	.set _ZN7rocprim17ROCPRIM_400000_NS6detail17trampoline_kernelINS0_14default_configENS1_25transform_config_selectorItLb0EEEZNS1_14transform_implILb0ES3_S5_NS0_18transform_iteratorINS0_17counting_iteratorImlEEZNS1_24adjacent_difference_implIS3_Lb1ELb0EPKtPtN6thrust23THRUST_200600_302600_NS4plusItEEEE10hipError_tPvRmT2_T3_mT4_P12ihipStream_tbEUlmE_tEESD_NS0_8identityIvEEEESI_SL_SM_mSN_SP_bEUlT_E_NS1_11comp_targetILNS1_3genE9ELNS1_11target_archE1100ELNS1_3gpuE3ELNS1_3repE0EEENS1_30default_config_static_selectorELNS0_4arch9wavefront6targetE1EEEvT1_.numbered_sgpr, 0
	.set _ZN7rocprim17ROCPRIM_400000_NS6detail17trampoline_kernelINS0_14default_configENS1_25transform_config_selectorItLb0EEEZNS1_14transform_implILb0ES3_S5_NS0_18transform_iteratorINS0_17counting_iteratorImlEEZNS1_24adjacent_difference_implIS3_Lb1ELb0EPKtPtN6thrust23THRUST_200600_302600_NS4plusItEEEE10hipError_tPvRmT2_T3_mT4_P12ihipStream_tbEUlmE_tEESD_NS0_8identityIvEEEESI_SL_SM_mSN_SP_bEUlT_E_NS1_11comp_targetILNS1_3genE9ELNS1_11target_archE1100ELNS1_3gpuE3ELNS1_3repE0EEENS1_30default_config_static_selectorELNS0_4arch9wavefront6targetE1EEEvT1_.num_named_barrier, 0
	.set _ZN7rocprim17ROCPRIM_400000_NS6detail17trampoline_kernelINS0_14default_configENS1_25transform_config_selectorItLb0EEEZNS1_14transform_implILb0ES3_S5_NS0_18transform_iteratorINS0_17counting_iteratorImlEEZNS1_24adjacent_difference_implIS3_Lb1ELb0EPKtPtN6thrust23THRUST_200600_302600_NS4plusItEEEE10hipError_tPvRmT2_T3_mT4_P12ihipStream_tbEUlmE_tEESD_NS0_8identityIvEEEESI_SL_SM_mSN_SP_bEUlT_E_NS1_11comp_targetILNS1_3genE9ELNS1_11target_archE1100ELNS1_3gpuE3ELNS1_3repE0EEENS1_30default_config_static_selectorELNS0_4arch9wavefront6targetE1EEEvT1_.private_seg_size, 0
	.set _ZN7rocprim17ROCPRIM_400000_NS6detail17trampoline_kernelINS0_14default_configENS1_25transform_config_selectorItLb0EEEZNS1_14transform_implILb0ES3_S5_NS0_18transform_iteratorINS0_17counting_iteratorImlEEZNS1_24adjacent_difference_implIS3_Lb1ELb0EPKtPtN6thrust23THRUST_200600_302600_NS4plusItEEEE10hipError_tPvRmT2_T3_mT4_P12ihipStream_tbEUlmE_tEESD_NS0_8identityIvEEEESI_SL_SM_mSN_SP_bEUlT_E_NS1_11comp_targetILNS1_3genE9ELNS1_11target_archE1100ELNS1_3gpuE3ELNS1_3repE0EEENS1_30default_config_static_selectorELNS0_4arch9wavefront6targetE1EEEvT1_.uses_vcc, 0
	.set _ZN7rocprim17ROCPRIM_400000_NS6detail17trampoline_kernelINS0_14default_configENS1_25transform_config_selectorItLb0EEEZNS1_14transform_implILb0ES3_S5_NS0_18transform_iteratorINS0_17counting_iteratorImlEEZNS1_24adjacent_difference_implIS3_Lb1ELb0EPKtPtN6thrust23THRUST_200600_302600_NS4plusItEEEE10hipError_tPvRmT2_T3_mT4_P12ihipStream_tbEUlmE_tEESD_NS0_8identityIvEEEESI_SL_SM_mSN_SP_bEUlT_E_NS1_11comp_targetILNS1_3genE9ELNS1_11target_archE1100ELNS1_3gpuE3ELNS1_3repE0EEENS1_30default_config_static_selectorELNS0_4arch9wavefront6targetE1EEEvT1_.uses_flat_scratch, 0
	.set _ZN7rocprim17ROCPRIM_400000_NS6detail17trampoline_kernelINS0_14default_configENS1_25transform_config_selectorItLb0EEEZNS1_14transform_implILb0ES3_S5_NS0_18transform_iteratorINS0_17counting_iteratorImlEEZNS1_24adjacent_difference_implIS3_Lb1ELb0EPKtPtN6thrust23THRUST_200600_302600_NS4plusItEEEE10hipError_tPvRmT2_T3_mT4_P12ihipStream_tbEUlmE_tEESD_NS0_8identityIvEEEESI_SL_SM_mSN_SP_bEUlT_E_NS1_11comp_targetILNS1_3genE9ELNS1_11target_archE1100ELNS1_3gpuE3ELNS1_3repE0EEENS1_30default_config_static_selectorELNS0_4arch9wavefront6targetE1EEEvT1_.has_dyn_sized_stack, 0
	.set _ZN7rocprim17ROCPRIM_400000_NS6detail17trampoline_kernelINS0_14default_configENS1_25transform_config_selectorItLb0EEEZNS1_14transform_implILb0ES3_S5_NS0_18transform_iteratorINS0_17counting_iteratorImlEEZNS1_24adjacent_difference_implIS3_Lb1ELb0EPKtPtN6thrust23THRUST_200600_302600_NS4plusItEEEE10hipError_tPvRmT2_T3_mT4_P12ihipStream_tbEUlmE_tEESD_NS0_8identityIvEEEESI_SL_SM_mSN_SP_bEUlT_E_NS1_11comp_targetILNS1_3genE9ELNS1_11target_archE1100ELNS1_3gpuE3ELNS1_3repE0EEENS1_30default_config_static_selectorELNS0_4arch9wavefront6targetE1EEEvT1_.has_recursion, 0
	.set _ZN7rocprim17ROCPRIM_400000_NS6detail17trampoline_kernelINS0_14default_configENS1_25transform_config_selectorItLb0EEEZNS1_14transform_implILb0ES3_S5_NS0_18transform_iteratorINS0_17counting_iteratorImlEEZNS1_24adjacent_difference_implIS3_Lb1ELb0EPKtPtN6thrust23THRUST_200600_302600_NS4plusItEEEE10hipError_tPvRmT2_T3_mT4_P12ihipStream_tbEUlmE_tEESD_NS0_8identityIvEEEESI_SL_SM_mSN_SP_bEUlT_E_NS1_11comp_targetILNS1_3genE9ELNS1_11target_archE1100ELNS1_3gpuE3ELNS1_3repE0EEENS1_30default_config_static_selectorELNS0_4arch9wavefront6targetE1EEEvT1_.has_indirect_call, 0
	.section	.AMDGPU.csdata,"",@progbits
; Kernel info:
; codeLenInByte = 0
; TotalNumSgprs: 4
; NumVgprs: 0
; ScratchSize: 0
; MemoryBound: 0
; FloatMode: 240
; IeeeMode: 1
; LDSByteSize: 0 bytes/workgroup (compile time only)
; SGPRBlocks: 0
; VGPRBlocks: 0
; NumSGPRsForWavesPerEU: 4
; NumVGPRsForWavesPerEU: 1
; Occupancy: 10
; WaveLimiterHint : 0
; COMPUTE_PGM_RSRC2:SCRATCH_EN: 0
; COMPUTE_PGM_RSRC2:USER_SGPR: 6
; COMPUTE_PGM_RSRC2:TRAP_HANDLER: 0
; COMPUTE_PGM_RSRC2:TGID_X_EN: 1
; COMPUTE_PGM_RSRC2:TGID_Y_EN: 0
; COMPUTE_PGM_RSRC2:TGID_Z_EN: 0
; COMPUTE_PGM_RSRC2:TIDIG_COMP_CNT: 0
	.section	.text._ZN7rocprim17ROCPRIM_400000_NS6detail17trampoline_kernelINS0_14default_configENS1_25transform_config_selectorItLb0EEEZNS1_14transform_implILb0ES3_S5_NS0_18transform_iteratorINS0_17counting_iteratorImlEEZNS1_24adjacent_difference_implIS3_Lb1ELb0EPKtPtN6thrust23THRUST_200600_302600_NS4plusItEEEE10hipError_tPvRmT2_T3_mT4_P12ihipStream_tbEUlmE_tEESD_NS0_8identityIvEEEESI_SL_SM_mSN_SP_bEUlT_E_NS1_11comp_targetILNS1_3genE8ELNS1_11target_archE1030ELNS1_3gpuE2ELNS1_3repE0EEENS1_30default_config_static_selectorELNS0_4arch9wavefront6targetE1EEEvT1_,"axG",@progbits,_ZN7rocprim17ROCPRIM_400000_NS6detail17trampoline_kernelINS0_14default_configENS1_25transform_config_selectorItLb0EEEZNS1_14transform_implILb0ES3_S5_NS0_18transform_iteratorINS0_17counting_iteratorImlEEZNS1_24adjacent_difference_implIS3_Lb1ELb0EPKtPtN6thrust23THRUST_200600_302600_NS4plusItEEEE10hipError_tPvRmT2_T3_mT4_P12ihipStream_tbEUlmE_tEESD_NS0_8identityIvEEEESI_SL_SM_mSN_SP_bEUlT_E_NS1_11comp_targetILNS1_3genE8ELNS1_11target_archE1030ELNS1_3gpuE2ELNS1_3repE0EEENS1_30default_config_static_selectorELNS0_4arch9wavefront6targetE1EEEvT1_,comdat
	.protected	_ZN7rocprim17ROCPRIM_400000_NS6detail17trampoline_kernelINS0_14default_configENS1_25transform_config_selectorItLb0EEEZNS1_14transform_implILb0ES3_S5_NS0_18transform_iteratorINS0_17counting_iteratorImlEEZNS1_24adjacent_difference_implIS3_Lb1ELb0EPKtPtN6thrust23THRUST_200600_302600_NS4plusItEEEE10hipError_tPvRmT2_T3_mT4_P12ihipStream_tbEUlmE_tEESD_NS0_8identityIvEEEESI_SL_SM_mSN_SP_bEUlT_E_NS1_11comp_targetILNS1_3genE8ELNS1_11target_archE1030ELNS1_3gpuE2ELNS1_3repE0EEENS1_30default_config_static_selectorELNS0_4arch9wavefront6targetE1EEEvT1_ ; -- Begin function _ZN7rocprim17ROCPRIM_400000_NS6detail17trampoline_kernelINS0_14default_configENS1_25transform_config_selectorItLb0EEEZNS1_14transform_implILb0ES3_S5_NS0_18transform_iteratorINS0_17counting_iteratorImlEEZNS1_24adjacent_difference_implIS3_Lb1ELb0EPKtPtN6thrust23THRUST_200600_302600_NS4plusItEEEE10hipError_tPvRmT2_T3_mT4_P12ihipStream_tbEUlmE_tEESD_NS0_8identityIvEEEESI_SL_SM_mSN_SP_bEUlT_E_NS1_11comp_targetILNS1_3genE8ELNS1_11target_archE1030ELNS1_3gpuE2ELNS1_3repE0EEENS1_30default_config_static_selectorELNS0_4arch9wavefront6targetE1EEEvT1_
	.globl	_ZN7rocprim17ROCPRIM_400000_NS6detail17trampoline_kernelINS0_14default_configENS1_25transform_config_selectorItLb0EEEZNS1_14transform_implILb0ES3_S5_NS0_18transform_iteratorINS0_17counting_iteratorImlEEZNS1_24adjacent_difference_implIS3_Lb1ELb0EPKtPtN6thrust23THRUST_200600_302600_NS4plusItEEEE10hipError_tPvRmT2_T3_mT4_P12ihipStream_tbEUlmE_tEESD_NS0_8identityIvEEEESI_SL_SM_mSN_SP_bEUlT_E_NS1_11comp_targetILNS1_3genE8ELNS1_11target_archE1030ELNS1_3gpuE2ELNS1_3repE0EEENS1_30default_config_static_selectorELNS0_4arch9wavefront6targetE1EEEvT1_
	.p2align	8
	.type	_ZN7rocprim17ROCPRIM_400000_NS6detail17trampoline_kernelINS0_14default_configENS1_25transform_config_selectorItLb0EEEZNS1_14transform_implILb0ES3_S5_NS0_18transform_iteratorINS0_17counting_iteratorImlEEZNS1_24adjacent_difference_implIS3_Lb1ELb0EPKtPtN6thrust23THRUST_200600_302600_NS4plusItEEEE10hipError_tPvRmT2_T3_mT4_P12ihipStream_tbEUlmE_tEESD_NS0_8identityIvEEEESI_SL_SM_mSN_SP_bEUlT_E_NS1_11comp_targetILNS1_3genE8ELNS1_11target_archE1030ELNS1_3gpuE2ELNS1_3repE0EEENS1_30default_config_static_selectorELNS0_4arch9wavefront6targetE1EEEvT1_,@function
_ZN7rocprim17ROCPRIM_400000_NS6detail17trampoline_kernelINS0_14default_configENS1_25transform_config_selectorItLb0EEEZNS1_14transform_implILb0ES3_S5_NS0_18transform_iteratorINS0_17counting_iteratorImlEEZNS1_24adjacent_difference_implIS3_Lb1ELb0EPKtPtN6thrust23THRUST_200600_302600_NS4plusItEEEE10hipError_tPvRmT2_T3_mT4_P12ihipStream_tbEUlmE_tEESD_NS0_8identityIvEEEESI_SL_SM_mSN_SP_bEUlT_E_NS1_11comp_targetILNS1_3genE8ELNS1_11target_archE1030ELNS1_3gpuE2ELNS1_3repE0EEENS1_30default_config_static_selectorELNS0_4arch9wavefront6targetE1EEEvT1_: ; @_ZN7rocprim17ROCPRIM_400000_NS6detail17trampoline_kernelINS0_14default_configENS1_25transform_config_selectorItLb0EEEZNS1_14transform_implILb0ES3_S5_NS0_18transform_iteratorINS0_17counting_iteratorImlEEZNS1_24adjacent_difference_implIS3_Lb1ELb0EPKtPtN6thrust23THRUST_200600_302600_NS4plusItEEEE10hipError_tPvRmT2_T3_mT4_P12ihipStream_tbEUlmE_tEESD_NS0_8identityIvEEEESI_SL_SM_mSN_SP_bEUlT_E_NS1_11comp_targetILNS1_3genE8ELNS1_11target_archE1030ELNS1_3gpuE2ELNS1_3repE0EEENS1_30default_config_static_selectorELNS0_4arch9wavefront6targetE1EEEvT1_
; %bb.0:
	.section	.rodata,"a",@progbits
	.p2align	6, 0x0
	.amdhsa_kernel _ZN7rocprim17ROCPRIM_400000_NS6detail17trampoline_kernelINS0_14default_configENS1_25transform_config_selectorItLb0EEEZNS1_14transform_implILb0ES3_S5_NS0_18transform_iteratorINS0_17counting_iteratorImlEEZNS1_24adjacent_difference_implIS3_Lb1ELb0EPKtPtN6thrust23THRUST_200600_302600_NS4plusItEEEE10hipError_tPvRmT2_T3_mT4_P12ihipStream_tbEUlmE_tEESD_NS0_8identityIvEEEESI_SL_SM_mSN_SP_bEUlT_E_NS1_11comp_targetILNS1_3genE8ELNS1_11target_archE1030ELNS1_3gpuE2ELNS1_3repE0EEENS1_30default_config_static_selectorELNS0_4arch9wavefront6targetE1EEEvT1_
		.amdhsa_group_segment_fixed_size 0
		.amdhsa_private_segment_fixed_size 0
		.amdhsa_kernarg_size 56
		.amdhsa_user_sgpr_count 6
		.amdhsa_user_sgpr_private_segment_buffer 1
		.amdhsa_user_sgpr_dispatch_ptr 0
		.amdhsa_user_sgpr_queue_ptr 0
		.amdhsa_user_sgpr_kernarg_segment_ptr 1
		.amdhsa_user_sgpr_dispatch_id 0
		.amdhsa_user_sgpr_flat_scratch_init 0
		.amdhsa_user_sgpr_private_segment_size 0
		.amdhsa_uses_dynamic_stack 0
		.amdhsa_system_sgpr_private_segment_wavefront_offset 0
		.amdhsa_system_sgpr_workgroup_id_x 1
		.amdhsa_system_sgpr_workgroup_id_y 0
		.amdhsa_system_sgpr_workgroup_id_z 0
		.amdhsa_system_sgpr_workgroup_info 0
		.amdhsa_system_vgpr_workitem_id 0
		.amdhsa_next_free_vgpr 1
		.amdhsa_next_free_sgpr 0
		.amdhsa_reserve_vcc 0
		.amdhsa_reserve_flat_scratch 0
		.amdhsa_float_round_mode_32 0
		.amdhsa_float_round_mode_16_64 0
		.amdhsa_float_denorm_mode_32 3
		.amdhsa_float_denorm_mode_16_64 3
		.amdhsa_dx10_clamp 1
		.amdhsa_ieee_mode 1
		.amdhsa_fp16_overflow 0
		.amdhsa_exception_fp_ieee_invalid_op 0
		.amdhsa_exception_fp_denorm_src 0
		.amdhsa_exception_fp_ieee_div_zero 0
		.amdhsa_exception_fp_ieee_overflow 0
		.amdhsa_exception_fp_ieee_underflow 0
		.amdhsa_exception_fp_ieee_inexact 0
		.amdhsa_exception_int_div_zero 0
	.end_amdhsa_kernel
	.section	.text._ZN7rocprim17ROCPRIM_400000_NS6detail17trampoline_kernelINS0_14default_configENS1_25transform_config_selectorItLb0EEEZNS1_14transform_implILb0ES3_S5_NS0_18transform_iteratorINS0_17counting_iteratorImlEEZNS1_24adjacent_difference_implIS3_Lb1ELb0EPKtPtN6thrust23THRUST_200600_302600_NS4plusItEEEE10hipError_tPvRmT2_T3_mT4_P12ihipStream_tbEUlmE_tEESD_NS0_8identityIvEEEESI_SL_SM_mSN_SP_bEUlT_E_NS1_11comp_targetILNS1_3genE8ELNS1_11target_archE1030ELNS1_3gpuE2ELNS1_3repE0EEENS1_30default_config_static_selectorELNS0_4arch9wavefront6targetE1EEEvT1_,"axG",@progbits,_ZN7rocprim17ROCPRIM_400000_NS6detail17trampoline_kernelINS0_14default_configENS1_25transform_config_selectorItLb0EEEZNS1_14transform_implILb0ES3_S5_NS0_18transform_iteratorINS0_17counting_iteratorImlEEZNS1_24adjacent_difference_implIS3_Lb1ELb0EPKtPtN6thrust23THRUST_200600_302600_NS4plusItEEEE10hipError_tPvRmT2_T3_mT4_P12ihipStream_tbEUlmE_tEESD_NS0_8identityIvEEEESI_SL_SM_mSN_SP_bEUlT_E_NS1_11comp_targetILNS1_3genE8ELNS1_11target_archE1030ELNS1_3gpuE2ELNS1_3repE0EEENS1_30default_config_static_selectorELNS0_4arch9wavefront6targetE1EEEvT1_,comdat
.Lfunc_end689:
	.size	_ZN7rocprim17ROCPRIM_400000_NS6detail17trampoline_kernelINS0_14default_configENS1_25transform_config_selectorItLb0EEEZNS1_14transform_implILb0ES3_S5_NS0_18transform_iteratorINS0_17counting_iteratorImlEEZNS1_24adjacent_difference_implIS3_Lb1ELb0EPKtPtN6thrust23THRUST_200600_302600_NS4plusItEEEE10hipError_tPvRmT2_T3_mT4_P12ihipStream_tbEUlmE_tEESD_NS0_8identityIvEEEESI_SL_SM_mSN_SP_bEUlT_E_NS1_11comp_targetILNS1_3genE8ELNS1_11target_archE1030ELNS1_3gpuE2ELNS1_3repE0EEENS1_30default_config_static_selectorELNS0_4arch9wavefront6targetE1EEEvT1_, .Lfunc_end689-_ZN7rocprim17ROCPRIM_400000_NS6detail17trampoline_kernelINS0_14default_configENS1_25transform_config_selectorItLb0EEEZNS1_14transform_implILb0ES3_S5_NS0_18transform_iteratorINS0_17counting_iteratorImlEEZNS1_24adjacent_difference_implIS3_Lb1ELb0EPKtPtN6thrust23THRUST_200600_302600_NS4plusItEEEE10hipError_tPvRmT2_T3_mT4_P12ihipStream_tbEUlmE_tEESD_NS0_8identityIvEEEESI_SL_SM_mSN_SP_bEUlT_E_NS1_11comp_targetILNS1_3genE8ELNS1_11target_archE1030ELNS1_3gpuE2ELNS1_3repE0EEENS1_30default_config_static_selectorELNS0_4arch9wavefront6targetE1EEEvT1_
                                        ; -- End function
	.set _ZN7rocprim17ROCPRIM_400000_NS6detail17trampoline_kernelINS0_14default_configENS1_25transform_config_selectorItLb0EEEZNS1_14transform_implILb0ES3_S5_NS0_18transform_iteratorINS0_17counting_iteratorImlEEZNS1_24adjacent_difference_implIS3_Lb1ELb0EPKtPtN6thrust23THRUST_200600_302600_NS4plusItEEEE10hipError_tPvRmT2_T3_mT4_P12ihipStream_tbEUlmE_tEESD_NS0_8identityIvEEEESI_SL_SM_mSN_SP_bEUlT_E_NS1_11comp_targetILNS1_3genE8ELNS1_11target_archE1030ELNS1_3gpuE2ELNS1_3repE0EEENS1_30default_config_static_selectorELNS0_4arch9wavefront6targetE1EEEvT1_.num_vgpr, 0
	.set _ZN7rocprim17ROCPRIM_400000_NS6detail17trampoline_kernelINS0_14default_configENS1_25transform_config_selectorItLb0EEEZNS1_14transform_implILb0ES3_S5_NS0_18transform_iteratorINS0_17counting_iteratorImlEEZNS1_24adjacent_difference_implIS3_Lb1ELb0EPKtPtN6thrust23THRUST_200600_302600_NS4plusItEEEE10hipError_tPvRmT2_T3_mT4_P12ihipStream_tbEUlmE_tEESD_NS0_8identityIvEEEESI_SL_SM_mSN_SP_bEUlT_E_NS1_11comp_targetILNS1_3genE8ELNS1_11target_archE1030ELNS1_3gpuE2ELNS1_3repE0EEENS1_30default_config_static_selectorELNS0_4arch9wavefront6targetE1EEEvT1_.num_agpr, 0
	.set _ZN7rocprim17ROCPRIM_400000_NS6detail17trampoline_kernelINS0_14default_configENS1_25transform_config_selectorItLb0EEEZNS1_14transform_implILb0ES3_S5_NS0_18transform_iteratorINS0_17counting_iteratorImlEEZNS1_24adjacent_difference_implIS3_Lb1ELb0EPKtPtN6thrust23THRUST_200600_302600_NS4plusItEEEE10hipError_tPvRmT2_T3_mT4_P12ihipStream_tbEUlmE_tEESD_NS0_8identityIvEEEESI_SL_SM_mSN_SP_bEUlT_E_NS1_11comp_targetILNS1_3genE8ELNS1_11target_archE1030ELNS1_3gpuE2ELNS1_3repE0EEENS1_30default_config_static_selectorELNS0_4arch9wavefront6targetE1EEEvT1_.numbered_sgpr, 0
	.set _ZN7rocprim17ROCPRIM_400000_NS6detail17trampoline_kernelINS0_14default_configENS1_25transform_config_selectorItLb0EEEZNS1_14transform_implILb0ES3_S5_NS0_18transform_iteratorINS0_17counting_iteratorImlEEZNS1_24adjacent_difference_implIS3_Lb1ELb0EPKtPtN6thrust23THRUST_200600_302600_NS4plusItEEEE10hipError_tPvRmT2_T3_mT4_P12ihipStream_tbEUlmE_tEESD_NS0_8identityIvEEEESI_SL_SM_mSN_SP_bEUlT_E_NS1_11comp_targetILNS1_3genE8ELNS1_11target_archE1030ELNS1_3gpuE2ELNS1_3repE0EEENS1_30default_config_static_selectorELNS0_4arch9wavefront6targetE1EEEvT1_.num_named_barrier, 0
	.set _ZN7rocprim17ROCPRIM_400000_NS6detail17trampoline_kernelINS0_14default_configENS1_25transform_config_selectorItLb0EEEZNS1_14transform_implILb0ES3_S5_NS0_18transform_iteratorINS0_17counting_iteratorImlEEZNS1_24adjacent_difference_implIS3_Lb1ELb0EPKtPtN6thrust23THRUST_200600_302600_NS4plusItEEEE10hipError_tPvRmT2_T3_mT4_P12ihipStream_tbEUlmE_tEESD_NS0_8identityIvEEEESI_SL_SM_mSN_SP_bEUlT_E_NS1_11comp_targetILNS1_3genE8ELNS1_11target_archE1030ELNS1_3gpuE2ELNS1_3repE0EEENS1_30default_config_static_selectorELNS0_4arch9wavefront6targetE1EEEvT1_.private_seg_size, 0
	.set _ZN7rocprim17ROCPRIM_400000_NS6detail17trampoline_kernelINS0_14default_configENS1_25transform_config_selectorItLb0EEEZNS1_14transform_implILb0ES3_S5_NS0_18transform_iteratorINS0_17counting_iteratorImlEEZNS1_24adjacent_difference_implIS3_Lb1ELb0EPKtPtN6thrust23THRUST_200600_302600_NS4plusItEEEE10hipError_tPvRmT2_T3_mT4_P12ihipStream_tbEUlmE_tEESD_NS0_8identityIvEEEESI_SL_SM_mSN_SP_bEUlT_E_NS1_11comp_targetILNS1_3genE8ELNS1_11target_archE1030ELNS1_3gpuE2ELNS1_3repE0EEENS1_30default_config_static_selectorELNS0_4arch9wavefront6targetE1EEEvT1_.uses_vcc, 0
	.set _ZN7rocprim17ROCPRIM_400000_NS6detail17trampoline_kernelINS0_14default_configENS1_25transform_config_selectorItLb0EEEZNS1_14transform_implILb0ES3_S5_NS0_18transform_iteratorINS0_17counting_iteratorImlEEZNS1_24adjacent_difference_implIS3_Lb1ELb0EPKtPtN6thrust23THRUST_200600_302600_NS4plusItEEEE10hipError_tPvRmT2_T3_mT4_P12ihipStream_tbEUlmE_tEESD_NS0_8identityIvEEEESI_SL_SM_mSN_SP_bEUlT_E_NS1_11comp_targetILNS1_3genE8ELNS1_11target_archE1030ELNS1_3gpuE2ELNS1_3repE0EEENS1_30default_config_static_selectorELNS0_4arch9wavefront6targetE1EEEvT1_.uses_flat_scratch, 0
	.set _ZN7rocprim17ROCPRIM_400000_NS6detail17trampoline_kernelINS0_14default_configENS1_25transform_config_selectorItLb0EEEZNS1_14transform_implILb0ES3_S5_NS0_18transform_iteratorINS0_17counting_iteratorImlEEZNS1_24adjacent_difference_implIS3_Lb1ELb0EPKtPtN6thrust23THRUST_200600_302600_NS4plusItEEEE10hipError_tPvRmT2_T3_mT4_P12ihipStream_tbEUlmE_tEESD_NS0_8identityIvEEEESI_SL_SM_mSN_SP_bEUlT_E_NS1_11comp_targetILNS1_3genE8ELNS1_11target_archE1030ELNS1_3gpuE2ELNS1_3repE0EEENS1_30default_config_static_selectorELNS0_4arch9wavefront6targetE1EEEvT1_.has_dyn_sized_stack, 0
	.set _ZN7rocprim17ROCPRIM_400000_NS6detail17trampoline_kernelINS0_14default_configENS1_25transform_config_selectorItLb0EEEZNS1_14transform_implILb0ES3_S5_NS0_18transform_iteratorINS0_17counting_iteratorImlEEZNS1_24adjacent_difference_implIS3_Lb1ELb0EPKtPtN6thrust23THRUST_200600_302600_NS4plusItEEEE10hipError_tPvRmT2_T3_mT4_P12ihipStream_tbEUlmE_tEESD_NS0_8identityIvEEEESI_SL_SM_mSN_SP_bEUlT_E_NS1_11comp_targetILNS1_3genE8ELNS1_11target_archE1030ELNS1_3gpuE2ELNS1_3repE0EEENS1_30default_config_static_selectorELNS0_4arch9wavefront6targetE1EEEvT1_.has_recursion, 0
	.set _ZN7rocprim17ROCPRIM_400000_NS6detail17trampoline_kernelINS0_14default_configENS1_25transform_config_selectorItLb0EEEZNS1_14transform_implILb0ES3_S5_NS0_18transform_iteratorINS0_17counting_iteratorImlEEZNS1_24adjacent_difference_implIS3_Lb1ELb0EPKtPtN6thrust23THRUST_200600_302600_NS4plusItEEEE10hipError_tPvRmT2_T3_mT4_P12ihipStream_tbEUlmE_tEESD_NS0_8identityIvEEEESI_SL_SM_mSN_SP_bEUlT_E_NS1_11comp_targetILNS1_3genE8ELNS1_11target_archE1030ELNS1_3gpuE2ELNS1_3repE0EEENS1_30default_config_static_selectorELNS0_4arch9wavefront6targetE1EEEvT1_.has_indirect_call, 0
	.section	.AMDGPU.csdata,"",@progbits
; Kernel info:
; codeLenInByte = 0
; TotalNumSgprs: 4
; NumVgprs: 0
; ScratchSize: 0
; MemoryBound: 0
; FloatMode: 240
; IeeeMode: 1
; LDSByteSize: 0 bytes/workgroup (compile time only)
; SGPRBlocks: 0
; VGPRBlocks: 0
; NumSGPRsForWavesPerEU: 4
; NumVGPRsForWavesPerEU: 1
; Occupancy: 10
; WaveLimiterHint : 0
; COMPUTE_PGM_RSRC2:SCRATCH_EN: 0
; COMPUTE_PGM_RSRC2:USER_SGPR: 6
; COMPUTE_PGM_RSRC2:TRAP_HANDLER: 0
; COMPUTE_PGM_RSRC2:TGID_X_EN: 1
; COMPUTE_PGM_RSRC2:TGID_Y_EN: 0
; COMPUTE_PGM_RSRC2:TGID_Z_EN: 0
; COMPUTE_PGM_RSRC2:TIDIG_COMP_CNT: 0
	.section	.text._ZN7rocprim17ROCPRIM_400000_NS6detail17trampoline_kernelINS0_14default_configENS1_35adjacent_difference_config_selectorILb1EtEEZNS1_24adjacent_difference_implIS3_Lb1ELb0EPKtPtN6thrust23THRUST_200600_302600_NS4plusItEEEE10hipError_tPvRmT2_T3_mT4_P12ihipStream_tbEUlT_E_NS1_11comp_targetILNS1_3genE0ELNS1_11target_archE4294967295ELNS1_3gpuE0ELNS1_3repE0EEENS1_30default_config_static_selectorELNS0_4arch9wavefront6targetE1EEEvT1_,"axG",@progbits,_ZN7rocprim17ROCPRIM_400000_NS6detail17trampoline_kernelINS0_14default_configENS1_35adjacent_difference_config_selectorILb1EtEEZNS1_24adjacent_difference_implIS3_Lb1ELb0EPKtPtN6thrust23THRUST_200600_302600_NS4plusItEEEE10hipError_tPvRmT2_T3_mT4_P12ihipStream_tbEUlT_E_NS1_11comp_targetILNS1_3genE0ELNS1_11target_archE4294967295ELNS1_3gpuE0ELNS1_3repE0EEENS1_30default_config_static_selectorELNS0_4arch9wavefront6targetE1EEEvT1_,comdat
	.protected	_ZN7rocprim17ROCPRIM_400000_NS6detail17trampoline_kernelINS0_14default_configENS1_35adjacent_difference_config_selectorILb1EtEEZNS1_24adjacent_difference_implIS3_Lb1ELb0EPKtPtN6thrust23THRUST_200600_302600_NS4plusItEEEE10hipError_tPvRmT2_T3_mT4_P12ihipStream_tbEUlT_E_NS1_11comp_targetILNS1_3genE0ELNS1_11target_archE4294967295ELNS1_3gpuE0ELNS1_3repE0EEENS1_30default_config_static_selectorELNS0_4arch9wavefront6targetE1EEEvT1_ ; -- Begin function _ZN7rocprim17ROCPRIM_400000_NS6detail17trampoline_kernelINS0_14default_configENS1_35adjacent_difference_config_selectorILb1EtEEZNS1_24adjacent_difference_implIS3_Lb1ELb0EPKtPtN6thrust23THRUST_200600_302600_NS4plusItEEEE10hipError_tPvRmT2_T3_mT4_P12ihipStream_tbEUlT_E_NS1_11comp_targetILNS1_3genE0ELNS1_11target_archE4294967295ELNS1_3gpuE0ELNS1_3repE0EEENS1_30default_config_static_selectorELNS0_4arch9wavefront6targetE1EEEvT1_
	.globl	_ZN7rocprim17ROCPRIM_400000_NS6detail17trampoline_kernelINS0_14default_configENS1_35adjacent_difference_config_selectorILb1EtEEZNS1_24adjacent_difference_implIS3_Lb1ELb0EPKtPtN6thrust23THRUST_200600_302600_NS4plusItEEEE10hipError_tPvRmT2_T3_mT4_P12ihipStream_tbEUlT_E_NS1_11comp_targetILNS1_3genE0ELNS1_11target_archE4294967295ELNS1_3gpuE0ELNS1_3repE0EEENS1_30default_config_static_selectorELNS0_4arch9wavefront6targetE1EEEvT1_
	.p2align	8
	.type	_ZN7rocprim17ROCPRIM_400000_NS6detail17trampoline_kernelINS0_14default_configENS1_35adjacent_difference_config_selectorILb1EtEEZNS1_24adjacent_difference_implIS3_Lb1ELb0EPKtPtN6thrust23THRUST_200600_302600_NS4plusItEEEE10hipError_tPvRmT2_T3_mT4_P12ihipStream_tbEUlT_E_NS1_11comp_targetILNS1_3genE0ELNS1_11target_archE4294967295ELNS1_3gpuE0ELNS1_3repE0EEENS1_30default_config_static_selectorELNS0_4arch9wavefront6targetE1EEEvT1_,@function
_ZN7rocprim17ROCPRIM_400000_NS6detail17trampoline_kernelINS0_14default_configENS1_35adjacent_difference_config_selectorILb1EtEEZNS1_24adjacent_difference_implIS3_Lb1ELb0EPKtPtN6thrust23THRUST_200600_302600_NS4plusItEEEE10hipError_tPvRmT2_T3_mT4_P12ihipStream_tbEUlT_E_NS1_11comp_targetILNS1_3genE0ELNS1_11target_archE4294967295ELNS1_3gpuE0ELNS1_3repE0EEENS1_30default_config_static_selectorELNS0_4arch9wavefront6targetE1EEEvT1_: ; @_ZN7rocprim17ROCPRIM_400000_NS6detail17trampoline_kernelINS0_14default_configENS1_35adjacent_difference_config_selectorILb1EtEEZNS1_24adjacent_difference_implIS3_Lb1ELb0EPKtPtN6thrust23THRUST_200600_302600_NS4plusItEEEE10hipError_tPvRmT2_T3_mT4_P12ihipStream_tbEUlT_E_NS1_11comp_targetILNS1_3genE0ELNS1_11target_archE4294967295ELNS1_3gpuE0ELNS1_3repE0EEENS1_30default_config_static_selectorELNS0_4arch9wavefront6targetE1EEEvT1_
; %bb.0:
	.section	.rodata,"a",@progbits
	.p2align	6, 0x0
	.amdhsa_kernel _ZN7rocprim17ROCPRIM_400000_NS6detail17trampoline_kernelINS0_14default_configENS1_35adjacent_difference_config_selectorILb1EtEEZNS1_24adjacent_difference_implIS3_Lb1ELb0EPKtPtN6thrust23THRUST_200600_302600_NS4plusItEEEE10hipError_tPvRmT2_T3_mT4_P12ihipStream_tbEUlT_E_NS1_11comp_targetILNS1_3genE0ELNS1_11target_archE4294967295ELNS1_3gpuE0ELNS1_3repE0EEENS1_30default_config_static_selectorELNS0_4arch9wavefront6targetE1EEEvT1_
		.amdhsa_group_segment_fixed_size 0
		.amdhsa_private_segment_fixed_size 0
		.amdhsa_kernarg_size 56
		.amdhsa_user_sgpr_count 6
		.amdhsa_user_sgpr_private_segment_buffer 1
		.amdhsa_user_sgpr_dispatch_ptr 0
		.amdhsa_user_sgpr_queue_ptr 0
		.amdhsa_user_sgpr_kernarg_segment_ptr 1
		.amdhsa_user_sgpr_dispatch_id 0
		.amdhsa_user_sgpr_flat_scratch_init 0
		.amdhsa_user_sgpr_private_segment_size 0
		.amdhsa_uses_dynamic_stack 0
		.amdhsa_system_sgpr_private_segment_wavefront_offset 0
		.amdhsa_system_sgpr_workgroup_id_x 1
		.amdhsa_system_sgpr_workgroup_id_y 0
		.amdhsa_system_sgpr_workgroup_id_z 0
		.amdhsa_system_sgpr_workgroup_info 0
		.amdhsa_system_vgpr_workitem_id 0
		.amdhsa_next_free_vgpr 1
		.amdhsa_next_free_sgpr 0
		.amdhsa_reserve_vcc 0
		.amdhsa_reserve_flat_scratch 0
		.amdhsa_float_round_mode_32 0
		.amdhsa_float_round_mode_16_64 0
		.amdhsa_float_denorm_mode_32 3
		.amdhsa_float_denorm_mode_16_64 3
		.amdhsa_dx10_clamp 1
		.amdhsa_ieee_mode 1
		.amdhsa_fp16_overflow 0
		.amdhsa_exception_fp_ieee_invalid_op 0
		.amdhsa_exception_fp_denorm_src 0
		.amdhsa_exception_fp_ieee_div_zero 0
		.amdhsa_exception_fp_ieee_overflow 0
		.amdhsa_exception_fp_ieee_underflow 0
		.amdhsa_exception_fp_ieee_inexact 0
		.amdhsa_exception_int_div_zero 0
	.end_amdhsa_kernel
	.section	.text._ZN7rocprim17ROCPRIM_400000_NS6detail17trampoline_kernelINS0_14default_configENS1_35adjacent_difference_config_selectorILb1EtEEZNS1_24adjacent_difference_implIS3_Lb1ELb0EPKtPtN6thrust23THRUST_200600_302600_NS4plusItEEEE10hipError_tPvRmT2_T3_mT4_P12ihipStream_tbEUlT_E_NS1_11comp_targetILNS1_3genE0ELNS1_11target_archE4294967295ELNS1_3gpuE0ELNS1_3repE0EEENS1_30default_config_static_selectorELNS0_4arch9wavefront6targetE1EEEvT1_,"axG",@progbits,_ZN7rocprim17ROCPRIM_400000_NS6detail17trampoline_kernelINS0_14default_configENS1_35adjacent_difference_config_selectorILb1EtEEZNS1_24adjacent_difference_implIS3_Lb1ELb0EPKtPtN6thrust23THRUST_200600_302600_NS4plusItEEEE10hipError_tPvRmT2_T3_mT4_P12ihipStream_tbEUlT_E_NS1_11comp_targetILNS1_3genE0ELNS1_11target_archE4294967295ELNS1_3gpuE0ELNS1_3repE0EEENS1_30default_config_static_selectorELNS0_4arch9wavefront6targetE1EEEvT1_,comdat
.Lfunc_end690:
	.size	_ZN7rocprim17ROCPRIM_400000_NS6detail17trampoline_kernelINS0_14default_configENS1_35adjacent_difference_config_selectorILb1EtEEZNS1_24adjacent_difference_implIS3_Lb1ELb0EPKtPtN6thrust23THRUST_200600_302600_NS4plusItEEEE10hipError_tPvRmT2_T3_mT4_P12ihipStream_tbEUlT_E_NS1_11comp_targetILNS1_3genE0ELNS1_11target_archE4294967295ELNS1_3gpuE0ELNS1_3repE0EEENS1_30default_config_static_selectorELNS0_4arch9wavefront6targetE1EEEvT1_, .Lfunc_end690-_ZN7rocprim17ROCPRIM_400000_NS6detail17trampoline_kernelINS0_14default_configENS1_35adjacent_difference_config_selectorILb1EtEEZNS1_24adjacent_difference_implIS3_Lb1ELb0EPKtPtN6thrust23THRUST_200600_302600_NS4plusItEEEE10hipError_tPvRmT2_T3_mT4_P12ihipStream_tbEUlT_E_NS1_11comp_targetILNS1_3genE0ELNS1_11target_archE4294967295ELNS1_3gpuE0ELNS1_3repE0EEENS1_30default_config_static_selectorELNS0_4arch9wavefront6targetE1EEEvT1_
                                        ; -- End function
	.set _ZN7rocprim17ROCPRIM_400000_NS6detail17trampoline_kernelINS0_14default_configENS1_35adjacent_difference_config_selectorILb1EtEEZNS1_24adjacent_difference_implIS3_Lb1ELb0EPKtPtN6thrust23THRUST_200600_302600_NS4plusItEEEE10hipError_tPvRmT2_T3_mT4_P12ihipStream_tbEUlT_E_NS1_11comp_targetILNS1_3genE0ELNS1_11target_archE4294967295ELNS1_3gpuE0ELNS1_3repE0EEENS1_30default_config_static_selectorELNS0_4arch9wavefront6targetE1EEEvT1_.num_vgpr, 0
	.set _ZN7rocprim17ROCPRIM_400000_NS6detail17trampoline_kernelINS0_14default_configENS1_35adjacent_difference_config_selectorILb1EtEEZNS1_24adjacent_difference_implIS3_Lb1ELb0EPKtPtN6thrust23THRUST_200600_302600_NS4plusItEEEE10hipError_tPvRmT2_T3_mT4_P12ihipStream_tbEUlT_E_NS1_11comp_targetILNS1_3genE0ELNS1_11target_archE4294967295ELNS1_3gpuE0ELNS1_3repE0EEENS1_30default_config_static_selectorELNS0_4arch9wavefront6targetE1EEEvT1_.num_agpr, 0
	.set _ZN7rocprim17ROCPRIM_400000_NS6detail17trampoline_kernelINS0_14default_configENS1_35adjacent_difference_config_selectorILb1EtEEZNS1_24adjacent_difference_implIS3_Lb1ELb0EPKtPtN6thrust23THRUST_200600_302600_NS4plusItEEEE10hipError_tPvRmT2_T3_mT4_P12ihipStream_tbEUlT_E_NS1_11comp_targetILNS1_3genE0ELNS1_11target_archE4294967295ELNS1_3gpuE0ELNS1_3repE0EEENS1_30default_config_static_selectorELNS0_4arch9wavefront6targetE1EEEvT1_.numbered_sgpr, 0
	.set _ZN7rocprim17ROCPRIM_400000_NS6detail17trampoline_kernelINS0_14default_configENS1_35adjacent_difference_config_selectorILb1EtEEZNS1_24adjacent_difference_implIS3_Lb1ELb0EPKtPtN6thrust23THRUST_200600_302600_NS4plusItEEEE10hipError_tPvRmT2_T3_mT4_P12ihipStream_tbEUlT_E_NS1_11comp_targetILNS1_3genE0ELNS1_11target_archE4294967295ELNS1_3gpuE0ELNS1_3repE0EEENS1_30default_config_static_selectorELNS0_4arch9wavefront6targetE1EEEvT1_.num_named_barrier, 0
	.set _ZN7rocprim17ROCPRIM_400000_NS6detail17trampoline_kernelINS0_14default_configENS1_35adjacent_difference_config_selectorILb1EtEEZNS1_24adjacent_difference_implIS3_Lb1ELb0EPKtPtN6thrust23THRUST_200600_302600_NS4plusItEEEE10hipError_tPvRmT2_T3_mT4_P12ihipStream_tbEUlT_E_NS1_11comp_targetILNS1_3genE0ELNS1_11target_archE4294967295ELNS1_3gpuE0ELNS1_3repE0EEENS1_30default_config_static_selectorELNS0_4arch9wavefront6targetE1EEEvT1_.private_seg_size, 0
	.set _ZN7rocprim17ROCPRIM_400000_NS6detail17trampoline_kernelINS0_14default_configENS1_35adjacent_difference_config_selectorILb1EtEEZNS1_24adjacent_difference_implIS3_Lb1ELb0EPKtPtN6thrust23THRUST_200600_302600_NS4plusItEEEE10hipError_tPvRmT2_T3_mT4_P12ihipStream_tbEUlT_E_NS1_11comp_targetILNS1_3genE0ELNS1_11target_archE4294967295ELNS1_3gpuE0ELNS1_3repE0EEENS1_30default_config_static_selectorELNS0_4arch9wavefront6targetE1EEEvT1_.uses_vcc, 0
	.set _ZN7rocprim17ROCPRIM_400000_NS6detail17trampoline_kernelINS0_14default_configENS1_35adjacent_difference_config_selectorILb1EtEEZNS1_24adjacent_difference_implIS3_Lb1ELb0EPKtPtN6thrust23THRUST_200600_302600_NS4plusItEEEE10hipError_tPvRmT2_T3_mT4_P12ihipStream_tbEUlT_E_NS1_11comp_targetILNS1_3genE0ELNS1_11target_archE4294967295ELNS1_3gpuE0ELNS1_3repE0EEENS1_30default_config_static_selectorELNS0_4arch9wavefront6targetE1EEEvT1_.uses_flat_scratch, 0
	.set _ZN7rocprim17ROCPRIM_400000_NS6detail17trampoline_kernelINS0_14default_configENS1_35adjacent_difference_config_selectorILb1EtEEZNS1_24adjacent_difference_implIS3_Lb1ELb0EPKtPtN6thrust23THRUST_200600_302600_NS4plusItEEEE10hipError_tPvRmT2_T3_mT4_P12ihipStream_tbEUlT_E_NS1_11comp_targetILNS1_3genE0ELNS1_11target_archE4294967295ELNS1_3gpuE0ELNS1_3repE0EEENS1_30default_config_static_selectorELNS0_4arch9wavefront6targetE1EEEvT1_.has_dyn_sized_stack, 0
	.set _ZN7rocprim17ROCPRIM_400000_NS6detail17trampoline_kernelINS0_14default_configENS1_35adjacent_difference_config_selectorILb1EtEEZNS1_24adjacent_difference_implIS3_Lb1ELb0EPKtPtN6thrust23THRUST_200600_302600_NS4plusItEEEE10hipError_tPvRmT2_T3_mT4_P12ihipStream_tbEUlT_E_NS1_11comp_targetILNS1_3genE0ELNS1_11target_archE4294967295ELNS1_3gpuE0ELNS1_3repE0EEENS1_30default_config_static_selectorELNS0_4arch9wavefront6targetE1EEEvT1_.has_recursion, 0
	.set _ZN7rocprim17ROCPRIM_400000_NS6detail17trampoline_kernelINS0_14default_configENS1_35adjacent_difference_config_selectorILb1EtEEZNS1_24adjacent_difference_implIS3_Lb1ELb0EPKtPtN6thrust23THRUST_200600_302600_NS4plusItEEEE10hipError_tPvRmT2_T3_mT4_P12ihipStream_tbEUlT_E_NS1_11comp_targetILNS1_3genE0ELNS1_11target_archE4294967295ELNS1_3gpuE0ELNS1_3repE0EEENS1_30default_config_static_selectorELNS0_4arch9wavefront6targetE1EEEvT1_.has_indirect_call, 0
	.section	.AMDGPU.csdata,"",@progbits
; Kernel info:
; codeLenInByte = 0
; TotalNumSgprs: 4
; NumVgprs: 0
; ScratchSize: 0
; MemoryBound: 0
; FloatMode: 240
; IeeeMode: 1
; LDSByteSize: 0 bytes/workgroup (compile time only)
; SGPRBlocks: 0
; VGPRBlocks: 0
; NumSGPRsForWavesPerEU: 4
; NumVGPRsForWavesPerEU: 1
; Occupancy: 10
; WaveLimiterHint : 0
; COMPUTE_PGM_RSRC2:SCRATCH_EN: 0
; COMPUTE_PGM_RSRC2:USER_SGPR: 6
; COMPUTE_PGM_RSRC2:TRAP_HANDLER: 0
; COMPUTE_PGM_RSRC2:TGID_X_EN: 1
; COMPUTE_PGM_RSRC2:TGID_Y_EN: 0
; COMPUTE_PGM_RSRC2:TGID_Z_EN: 0
; COMPUTE_PGM_RSRC2:TIDIG_COMP_CNT: 0
	.section	.text._ZN7rocprim17ROCPRIM_400000_NS6detail17trampoline_kernelINS0_14default_configENS1_35adjacent_difference_config_selectorILb1EtEEZNS1_24adjacent_difference_implIS3_Lb1ELb0EPKtPtN6thrust23THRUST_200600_302600_NS4plusItEEEE10hipError_tPvRmT2_T3_mT4_P12ihipStream_tbEUlT_E_NS1_11comp_targetILNS1_3genE10ELNS1_11target_archE1201ELNS1_3gpuE5ELNS1_3repE0EEENS1_30default_config_static_selectorELNS0_4arch9wavefront6targetE1EEEvT1_,"axG",@progbits,_ZN7rocprim17ROCPRIM_400000_NS6detail17trampoline_kernelINS0_14default_configENS1_35adjacent_difference_config_selectorILb1EtEEZNS1_24adjacent_difference_implIS3_Lb1ELb0EPKtPtN6thrust23THRUST_200600_302600_NS4plusItEEEE10hipError_tPvRmT2_T3_mT4_P12ihipStream_tbEUlT_E_NS1_11comp_targetILNS1_3genE10ELNS1_11target_archE1201ELNS1_3gpuE5ELNS1_3repE0EEENS1_30default_config_static_selectorELNS0_4arch9wavefront6targetE1EEEvT1_,comdat
	.protected	_ZN7rocprim17ROCPRIM_400000_NS6detail17trampoline_kernelINS0_14default_configENS1_35adjacent_difference_config_selectorILb1EtEEZNS1_24adjacent_difference_implIS3_Lb1ELb0EPKtPtN6thrust23THRUST_200600_302600_NS4plusItEEEE10hipError_tPvRmT2_T3_mT4_P12ihipStream_tbEUlT_E_NS1_11comp_targetILNS1_3genE10ELNS1_11target_archE1201ELNS1_3gpuE5ELNS1_3repE0EEENS1_30default_config_static_selectorELNS0_4arch9wavefront6targetE1EEEvT1_ ; -- Begin function _ZN7rocprim17ROCPRIM_400000_NS6detail17trampoline_kernelINS0_14default_configENS1_35adjacent_difference_config_selectorILb1EtEEZNS1_24adjacent_difference_implIS3_Lb1ELb0EPKtPtN6thrust23THRUST_200600_302600_NS4plusItEEEE10hipError_tPvRmT2_T3_mT4_P12ihipStream_tbEUlT_E_NS1_11comp_targetILNS1_3genE10ELNS1_11target_archE1201ELNS1_3gpuE5ELNS1_3repE0EEENS1_30default_config_static_selectorELNS0_4arch9wavefront6targetE1EEEvT1_
	.globl	_ZN7rocprim17ROCPRIM_400000_NS6detail17trampoline_kernelINS0_14default_configENS1_35adjacent_difference_config_selectorILb1EtEEZNS1_24adjacent_difference_implIS3_Lb1ELb0EPKtPtN6thrust23THRUST_200600_302600_NS4plusItEEEE10hipError_tPvRmT2_T3_mT4_P12ihipStream_tbEUlT_E_NS1_11comp_targetILNS1_3genE10ELNS1_11target_archE1201ELNS1_3gpuE5ELNS1_3repE0EEENS1_30default_config_static_selectorELNS0_4arch9wavefront6targetE1EEEvT1_
	.p2align	8
	.type	_ZN7rocprim17ROCPRIM_400000_NS6detail17trampoline_kernelINS0_14default_configENS1_35adjacent_difference_config_selectorILb1EtEEZNS1_24adjacent_difference_implIS3_Lb1ELb0EPKtPtN6thrust23THRUST_200600_302600_NS4plusItEEEE10hipError_tPvRmT2_T3_mT4_P12ihipStream_tbEUlT_E_NS1_11comp_targetILNS1_3genE10ELNS1_11target_archE1201ELNS1_3gpuE5ELNS1_3repE0EEENS1_30default_config_static_selectorELNS0_4arch9wavefront6targetE1EEEvT1_,@function
_ZN7rocprim17ROCPRIM_400000_NS6detail17trampoline_kernelINS0_14default_configENS1_35adjacent_difference_config_selectorILb1EtEEZNS1_24adjacent_difference_implIS3_Lb1ELb0EPKtPtN6thrust23THRUST_200600_302600_NS4plusItEEEE10hipError_tPvRmT2_T3_mT4_P12ihipStream_tbEUlT_E_NS1_11comp_targetILNS1_3genE10ELNS1_11target_archE1201ELNS1_3gpuE5ELNS1_3repE0EEENS1_30default_config_static_selectorELNS0_4arch9wavefront6targetE1EEEvT1_: ; @_ZN7rocprim17ROCPRIM_400000_NS6detail17trampoline_kernelINS0_14default_configENS1_35adjacent_difference_config_selectorILb1EtEEZNS1_24adjacent_difference_implIS3_Lb1ELb0EPKtPtN6thrust23THRUST_200600_302600_NS4plusItEEEE10hipError_tPvRmT2_T3_mT4_P12ihipStream_tbEUlT_E_NS1_11comp_targetILNS1_3genE10ELNS1_11target_archE1201ELNS1_3gpuE5ELNS1_3repE0EEENS1_30default_config_static_selectorELNS0_4arch9wavefront6targetE1EEEvT1_
; %bb.0:
	.section	.rodata,"a",@progbits
	.p2align	6, 0x0
	.amdhsa_kernel _ZN7rocprim17ROCPRIM_400000_NS6detail17trampoline_kernelINS0_14default_configENS1_35adjacent_difference_config_selectorILb1EtEEZNS1_24adjacent_difference_implIS3_Lb1ELb0EPKtPtN6thrust23THRUST_200600_302600_NS4plusItEEEE10hipError_tPvRmT2_T3_mT4_P12ihipStream_tbEUlT_E_NS1_11comp_targetILNS1_3genE10ELNS1_11target_archE1201ELNS1_3gpuE5ELNS1_3repE0EEENS1_30default_config_static_selectorELNS0_4arch9wavefront6targetE1EEEvT1_
		.amdhsa_group_segment_fixed_size 0
		.amdhsa_private_segment_fixed_size 0
		.amdhsa_kernarg_size 56
		.amdhsa_user_sgpr_count 6
		.amdhsa_user_sgpr_private_segment_buffer 1
		.amdhsa_user_sgpr_dispatch_ptr 0
		.amdhsa_user_sgpr_queue_ptr 0
		.amdhsa_user_sgpr_kernarg_segment_ptr 1
		.amdhsa_user_sgpr_dispatch_id 0
		.amdhsa_user_sgpr_flat_scratch_init 0
		.amdhsa_user_sgpr_private_segment_size 0
		.amdhsa_uses_dynamic_stack 0
		.amdhsa_system_sgpr_private_segment_wavefront_offset 0
		.amdhsa_system_sgpr_workgroup_id_x 1
		.amdhsa_system_sgpr_workgroup_id_y 0
		.amdhsa_system_sgpr_workgroup_id_z 0
		.amdhsa_system_sgpr_workgroup_info 0
		.amdhsa_system_vgpr_workitem_id 0
		.amdhsa_next_free_vgpr 1
		.amdhsa_next_free_sgpr 0
		.amdhsa_reserve_vcc 0
		.amdhsa_reserve_flat_scratch 0
		.amdhsa_float_round_mode_32 0
		.amdhsa_float_round_mode_16_64 0
		.amdhsa_float_denorm_mode_32 3
		.amdhsa_float_denorm_mode_16_64 3
		.amdhsa_dx10_clamp 1
		.amdhsa_ieee_mode 1
		.amdhsa_fp16_overflow 0
		.amdhsa_exception_fp_ieee_invalid_op 0
		.amdhsa_exception_fp_denorm_src 0
		.amdhsa_exception_fp_ieee_div_zero 0
		.amdhsa_exception_fp_ieee_overflow 0
		.amdhsa_exception_fp_ieee_underflow 0
		.amdhsa_exception_fp_ieee_inexact 0
		.amdhsa_exception_int_div_zero 0
	.end_amdhsa_kernel
	.section	.text._ZN7rocprim17ROCPRIM_400000_NS6detail17trampoline_kernelINS0_14default_configENS1_35adjacent_difference_config_selectorILb1EtEEZNS1_24adjacent_difference_implIS3_Lb1ELb0EPKtPtN6thrust23THRUST_200600_302600_NS4plusItEEEE10hipError_tPvRmT2_T3_mT4_P12ihipStream_tbEUlT_E_NS1_11comp_targetILNS1_3genE10ELNS1_11target_archE1201ELNS1_3gpuE5ELNS1_3repE0EEENS1_30default_config_static_selectorELNS0_4arch9wavefront6targetE1EEEvT1_,"axG",@progbits,_ZN7rocprim17ROCPRIM_400000_NS6detail17trampoline_kernelINS0_14default_configENS1_35adjacent_difference_config_selectorILb1EtEEZNS1_24adjacent_difference_implIS3_Lb1ELb0EPKtPtN6thrust23THRUST_200600_302600_NS4plusItEEEE10hipError_tPvRmT2_T3_mT4_P12ihipStream_tbEUlT_E_NS1_11comp_targetILNS1_3genE10ELNS1_11target_archE1201ELNS1_3gpuE5ELNS1_3repE0EEENS1_30default_config_static_selectorELNS0_4arch9wavefront6targetE1EEEvT1_,comdat
.Lfunc_end691:
	.size	_ZN7rocprim17ROCPRIM_400000_NS6detail17trampoline_kernelINS0_14default_configENS1_35adjacent_difference_config_selectorILb1EtEEZNS1_24adjacent_difference_implIS3_Lb1ELb0EPKtPtN6thrust23THRUST_200600_302600_NS4plusItEEEE10hipError_tPvRmT2_T3_mT4_P12ihipStream_tbEUlT_E_NS1_11comp_targetILNS1_3genE10ELNS1_11target_archE1201ELNS1_3gpuE5ELNS1_3repE0EEENS1_30default_config_static_selectorELNS0_4arch9wavefront6targetE1EEEvT1_, .Lfunc_end691-_ZN7rocprim17ROCPRIM_400000_NS6detail17trampoline_kernelINS0_14default_configENS1_35adjacent_difference_config_selectorILb1EtEEZNS1_24adjacent_difference_implIS3_Lb1ELb0EPKtPtN6thrust23THRUST_200600_302600_NS4plusItEEEE10hipError_tPvRmT2_T3_mT4_P12ihipStream_tbEUlT_E_NS1_11comp_targetILNS1_3genE10ELNS1_11target_archE1201ELNS1_3gpuE5ELNS1_3repE0EEENS1_30default_config_static_selectorELNS0_4arch9wavefront6targetE1EEEvT1_
                                        ; -- End function
	.set _ZN7rocprim17ROCPRIM_400000_NS6detail17trampoline_kernelINS0_14default_configENS1_35adjacent_difference_config_selectorILb1EtEEZNS1_24adjacent_difference_implIS3_Lb1ELb0EPKtPtN6thrust23THRUST_200600_302600_NS4plusItEEEE10hipError_tPvRmT2_T3_mT4_P12ihipStream_tbEUlT_E_NS1_11comp_targetILNS1_3genE10ELNS1_11target_archE1201ELNS1_3gpuE5ELNS1_3repE0EEENS1_30default_config_static_selectorELNS0_4arch9wavefront6targetE1EEEvT1_.num_vgpr, 0
	.set _ZN7rocprim17ROCPRIM_400000_NS6detail17trampoline_kernelINS0_14default_configENS1_35adjacent_difference_config_selectorILb1EtEEZNS1_24adjacent_difference_implIS3_Lb1ELb0EPKtPtN6thrust23THRUST_200600_302600_NS4plusItEEEE10hipError_tPvRmT2_T3_mT4_P12ihipStream_tbEUlT_E_NS1_11comp_targetILNS1_3genE10ELNS1_11target_archE1201ELNS1_3gpuE5ELNS1_3repE0EEENS1_30default_config_static_selectorELNS0_4arch9wavefront6targetE1EEEvT1_.num_agpr, 0
	.set _ZN7rocprim17ROCPRIM_400000_NS6detail17trampoline_kernelINS0_14default_configENS1_35adjacent_difference_config_selectorILb1EtEEZNS1_24adjacent_difference_implIS3_Lb1ELb0EPKtPtN6thrust23THRUST_200600_302600_NS4plusItEEEE10hipError_tPvRmT2_T3_mT4_P12ihipStream_tbEUlT_E_NS1_11comp_targetILNS1_3genE10ELNS1_11target_archE1201ELNS1_3gpuE5ELNS1_3repE0EEENS1_30default_config_static_selectorELNS0_4arch9wavefront6targetE1EEEvT1_.numbered_sgpr, 0
	.set _ZN7rocprim17ROCPRIM_400000_NS6detail17trampoline_kernelINS0_14default_configENS1_35adjacent_difference_config_selectorILb1EtEEZNS1_24adjacent_difference_implIS3_Lb1ELb0EPKtPtN6thrust23THRUST_200600_302600_NS4plusItEEEE10hipError_tPvRmT2_T3_mT4_P12ihipStream_tbEUlT_E_NS1_11comp_targetILNS1_3genE10ELNS1_11target_archE1201ELNS1_3gpuE5ELNS1_3repE0EEENS1_30default_config_static_selectorELNS0_4arch9wavefront6targetE1EEEvT1_.num_named_barrier, 0
	.set _ZN7rocprim17ROCPRIM_400000_NS6detail17trampoline_kernelINS0_14default_configENS1_35adjacent_difference_config_selectorILb1EtEEZNS1_24adjacent_difference_implIS3_Lb1ELb0EPKtPtN6thrust23THRUST_200600_302600_NS4plusItEEEE10hipError_tPvRmT2_T3_mT4_P12ihipStream_tbEUlT_E_NS1_11comp_targetILNS1_3genE10ELNS1_11target_archE1201ELNS1_3gpuE5ELNS1_3repE0EEENS1_30default_config_static_selectorELNS0_4arch9wavefront6targetE1EEEvT1_.private_seg_size, 0
	.set _ZN7rocprim17ROCPRIM_400000_NS6detail17trampoline_kernelINS0_14default_configENS1_35adjacent_difference_config_selectorILb1EtEEZNS1_24adjacent_difference_implIS3_Lb1ELb0EPKtPtN6thrust23THRUST_200600_302600_NS4plusItEEEE10hipError_tPvRmT2_T3_mT4_P12ihipStream_tbEUlT_E_NS1_11comp_targetILNS1_3genE10ELNS1_11target_archE1201ELNS1_3gpuE5ELNS1_3repE0EEENS1_30default_config_static_selectorELNS0_4arch9wavefront6targetE1EEEvT1_.uses_vcc, 0
	.set _ZN7rocprim17ROCPRIM_400000_NS6detail17trampoline_kernelINS0_14default_configENS1_35adjacent_difference_config_selectorILb1EtEEZNS1_24adjacent_difference_implIS3_Lb1ELb0EPKtPtN6thrust23THRUST_200600_302600_NS4plusItEEEE10hipError_tPvRmT2_T3_mT4_P12ihipStream_tbEUlT_E_NS1_11comp_targetILNS1_3genE10ELNS1_11target_archE1201ELNS1_3gpuE5ELNS1_3repE0EEENS1_30default_config_static_selectorELNS0_4arch9wavefront6targetE1EEEvT1_.uses_flat_scratch, 0
	.set _ZN7rocprim17ROCPRIM_400000_NS6detail17trampoline_kernelINS0_14default_configENS1_35adjacent_difference_config_selectorILb1EtEEZNS1_24adjacent_difference_implIS3_Lb1ELb0EPKtPtN6thrust23THRUST_200600_302600_NS4plusItEEEE10hipError_tPvRmT2_T3_mT4_P12ihipStream_tbEUlT_E_NS1_11comp_targetILNS1_3genE10ELNS1_11target_archE1201ELNS1_3gpuE5ELNS1_3repE0EEENS1_30default_config_static_selectorELNS0_4arch9wavefront6targetE1EEEvT1_.has_dyn_sized_stack, 0
	.set _ZN7rocprim17ROCPRIM_400000_NS6detail17trampoline_kernelINS0_14default_configENS1_35adjacent_difference_config_selectorILb1EtEEZNS1_24adjacent_difference_implIS3_Lb1ELb0EPKtPtN6thrust23THRUST_200600_302600_NS4plusItEEEE10hipError_tPvRmT2_T3_mT4_P12ihipStream_tbEUlT_E_NS1_11comp_targetILNS1_3genE10ELNS1_11target_archE1201ELNS1_3gpuE5ELNS1_3repE0EEENS1_30default_config_static_selectorELNS0_4arch9wavefront6targetE1EEEvT1_.has_recursion, 0
	.set _ZN7rocprim17ROCPRIM_400000_NS6detail17trampoline_kernelINS0_14default_configENS1_35adjacent_difference_config_selectorILb1EtEEZNS1_24adjacent_difference_implIS3_Lb1ELb0EPKtPtN6thrust23THRUST_200600_302600_NS4plusItEEEE10hipError_tPvRmT2_T3_mT4_P12ihipStream_tbEUlT_E_NS1_11comp_targetILNS1_3genE10ELNS1_11target_archE1201ELNS1_3gpuE5ELNS1_3repE0EEENS1_30default_config_static_selectorELNS0_4arch9wavefront6targetE1EEEvT1_.has_indirect_call, 0
	.section	.AMDGPU.csdata,"",@progbits
; Kernel info:
; codeLenInByte = 0
; TotalNumSgprs: 4
; NumVgprs: 0
; ScratchSize: 0
; MemoryBound: 0
; FloatMode: 240
; IeeeMode: 1
; LDSByteSize: 0 bytes/workgroup (compile time only)
; SGPRBlocks: 0
; VGPRBlocks: 0
; NumSGPRsForWavesPerEU: 4
; NumVGPRsForWavesPerEU: 1
; Occupancy: 10
; WaveLimiterHint : 0
; COMPUTE_PGM_RSRC2:SCRATCH_EN: 0
; COMPUTE_PGM_RSRC2:USER_SGPR: 6
; COMPUTE_PGM_RSRC2:TRAP_HANDLER: 0
; COMPUTE_PGM_RSRC2:TGID_X_EN: 1
; COMPUTE_PGM_RSRC2:TGID_Y_EN: 0
; COMPUTE_PGM_RSRC2:TGID_Z_EN: 0
; COMPUTE_PGM_RSRC2:TIDIG_COMP_CNT: 0
	.section	.text._ZN7rocprim17ROCPRIM_400000_NS6detail17trampoline_kernelINS0_14default_configENS1_35adjacent_difference_config_selectorILb1EtEEZNS1_24adjacent_difference_implIS3_Lb1ELb0EPKtPtN6thrust23THRUST_200600_302600_NS4plusItEEEE10hipError_tPvRmT2_T3_mT4_P12ihipStream_tbEUlT_E_NS1_11comp_targetILNS1_3genE5ELNS1_11target_archE942ELNS1_3gpuE9ELNS1_3repE0EEENS1_30default_config_static_selectorELNS0_4arch9wavefront6targetE1EEEvT1_,"axG",@progbits,_ZN7rocprim17ROCPRIM_400000_NS6detail17trampoline_kernelINS0_14default_configENS1_35adjacent_difference_config_selectorILb1EtEEZNS1_24adjacent_difference_implIS3_Lb1ELb0EPKtPtN6thrust23THRUST_200600_302600_NS4plusItEEEE10hipError_tPvRmT2_T3_mT4_P12ihipStream_tbEUlT_E_NS1_11comp_targetILNS1_3genE5ELNS1_11target_archE942ELNS1_3gpuE9ELNS1_3repE0EEENS1_30default_config_static_selectorELNS0_4arch9wavefront6targetE1EEEvT1_,comdat
	.protected	_ZN7rocprim17ROCPRIM_400000_NS6detail17trampoline_kernelINS0_14default_configENS1_35adjacent_difference_config_selectorILb1EtEEZNS1_24adjacent_difference_implIS3_Lb1ELb0EPKtPtN6thrust23THRUST_200600_302600_NS4plusItEEEE10hipError_tPvRmT2_T3_mT4_P12ihipStream_tbEUlT_E_NS1_11comp_targetILNS1_3genE5ELNS1_11target_archE942ELNS1_3gpuE9ELNS1_3repE0EEENS1_30default_config_static_selectorELNS0_4arch9wavefront6targetE1EEEvT1_ ; -- Begin function _ZN7rocprim17ROCPRIM_400000_NS6detail17trampoline_kernelINS0_14default_configENS1_35adjacent_difference_config_selectorILb1EtEEZNS1_24adjacent_difference_implIS3_Lb1ELb0EPKtPtN6thrust23THRUST_200600_302600_NS4plusItEEEE10hipError_tPvRmT2_T3_mT4_P12ihipStream_tbEUlT_E_NS1_11comp_targetILNS1_3genE5ELNS1_11target_archE942ELNS1_3gpuE9ELNS1_3repE0EEENS1_30default_config_static_selectorELNS0_4arch9wavefront6targetE1EEEvT1_
	.globl	_ZN7rocprim17ROCPRIM_400000_NS6detail17trampoline_kernelINS0_14default_configENS1_35adjacent_difference_config_selectorILb1EtEEZNS1_24adjacent_difference_implIS3_Lb1ELb0EPKtPtN6thrust23THRUST_200600_302600_NS4plusItEEEE10hipError_tPvRmT2_T3_mT4_P12ihipStream_tbEUlT_E_NS1_11comp_targetILNS1_3genE5ELNS1_11target_archE942ELNS1_3gpuE9ELNS1_3repE0EEENS1_30default_config_static_selectorELNS0_4arch9wavefront6targetE1EEEvT1_
	.p2align	8
	.type	_ZN7rocprim17ROCPRIM_400000_NS6detail17trampoline_kernelINS0_14default_configENS1_35adjacent_difference_config_selectorILb1EtEEZNS1_24adjacent_difference_implIS3_Lb1ELb0EPKtPtN6thrust23THRUST_200600_302600_NS4plusItEEEE10hipError_tPvRmT2_T3_mT4_P12ihipStream_tbEUlT_E_NS1_11comp_targetILNS1_3genE5ELNS1_11target_archE942ELNS1_3gpuE9ELNS1_3repE0EEENS1_30default_config_static_selectorELNS0_4arch9wavefront6targetE1EEEvT1_,@function
_ZN7rocprim17ROCPRIM_400000_NS6detail17trampoline_kernelINS0_14default_configENS1_35adjacent_difference_config_selectorILb1EtEEZNS1_24adjacent_difference_implIS3_Lb1ELb0EPKtPtN6thrust23THRUST_200600_302600_NS4plusItEEEE10hipError_tPvRmT2_T3_mT4_P12ihipStream_tbEUlT_E_NS1_11comp_targetILNS1_3genE5ELNS1_11target_archE942ELNS1_3gpuE9ELNS1_3repE0EEENS1_30default_config_static_selectorELNS0_4arch9wavefront6targetE1EEEvT1_: ; @_ZN7rocprim17ROCPRIM_400000_NS6detail17trampoline_kernelINS0_14default_configENS1_35adjacent_difference_config_selectorILb1EtEEZNS1_24adjacent_difference_implIS3_Lb1ELb0EPKtPtN6thrust23THRUST_200600_302600_NS4plusItEEEE10hipError_tPvRmT2_T3_mT4_P12ihipStream_tbEUlT_E_NS1_11comp_targetILNS1_3genE5ELNS1_11target_archE942ELNS1_3gpuE9ELNS1_3repE0EEENS1_30default_config_static_selectorELNS0_4arch9wavefront6targetE1EEEvT1_
; %bb.0:
	.section	.rodata,"a",@progbits
	.p2align	6, 0x0
	.amdhsa_kernel _ZN7rocprim17ROCPRIM_400000_NS6detail17trampoline_kernelINS0_14default_configENS1_35adjacent_difference_config_selectorILb1EtEEZNS1_24adjacent_difference_implIS3_Lb1ELb0EPKtPtN6thrust23THRUST_200600_302600_NS4plusItEEEE10hipError_tPvRmT2_T3_mT4_P12ihipStream_tbEUlT_E_NS1_11comp_targetILNS1_3genE5ELNS1_11target_archE942ELNS1_3gpuE9ELNS1_3repE0EEENS1_30default_config_static_selectorELNS0_4arch9wavefront6targetE1EEEvT1_
		.amdhsa_group_segment_fixed_size 0
		.amdhsa_private_segment_fixed_size 0
		.amdhsa_kernarg_size 56
		.amdhsa_user_sgpr_count 6
		.amdhsa_user_sgpr_private_segment_buffer 1
		.amdhsa_user_sgpr_dispatch_ptr 0
		.amdhsa_user_sgpr_queue_ptr 0
		.amdhsa_user_sgpr_kernarg_segment_ptr 1
		.amdhsa_user_sgpr_dispatch_id 0
		.amdhsa_user_sgpr_flat_scratch_init 0
		.amdhsa_user_sgpr_private_segment_size 0
		.amdhsa_uses_dynamic_stack 0
		.amdhsa_system_sgpr_private_segment_wavefront_offset 0
		.amdhsa_system_sgpr_workgroup_id_x 1
		.amdhsa_system_sgpr_workgroup_id_y 0
		.amdhsa_system_sgpr_workgroup_id_z 0
		.amdhsa_system_sgpr_workgroup_info 0
		.amdhsa_system_vgpr_workitem_id 0
		.amdhsa_next_free_vgpr 1
		.amdhsa_next_free_sgpr 0
		.amdhsa_reserve_vcc 0
		.amdhsa_reserve_flat_scratch 0
		.amdhsa_float_round_mode_32 0
		.amdhsa_float_round_mode_16_64 0
		.amdhsa_float_denorm_mode_32 3
		.amdhsa_float_denorm_mode_16_64 3
		.amdhsa_dx10_clamp 1
		.amdhsa_ieee_mode 1
		.amdhsa_fp16_overflow 0
		.amdhsa_exception_fp_ieee_invalid_op 0
		.amdhsa_exception_fp_denorm_src 0
		.amdhsa_exception_fp_ieee_div_zero 0
		.amdhsa_exception_fp_ieee_overflow 0
		.amdhsa_exception_fp_ieee_underflow 0
		.amdhsa_exception_fp_ieee_inexact 0
		.amdhsa_exception_int_div_zero 0
	.end_amdhsa_kernel
	.section	.text._ZN7rocprim17ROCPRIM_400000_NS6detail17trampoline_kernelINS0_14default_configENS1_35adjacent_difference_config_selectorILb1EtEEZNS1_24adjacent_difference_implIS3_Lb1ELb0EPKtPtN6thrust23THRUST_200600_302600_NS4plusItEEEE10hipError_tPvRmT2_T3_mT4_P12ihipStream_tbEUlT_E_NS1_11comp_targetILNS1_3genE5ELNS1_11target_archE942ELNS1_3gpuE9ELNS1_3repE0EEENS1_30default_config_static_selectorELNS0_4arch9wavefront6targetE1EEEvT1_,"axG",@progbits,_ZN7rocprim17ROCPRIM_400000_NS6detail17trampoline_kernelINS0_14default_configENS1_35adjacent_difference_config_selectorILb1EtEEZNS1_24adjacent_difference_implIS3_Lb1ELb0EPKtPtN6thrust23THRUST_200600_302600_NS4plusItEEEE10hipError_tPvRmT2_T3_mT4_P12ihipStream_tbEUlT_E_NS1_11comp_targetILNS1_3genE5ELNS1_11target_archE942ELNS1_3gpuE9ELNS1_3repE0EEENS1_30default_config_static_selectorELNS0_4arch9wavefront6targetE1EEEvT1_,comdat
.Lfunc_end692:
	.size	_ZN7rocprim17ROCPRIM_400000_NS6detail17trampoline_kernelINS0_14default_configENS1_35adjacent_difference_config_selectorILb1EtEEZNS1_24adjacent_difference_implIS3_Lb1ELb0EPKtPtN6thrust23THRUST_200600_302600_NS4plusItEEEE10hipError_tPvRmT2_T3_mT4_P12ihipStream_tbEUlT_E_NS1_11comp_targetILNS1_3genE5ELNS1_11target_archE942ELNS1_3gpuE9ELNS1_3repE0EEENS1_30default_config_static_selectorELNS0_4arch9wavefront6targetE1EEEvT1_, .Lfunc_end692-_ZN7rocprim17ROCPRIM_400000_NS6detail17trampoline_kernelINS0_14default_configENS1_35adjacent_difference_config_selectorILb1EtEEZNS1_24adjacent_difference_implIS3_Lb1ELb0EPKtPtN6thrust23THRUST_200600_302600_NS4plusItEEEE10hipError_tPvRmT2_T3_mT4_P12ihipStream_tbEUlT_E_NS1_11comp_targetILNS1_3genE5ELNS1_11target_archE942ELNS1_3gpuE9ELNS1_3repE0EEENS1_30default_config_static_selectorELNS0_4arch9wavefront6targetE1EEEvT1_
                                        ; -- End function
	.set _ZN7rocprim17ROCPRIM_400000_NS6detail17trampoline_kernelINS0_14default_configENS1_35adjacent_difference_config_selectorILb1EtEEZNS1_24adjacent_difference_implIS3_Lb1ELb0EPKtPtN6thrust23THRUST_200600_302600_NS4plusItEEEE10hipError_tPvRmT2_T3_mT4_P12ihipStream_tbEUlT_E_NS1_11comp_targetILNS1_3genE5ELNS1_11target_archE942ELNS1_3gpuE9ELNS1_3repE0EEENS1_30default_config_static_selectorELNS0_4arch9wavefront6targetE1EEEvT1_.num_vgpr, 0
	.set _ZN7rocprim17ROCPRIM_400000_NS6detail17trampoline_kernelINS0_14default_configENS1_35adjacent_difference_config_selectorILb1EtEEZNS1_24adjacent_difference_implIS3_Lb1ELb0EPKtPtN6thrust23THRUST_200600_302600_NS4plusItEEEE10hipError_tPvRmT2_T3_mT4_P12ihipStream_tbEUlT_E_NS1_11comp_targetILNS1_3genE5ELNS1_11target_archE942ELNS1_3gpuE9ELNS1_3repE0EEENS1_30default_config_static_selectorELNS0_4arch9wavefront6targetE1EEEvT1_.num_agpr, 0
	.set _ZN7rocprim17ROCPRIM_400000_NS6detail17trampoline_kernelINS0_14default_configENS1_35adjacent_difference_config_selectorILb1EtEEZNS1_24adjacent_difference_implIS3_Lb1ELb0EPKtPtN6thrust23THRUST_200600_302600_NS4plusItEEEE10hipError_tPvRmT2_T3_mT4_P12ihipStream_tbEUlT_E_NS1_11comp_targetILNS1_3genE5ELNS1_11target_archE942ELNS1_3gpuE9ELNS1_3repE0EEENS1_30default_config_static_selectorELNS0_4arch9wavefront6targetE1EEEvT1_.numbered_sgpr, 0
	.set _ZN7rocprim17ROCPRIM_400000_NS6detail17trampoline_kernelINS0_14default_configENS1_35adjacent_difference_config_selectorILb1EtEEZNS1_24adjacent_difference_implIS3_Lb1ELb0EPKtPtN6thrust23THRUST_200600_302600_NS4plusItEEEE10hipError_tPvRmT2_T3_mT4_P12ihipStream_tbEUlT_E_NS1_11comp_targetILNS1_3genE5ELNS1_11target_archE942ELNS1_3gpuE9ELNS1_3repE0EEENS1_30default_config_static_selectorELNS0_4arch9wavefront6targetE1EEEvT1_.num_named_barrier, 0
	.set _ZN7rocprim17ROCPRIM_400000_NS6detail17trampoline_kernelINS0_14default_configENS1_35adjacent_difference_config_selectorILb1EtEEZNS1_24adjacent_difference_implIS3_Lb1ELb0EPKtPtN6thrust23THRUST_200600_302600_NS4plusItEEEE10hipError_tPvRmT2_T3_mT4_P12ihipStream_tbEUlT_E_NS1_11comp_targetILNS1_3genE5ELNS1_11target_archE942ELNS1_3gpuE9ELNS1_3repE0EEENS1_30default_config_static_selectorELNS0_4arch9wavefront6targetE1EEEvT1_.private_seg_size, 0
	.set _ZN7rocprim17ROCPRIM_400000_NS6detail17trampoline_kernelINS0_14default_configENS1_35adjacent_difference_config_selectorILb1EtEEZNS1_24adjacent_difference_implIS3_Lb1ELb0EPKtPtN6thrust23THRUST_200600_302600_NS4plusItEEEE10hipError_tPvRmT2_T3_mT4_P12ihipStream_tbEUlT_E_NS1_11comp_targetILNS1_3genE5ELNS1_11target_archE942ELNS1_3gpuE9ELNS1_3repE0EEENS1_30default_config_static_selectorELNS0_4arch9wavefront6targetE1EEEvT1_.uses_vcc, 0
	.set _ZN7rocprim17ROCPRIM_400000_NS6detail17trampoline_kernelINS0_14default_configENS1_35adjacent_difference_config_selectorILb1EtEEZNS1_24adjacent_difference_implIS3_Lb1ELb0EPKtPtN6thrust23THRUST_200600_302600_NS4plusItEEEE10hipError_tPvRmT2_T3_mT4_P12ihipStream_tbEUlT_E_NS1_11comp_targetILNS1_3genE5ELNS1_11target_archE942ELNS1_3gpuE9ELNS1_3repE0EEENS1_30default_config_static_selectorELNS0_4arch9wavefront6targetE1EEEvT1_.uses_flat_scratch, 0
	.set _ZN7rocprim17ROCPRIM_400000_NS6detail17trampoline_kernelINS0_14default_configENS1_35adjacent_difference_config_selectorILb1EtEEZNS1_24adjacent_difference_implIS3_Lb1ELb0EPKtPtN6thrust23THRUST_200600_302600_NS4plusItEEEE10hipError_tPvRmT2_T3_mT4_P12ihipStream_tbEUlT_E_NS1_11comp_targetILNS1_3genE5ELNS1_11target_archE942ELNS1_3gpuE9ELNS1_3repE0EEENS1_30default_config_static_selectorELNS0_4arch9wavefront6targetE1EEEvT1_.has_dyn_sized_stack, 0
	.set _ZN7rocprim17ROCPRIM_400000_NS6detail17trampoline_kernelINS0_14default_configENS1_35adjacent_difference_config_selectorILb1EtEEZNS1_24adjacent_difference_implIS3_Lb1ELb0EPKtPtN6thrust23THRUST_200600_302600_NS4plusItEEEE10hipError_tPvRmT2_T3_mT4_P12ihipStream_tbEUlT_E_NS1_11comp_targetILNS1_3genE5ELNS1_11target_archE942ELNS1_3gpuE9ELNS1_3repE0EEENS1_30default_config_static_selectorELNS0_4arch9wavefront6targetE1EEEvT1_.has_recursion, 0
	.set _ZN7rocprim17ROCPRIM_400000_NS6detail17trampoline_kernelINS0_14default_configENS1_35adjacent_difference_config_selectorILb1EtEEZNS1_24adjacent_difference_implIS3_Lb1ELb0EPKtPtN6thrust23THRUST_200600_302600_NS4plusItEEEE10hipError_tPvRmT2_T3_mT4_P12ihipStream_tbEUlT_E_NS1_11comp_targetILNS1_3genE5ELNS1_11target_archE942ELNS1_3gpuE9ELNS1_3repE0EEENS1_30default_config_static_selectorELNS0_4arch9wavefront6targetE1EEEvT1_.has_indirect_call, 0
	.section	.AMDGPU.csdata,"",@progbits
; Kernel info:
; codeLenInByte = 0
; TotalNumSgprs: 4
; NumVgprs: 0
; ScratchSize: 0
; MemoryBound: 0
; FloatMode: 240
; IeeeMode: 1
; LDSByteSize: 0 bytes/workgroup (compile time only)
; SGPRBlocks: 0
; VGPRBlocks: 0
; NumSGPRsForWavesPerEU: 4
; NumVGPRsForWavesPerEU: 1
; Occupancy: 10
; WaveLimiterHint : 0
; COMPUTE_PGM_RSRC2:SCRATCH_EN: 0
; COMPUTE_PGM_RSRC2:USER_SGPR: 6
; COMPUTE_PGM_RSRC2:TRAP_HANDLER: 0
; COMPUTE_PGM_RSRC2:TGID_X_EN: 1
; COMPUTE_PGM_RSRC2:TGID_Y_EN: 0
; COMPUTE_PGM_RSRC2:TGID_Z_EN: 0
; COMPUTE_PGM_RSRC2:TIDIG_COMP_CNT: 0
	.section	.text._ZN7rocprim17ROCPRIM_400000_NS6detail17trampoline_kernelINS0_14default_configENS1_35adjacent_difference_config_selectorILb1EtEEZNS1_24adjacent_difference_implIS3_Lb1ELb0EPKtPtN6thrust23THRUST_200600_302600_NS4plusItEEEE10hipError_tPvRmT2_T3_mT4_P12ihipStream_tbEUlT_E_NS1_11comp_targetILNS1_3genE4ELNS1_11target_archE910ELNS1_3gpuE8ELNS1_3repE0EEENS1_30default_config_static_selectorELNS0_4arch9wavefront6targetE1EEEvT1_,"axG",@progbits,_ZN7rocprim17ROCPRIM_400000_NS6detail17trampoline_kernelINS0_14default_configENS1_35adjacent_difference_config_selectorILb1EtEEZNS1_24adjacent_difference_implIS3_Lb1ELb0EPKtPtN6thrust23THRUST_200600_302600_NS4plusItEEEE10hipError_tPvRmT2_T3_mT4_P12ihipStream_tbEUlT_E_NS1_11comp_targetILNS1_3genE4ELNS1_11target_archE910ELNS1_3gpuE8ELNS1_3repE0EEENS1_30default_config_static_selectorELNS0_4arch9wavefront6targetE1EEEvT1_,comdat
	.protected	_ZN7rocprim17ROCPRIM_400000_NS6detail17trampoline_kernelINS0_14default_configENS1_35adjacent_difference_config_selectorILb1EtEEZNS1_24adjacent_difference_implIS3_Lb1ELb0EPKtPtN6thrust23THRUST_200600_302600_NS4plusItEEEE10hipError_tPvRmT2_T3_mT4_P12ihipStream_tbEUlT_E_NS1_11comp_targetILNS1_3genE4ELNS1_11target_archE910ELNS1_3gpuE8ELNS1_3repE0EEENS1_30default_config_static_selectorELNS0_4arch9wavefront6targetE1EEEvT1_ ; -- Begin function _ZN7rocprim17ROCPRIM_400000_NS6detail17trampoline_kernelINS0_14default_configENS1_35adjacent_difference_config_selectorILb1EtEEZNS1_24adjacent_difference_implIS3_Lb1ELb0EPKtPtN6thrust23THRUST_200600_302600_NS4plusItEEEE10hipError_tPvRmT2_T3_mT4_P12ihipStream_tbEUlT_E_NS1_11comp_targetILNS1_3genE4ELNS1_11target_archE910ELNS1_3gpuE8ELNS1_3repE0EEENS1_30default_config_static_selectorELNS0_4arch9wavefront6targetE1EEEvT1_
	.globl	_ZN7rocprim17ROCPRIM_400000_NS6detail17trampoline_kernelINS0_14default_configENS1_35adjacent_difference_config_selectorILb1EtEEZNS1_24adjacent_difference_implIS3_Lb1ELb0EPKtPtN6thrust23THRUST_200600_302600_NS4plusItEEEE10hipError_tPvRmT2_T3_mT4_P12ihipStream_tbEUlT_E_NS1_11comp_targetILNS1_3genE4ELNS1_11target_archE910ELNS1_3gpuE8ELNS1_3repE0EEENS1_30default_config_static_selectorELNS0_4arch9wavefront6targetE1EEEvT1_
	.p2align	8
	.type	_ZN7rocprim17ROCPRIM_400000_NS6detail17trampoline_kernelINS0_14default_configENS1_35adjacent_difference_config_selectorILb1EtEEZNS1_24adjacent_difference_implIS3_Lb1ELb0EPKtPtN6thrust23THRUST_200600_302600_NS4plusItEEEE10hipError_tPvRmT2_T3_mT4_P12ihipStream_tbEUlT_E_NS1_11comp_targetILNS1_3genE4ELNS1_11target_archE910ELNS1_3gpuE8ELNS1_3repE0EEENS1_30default_config_static_selectorELNS0_4arch9wavefront6targetE1EEEvT1_,@function
_ZN7rocprim17ROCPRIM_400000_NS6detail17trampoline_kernelINS0_14default_configENS1_35adjacent_difference_config_selectorILb1EtEEZNS1_24adjacent_difference_implIS3_Lb1ELb0EPKtPtN6thrust23THRUST_200600_302600_NS4plusItEEEE10hipError_tPvRmT2_T3_mT4_P12ihipStream_tbEUlT_E_NS1_11comp_targetILNS1_3genE4ELNS1_11target_archE910ELNS1_3gpuE8ELNS1_3repE0EEENS1_30default_config_static_selectorELNS0_4arch9wavefront6targetE1EEEvT1_: ; @_ZN7rocprim17ROCPRIM_400000_NS6detail17trampoline_kernelINS0_14default_configENS1_35adjacent_difference_config_selectorILb1EtEEZNS1_24adjacent_difference_implIS3_Lb1ELb0EPKtPtN6thrust23THRUST_200600_302600_NS4plusItEEEE10hipError_tPvRmT2_T3_mT4_P12ihipStream_tbEUlT_E_NS1_11comp_targetILNS1_3genE4ELNS1_11target_archE910ELNS1_3gpuE8ELNS1_3repE0EEENS1_30default_config_static_selectorELNS0_4arch9wavefront6targetE1EEEvT1_
; %bb.0:
	.section	.rodata,"a",@progbits
	.p2align	6, 0x0
	.amdhsa_kernel _ZN7rocprim17ROCPRIM_400000_NS6detail17trampoline_kernelINS0_14default_configENS1_35adjacent_difference_config_selectorILb1EtEEZNS1_24adjacent_difference_implIS3_Lb1ELb0EPKtPtN6thrust23THRUST_200600_302600_NS4plusItEEEE10hipError_tPvRmT2_T3_mT4_P12ihipStream_tbEUlT_E_NS1_11comp_targetILNS1_3genE4ELNS1_11target_archE910ELNS1_3gpuE8ELNS1_3repE0EEENS1_30default_config_static_selectorELNS0_4arch9wavefront6targetE1EEEvT1_
		.amdhsa_group_segment_fixed_size 0
		.amdhsa_private_segment_fixed_size 0
		.amdhsa_kernarg_size 56
		.amdhsa_user_sgpr_count 6
		.amdhsa_user_sgpr_private_segment_buffer 1
		.amdhsa_user_sgpr_dispatch_ptr 0
		.amdhsa_user_sgpr_queue_ptr 0
		.amdhsa_user_sgpr_kernarg_segment_ptr 1
		.amdhsa_user_sgpr_dispatch_id 0
		.amdhsa_user_sgpr_flat_scratch_init 0
		.amdhsa_user_sgpr_private_segment_size 0
		.amdhsa_uses_dynamic_stack 0
		.amdhsa_system_sgpr_private_segment_wavefront_offset 0
		.amdhsa_system_sgpr_workgroup_id_x 1
		.amdhsa_system_sgpr_workgroup_id_y 0
		.amdhsa_system_sgpr_workgroup_id_z 0
		.amdhsa_system_sgpr_workgroup_info 0
		.amdhsa_system_vgpr_workitem_id 0
		.amdhsa_next_free_vgpr 1
		.amdhsa_next_free_sgpr 0
		.amdhsa_reserve_vcc 0
		.amdhsa_reserve_flat_scratch 0
		.amdhsa_float_round_mode_32 0
		.amdhsa_float_round_mode_16_64 0
		.amdhsa_float_denorm_mode_32 3
		.amdhsa_float_denorm_mode_16_64 3
		.amdhsa_dx10_clamp 1
		.amdhsa_ieee_mode 1
		.amdhsa_fp16_overflow 0
		.amdhsa_exception_fp_ieee_invalid_op 0
		.amdhsa_exception_fp_denorm_src 0
		.amdhsa_exception_fp_ieee_div_zero 0
		.amdhsa_exception_fp_ieee_overflow 0
		.amdhsa_exception_fp_ieee_underflow 0
		.amdhsa_exception_fp_ieee_inexact 0
		.amdhsa_exception_int_div_zero 0
	.end_amdhsa_kernel
	.section	.text._ZN7rocprim17ROCPRIM_400000_NS6detail17trampoline_kernelINS0_14default_configENS1_35adjacent_difference_config_selectorILb1EtEEZNS1_24adjacent_difference_implIS3_Lb1ELb0EPKtPtN6thrust23THRUST_200600_302600_NS4plusItEEEE10hipError_tPvRmT2_T3_mT4_P12ihipStream_tbEUlT_E_NS1_11comp_targetILNS1_3genE4ELNS1_11target_archE910ELNS1_3gpuE8ELNS1_3repE0EEENS1_30default_config_static_selectorELNS0_4arch9wavefront6targetE1EEEvT1_,"axG",@progbits,_ZN7rocprim17ROCPRIM_400000_NS6detail17trampoline_kernelINS0_14default_configENS1_35adjacent_difference_config_selectorILb1EtEEZNS1_24adjacent_difference_implIS3_Lb1ELb0EPKtPtN6thrust23THRUST_200600_302600_NS4plusItEEEE10hipError_tPvRmT2_T3_mT4_P12ihipStream_tbEUlT_E_NS1_11comp_targetILNS1_3genE4ELNS1_11target_archE910ELNS1_3gpuE8ELNS1_3repE0EEENS1_30default_config_static_selectorELNS0_4arch9wavefront6targetE1EEEvT1_,comdat
.Lfunc_end693:
	.size	_ZN7rocprim17ROCPRIM_400000_NS6detail17trampoline_kernelINS0_14default_configENS1_35adjacent_difference_config_selectorILb1EtEEZNS1_24adjacent_difference_implIS3_Lb1ELb0EPKtPtN6thrust23THRUST_200600_302600_NS4plusItEEEE10hipError_tPvRmT2_T3_mT4_P12ihipStream_tbEUlT_E_NS1_11comp_targetILNS1_3genE4ELNS1_11target_archE910ELNS1_3gpuE8ELNS1_3repE0EEENS1_30default_config_static_selectorELNS0_4arch9wavefront6targetE1EEEvT1_, .Lfunc_end693-_ZN7rocprim17ROCPRIM_400000_NS6detail17trampoline_kernelINS0_14default_configENS1_35adjacent_difference_config_selectorILb1EtEEZNS1_24adjacent_difference_implIS3_Lb1ELb0EPKtPtN6thrust23THRUST_200600_302600_NS4plusItEEEE10hipError_tPvRmT2_T3_mT4_P12ihipStream_tbEUlT_E_NS1_11comp_targetILNS1_3genE4ELNS1_11target_archE910ELNS1_3gpuE8ELNS1_3repE0EEENS1_30default_config_static_selectorELNS0_4arch9wavefront6targetE1EEEvT1_
                                        ; -- End function
	.set _ZN7rocprim17ROCPRIM_400000_NS6detail17trampoline_kernelINS0_14default_configENS1_35adjacent_difference_config_selectorILb1EtEEZNS1_24adjacent_difference_implIS3_Lb1ELb0EPKtPtN6thrust23THRUST_200600_302600_NS4plusItEEEE10hipError_tPvRmT2_T3_mT4_P12ihipStream_tbEUlT_E_NS1_11comp_targetILNS1_3genE4ELNS1_11target_archE910ELNS1_3gpuE8ELNS1_3repE0EEENS1_30default_config_static_selectorELNS0_4arch9wavefront6targetE1EEEvT1_.num_vgpr, 0
	.set _ZN7rocprim17ROCPRIM_400000_NS6detail17trampoline_kernelINS0_14default_configENS1_35adjacent_difference_config_selectorILb1EtEEZNS1_24adjacent_difference_implIS3_Lb1ELb0EPKtPtN6thrust23THRUST_200600_302600_NS4plusItEEEE10hipError_tPvRmT2_T3_mT4_P12ihipStream_tbEUlT_E_NS1_11comp_targetILNS1_3genE4ELNS1_11target_archE910ELNS1_3gpuE8ELNS1_3repE0EEENS1_30default_config_static_selectorELNS0_4arch9wavefront6targetE1EEEvT1_.num_agpr, 0
	.set _ZN7rocprim17ROCPRIM_400000_NS6detail17trampoline_kernelINS0_14default_configENS1_35adjacent_difference_config_selectorILb1EtEEZNS1_24adjacent_difference_implIS3_Lb1ELb0EPKtPtN6thrust23THRUST_200600_302600_NS4plusItEEEE10hipError_tPvRmT2_T3_mT4_P12ihipStream_tbEUlT_E_NS1_11comp_targetILNS1_3genE4ELNS1_11target_archE910ELNS1_3gpuE8ELNS1_3repE0EEENS1_30default_config_static_selectorELNS0_4arch9wavefront6targetE1EEEvT1_.numbered_sgpr, 0
	.set _ZN7rocprim17ROCPRIM_400000_NS6detail17trampoline_kernelINS0_14default_configENS1_35adjacent_difference_config_selectorILb1EtEEZNS1_24adjacent_difference_implIS3_Lb1ELb0EPKtPtN6thrust23THRUST_200600_302600_NS4plusItEEEE10hipError_tPvRmT2_T3_mT4_P12ihipStream_tbEUlT_E_NS1_11comp_targetILNS1_3genE4ELNS1_11target_archE910ELNS1_3gpuE8ELNS1_3repE0EEENS1_30default_config_static_selectorELNS0_4arch9wavefront6targetE1EEEvT1_.num_named_barrier, 0
	.set _ZN7rocprim17ROCPRIM_400000_NS6detail17trampoline_kernelINS0_14default_configENS1_35adjacent_difference_config_selectorILb1EtEEZNS1_24adjacent_difference_implIS3_Lb1ELb0EPKtPtN6thrust23THRUST_200600_302600_NS4plusItEEEE10hipError_tPvRmT2_T3_mT4_P12ihipStream_tbEUlT_E_NS1_11comp_targetILNS1_3genE4ELNS1_11target_archE910ELNS1_3gpuE8ELNS1_3repE0EEENS1_30default_config_static_selectorELNS0_4arch9wavefront6targetE1EEEvT1_.private_seg_size, 0
	.set _ZN7rocprim17ROCPRIM_400000_NS6detail17trampoline_kernelINS0_14default_configENS1_35adjacent_difference_config_selectorILb1EtEEZNS1_24adjacent_difference_implIS3_Lb1ELb0EPKtPtN6thrust23THRUST_200600_302600_NS4plusItEEEE10hipError_tPvRmT2_T3_mT4_P12ihipStream_tbEUlT_E_NS1_11comp_targetILNS1_3genE4ELNS1_11target_archE910ELNS1_3gpuE8ELNS1_3repE0EEENS1_30default_config_static_selectorELNS0_4arch9wavefront6targetE1EEEvT1_.uses_vcc, 0
	.set _ZN7rocprim17ROCPRIM_400000_NS6detail17trampoline_kernelINS0_14default_configENS1_35adjacent_difference_config_selectorILb1EtEEZNS1_24adjacent_difference_implIS3_Lb1ELb0EPKtPtN6thrust23THRUST_200600_302600_NS4plusItEEEE10hipError_tPvRmT2_T3_mT4_P12ihipStream_tbEUlT_E_NS1_11comp_targetILNS1_3genE4ELNS1_11target_archE910ELNS1_3gpuE8ELNS1_3repE0EEENS1_30default_config_static_selectorELNS0_4arch9wavefront6targetE1EEEvT1_.uses_flat_scratch, 0
	.set _ZN7rocprim17ROCPRIM_400000_NS6detail17trampoline_kernelINS0_14default_configENS1_35adjacent_difference_config_selectorILb1EtEEZNS1_24adjacent_difference_implIS3_Lb1ELb0EPKtPtN6thrust23THRUST_200600_302600_NS4plusItEEEE10hipError_tPvRmT2_T3_mT4_P12ihipStream_tbEUlT_E_NS1_11comp_targetILNS1_3genE4ELNS1_11target_archE910ELNS1_3gpuE8ELNS1_3repE0EEENS1_30default_config_static_selectorELNS0_4arch9wavefront6targetE1EEEvT1_.has_dyn_sized_stack, 0
	.set _ZN7rocprim17ROCPRIM_400000_NS6detail17trampoline_kernelINS0_14default_configENS1_35adjacent_difference_config_selectorILb1EtEEZNS1_24adjacent_difference_implIS3_Lb1ELb0EPKtPtN6thrust23THRUST_200600_302600_NS4plusItEEEE10hipError_tPvRmT2_T3_mT4_P12ihipStream_tbEUlT_E_NS1_11comp_targetILNS1_3genE4ELNS1_11target_archE910ELNS1_3gpuE8ELNS1_3repE0EEENS1_30default_config_static_selectorELNS0_4arch9wavefront6targetE1EEEvT1_.has_recursion, 0
	.set _ZN7rocprim17ROCPRIM_400000_NS6detail17trampoline_kernelINS0_14default_configENS1_35adjacent_difference_config_selectorILb1EtEEZNS1_24adjacent_difference_implIS3_Lb1ELb0EPKtPtN6thrust23THRUST_200600_302600_NS4plusItEEEE10hipError_tPvRmT2_T3_mT4_P12ihipStream_tbEUlT_E_NS1_11comp_targetILNS1_3genE4ELNS1_11target_archE910ELNS1_3gpuE8ELNS1_3repE0EEENS1_30default_config_static_selectorELNS0_4arch9wavefront6targetE1EEEvT1_.has_indirect_call, 0
	.section	.AMDGPU.csdata,"",@progbits
; Kernel info:
; codeLenInByte = 0
; TotalNumSgprs: 4
; NumVgprs: 0
; ScratchSize: 0
; MemoryBound: 0
; FloatMode: 240
; IeeeMode: 1
; LDSByteSize: 0 bytes/workgroup (compile time only)
; SGPRBlocks: 0
; VGPRBlocks: 0
; NumSGPRsForWavesPerEU: 4
; NumVGPRsForWavesPerEU: 1
; Occupancy: 10
; WaveLimiterHint : 0
; COMPUTE_PGM_RSRC2:SCRATCH_EN: 0
; COMPUTE_PGM_RSRC2:USER_SGPR: 6
; COMPUTE_PGM_RSRC2:TRAP_HANDLER: 0
; COMPUTE_PGM_RSRC2:TGID_X_EN: 1
; COMPUTE_PGM_RSRC2:TGID_Y_EN: 0
; COMPUTE_PGM_RSRC2:TGID_Z_EN: 0
; COMPUTE_PGM_RSRC2:TIDIG_COMP_CNT: 0
	.section	.text._ZN7rocprim17ROCPRIM_400000_NS6detail17trampoline_kernelINS0_14default_configENS1_35adjacent_difference_config_selectorILb1EtEEZNS1_24adjacent_difference_implIS3_Lb1ELb0EPKtPtN6thrust23THRUST_200600_302600_NS4plusItEEEE10hipError_tPvRmT2_T3_mT4_P12ihipStream_tbEUlT_E_NS1_11comp_targetILNS1_3genE3ELNS1_11target_archE908ELNS1_3gpuE7ELNS1_3repE0EEENS1_30default_config_static_selectorELNS0_4arch9wavefront6targetE1EEEvT1_,"axG",@progbits,_ZN7rocprim17ROCPRIM_400000_NS6detail17trampoline_kernelINS0_14default_configENS1_35adjacent_difference_config_selectorILb1EtEEZNS1_24adjacent_difference_implIS3_Lb1ELb0EPKtPtN6thrust23THRUST_200600_302600_NS4plusItEEEE10hipError_tPvRmT2_T3_mT4_P12ihipStream_tbEUlT_E_NS1_11comp_targetILNS1_3genE3ELNS1_11target_archE908ELNS1_3gpuE7ELNS1_3repE0EEENS1_30default_config_static_selectorELNS0_4arch9wavefront6targetE1EEEvT1_,comdat
	.protected	_ZN7rocprim17ROCPRIM_400000_NS6detail17trampoline_kernelINS0_14default_configENS1_35adjacent_difference_config_selectorILb1EtEEZNS1_24adjacent_difference_implIS3_Lb1ELb0EPKtPtN6thrust23THRUST_200600_302600_NS4plusItEEEE10hipError_tPvRmT2_T3_mT4_P12ihipStream_tbEUlT_E_NS1_11comp_targetILNS1_3genE3ELNS1_11target_archE908ELNS1_3gpuE7ELNS1_3repE0EEENS1_30default_config_static_selectorELNS0_4arch9wavefront6targetE1EEEvT1_ ; -- Begin function _ZN7rocprim17ROCPRIM_400000_NS6detail17trampoline_kernelINS0_14default_configENS1_35adjacent_difference_config_selectorILb1EtEEZNS1_24adjacent_difference_implIS3_Lb1ELb0EPKtPtN6thrust23THRUST_200600_302600_NS4plusItEEEE10hipError_tPvRmT2_T3_mT4_P12ihipStream_tbEUlT_E_NS1_11comp_targetILNS1_3genE3ELNS1_11target_archE908ELNS1_3gpuE7ELNS1_3repE0EEENS1_30default_config_static_selectorELNS0_4arch9wavefront6targetE1EEEvT1_
	.globl	_ZN7rocprim17ROCPRIM_400000_NS6detail17trampoline_kernelINS0_14default_configENS1_35adjacent_difference_config_selectorILb1EtEEZNS1_24adjacent_difference_implIS3_Lb1ELb0EPKtPtN6thrust23THRUST_200600_302600_NS4plusItEEEE10hipError_tPvRmT2_T3_mT4_P12ihipStream_tbEUlT_E_NS1_11comp_targetILNS1_3genE3ELNS1_11target_archE908ELNS1_3gpuE7ELNS1_3repE0EEENS1_30default_config_static_selectorELNS0_4arch9wavefront6targetE1EEEvT1_
	.p2align	8
	.type	_ZN7rocprim17ROCPRIM_400000_NS6detail17trampoline_kernelINS0_14default_configENS1_35adjacent_difference_config_selectorILb1EtEEZNS1_24adjacent_difference_implIS3_Lb1ELb0EPKtPtN6thrust23THRUST_200600_302600_NS4plusItEEEE10hipError_tPvRmT2_T3_mT4_P12ihipStream_tbEUlT_E_NS1_11comp_targetILNS1_3genE3ELNS1_11target_archE908ELNS1_3gpuE7ELNS1_3repE0EEENS1_30default_config_static_selectorELNS0_4arch9wavefront6targetE1EEEvT1_,@function
_ZN7rocprim17ROCPRIM_400000_NS6detail17trampoline_kernelINS0_14default_configENS1_35adjacent_difference_config_selectorILb1EtEEZNS1_24adjacent_difference_implIS3_Lb1ELb0EPKtPtN6thrust23THRUST_200600_302600_NS4plusItEEEE10hipError_tPvRmT2_T3_mT4_P12ihipStream_tbEUlT_E_NS1_11comp_targetILNS1_3genE3ELNS1_11target_archE908ELNS1_3gpuE7ELNS1_3repE0EEENS1_30default_config_static_selectorELNS0_4arch9wavefront6targetE1EEEvT1_: ; @_ZN7rocprim17ROCPRIM_400000_NS6detail17trampoline_kernelINS0_14default_configENS1_35adjacent_difference_config_selectorILb1EtEEZNS1_24adjacent_difference_implIS3_Lb1ELb0EPKtPtN6thrust23THRUST_200600_302600_NS4plusItEEEE10hipError_tPvRmT2_T3_mT4_P12ihipStream_tbEUlT_E_NS1_11comp_targetILNS1_3genE3ELNS1_11target_archE908ELNS1_3gpuE7ELNS1_3repE0EEENS1_30default_config_static_selectorELNS0_4arch9wavefront6targetE1EEEvT1_
; %bb.0:
	.section	.rodata,"a",@progbits
	.p2align	6, 0x0
	.amdhsa_kernel _ZN7rocprim17ROCPRIM_400000_NS6detail17trampoline_kernelINS0_14default_configENS1_35adjacent_difference_config_selectorILb1EtEEZNS1_24adjacent_difference_implIS3_Lb1ELb0EPKtPtN6thrust23THRUST_200600_302600_NS4plusItEEEE10hipError_tPvRmT2_T3_mT4_P12ihipStream_tbEUlT_E_NS1_11comp_targetILNS1_3genE3ELNS1_11target_archE908ELNS1_3gpuE7ELNS1_3repE0EEENS1_30default_config_static_selectorELNS0_4arch9wavefront6targetE1EEEvT1_
		.amdhsa_group_segment_fixed_size 0
		.amdhsa_private_segment_fixed_size 0
		.amdhsa_kernarg_size 56
		.amdhsa_user_sgpr_count 6
		.amdhsa_user_sgpr_private_segment_buffer 1
		.amdhsa_user_sgpr_dispatch_ptr 0
		.amdhsa_user_sgpr_queue_ptr 0
		.amdhsa_user_sgpr_kernarg_segment_ptr 1
		.amdhsa_user_sgpr_dispatch_id 0
		.amdhsa_user_sgpr_flat_scratch_init 0
		.amdhsa_user_sgpr_private_segment_size 0
		.amdhsa_uses_dynamic_stack 0
		.amdhsa_system_sgpr_private_segment_wavefront_offset 0
		.amdhsa_system_sgpr_workgroup_id_x 1
		.amdhsa_system_sgpr_workgroup_id_y 0
		.amdhsa_system_sgpr_workgroup_id_z 0
		.amdhsa_system_sgpr_workgroup_info 0
		.amdhsa_system_vgpr_workitem_id 0
		.amdhsa_next_free_vgpr 1
		.amdhsa_next_free_sgpr 0
		.amdhsa_reserve_vcc 0
		.amdhsa_reserve_flat_scratch 0
		.amdhsa_float_round_mode_32 0
		.amdhsa_float_round_mode_16_64 0
		.amdhsa_float_denorm_mode_32 3
		.amdhsa_float_denorm_mode_16_64 3
		.amdhsa_dx10_clamp 1
		.amdhsa_ieee_mode 1
		.amdhsa_fp16_overflow 0
		.amdhsa_exception_fp_ieee_invalid_op 0
		.amdhsa_exception_fp_denorm_src 0
		.amdhsa_exception_fp_ieee_div_zero 0
		.amdhsa_exception_fp_ieee_overflow 0
		.amdhsa_exception_fp_ieee_underflow 0
		.amdhsa_exception_fp_ieee_inexact 0
		.amdhsa_exception_int_div_zero 0
	.end_amdhsa_kernel
	.section	.text._ZN7rocprim17ROCPRIM_400000_NS6detail17trampoline_kernelINS0_14default_configENS1_35adjacent_difference_config_selectorILb1EtEEZNS1_24adjacent_difference_implIS3_Lb1ELb0EPKtPtN6thrust23THRUST_200600_302600_NS4plusItEEEE10hipError_tPvRmT2_T3_mT4_P12ihipStream_tbEUlT_E_NS1_11comp_targetILNS1_3genE3ELNS1_11target_archE908ELNS1_3gpuE7ELNS1_3repE0EEENS1_30default_config_static_selectorELNS0_4arch9wavefront6targetE1EEEvT1_,"axG",@progbits,_ZN7rocprim17ROCPRIM_400000_NS6detail17trampoline_kernelINS0_14default_configENS1_35adjacent_difference_config_selectorILb1EtEEZNS1_24adjacent_difference_implIS3_Lb1ELb0EPKtPtN6thrust23THRUST_200600_302600_NS4plusItEEEE10hipError_tPvRmT2_T3_mT4_P12ihipStream_tbEUlT_E_NS1_11comp_targetILNS1_3genE3ELNS1_11target_archE908ELNS1_3gpuE7ELNS1_3repE0EEENS1_30default_config_static_selectorELNS0_4arch9wavefront6targetE1EEEvT1_,comdat
.Lfunc_end694:
	.size	_ZN7rocprim17ROCPRIM_400000_NS6detail17trampoline_kernelINS0_14default_configENS1_35adjacent_difference_config_selectorILb1EtEEZNS1_24adjacent_difference_implIS3_Lb1ELb0EPKtPtN6thrust23THRUST_200600_302600_NS4plusItEEEE10hipError_tPvRmT2_T3_mT4_P12ihipStream_tbEUlT_E_NS1_11comp_targetILNS1_3genE3ELNS1_11target_archE908ELNS1_3gpuE7ELNS1_3repE0EEENS1_30default_config_static_selectorELNS0_4arch9wavefront6targetE1EEEvT1_, .Lfunc_end694-_ZN7rocprim17ROCPRIM_400000_NS6detail17trampoline_kernelINS0_14default_configENS1_35adjacent_difference_config_selectorILb1EtEEZNS1_24adjacent_difference_implIS3_Lb1ELb0EPKtPtN6thrust23THRUST_200600_302600_NS4plusItEEEE10hipError_tPvRmT2_T3_mT4_P12ihipStream_tbEUlT_E_NS1_11comp_targetILNS1_3genE3ELNS1_11target_archE908ELNS1_3gpuE7ELNS1_3repE0EEENS1_30default_config_static_selectorELNS0_4arch9wavefront6targetE1EEEvT1_
                                        ; -- End function
	.set _ZN7rocprim17ROCPRIM_400000_NS6detail17trampoline_kernelINS0_14default_configENS1_35adjacent_difference_config_selectorILb1EtEEZNS1_24adjacent_difference_implIS3_Lb1ELb0EPKtPtN6thrust23THRUST_200600_302600_NS4plusItEEEE10hipError_tPvRmT2_T3_mT4_P12ihipStream_tbEUlT_E_NS1_11comp_targetILNS1_3genE3ELNS1_11target_archE908ELNS1_3gpuE7ELNS1_3repE0EEENS1_30default_config_static_selectorELNS0_4arch9wavefront6targetE1EEEvT1_.num_vgpr, 0
	.set _ZN7rocprim17ROCPRIM_400000_NS6detail17trampoline_kernelINS0_14default_configENS1_35adjacent_difference_config_selectorILb1EtEEZNS1_24adjacent_difference_implIS3_Lb1ELb0EPKtPtN6thrust23THRUST_200600_302600_NS4plusItEEEE10hipError_tPvRmT2_T3_mT4_P12ihipStream_tbEUlT_E_NS1_11comp_targetILNS1_3genE3ELNS1_11target_archE908ELNS1_3gpuE7ELNS1_3repE0EEENS1_30default_config_static_selectorELNS0_4arch9wavefront6targetE1EEEvT1_.num_agpr, 0
	.set _ZN7rocprim17ROCPRIM_400000_NS6detail17trampoline_kernelINS0_14default_configENS1_35adjacent_difference_config_selectorILb1EtEEZNS1_24adjacent_difference_implIS3_Lb1ELb0EPKtPtN6thrust23THRUST_200600_302600_NS4plusItEEEE10hipError_tPvRmT2_T3_mT4_P12ihipStream_tbEUlT_E_NS1_11comp_targetILNS1_3genE3ELNS1_11target_archE908ELNS1_3gpuE7ELNS1_3repE0EEENS1_30default_config_static_selectorELNS0_4arch9wavefront6targetE1EEEvT1_.numbered_sgpr, 0
	.set _ZN7rocprim17ROCPRIM_400000_NS6detail17trampoline_kernelINS0_14default_configENS1_35adjacent_difference_config_selectorILb1EtEEZNS1_24adjacent_difference_implIS3_Lb1ELb0EPKtPtN6thrust23THRUST_200600_302600_NS4plusItEEEE10hipError_tPvRmT2_T3_mT4_P12ihipStream_tbEUlT_E_NS1_11comp_targetILNS1_3genE3ELNS1_11target_archE908ELNS1_3gpuE7ELNS1_3repE0EEENS1_30default_config_static_selectorELNS0_4arch9wavefront6targetE1EEEvT1_.num_named_barrier, 0
	.set _ZN7rocprim17ROCPRIM_400000_NS6detail17trampoline_kernelINS0_14default_configENS1_35adjacent_difference_config_selectorILb1EtEEZNS1_24adjacent_difference_implIS3_Lb1ELb0EPKtPtN6thrust23THRUST_200600_302600_NS4plusItEEEE10hipError_tPvRmT2_T3_mT4_P12ihipStream_tbEUlT_E_NS1_11comp_targetILNS1_3genE3ELNS1_11target_archE908ELNS1_3gpuE7ELNS1_3repE0EEENS1_30default_config_static_selectorELNS0_4arch9wavefront6targetE1EEEvT1_.private_seg_size, 0
	.set _ZN7rocprim17ROCPRIM_400000_NS6detail17trampoline_kernelINS0_14default_configENS1_35adjacent_difference_config_selectorILb1EtEEZNS1_24adjacent_difference_implIS3_Lb1ELb0EPKtPtN6thrust23THRUST_200600_302600_NS4plusItEEEE10hipError_tPvRmT2_T3_mT4_P12ihipStream_tbEUlT_E_NS1_11comp_targetILNS1_3genE3ELNS1_11target_archE908ELNS1_3gpuE7ELNS1_3repE0EEENS1_30default_config_static_selectorELNS0_4arch9wavefront6targetE1EEEvT1_.uses_vcc, 0
	.set _ZN7rocprim17ROCPRIM_400000_NS6detail17trampoline_kernelINS0_14default_configENS1_35adjacent_difference_config_selectorILb1EtEEZNS1_24adjacent_difference_implIS3_Lb1ELb0EPKtPtN6thrust23THRUST_200600_302600_NS4plusItEEEE10hipError_tPvRmT2_T3_mT4_P12ihipStream_tbEUlT_E_NS1_11comp_targetILNS1_3genE3ELNS1_11target_archE908ELNS1_3gpuE7ELNS1_3repE0EEENS1_30default_config_static_selectorELNS0_4arch9wavefront6targetE1EEEvT1_.uses_flat_scratch, 0
	.set _ZN7rocprim17ROCPRIM_400000_NS6detail17trampoline_kernelINS0_14default_configENS1_35adjacent_difference_config_selectorILb1EtEEZNS1_24adjacent_difference_implIS3_Lb1ELb0EPKtPtN6thrust23THRUST_200600_302600_NS4plusItEEEE10hipError_tPvRmT2_T3_mT4_P12ihipStream_tbEUlT_E_NS1_11comp_targetILNS1_3genE3ELNS1_11target_archE908ELNS1_3gpuE7ELNS1_3repE0EEENS1_30default_config_static_selectorELNS0_4arch9wavefront6targetE1EEEvT1_.has_dyn_sized_stack, 0
	.set _ZN7rocprim17ROCPRIM_400000_NS6detail17trampoline_kernelINS0_14default_configENS1_35adjacent_difference_config_selectorILb1EtEEZNS1_24adjacent_difference_implIS3_Lb1ELb0EPKtPtN6thrust23THRUST_200600_302600_NS4plusItEEEE10hipError_tPvRmT2_T3_mT4_P12ihipStream_tbEUlT_E_NS1_11comp_targetILNS1_3genE3ELNS1_11target_archE908ELNS1_3gpuE7ELNS1_3repE0EEENS1_30default_config_static_selectorELNS0_4arch9wavefront6targetE1EEEvT1_.has_recursion, 0
	.set _ZN7rocprim17ROCPRIM_400000_NS6detail17trampoline_kernelINS0_14default_configENS1_35adjacent_difference_config_selectorILb1EtEEZNS1_24adjacent_difference_implIS3_Lb1ELb0EPKtPtN6thrust23THRUST_200600_302600_NS4plusItEEEE10hipError_tPvRmT2_T3_mT4_P12ihipStream_tbEUlT_E_NS1_11comp_targetILNS1_3genE3ELNS1_11target_archE908ELNS1_3gpuE7ELNS1_3repE0EEENS1_30default_config_static_selectorELNS0_4arch9wavefront6targetE1EEEvT1_.has_indirect_call, 0
	.section	.AMDGPU.csdata,"",@progbits
; Kernel info:
; codeLenInByte = 0
; TotalNumSgprs: 4
; NumVgprs: 0
; ScratchSize: 0
; MemoryBound: 0
; FloatMode: 240
; IeeeMode: 1
; LDSByteSize: 0 bytes/workgroup (compile time only)
; SGPRBlocks: 0
; VGPRBlocks: 0
; NumSGPRsForWavesPerEU: 4
; NumVGPRsForWavesPerEU: 1
; Occupancy: 10
; WaveLimiterHint : 0
; COMPUTE_PGM_RSRC2:SCRATCH_EN: 0
; COMPUTE_PGM_RSRC2:USER_SGPR: 6
; COMPUTE_PGM_RSRC2:TRAP_HANDLER: 0
; COMPUTE_PGM_RSRC2:TGID_X_EN: 1
; COMPUTE_PGM_RSRC2:TGID_Y_EN: 0
; COMPUTE_PGM_RSRC2:TGID_Z_EN: 0
; COMPUTE_PGM_RSRC2:TIDIG_COMP_CNT: 0
	.section	.text._ZN7rocprim17ROCPRIM_400000_NS6detail17trampoline_kernelINS0_14default_configENS1_35adjacent_difference_config_selectorILb1EtEEZNS1_24adjacent_difference_implIS3_Lb1ELb0EPKtPtN6thrust23THRUST_200600_302600_NS4plusItEEEE10hipError_tPvRmT2_T3_mT4_P12ihipStream_tbEUlT_E_NS1_11comp_targetILNS1_3genE2ELNS1_11target_archE906ELNS1_3gpuE6ELNS1_3repE0EEENS1_30default_config_static_selectorELNS0_4arch9wavefront6targetE1EEEvT1_,"axG",@progbits,_ZN7rocprim17ROCPRIM_400000_NS6detail17trampoline_kernelINS0_14default_configENS1_35adjacent_difference_config_selectorILb1EtEEZNS1_24adjacent_difference_implIS3_Lb1ELb0EPKtPtN6thrust23THRUST_200600_302600_NS4plusItEEEE10hipError_tPvRmT2_T3_mT4_P12ihipStream_tbEUlT_E_NS1_11comp_targetILNS1_3genE2ELNS1_11target_archE906ELNS1_3gpuE6ELNS1_3repE0EEENS1_30default_config_static_selectorELNS0_4arch9wavefront6targetE1EEEvT1_,comdat
	.protected	_ZN7rocprim17ROCPRIM_400000_NS6detail17trampoline_kernelINS0_14default_configENS1_35adjacent_difference_config_selectorILb1EtEEZNS1_24adjacent_difference_implIS3_Lb1ELb0EPKtPtN6thrust23THRUST_200600_302600_NS4plusItEEEE10hipError_tPvRmT2_T3_mT4_P12ihipStream_tbEUlT_E_NS1_11comp_targetILNS1_3genE2ELNS1_11target_archE906ELNS1_3gpuE6ELNS1_3repE0EEENS1_30default_config_static_selectorELNS0_4arch9wavefront6targetE1EEEvT1_ ; -- Begin function _ZN7rocprim17ROCPRIM_400000_NS6detail17trampoline_kernelINS0_14default_configENS1_35adjacent_difference_config_selectorILb1EtEEZNS1_24adjacent_difference_implIS3_Lb1ELb0EPKtPtN6thrust23THRUST_200600_302600_NS4plusItEEEE10hipError_tPvRmT2_T3_mT4_P12ihipStream_tbEUlT_E_NS1_11comp_targetILNS1_3genE2ELNS1_11target_archE906ELNS1_3gpuE6ELNS1_3repE0EEENS1_30default_config_static_selectorELNS0_4arch9wavefront6targetE1EEEvT1_
	.globl	_ZN7rocprim17ROCPRIM_400000_NS6detail17trampoline_kernelINS0_14default_configENS1_35adjacent_difference_config_selectorILb1EtEEZNS1_24adjacent_difference_implIS3_Lb1ELb0EPKtPtN6thrust23THRUST_200600_302600_NS4plusItEEEE10hipError_tPvRmT2_T3_mT4_P12ihipStream_tbEUlT_E_NS1_11comp_targetILNS1_3genE2ELNS1_11target_archE906ELNS1_3gpuE6ELNS1_3repE0EEENS1_30default_config_static_selectorELNS0_4arch9wavefront6targetE1EEEvT1_
	.p2align	8
	.type	_ZN7rocprim17ROCPRIM_400000_NS6detail17trampoline_kernelINS0_14default_configENS1_35adjacent_difference_config_selectorILb1EtEEZNS1_24adjacent_difference_implIS3_Lb1ELb0EPKtPtN6thrust23THRUST_200600_302600_NS4plusItEEEE10hipError_tPvRmT2_T3_mT4_P12ihipStream_tbEUlT_E_NS1_11comp_targetILNS1_3genE2ELNS1_11target_archE906ELNS1_3gpuE6ELNS1_3repE0EEENS1_30default_config_static_selectorELNS0_4arch9wavefront6targetE1EEEvT1_,@function
_ZN7rocprim17ROCPRIM_400000_NS6detail17trampoline_kernelINS0_14default_configENS1_35adjacent_difference_config_selectorILb1EtEEZNS1_24adjacent_difference_implIS3_Lb1ELb0EPKtPtN6thrust23THRUST_200600_302600_NS4plusItEEEE10hipError_tPvRmT2_T3_mT4_P12ihipStream_tbEUlT_E_NS1_11comp_targetILNS1_3genE2ELNS1_11target_archE906ELNS1_3gpuE6ELNS1_3repE0EEENS1_30default_config_static_selectorELNS0_4arch9wavefront6targetE1EEEvT1_: ; @_ZN7rocprim17ROCPRIM_400000_NS6detail17trampoline_kernelINS0_14default_configENS1_35adjacent_difference_config_selectorILb1EtEEZNS1_24adjacent_difference_implIS3_Lb1ELb0EPKtPtN6thrust23THRUST_200600_302600_NS4plusItEEEE10hipError_tPvRmT2_T3_mT4_P12ihipStream_tbEUlT_E_NS1_11comp_targetILNS1_3genE2ELNS1_11target_archE906ELNS1_3gpuE6ELNS1_3repE0EEENS1_30default_config_static_selectorELNS0_4arch9wavefront6targetE1EEEvT1_
; %bb.0:
	s_load_dwordx8 s[8:15], s[4:5], 0x0
	s_load_dwordx4 s[16:19], s[4:5], 0x28
	s_mul_i32 s20, s6, 0x440
	s_mov_b32 s7, 0
	s_mov_b64 s[22:23], -1
	s_waitcnt lgkmcnt(0)
	s_lshl_b64 s[10:11], s[10:11], 1
	s_add_u32 s26, s8, s10
	s_addc_u32 s27, s9, s11
	s_mul_i32 s3, s15, 0xf0f0f0f1
	s_mul_hi_u32 s4, s14, 0xf0f0f0f1
	s_mul_hi_u32 s2, s15, 0xf0f0f0f1
	s_add_u32 s3, s3, s4
	s_mul_i32 s1, s14, 0xf0f0f0f0
	s_addc_u32 s2, s2, 0
	s_mul_hi_u32 s0, s14, 0xf0f0f0f0
	s_add_u32 s1, s1, s3
	s_addc_u32 s0, s0, 0
	s_add_u32 s0, s2, s0
	s_addc_u32 s1, 0, 0
	s_mul_i32 s3, s15, 0xf0f0f0f0
	s_mul_hi_u32 s2, s15, 0xf0f0f0f0
	s_add_u32 s0, s3, s0
	s_addc_u32 s1, s2, s1
	s_lshr_b64 s[2:3], s[0:1], 10
	s_lshr_b32 s0, s1, 10
	s_mulk_i32 s0, 0x440
	s_mul_hi_u32 s1, s2, 0x440
	s_add_i32 s1, s1, s0
	s_mul_i32 s0, s2, 0x440
	s_sub_u32 s0, s14, s0
	s_subb_u32 s1, s15, s1
	s_cmp_lg_u64 s[0:1], 0
	s_cselect_b64 s[0:1], -1, 0
	v_cndmask_b32_e64 v1, 0, 1, s[0:1]
	v_readfirstlane_b32 s0, v1
	s_add_u32 s4, s2, s0
	s_addc_u32 s5, s3, 0
	s_add_u32 s2, s18, s6
	s_addc_u32 s3, s19, 0
	s_add_u32 s8, s4, -1
	s_addc_u32 s9, s5, -1
	v_mov_b32_e32 v1, s8
	v_mov_b32_e32 v2, s9
	v_cmp_ge_u64_e64 s[0:1], s[2:3], v[1:2]
	s_mul_i32 s15, s8, 0xfffffbc0
	s_and_b64 vcc, exec, s[0:1]
	s_cbranch_vccz .LBB695_36
; %bb.1:
	s_mov_b32 s21, s7
	s_add_i32 s28, s15, s14
	s_lshl_b64 s[22:23], s[20:21], 1
	s_add_u32 s22, s26, s22
	v_mov_b32_e32 v1, 0
	s_addc_u32 s23, s27, s23
	v_cmp_gt_u32_e32 vcc, s28, v0
	v_mov_b32_e32 v2, v1
	v_mov_b32_e32 v3, v1
	;; [unrolled: 1-line block ×8, first 2 shown]
	s_and_saveexec_b64 s[24:25], vcc
	s_cbranch_execz .LBB695_3
; %bb.2:
	v_mov_b32_e32 v2, v1
	v_mov_b32_e32 v3, v1
	;; [unrolled: 1-line block ×8, first 2 shown]
	v_lshlrev_b32_e32 v1, 1, v0
	global_load_ushort v1, v1, s[22:23]
	s_waitcnt vmcnt(0)
	v_and_b32_e32 v1, 0xffff, v1
.LBB695_3:
	s_or_b64 exec, exec, s[24:25]
	v_or_b32_e32 v10, 64, v0
	v_cmp_gt_u32_e32 vcc, s28, v10
	s_and_saveexec_b64 s[24:25], vcc
	s_cbranch_execz .LBB695_5
; %bb.4:
	v_lshlrev_b32_e32 v10, 1, v0
	global_load_ushort v10, v10, s[22:23] offset:128
	s_mov_b32 s21, 0x5040100
	s_waitcnt vmcnt(0)
	v_perm_b32 v1, v10, v1, s21
.LBB695_5:
	s_or_b64 exec, exec, s[24:25]
	v_or_b32_e32 v10, 0x80, v0
	v_cmp_gt_u32_e32 vcc, s28, v10
	s_and_saveexec_b64 s[24:25], vcc
	s_cbranch_execz .LBB695_7
; %bb.6:
	v_lshlrev_b32_e32 v10, 1, v0
	global_load_ushort v10, v10, s[22:23] offset:256
	s_mov_b32 s21, 0xffff
	s_waitcnt vmcnt(0)
	v_bfi_b32 v2, s21, v10, v2
.LBB695_7:
	s_or_b64 exec, exec, s[24:25]
	v_or_b32_e32 v10, 0xc0, v0
	v_cmp_gt_u32_e32 vcc, s28, v10
	s_and_saveexec_b64 s[24:25], vcc
	s_cbranch_execz .LBB695_9
; %bb.8:
	v_lshlrev_b32_e32 v10, 1, v0
	global_load_ushort v10, v10, s[22:23] offset:384
	s_mov_b32 s21, 0x5040100
	s_waitcnt vmcnt(0)
	v_perm_b32 v2, v10, v2, s21
.LBB695_9:
	s_or_b64 exec, exec, s[24:25]
	v_or_b32_e32 v10, 0x100, v0
	v_cmp_gt_u32_e32 vcc, s28, v10
	s_and_saveexec_b64 s[24:25], vcc
	s_cbranch_execz .LBB695_11
; %bb.10:
	v_lshlrev_b32_e32 v10, 1, v0
	global_load_ushort v10, v10, s[22:23] offset:512
	s_mov_b32 s21, 0xffff
	s_waitcnt vmcnt(0)
	v_bfi_b32 v3, s21, v10, v3
.LBB695_11:
	;; [unrolled: 24-line block ×7, first 2 shown]
	s_or_b64 exec, exec, s[24:25]
	v_or_b32_e32 v10, 0x3c0, v0
	v_cmp_gt_u32_e32 vcc, s28, v10
	s_and_saveexec_b64 s[24:25], vcc
	s_cbranch_execz .LBB695_33
; %bb.32:
	v_lshlrev_b32_e32 v10, 1, v0
	global_load_ushort v10, v10, s[22:23] offset:1920
	s_mov_b32 s21, 0x5040100
	s_waitcnt vmcnt(0)
	v_perm_b32 v8, v10, v8, s21
.LBB695_33:
	s_or_b64 exec, exec, s[24:25]
	v_or_b32_e32 v10, 0x400, v0
	v_cmp_gt_u32_e32 vcc, s28, v10
	s_and_saveexec_b64 s[24:25], vcc
	s_cbranch_execz .LBB695_35
; %bb.34:
	v_lshlrev_b32_e32 v9, 1, v0
	global_load_ushort v9, v9, s[22:23] offset:2048
.LBB695_35:
	s_or_b64 exec, exec, s[24:25]
	v_lshlrev_b32_e32 v10, 1, v0
	s_mov_b64 s[22:23], 0
	ds_write_b16 v10, v1
	ds_write_b16_d16_hi v10, v1 offset:128
	ds_write_b16 v10, v2 offset:256
	ds_write_b16_d16_hi v10, v2 offset:384
	ds_write_b16 v10, v3 offset:512
	;; [unrolled: 2-line block ×7, first 2 shown]
	ds_write_b16_d16_hi v10, v8 offset:1920
	s_waitcnt vmcnt(0)
	ds_write_b16 v10, v9 offset:2048
	s_waitcnt lgkmcnt(0)
	; wave barrier
.LBB695_36:
	s_and_b64 vcc, exec, s[22:23]
	v_lshlrev_b32_e32 v11, 1, v0
	s_cbranch_vccz .LBB695_38
; %bb.37:
	s_mov_b32 s21, 0
	s_lshl_b64 s[22:23], s[20:21], 1
	s_add_u32 s22, s26, s22
	s_addc_u32 s23, s27, s23
	global_load_ushort v1, v11, s[22:23]
	global_load_ushort v2, v11, s[22:23] offset:128
	global_load_ushort v3, v11, s[22:23] offset:256
	;; [unrolled: 1-line block ×16, first 2 shown]
	s_waitcnt vmcnt(16)
	ds_write_b16 v11, v1
	s_waitcnt vmcnt(15)
	ds_write_b16 v11, v2 offset:128
	s_waitcnt vmcnt(14)
	ds_write_b16 v11, v3 offset:256
	;; [unrolled: 2-line block ×16, first 2 shown]
	s_waitcnt lgkmcnt(0)
	; wave barrier
.LBB695_38:
	v_mul_u32_u24_e32 v12, 34, v0
	ds_read_b32 v9, v12
	ds_read_b32 v15, v12 offset:2
	ds_read_b32 v22, v12 offset:4
	;; [unrolled: 1-line block ×13, first 2 shown]
	ds_read_u16 v28, v12 offset:28
	ds_read_u16 v10, v12 offset:30
	;; [unrolled: 1-line block ×3, first 2 shown]
	s_cmp_eq_u64 s[2:3], 0
	s_waitcnt lgkmcnt(0)
	; wave barrier
	s_cbranch_scc1 .LBB695_43
; %bb.39:
	s_lshl_b64 s[18:19], s[18:19], 1
	s_add_u32 s16, s16, s18
	s_addc_u32 s17, s17, s19
	s_lshl_b64 s[6:7], s[6:7], 1
	s_add_u32 s6, s16, s6
	s_addc_u32 s7, s17, s7
	v_mov_b32_e32 v1, 0
	global_load_ushort v29, v1, s[6:7] offset:-2
	s_cmp_eq_u64 s[2:3], s[8:9]
	s_cbranch_scc1 .LBB695_44
; %bb.40:
	v_cmp_ne_u32_e32 vcc, 0, v0
	s_waitcnt vmcnt(0)
	v_mov_b32_e32 v14, v29
	ds_write_b16 v11, v4
	s_waitcnt lgkmcnt(0)
	; wave barrier
	s_and_saveexec_b64 s[6:7], vcc
; %bb.41:
	v_add_u32_e32 v1, -2, v11
	ds_read_u16 v14, v1
; %bb.42:
	s_or_b64 exec, exec, s[6:7]
	v_add_u16_e32 v13, v10, v28
	v_pk_add_u16 v3, v21, v27
	v_pk_add_u16 v2, v20, v26
	;; [unrolled: 1-line block ×7, first 2 shown]
	s_waitcnt lgkmcnt(0)
	v_add_u16_e32 v14, v14, v9
	v_mov_b32_e32 v30, v10
	s_branch .LBB695_48
.LBB695_43:
                                        ; implicit-def: $vgpr3
                                        ; implicit-def: $vgpr8
                                        ; implicit-def: $vgpr30
                                        ; implicit-def: $vgpr13
                                        ; implicit-def: $vgpr14
	s_branch .LBB695_49
.LBB695_44:
                                        ; implicit-def: $vgpr3
                                        ; implicit-def: $vgpr8
                                        ; implicit-def: $vgpr13
                                        ; implicit-def: $vgpr14
	v_mov_b32_e32 v30, v10
	s_cbranch_execz .LBB695_48
; %bb.45:
	v_mul_u32_u24_e32 v14, 17, v0
	v_cmp_ne_u32_e32 vcc, 0, v0
	ds_write_b16 v11, v4
	s_waitcnt lgkmcnt(0)
	; wave barrier
	s_and_saveexec_b64 s[6:7], vcc
	s_cbranch_execz .LBB695_47
; %bb.46:
	v_add_u32_e32 v1, -2, v11
	s_waitcnt vmcnt(0)
	ds_read_u16 v29, v1
.LBB695_47:
	s_or_b64 exec, exec, s[6:7]
	s_mulk_i32 s2, 0xfbc0
	s_add_i32 s6, s2, s14
	v_add_u32_e32 v1, 13, v14
	v_add_u32_e32 v2, 14, v14
	v_cmp_gt_u32_e32 vcc, s6, v1
	v_cndmask_b32_e32 v1, 0, v27, vcc
	v_lshrrev_b32_e32 v3, 16, v27
	v_cmp_gt_u32_e32 vcc, s6, v2
	v_cndmask_b32_e32 v2, 0, v3, vcc
	s_mov_b32 s7, 0x5040100
	v_perm_b32 v1, v2, v1, s7
	v_pk_add_u16 v3, v1, v21
	v_add_u32_e32 v1, 11, v14
	v_add_u32_e32 v2, 12, v14
	v_cmp_gt_u32_e32 vcc, s6, v2
	v_cmp_gt_u32_e64 s[2:3], s6, v1
	v_mov_b32_e32 v5, 0
	v_cndmask_b32_e64 v1, 0, v26, s[2:3]
	v_cndmask_b32_sdwa v2, v5, v26, vcc dst_sel:DWORD dst_unused:UNUSED_PAD src0_sel:DWORD src1_sel:WORD_1
	v_perm_b32 v1, v2, v1, s7
	v_pk_add_u16 v2, v1, v20
	v_add_u32_e32 v1, 9, v14
	v_add_u32_e32 v6, 10, v14
	v_cmp_gt_u32_e32 vcc, s6, v6
	v_cmp_gt_u32_e64 s[2:3], s6, v1
	v_cndmask_b32_e64 v1, 0, v25, s[2:3]
	v_cndmask_b32_sdwa v6, v5, v25, vcc dst_sel:DWORD dst_unused:UNUSED_PAD src0_sel:DWORD src1_sel:WORD_1
	v_perm_b32 v1, v6, v1, s7
	v_add_u32_e32 v6, 7, v14
	v_add_u32_e32 v7, 8, v14
	v_cmp_gt_u32_e32 vcc, s6, v7
	v_cmp_gt_u32_e64 s[2:3], s6, v6
	v_cndmask_b32_e64 v6, 0, v24, s[2:3]
	v_cndmask_b32_sdwa v7, v5, v24, vcc dst_sel:DWORD dst_unused:UNUSED_PAD src0_sel:DWORD src1_sel:WORD_1
	v_perm_b32 v6, v7, v6, s7
	;; [unrolled: 7-line block ×3, first 2 shown]
	v_pk_add_u16 v8, v6, v18
	v_add_u32_e32 v6, 4, v14
	v_cmp_gt_u32_e32 vcc, s6, v6
	v_add_u32_e32 v6, 3, v14
	v_cmp_gt_u32_e64 s[2:3], s6, v6
	v_cndmask_b32_e64 v6, 0, v22, s[2:3]
	v_cndmask_b32_sdwa v13, v5, v22, vcc dst_sel:DWORD dst_unused:UNUSED_PAD src0_sel:DWORD src1_sel:WORD_1
	v_perm_b32 v6, v13, v6, s7
	v_add_u32_e32 v13, 2, v14
	v_cmp_gt_u32_e32 vcc, s6, v13
	v_add_u32_e32 v13, 1, v14
	v_cmp_gt_u32_e64 s[2:3], s6, v13
	v_cndmask_b32_e64 v13, 0, v9, s[2:3]
	v_cndmask_b32_sdwa v5, v5, v9, vcc dst_sel:DWORD dst_unused:UNUSED_PAD src0_sel:DWORD src1_sel:WORD_1
	v_perm_b32 v5, v5, v13, s7
	v_add_u32_e32 v13, 16, v14
	v_cmp_gt_u32_e32 vcc, s6, v13
	v_add_u32_e32 v13, 15, v14
	v_cndmask_b32_e32 v30, 0, v10, vcc
	v_cmp_gt_u32_e32 vcc, s6, v13
	v_cndmask_b32_e32 v13, 0, v28, vcc
	v_cmp_gt_u32_e32 vcc, s6, v14
	s_waitcnt vmcnt(0) lgkmcnt(0)
	v_cndmask_b32_e32 v14, 0, v29, vcc
	v_pk_add_u16 v1, v1, v19
	v_pk_add_u16 v7, v7, v17
	;; [unrolled: 1-line block ×4, first 2 shown]
	v_add_u16_e32 v13, v13, v10
	v_add_u16_e32 v14, v14, v9
.LBB695_48:
	s_cbranch_execnz .LBB695_58
.LBB695_49:
	s_cmp_eq_u64 s[4:5], 1
	v_cmp_ne_u32_e32 vcc, 0, v0
	s_cbranch_scc1 .LBB695_53
; %bb.50:
	v_mov_b32_e32 v14, v9
	ds_write_b16 v11, v4
	s_waitcnt lgkmcnt(0)
	; wave barrier
	s_and_saveexec_b64 s[2:3], vcc
	s_cbranch_execz .LBB695_52
; %bb.51:
	v_add_u32_e32 v1, -2, v11
	ds_read_u16 v1, v1
	s_waitcnt lgkmcnt(0)
	v_add_u16_e32 v14, v1, v9
.LBB695_52:
	s_or_b64 exec, exec, s[2:3]
	v_add_u16_e32 v13, v10, v28
	v_pk_add_u16 v3, v21, v27
	v_pk_add_u16 v2, v20, v26
	;; [unrolled: 1-line block ×7, first 2 shown]
	s_cbranch_execz .LBB695_54
	s_branch .LBB695_57
.LBB695_53:
                                        ; implicit-def: $vgpr3
                                        ; implicit-def: $vgpr8
                                        ; implicit-def: $vgpr13
                                        ; implicit-def: $vgpr14
.LBB695_54:
	v_mad_u32_u24 v1, v0, 17, 16
	v_cmp_gt_u32_e64 s[2:3], s14, v1
	v_mad_u32_u24 v1, v0, 17, 15
	v_cmp_gt_u32_e32 vcc, s14, v1
	v_mad_u32_u24 v2, v0, 17, 13
	v_mad_u32_u24 v5, v0, 17, 14
	v_cndmask_b32_e32 v1, 0, v28, vcc
	v_cmp_gt_u32_e32 vcc, s14, v5
	v_cmp_gt_u32_e64 s[4:5], s14, v2
	v_mov_b32_e32 v8, 0
	v_cndmask_b32_e64 v2, 0, v27, s[4:5]
	v_cndmask_b32_sdwa v5, v8, v27, vcc dst_sel:DWORD dst_unused:UNUSED_PAD src0_sel:DWORD src1_sel:WORD_1
	s_mov_b32 s6, 0x5040100
	v_perm_b32 v2, v5, v2, s6
	v_mad_u32_u24 v5, v0, 17, 11
	v_mad_u32_u24 v6, v0, 17, 12
	v_cmp_gt_u32_e32 vcc, s14, v6
	v_cmp_gt_u32_e64 s[4:5], s14, v5
	v_cndmask_b32_e64 v5, 0, v26, s[4:5]
	v_cndmask_b32_sdwa v6, v8, v26, vcc dst_sel:DWORD dst_unused:UNUSED_PAD src0_sel:DWORD src1_sel:WORD_1
	v_perm_b32 v5, v6, v5, s6
	v_mad_u32_u24 v6, v0, 17, 9
	v_mad_u32_u24 v7, v0, 17, 10
	v_cmp_gt_u32_e32 vcc, s14, v7
	v_cmp_gt_u32_e64 s[4:5], s14, v6
	v_cndmask_b32_e64 v6, 0, v25, s[4:5]
	v_cndmask_b32_sdwa v7, v8, v25, vcc dst_sel:DWORD dst_unused:UNUSED_PAD src0_sel:DWORD src1_sel:WORD_1
	;; [unrolled: 7-line block ×5, first 2 shown]
	v_perm_b32 v22, v22, v13, s6
	v_mad_u32_u24 v13, v0, 17, 1
	v_mad_u32_u24 v23, v0, 17, 2
	v_mul_u32_u24_e32 v3, 17, v0
	v_cmp_gt_u32_e32 vcc, s14, v23
	v_cmp_gt_u32_e64 s[4:5], s14, v13
	v_cndmask_b32_e64 v13, 0, v9, s[4:5]
	v_cndmask_b32_sdwa v8, v8, v9, vcc dst_sel:DWORD dst_unused:UNUSED_PAD src0_sel:DWORD src1_sel:WORD_1
	v_cmp_ne_u32_e32 vcc, 0, v0
	v_cmp_gt_u32_e64 s[4:5], s14, v3
	v_perm_b32 v23, v8, v13, s6
	s_and_b64 s[6:7], vcc, s[4:5]
	ds_write_b16 v11, v4
	s_waitcnt lgkmcnt(0)
	; wave barrier
	s_and_saveexec_b64 s[4:5], s[6:7]
	s_cbranch_execz .LBB695_56
; %bb.55:
	v_add_u32_e32 v3, -2, v11
	ds_read_u16 v3, v3
	s_waitcnt lgkmcnt(0)
	v_add_u16_e32 v9, v3, v9
.LBB695_56:
	s_or_b64 exec, exec, s[4:5]
	v_cndmask_b32_e64 v24, 0, v10, s[2:3]
	v_add_u16_e32 v13, v1, v10
	v_pk_add_u16 v3, v2, v21
	v_pk_add_u16 v2, v5, v20
	;; [unrolled: 1-line block ×7, first 2 shown]
	v_mov_b32_e32 v10, v24
	v_mov_b32_e32 v14, v9
.LBB695_57:
	v_mov_b32_e32 v30, v10
.LBB695_58:
	s_add_u32 s4, s12, s10
	s_addc_u32 s5, s13, s11
	v_add_u16_e32 v16, v30, v4
	s_and_b64 vcc, exec, s[0:1]
	v_lshlrev_b32_e32 v15, 5, v0
	; wave barrier
	s_cbranch_vccz .LBB695_92
; %bb.59:
	s_mov_b32 s2, 0x5040100
	v_perm_b32 v4, v16, v13, s2
	ds_write_b16 v12, v14
	ds_write_b128 v12, v[5:8] offset:2
	ds_write_b128 v12, v[1:4] offset:18
	v_sub_u32_e32 v4, v12, v15
	s_waitcnt lgkmcnt(0)
	; wave barrier
	ds_read_u16 v31, v4 offset:128
	ds_read_u16 v30, v4 offset:256
	s_waitcnt vmcnt(0)
	ds_read_u16 v29, v4 offset:384
	ds_read_u16 v28, v4 offset:512
	;; [unrolled: 1-line block ×14, first 2 shown]
	s_mov_b32 s21, 0
	s_add_i32 s15, s15, s14
	s_lshl_b64 s[0:1], s[20:21], 1
	s_add_u32 s0, s4, s0
	s_addc_u32 s1, s5, s1
	v_mov_b32_e32 v10, s1
	v_add_co_u32_e32 v9, vcc, s0, v11
	v_addc_co_u32_e32 v10, vcc, 0, v10, vcc
	v_cmp_gt_u32_e32 vcc, s15, v0
	s_and_saveexec_b64 s[0:1], vcc
	s_cbranch_execz .LBB695_61
; %bb.60:
	v_sub_u32_e32 v32, 0, v15
	v_add_u32_e32 v32, v12, v32
	ds_read_u16 v32, v32
	s_waitcnt lgkmcnt(0)
	global_store_short v[9:10], v32, off
.LBB695_61:
	s_or_b64 exec, exec, s[0:1]
	v_or_b32_e32 v32, 64, v0
	v_cmp_gt_u32_e32 vcc, s15, v32
	s_and_saveexec_b64 s[0:1], vcc
	s_cbranch_execz .LBB695_63
; %bb.62:
	s_waitcnt lgkmcnt(14)
	global_store_short v[9:10], v31, off offset:128
.LBB695_63:
	s_or_b64 exec, exec, s[0:1]
	s_waitcnt lgkmcnt(14)
	v_or_b32_e32 v31, 0x80, v0
	v_cmp_gt_u32_e32 vcc, s15, v31
	s_and_saveexec_b64 s[0:1], vcc
	s_cbranch_execz .LBB695_65
; %bb.64:
	global_store_short v[9:10], v30, off offset:256
.LBB695_65:
	s_or_b64 exec, exec, s[0:1]
	v_or_b32_e32 v30, 0xc0, v0
	v_cmp_gt_u32_e32 vcc, s15, v30
	s_and_saveexec_b64 s[0:1], vcc
	s_cbranch_execz .LBB695_67
; %bb.66:
	s_waitcnt lgkmcnt(13)
	global_store_short v[9:10], v29, off offset:384
.LBB695_67:
	s_or_b64 exec, exec, s[0:1]
	s_waitcnt lgkmcnt(13)
	v_or_b32_e32 v29, 0x100, v0
	v_cmp_gt_u32_e32 vcc, s15, v29
	s_and_saveexec_b64 s[0:1], vcc
	s_cbranch_execz .LBB695_69
; %bb.68:
	s_waitcnt lgkmcnt(12)
	global_store_short v[9:10], v28, off offset:512
.LBB695_69:
	s_or_b64 exec, exec, s[0:1]
	s_waitcnt lgkmcnt(12)
	;; [unrolled: 10-line block ×12, first 2 shown]
	v_or_b32_e32 v18, 0x3c0, v0
	v_cmp_gt_u32_e32 vcc, s15, v18
	s_and_saveexec_b64 s[0:1], vcc
	s_cbranch_execz .LBB695_91
; %bb.90:
	s_waitcnt lgkmcnt(1)
	global_store_short v[9:10], v17, off offset:1920
.LBB695_91:
	s_or_b64 exec, exec, s[0:1]
	v_or_b32_e32 v0, 0x400, v0
	v_cmp_gt_u32_e64 s[0:1], s15, v0
	s_branch .LBB695_94
.LBB695_92:
	s_mov_b64 s[0:1], 0
                                        ; implicit-def: $vgpr4
                                        ; implicit-def: $vgpr9_vgpr10
	s_cbranch_execz .LBB695_94
; %bb.93:
	s_mov_b32 s21, 0
	s_lshl_b64 s[2:3], s[20:21], 1
	s_add_u32 s2, s4, s2
	s_mov_b32 s4, 0x5040100
	s_waitcnt lgkmcnt(0)
	v_perm_b32 v4, v16, v13, s4
	v_sub_u32_e32 v0, v12, v15
	ds_write_b16 v12, v14
	ds_write_b128 v12, v[5:8] offset:2
	ds_write_b128 v12, v[1:4] offset:18
	s_waitcnt lgkmcnt(0)
	; wave barrier
	ds_read_u16 v1, v0
	ds_read_u16 v2, v0 offset:128
	ds_read_u16 v3, v0 offset:256
	;; [unrolled: 1-line block ×16, first 2 shown]
	s_addc_u32 s3, s5, s3
	v_mov_b32_e32 v0, s3
	v_add_co_u32_e32 v9, vcc, s2, v11
	v_addc_co_u32_e32 v10, vcc, 0, v0, vcc
	s_or_b64 s[0:1], s[0:1], exec
	s_waitcnt lgkmcnt(14)
	global_store_short v11, v1, s[2:3]
	global_store_short v11, v2, s[2:3] offset:128
	global_store_short v11, v3, s[2:3] offset:256
	s_waitcnt lgkmcnt(13)
	global_store_short v11, v5, s[2:3] offset:384
	s_waitcnt lgkmcnt(12)
	;; [unrolled: 2-line block ×13, first 2 shown]
	global_store_short v11, v20, s[2:3] offset:1920
.LBB695_94:
	s_and_saveexec_b64 s[2:3], s[0:1]
	s_cbranch_execnz .LBB695_96
; %bb.95:
	s_endpgm
.LBB695_96:
	s_waitcnt lgkmcnt(0)
	global_store_short v[9:10], v4, off offset:2048
	s_endpgm
	.section	.rodata,"a",@progbits
	.p2align	6, 0x0
	.amdhsa_kernel _ZN7rocprim17ROCPRIM_400000_NS6detail17trampoline_kernelINS0_14default_configENS1_35adjacent_difference_config_selectorILb1EtEEZNS1_24adjacent_difference_implIS3_Lb1ELb0EPKtPtN6thrust23THRUST_200600_302600_NS4plusItEEEE10hipError_tPvRmT2_T3_mT4_P12ihipStream_tbEUlT_E_NS1_11comp_targetILNS1_3genE2ELNS1_11target_archE906ELNS1_3gpuE6ELNS1_3repE0EEENS1_30default_config_static_selectorELNS0_4arch9wavefront6targetE1EEEvT1_
		.amdhsa_group_segment_fixed_size 2176
		.amdhsa_private_segment_fixed_size 0
		.amdhsa_kernarg_size 56
		.amdhsa_user_sgpr_count 6
		.amdhsa_user_sgpr_private_segment_buffer 1
		.amdhsa_user_sgpr_dispatch_ptr 0
		.amdhsa_user_sgpr_queue_ptr 0
		.amdhsa_user_sgpr_kernarg_segment_ptr 1
		.amdhsa_user_sgpr_dispatch_id 0
		.amdhsa_user_sgpr_flat_scratch_init 0
		.amdhsa_user_sgpr_private_segment_size 0
		.amdhsa_uses_dynamic_stack 0
		.amdhsa_system_sgpr_private_segment_wavefront_offset 0
		.amdhsa_system_sgpr_workgroup_id_x 1
		.amdhsa_system_sgpr_workgroup_id_y 0
		.amdhsa_system_sgpr_workgroup_id_z 0
		.amdhsa_system_sgpr_workgroup_info 0
		.amdhsa_system_vgpr_workitem_id 0
		.amdhsa_next_free_vgpr 33
		.amdhsa_next_free_sgpr 61
		.amdhsa_reserve_vcc 1
		.amdhsa_reserve_flat_scratch 0
		.amdhsa_float_round_mode_32 0
		.amdhsa_float_round_mode_16_64 0
		.amdhsa_float_denorm_mode_32 3
		.amdhsa_float_denorm_mode_16_64 3
		.amdhsa_dx10_clamp 1
		.amdhsa_ieee_mode 1
		.amdhsa_fp16_overflow 0
		.amdhsa_exception_fp_ieee_invalid_op 0
		.amdhsa_exception_fp_denorm_src 0
		.amdhsa_exception_fp_ieee_div_zero 0
		.amdhsa_exception_fp_ieee_overflow 0
		.amdhsa_exception_fp_ieee_underflow 0
		.amdhsa_exception_fp_ieee_inexact 0
		.amdhsa_exception_int_div_zero 0
	.end_amdhsa_kernel
	.section	.text._ZN7rocprim17ROCPRIM_400000_NS6detail17trampoline_kernelINS0_14default_configENS1_35adjacent_difference_config_selectorILb1EtEEZNS1_24adjacent_difference_implIS3_Lb1ELb0EPKtPtN6thrust23THRUST_200600_302600_NS4plusItEEEE10hipError_tPvRmT2_T3_mT4_P12ihipStream_tbEUlT_E_NS1_11comp_targetILNS1_3genE2ELNS1_11target_archE906ELNS1_3gpuE6ELNS1_3repE0EEENS1_30default_config_static_selectorELNS0_4arch9wavefront6targetE1EEEvT1_,"axG",@progbits,_ZN7rocprim17ROCPRIM_400000_NS6detail17trampoline_kernelINS0_14default_configENS1_35adjacent_difference_config_selectorILb1EtEEZNS1_24adjacent_difference_implIS3_Lb1ELb0EPKtPtN6thrust23THRUST_200600_302600_NS4plusItEEEE10hipError_tPvRmT2_T3_mT4_P12ihipStream_tbEUlT_E_NS1_11comp_targetILNS1_3genE2ELNS1_11target_archE906ELNS1_3gpuE6ELNS1_3repE0EEENS1_30default_config_static_selectorELNS0_4arch9wavefront6targetE1EEEvT1_,comdat
.Lfunc_end695:
	.size	_ZN7rocprim17ROCPRIM_400000_NS6detail17trampoline_kernelINS0_14default_configENS1_35adjacent_difference_config_selectorILb1EtEEZNS1_24adjacent_difference_implIS3_Lb1ELb0EPKtPtN6thrust23THRUST_200600_302600_NS4plusItEEEE10hipError_tPvRmT2_T3_mT4_P12ihipStream_tbEUlT_E_NS1_11comp_targetILNS1_3genE2ELNS1_11target_archE906ELNS1_3gpuE6ELNS1_3repE0EEENS1_30default_config_static_selectorELNS0_4arch9wavefront6targetE1EEEvT1_, .Lfunc_end695-_ZN7rocprim17ROCPRIM_400000_NS6detail17trampoline_kernelINS0_14default_configENS1_35adjacent_difference_config_selectorILb1EtEEZNS1_24adjacent_difference_implIS3_Lb1ELb0EPKtPtN6thrust23THRUST_200600_302600_NS4plusItEEEE10hipError_tPvRmT2_T3_mT4_P12ihipStream_tbEUlT_E_NS1_11comp_targetILNS1_3genE2ELNS1_11target_archE906ELNS1_3gpuE6ELNS1_3repE0EEENS1_30default_config_static_selectorELNS0_4arch9wavefront6targetE1EEEvT1_
                                        ; -- End function
	.set _ZN7rocprim17ROCPRIM_400000_NS6detail17trampoline_kernelINS0_14default_configENS1_35adjacent_difference_config_selectorILb1EtEEZNS1_24adjacent_difference_implIS3_Lb1ELb0EPKtPtN6thrust23THRUST_200600_302600_NS4plusItEEEE10hipError_tPvRmT2_T3_mT4_P12ihipStream_tbEUlT_E_NS1_11comp_targetILNS1_3genE2ELNS1_11target_archE906ELNS1_3gpuE6ELNS1_3repE0EEENS1_30default_config_static_selectorELNS0_4arch9wavefront6targetE1EEEvT1_.num_vgpr, 33
	.set _ZN7rocprim17ROCPRIM_400000_NS6detail17trampoline_kernelINS0_14default_configENS1_35adjacent_difference_config_selectorILb1EtEEZNS1_24adjacent_difference_implIS3_Lb1ELb0EPKtPtN6thrust23THRUST_200600_302600_NS4plusItEEEE10hipError_tPvRmT2_T3_mT4_P12ihipStream_tbEUlT_E_NS1_11comp_targetILNS1_3genE2ELNS1_11target_archE906ELNS1_3gpuE6ELNS1_3repE0EEENS1_30default_config_static_selectorELNS0_4arch9wavefront6targetE1EEEvT1_.num_agpr, 0
	.set _ZN7rocprim17ROCPRIM_400000_NS6detail17trampoline_kernelINS0_14default_configENS1_35adjacent_difference_config_selectorILb1EtEEZNS1_24adjacent_difference_implIS3_Lb1ELb0EPKtPtN6thrust23THRUST_200600_302600_NS4plusItEEEE10hipError_tPvRmT2_T3_mT4_P12ihipStream_tbEUlT_E_NS1_11comp_targetILNS1_3genE2ELNS1_11target_archE906ELNS1_3gpuE6ELNS1_3repE0EEENS1_30default_config_static_selectorELNS0_4arch9wavefront6targetE1EEEvT1_.numbered_sgpr, 29
	.set _ZN7rocprim17ROCPRIM_400000_NS6detail17trampoline_kernelINS0_14default_configENS1_35adjacent_difference_config_selectorILb1EtEEZNS1_24adjacent_difference_implIS3_Lb1ELb0EPKtPtN6thrust23THRUST_200600_302600_NS4plusItEEEE10hipError_tPvRmT2_T3_mT4_P12ihipStream_tbEUlT_E_NS1_11comp_targetILNS1_3genE2ELNS1_11target_archE906ELNS1_3gpuE6ELNS1_3repE0EEENS1_30default_config_static_selectorELNS0_4arch9wavefront6targetE1EEEvT1_.num_named_barrier, 0
	.set _ZN7rocprim17ROCPRIM_400000_NS6detail17trampoline_kernelINS0_14default_configENS1_35adjacent_difference_config_selectorILb1EtEEZNS1_24adjacent_difference_implIS3_Lb1ELb0EPKtPtN6thrust23THRUST_200600_302600_NS4plusItEEEE10hipError_tPvRmT2_T3_mT4_P12ihipStream_tbEUlT_E_NS1_11comp_targetILNS1_3genE2ELNS1_11target_archE906ELNS1_3gpuE6ELNS1_3repE0EEENS1_30default_config_static_selectorELNS0_4arch9wavefront6targetE1EEEvT1_.private_seg_size, 0
	.set _ZN7rocprim17ROCPRIM_400000_NS6detail17trampoline_kernelINS0_14default_configENS1_35adjacent_difference_config_selectorILb1EtEEZNS1_24adjacent_difference_implIS3_Lb1ELb0EPKtPtN6thrust23THRUST_200600_302600_NS4plusItEEEE10hipError_tPvRmT2_T3_mT4_P12ihipStream_tbEUlT_E_NS1_11comp_targetILNS1_3genE2ELNS1_11target_archE906ELNS1_3gpuE6ELNS1_3repE0EEENS1_30default_config_static_selectorELNS0_4arch9wavefront6targetE1EEEvT1_.uses_vcc, 1
	.set _ZN7rocprim17ROCPRIM_400000_NS6detail17trampoline_kernelINS0_14default_configENS1_35adjacent_difference_config_selectorILb1EtEEZNS1_24adjacent_difference_implIS3_Lb1ELb0EPKtPtN6thrust23THRUST_200600_302600_NS4plusItEEEE10hipError_tPvRmT2_T3_mT4_P12ihipStream_tbEUlT_E_NS1_11comp_targetILNS1_3genE2ELNS1_11target_archE906ELNS1_3gpuE6ELNS1_3repE0EEENS1_30default_config_static_selectorELNS0_4arch9wavefront6targetE1EEEvT1_.uses_flat_scratch, 0
	.set _ZN7rocprim17ROCPRIM_400000_NS6detail17trampoline_kernelINS0_14default_configENS1_35adjacent_difference_config_selectorILb1EtEEZNS1_24adjacent_difference_implIS3_Lb1ELb0EPKtPtN6thrust23THRUST_200600_302600_NS4plusItEEEE10hipError_tPvRmT2_T3_mT4_P12ihipStream_tbEUlT_E_NS1_11comp_targetILNS1_3genE2ELNS1_11target_archE906ELNS1_3gpuE6ELNS1_3repE0EEENS1_30default_config_static_selectorELNS0_4arch9wavefront6targetE1EEEvT1_.has_dyn_sized_stack, 0
	.set _ZN7rocprim17ROCPRIM_400000_NS6detail17trampoline_kernelINS0_14default_configENS1_35adjacent_difference_config_selectorILb1EtEEZNS1_24adjacent_difference_implIS3_Lb1ELb0EPKtPtN6thrust23THRUST_200600_302600_NS4plusItEEEE10hipError_tPvRmT2_T3_mT4_P12ihipStream_tbEUlT_E_NS1_11comp_targetILNS1_3genE2ELNS1_11target_archE906ELNS1_3gpuE6ELNS1_3repE0EEENS1_30default_config_static_selectorELNS0_4arch9wavefront6targetE1EEEvT1_.has_recursion, 0
	.set _ZN7rocprim17ROCPRIM_400000_NS6detail17trampoline_kernelINS0_14default_configENS1_35adjacent_difference_config_selectorILb1EtEEZNS1_24adjacent_difference_implIS3_Lb1ELb0EPKtPtN6thrust23THRUST_200600_302600_NS4plusItEEEE10hipError_tPvRmT2_T3_mT4_P12ihipStream_tbEUlT_E_NS1_11comp_targetILNS1_3genE2ELNS1_11target_archE906ELNS1_3gpuE6ELNS1_3repE0EEENS1_30default_config_static_selectorELNS0_4arch9wavefront6targetE1EEEvT1_.has_indirect_call, 0
	.section	.AMDGPU.csdata,"",@progbits
; Kernel info:
; codeLenInByte = 4580
; TotalNumSgprs: 33
; NumVgprs: 33
; ScratchSize: 0
; MemoryBound: 0
; FloatMode: 240
; IeeeMode: 1
; LDSByteSize: 2176 bytes/workgroup (compile time only)
; SGPRBlocks: 8
; VGPRBlocks: 8
; NumSGPRsForWavesPerEU: 65
; NumVGPRsForWavesPerEU: 33
; Occupancy: 7
; WaveLimiterHint : 1
; COMPUTE_PGM_RSRC2:SCRATCH_EN: 0
; COMPUTE_PGM_RSRC2:USER_SGPR: 6
; COMPUTE_PGM_RSRC2:TRAP_HANDLER: 0
; COMPUTE_PGM_RSRC2:TGID_X_EN: 1
; COMPUTE_PGM_RSRC2:TGID_Y_EN: 0
; COMPUTE_PGM_RSRC2:TGID_Z_EN: 0
; COMPUTE_PGM_RSRC2:TIDIG_COMP_CNT: 0
	.section	.text._ZN7rocprim17ROCPRIM_400000_NS6detail17trampoline_kernelINS0_14default_configENS1_35adjacent_difference_config_selectorILb1EtEEZNS1_24adjacent_difference_implIS3_Lb1ELb0EPKtPtN6thrust23THRUST_200600_302600_NS4plusItEEEE10hipError_tPvRmT2_T3_mT4_P12ihipStream_tbEUlT_E_NS1_11comp_targetILNS1_3genE9ELNS1_11target_archE1100ELNS1_3gpuE3ELNS1_3repE0EEENS1_30default_config_static_selectorELNS0_4arch9wavefront6targetE1EEEvT1_,"axG",@progbits,_ZN7rocprim17ROCPRIM_400000_NS6detail17trampoline_kernelINS0_14default_configENS1_35adjacent_difference_config_selectorILb1EtEEZNS1_24adjacent_difference_implIS3_Lb1ELb0EPKtPtN6thrust23THRUST_200600_302600_NS4plusItEEEE10hipError_tPvRmT2_T3_mT4_P12ihipStream_tbEUlT_E_NS1_11comp_targetILNS1_3genE9ELNS1_11target_archE1100ELNS1_3gpuE3ELNS1_3repE0EEENS1_30default_config_static_selectorELNS0_4arch9wavefront6targetE1EEEvT1_,comdat
	.protected	_ZN7rocprim17ROCPRIM_400000_NS6detail17trampoline_kernelINS0_14default_configENS1_35adjacent_difference_config_selectorILb1EtEEZNS1_24adjacent_difference_implIS3_Lb1ELb0EPKtPtN6thrust23THRUST_200600_302600_NS4plusItEEEE10hipError_tPvRmT2_T3_mT4_P12ihipStream_tbEUlT_E_NS1_11comp_targetILNS1_3genE9ELNS1_11target_archE1100ELNS1_3gpuE3ELNS1_3repE0EEENS1_30default_config_static_selectorELNS0_4arch9wavefront6targetE1EEEvT1_ ; -- Begin function _ZN7rocprim17ROCPRIM_400000_NS6detail17trampoline_kernelINS0_14default_configENS1_35adjacent_difference_config_selectorILb1EtEEZNS1_24adjacent_difference_implIS3_Lb1ELb0EPKtPtN6thrust23THRUST_200600_302600_NS4plusItEEEE10hipError_tPvRmT2_T3_mT4_P12ihipStream_tbEUlT_E_NS1_11comp_targetILNS1_3genE9ELNS1_11target_archE1100ELNS1_3gpuE3ELNS1_3repE0EEENS1_30default_config_static_selectorELNS0_4arch9wavefront6targetE1EEEvT1_
	.globl	_ZN7rocprim17ROCPRIM_400000_NS6detail17trampoline_kernelINS0_14default_configENS1_35adjacent_difference_config_selectorILb1EtEEZNS1_24adjacent_difference_implIS3_Lb1ELb0EPKtPtN6thrust23THRUST_200600_302600_NS4plusItEEEE10hipError_tPvRmT2_T3_mT4_P12ihipStream_tbEUlT_E_NS1_11comp_targetILNS1_3genE9ELNS1_11target_archE1100ELNS1_3gpuE3ELNS1_3repE0EEENS1_30default_config_static_selectorELNS0_4arch9wavefront6targetE1EEEvT1_
	.p2align	8
	.type	_ZN7rocprim17ROCPRIM_400000_NS6detail17trampoline_kernelINS0_14default_configENS1_35adjacent_difference_config_selectorILb1EtEEZNS1_24adjacent_difference_implIS3_Lb1ELb0EPKtPtN6thrust23THRUST_200600_302600_NS4plusItEEEE10hipError_tPvRmT2_T3_mT4_P12ihipStream_tbEUlT_E_NS1_11comp_targetILNS1_3genE9ELNS1_11target_archE1100ELNS1_3gpuE3ELNS1_3repE0EEENS1_30default_config_static_selectorELNS0_4arch9wavefront6targetE1EEEvT1_,@function
_ZN7rocprim17ROCPRIM_400000_NS6detail17trampoline_kernelINS0_14default_configENS1_35adjacent_difference_config_selectorILb1EtEEZNS1_24adjacent_difference_implIS3_Lb1ELb0EPKtPtN6thrust23THRUST_200600_302600_NS4plusItEEEE10hipError_tPvRmT2_T3_mT4_P12ihipStream_tbEUlT_E_NS1_11comp_targetILNS1_3genE9ELNS1_11target_archE1100ELNS1_3gpuE3ELNS1_3repE0EEENS1_30default_config_static_selectorELNS0_4arch9wavefront6targetE1EEEvT1_: ; @_ZN7rocprim17ROCPRIM_400000_NS6detail17trampoline_kernelINS0_14default_configENS1_35adjacent_difference_config_selectorILb1EtEEZNS1_24adjacent_difference_implIS3_Lb1ELb0EPKtPtN6thrust23THRUST_200600_302600_NS4plusItEEEE10hipError_tPvRmT2_T3_mT4_P12ihipStream_tbEUlT_E_NS1_11comp_targetILNS1_3genE9ELNS1_11target_archE1100ELNS1_3gpuE3ELNS1_3repE0EEENS1_30default_config_static_selectorELNS0_4arch9wavefront6targetE1EEEvT1_
; %bb.0:
	.section	.rodata,"a",@progbits
	.p2align	6, 0x0
	.amdhsa_kernel _ZN7rocprim17ROCPRIM_400000_NS6detail17trampoline_kernelINS0_14default_configENS1_35adjacent_difference_config_selectorILb1EtEEZNS1_24adjacent_difference_implIS3_Lb1ELb0EPKtPtN6thrust23THRUST_200600_302600_NS4plusItEEEE10hipError_tPvRmT2_T3_mT4_P12ihipStream_tbEUlT_E_NS1_11comp_targetILNS1_3genE9ELNS1_11target_archE1100ELNS1_3gpuE3ELNS1_3repE0EEENS1_30default_config_static_selectorELNS0_4arch9wavefront6targetE1EEEvT1_
		.amdhsa_group_segment_fixed_size 0
		.amdhsa_private_segment_fixed_size 0
		.amdhsa_kernarg_size 56
		.amdhsa_user_sgpr_count 6
		.amdhsa_user_sgpr_private_segment_buffer 1
		.amdhsa_user_sgpr_dispatch_ptr 0
		.amdhsa_user_sgpr_queue_ptr 0
		.amdhsa_user_sgpr_kernarg_segment_ptr 1
		.amdhsa_user_sgpr_dispatch_id 0
		.amdhsa_user_sgpr_flat_scratch_init 0
		.amdhsa_user_sgpr_private_segment_size 0
		.amdhsa_uses_dynamic_stack 0
		.amdhsa_system_sgpr_private_segment_wavefront_offset 0
		.amdhsa_system_sgpr_workgroup_id_x 1
		.amdhsa_system_sgpr_workgroup_id_y 0
		.amdhsa_system_sgpr_workgroup_id_z 0
		.amdhsa_system_sgpr_workgroup_info 0
		.amdhsa_system_vgpr_workitem_id 0
		.amdhsa_next_free_vgpr 1
		.amdhsa_next_free_sgpr 0
		.amdhsa_reserve_vcc 0
		.amdhsa_reserve_flat_scratch 0
		.amdhsa_float_round_mode_32 0
		.amdhsa_float_round_mode_16_64 0
		.amdhsa_float_denorm_mode_32 3
		.amdhsa_float_denorm_mode_16_64 3
		.amdhsa_dx10_clamp 1
		.amdhsa_ieee_mode 1
		.amdhsa_fp16_overflow 0
		.amdhsa_exception_fp_ieee_invalid_op 0
		.amdhsa_exception_fp_denorm_src 0
		.amdhsa_exception_fp_ieee_div_zero 0
		.amdhsa_exception_fp_ieee_overflow 0
		.amdhsa_exception_fp_ieee_underflow 0
		.amdhsa_exception_fp_ieee_inexact 0
		.amdhsa_exception_int_div_zero 0
	.end_amdhsa_kernel
	.section	.text._ZN7rocprim17ROCPRIM_400000_NS6detail17trampoline_kernelINS0_14default_configENS1_35adjacent_difference_config_selectorILb1EtEEZNS1_24adjacent_difference_implIS3_Lb1ELb0EPKtPtN6thrust23THRUST_200600_302600_NS4plusItEEEE10hipError_tPvRmT2_T3_mT4_P12ihipStream_tbEUlT_E_NS1_11comp_targetILNS1_3genE9ELNS1_11target_archE1100ELNS1_3gpuE3ELNS1_3repE0EEENS1_30default_config_static_selectorELNS0_4arch9wavefront6targetE1EEEvT1_,"axG",@progbits,_ZN7rocprim17ROCPRIM_400000_NS6detail17trampoline_kernelINS0_14default_configENS1_35adjacent_difference_config_selectorILb1EtEEZNS1_24adjacent_difference_implIS3_Lb1ELb0EPKtPtN6thrust23THRUST_200600_302600_NS4plusItEEEE10hipError_tPvRmT2_T3_mT4_P12ihipStream_tbEUlT_E_NS1_11comp_targetILNS1_3genE9ELNS1_11target_archE1100ELNS1_3gpuE3ELNS1_3repE0EEENS1_30default_config_static_selectorELNS0_4arch9wavefront6targetE1EEEvT1_,comdat
.Lfunc_end696:
	.size	_ZN7rocprim17ROCPRIM_400000_NS6detail17trampoline_kernelINS0_14default_configENS1_35adjacent_difference_config_selectorILb1EtEEZNS1_24adjacent_difference_implIS3_Lb1ELb0EPKtPtN6thrust23THRUST_200600_302600_NS4plusItEEEE10hipError_tPvRmT2_T3_mT4_P12ihipStream_tbEUlT_E_NS1_11comp_targetILNS1_3genE9ELNS1_11target_archE1100ELNS1_3gpuE3ELNS1_3repE0EEENS1_30default_config_static_selectorELNS0_4arch9wavefront6targetE1EEEvT1_, .Lfunc_end696-_ZN7rocprim17ROCPRIM_400000_NS6detail17trampoline_kernelINS0_14default_configENS1_35adjacent_difference_config_selectorILb1EtEEZNS1_24adjacent_difference_implIS3_Lb1ELb0EPKtPtN6thrust23THRUST_200600_302600_NS4plusItEEEE10hipError_tPvRmT2_T3_mT4_P12ihipStream_tbEUlT_E_NS1_11comp_targetILNS1_3genE9ELNS1_11target_archE1100ELNS1_3gpuE3ELNS1_3repE0EEENS1_30default_config_static_selectorELNS0_4arch9wavefront6targetE1EEEvT1_
                                        ; -- End function
	.set _ZN7rocprim17ROCPRIM_400000_NS6detail17trampoline_kernelINS0_14default_configENS1_35adjacent_difference_config_selectorILb1EtEEZNS1_24adjacent_difference_implIS3_Lb1ELb0EPKtPtN6thrust23THRUST_200600_302600_NS4plusItEEEE10hipError_tPvRmT2_T3_mT4_P12ihipStream_tbEUlT_E_NS1_11comp_targetILNS1_3genE9ELNS1_11target_archE1100ELNS1_3gpuE3ELNS1_3repE0EEENS1_30default_config_static_selectorELNS0_4arch9wavefront6targetE1EEEvT1_.num_vgpr, 0
	.set _ZN7rocprim17ROCPRIM_400000_NS6detail17trampoline_kernelINS0_14default_configENS1_35adjacent_difference_config_selectorILb1EtEEZNS1_24adjacent_difference_implIS3_Lb1ELb0EPKtPtN6thrust23THRUST_200600_302600_NS4plusItEEEE10hipError_tPvRmT2_T3_mT4_P12ihipStream_tbEUlT_E_NS1_11comp_targetILNS1_3genE9ELNS1_11target_archE1100ELNS1_3gpuE3ELNS1_3repE0EEENS1_30default_config_static_selectorELNS0_4arch9wavefront6targetE1EEEvT1_.num_agpr, 0
	.set _ZN7rocprim17ROCPRIM_400000_NS6detail17trampoline_kernelINS0_14default_configENS1_35adjacent_difference_config_selectorILb1EtEEZNS1_24adjacent_difference_implIS3_Lb1ELb0EPKtPtN6thrust23THRUST_200600_302600_NS4plusItEEEE10hipError_tPvRmT2_T3_mT4_P12ihipStream_tbEUlT_E_NS1_11comp_targetILNS1_3genE9ELNS1_11target_archE1100ELNS1_3gpuE3ELNS1_3repE0EEENS1_30default_config_static_selectorELNS0_4arch9wavefront6targetE1EEEvT1_.numbered_sgpr, 0
	.set _ZN7rocprim17ROCPRIM_400000_NS6detail17trampoline_kernelINS0_14default_configENS1_35adjacent_difference_config_selectorILb1EtEEZNS1_24adjacent_difference_implIS3_Lb1ELb0EPKtPtN6thrust23THRUST_200600_302600_NS4plusItEEEE10hipError_tPvRmT2_T3_mT4_P12ihipStream_tbEUlT_E_NS1_11comp_targetILNS1_3genE9ELNS1_11target_archE1100ELNS1_3gpuE3ELNS1_3repE0EEENS1_30default_config_static_selectorELNS0_4arch9wavefront6targetE1EEEvT1_.num_named_barrier, 0
	.set _ZN7rocprim17ROCPRIM_400000_NS6detail17trampoline_kernelINS0_14default_configENS1_35adjacent_difference_config_selectorILb1EtEEZNS1_24adjacent_difference_implIS3_Lb1ELb0EPKtPtN6thrust23THRUST_200600_302600_NS4plusItEEEE10hipError_tPvRmT2_T3_mT4_P12ihipStream_tbEUlT_E_NS1_11comp_targetILNS1_3genE9ELNS1_11target_archE1100ELNS1_3gpuE3ELNS1_3repE0EEENS1_30default_config_static_selectorELNS0_4arch9wavefront6targetE1EEEvT1_.private_seg_size, 0
	.set _ZN7rocprim17ROCPRIM_400000_NS6detail17trampoline_kernelINS0_14default_configENS1_35adjacent_difference_config_selectorILb1EtEEZNS1_24adjacent_difference_implIS3_Lb1ELb0EPKtPtN6thrust23THRUST_200600_302600_NS4plusItEEEE10hipError_tPvRmT2_T3_mT4_P12ihipStream_tbEUlT_E_NS1_11comp_targetILNS1_3genE9ELNS1_11target_archE1100ELNS1_3gpuE3ELNS1_3repE0EEENS1_30default_config_static_selectorELNS0_4arch9wavefront6targetE1EEEvT1_.uses_vcc, 0
	.set _ZN7rocprim17ROCPRIM_400000_NS6detail17trampoline_kernelINS0_14default_configENS1_35adjacent_difference_config_selectorILb1EtEEZNS1_24adjacent_difference_implIS3_Lb1ELb0EPKtPtN6thrust23THRUST_200600_302600_NS4plusItEEEE10hipError_tPvRmT2_T3_mT4_P12ihipStream_tbEUlT_E_NS1_11comp_targetILNS1_3genE9ELNS1_11target_archE1100ELNS1_3gpuE3ELNS1_3repE0EEENS1_30default_config_static_selectorELNS0_4arch9wavefront6targetE1EEEvT1_.uses_flat_scratch, 0
	.set _ZN7rocprim17ROCPRIM_400000_NS6detail17trampoline_kernelINS0_14default_configENS1_35adjacent_difference_config_selectorILb1EtEEZNS1_24adjacent_difference_implIS3_Lb1ELb0EPKtPtN6thrust23THRUST_200600_302600_NS4plusItEEEE10hipError_tPvRmT2_T3_mT4_P12ihipStream_tbEUlT_E_NS1_11comp_targetILNS1_3genE9ELNS1_11target_archE1100ELNS1_3gpuE3ELNS1_3repE0EEENS1_30default_config_static_selectorELNS0_4arch9wavefront6targetE1EEEvT1_.has_dyn_sized_stack, 0
	.set _ZN7rocprim17ROCPRIM_400000_NS6detail17trampoline_kernelINS0_14default_configENS1_35adjacent_difference_config_selectorILb1EtEEZNS1_24adjacent_difference_implIS3_Lb1ELb0EPKtPtN6thrust23THRUST_200600_302600_NS4plusItEEEE10hipError_tPvRmT2_T3_mT4_P12ihipStream_tbEUlT_E_NS1_11comp_targetILNS1_3genE9ELNS1_11target_archE1100ELNS1_3gpuE3ELNS1_3repE0EEENS1_30default_config_static_selectorELNS0_4arch9wavefront6targetE1EEEvT1_.has_recursion, 0
	.set _ZN7rocprim17ROCPRIM_400000_NS6detail17trampoline_kernelINS0_14default_configENS1_35adjacent_difference_config_selectorILb1EtEEZNS1_24adjacent_difference_implIS3_Lb1ELb0EPKtPtN6thrust23THRUST_200600_302600_NS4plusItEEEE10hipError_tPvRmT2_T3_mT4_P12ihipStream_tbEUlT_E_NS1_11comp_targetILNS1_3genE9ELNS1_11target_archE1100ELNS1_3gpuE3ELNS1_3repE0EEENS1_30default_config_static_selectorELNS0_4arch9wavefront6targetE1EEEvT1_.has_indirect_call, 0
	.section	.AMDGPU.csdata,"",@progbits
; Kernel info:
; codeLenInByte = 0
; TotalNumSgprs: 4
; NumVgprs: 0
; ScratchSize: 0
; MemoryBound: 0
; FloatMode: 240
; IeeeMode: 1
; LDSByteSize: 0 bytes/workgroup (compile time only)
; SGPRBlocks: 0
; VGPRBlocks: 0
; NumSGPRsForWavesPerEU: 4
; NumVGPRsForWavesPerEU: 1
; Occupancy: 10
; WaveLimiterHint : 0
; COMPUTE_PGM_RSRC2:SCRATCH_EN: 0
; COMPUTE_PGM_RSRC2:USER_SGPR: 6
; COMPUTE_PGM_RSRC2:TRAP_HANDLER: 0
; COMPUTE_PGM_RSRC2:TGID_X_EN: 1
; COMPUTE_PGM_RSRC2:TGID_Y_EN: 0
; COMPUTE_PGM_RSRC2:TGID_Z_EN: 0
; COMPUTE_PGM_RSRC2:TIDIG_COMP_CNT: 0
	.section	.text._ZN7rocprim17ROCPRIM_400000_NS6detail17trampoline_kernelINS0_14default_configENS1_35adjacent_difference_config_selectorILb1EtEEZNS1_24adjacent_difference_implIS3_Lb1ELb0EPKtPtN6thrust23THRUST_200600_302600_NS4plusItEEEE10hipError_tPvRmT2_T3_mT4_P12ihipStream_tbEUlT_E_NS1_11comp_targetILNS1_3genE8ELNS1_11target_archE1030ELNS1_3gpuE2ELNS1_3repE0EEENS1_30default_config_static_selectorELNS0_4arch9wavefront6targetE1EEEvT1_,"axG",@progbits,_ZN7rocprim17ROCPRIM_400000_NS6detail17trampoline_kernelINS0_14default_configENS1_35adjacent_difference_config_selectorILb1EtEEZNS1_24adjacent_difference_implIS3_Lb1ELb0EPKtPtN6thrust23THRUST_200600_302600_NS4plusItEEEE10hipError_tPvRmT2_T3_mT4_P12ihipStream_tbEUlT_E_NS1_11comp_targetILNS1_3genE8ELNS1_11target_archE1030ELNS1_3gpuE2ELNS1_3repE0EEENS1_30default_config_static_selectorELNS0_4arch9wavefront6targetE1EEEvT1_,comdat
	.protected	_ZN7rocprim17ROCPRIM_400000_NS6detail17trampoline_kernelINS0_14default_configENS1_35adjacent_difference_config_selectorILb1EtEEZNS1_24adjacent_difference_implIS3_Lb1ELb0EPKtPtN6thrust23THRUST_200600_302600_NS4plusItEEEE10hipError_tPvRmT2_T3_mT4_P12ihipStream_tbEUlT_E_NS1_11comp_targetILNS1_3genE8ELNS1_11target_archE1030ELNS1_3gpuE2ELNS1_3repE0EEENS1_30default_config_static_selectorELNS0_4arch9wavefront6targetE1EEEvT1_ ; -- Begin function _ZN7rocprim17ROCPRIM_400000_NS6detail17trampoline_kernelINS0_14default_configENS1_35adjacent_difference_config_selectorILb1EtEEZNS1_24adjacent_difference_implIS3_Lb1ELb0EPKtPtN6thrust23THRUST_200600_302600_NS4plusItEEEE10hipError_tPvRmT2_T3_mT4_P12ihipStream_tbEUlT_E_NS1_11comp_targetILNS1_3genE8ELNS1_11target_archE1030ELNS1_3gpuE2ELNS1_3repE0EEENS1_30default_config_static_selectorELNS0_4arch9wavefront6targetE1EEEvT1_
	.globl	_ZN7rocprim17ROCPRIM_400000_NS6detail17trampoline_kernelINS0_14default_configENS1_35adjacent_difference_config_selectorILb1EtEEZNS1_24adjacent_difference_implIS3_Lb1ELb0EPKtPtN6thrust23THRUST_200600_302600_NS4plusItEEEE10hipError_tPvRmT2_T3_mT4_P12ihipStream_tbEUlT_E_NS1_11comp_targetILNS1_3genE8ELNS1_11target_archE1030ELNS1_3gpuE2ELNS1_3repE0EEENS1_30default_config_static_selectorELNS0_4arch9wavefront6targetE1EEEvT1_
	.p2align	8
	.type	_ZN7rocprim17ROCPRIM_400000_NS6detail17trampoline_kernelINS0_14default_configENS1_35adjacent_difference_config_selectorILb1EtEEZNS1_24adjacent_difference_implIS3_Lb1ELb0EPKtPtN6thrust23THRUST_200600_302600_NS4plusItEEEE10hipError_tPvRmT2_T3_mT4_P12ihipStream_tbEUlT_E_NS1_11comp_targetILNS1_3genE8ELNS1_11target_archE1030ELNS1_3gpuE2ELNS1_3repE0EEENS1_30default_config_static_selectorELNS0_4arch9wavefront6targetE1EEEvT1_,@function
_ZN7rocprim17ROCPRIM_400000_NS6detail17trampoline_kernelINS0_14default_configENS1_35adjacent_difference_config_selectorILb1EtEEZNS1_24adjacent_difference_implIS3_Lb1ELb0EPKtPtN6thrust23THRUST_200600_302600_NS4plusItEEEE10hipError_tPvRmT2_T3_mT4_P12ihipStream_tbEUlT_E_NS1_11comp_targetILNS1_3genE8ELNS1_11target_archE1030ELNS1_3gpuE2ELNS1_3repE0EEENS1_30default_config_static_selectorELNS0_4arch9wavefront6targetE1EEEvT1_: ; @_ZN7rocprim17ROCPRIM_400000_NS6detail17trampoline_kernelINS0_14default_configENS1_35adjacent_difference_config_selectorILb1EtEEZNS1_24adjacent_difference_implIS3_Lb1ELb0EPKtPtN6thrust23THRUST_200600_302600_NS4plusItEEEE10hipError_tPvRmT2_T3_mT4_P12ihipStream_tbEUlT_E_NS1_11comp_targetILNS1_3genE8ELNS1_11target_archE1030ELNS1_3gpuE2ELNS1_3repE0EEENS1_30default_config_static_selectorELNS0_4arch9wavefront6targetE1EEEvT1_
; %bb.0:
	.section	.rodata,"a",@progbits
	.p2align	6, 0x0
	.amdhsa_kernel _ZN7rocprim17ROCPRIM_400000_NS6detail17trampoline_kernelINS0_14default_configENS1_35adjacent_difference_config_selectorILb1EtEEZNS1_24adjacent_difference_implIS3_Lb1ELb0EPKtPtN6thrust23THRUST_200600_302600_NS4plusItEEEE10hipError_tPvRmT2_T3_mT4_P12ihipStream_tbEUlT_E_NS1_11comp_targetILNS1_3genE8ELNS1_11target_archE1030ELNS1_3gpuE2ELNS1_3repE0EEENS1_30default_config_static_selectorELNS0_4arch9wavefront6targetE1EEEvT1_
		.amdhsa_group_segment_fixed_size 0
		.amdhsa_private_segment_fixed_size 0
		.amdhsa_kernarg_size 56
		.amdhsa_user_sgpr_count 6
		.amdhsa_user_sgpr_private_segment_buffer 1
		.amdhsa_user_sgpr_dispatch_ptr 0
		.amdhsa_user_sgpr_queue_ptr 0
		.amdhsa_user_sgpr_kernarg_segment_ptr 1
		.amdhsa_user_sgpr_dispatch_id 0
		.amdhsa_user_sgpr_flat_scratch_init 0
		.amdhsa_user_sgpr_private_segment_size 0
		.amdhsa_uses_dynamic_stack 0
		.amdhsa_system_sgpr_private_segment_wavefront_offset 0
		.amdhsa_system_sgpr_workgroup_id_x 1
		.amdhsa_system_sgpr_workgroup_id_y 0
		.amdhsa_system_sgpr_workgroup_id_z 0
		.amdhsa_system_sgpr_workgroup_info 0
		.amdhsa_system_vgpr_workitem_id 0
		.amdhsa_next_free_vgpr 1
		.amdhsa_next_free_sgpr 0
		.amdhsa_reserve_vcc 0
		.amdhsa_reserve_flat_scratch 0
		.amdhsa_float_round_mode_32 0
		.amdhsa_float_round_mode_16_64 0
		.amdhsa_float_denorm_mode_32 3
		.amdhsa_float_denorm_mode_16_64 3
		.amdhsa_dx10_clamp 1
		.amdhsa_ieee_mode 1
		.amdhsa_fp16_overflow 0
		.amdhsa_exception_fp_ieee_invalid_op 0
		.amdhsa_exception_fp_denorm_src 0
		.amdhsa_exception_fp_ieee_div_zero 0
		.amdhsa_exception_fp_ieee_overflow 0
		.amdhsa_exception_fp_ieee_underflow 0
		.amdhsa_exception_fp_ieee_inexact 0
		.amdhsa_exception_int_div_zero 0
	.end_amdhsa_kernel
	.section	.text._ZN7rocprim17ROCPRIM_400000_NS6detail17trampoline_kernelINS0_14default_configENS1_35adjacent_difference_config_selectorILb1EtEEZNS1_24adjacent_difference_implIS3_Lb1ELb0EPKtPtN6thrust23THRUST_200600_302600_NS4plusItEEEE10hipError_tPvRmT2_T3_mT4_P12ihipStream_tbEUlT_E_NS1_11comp_targetILNS1_3genE8ELNS1_11target_archE1030ELNS1_3gpuE2ELNS1_3repE0EEENS1_30default_config_static_selectorELNS0_4arch9wavefront6targetE1EEEvT1_,"axG",@progbits,_ZN7rocprim17ROCPRIM_400000_NS6detail17trampoline_kernelINS0_14default_configENS1_35adjacent_difference_config_selectorILb1EtEEZNS1_24adjacent_difference_implIS3_Lb1ELb0EPKtPtN6thrust23THRUST_200600_302600_NS4plusItEEEE10hipError_tPvRmT2_T3_mT4_P12ihipStream_tbEUlT_E_NS1_11comp_targetILNS1_3genE8ELNS1_11target_archE1030ELNS1_3gpuE2ELNS1_3repE0EEENS1_30default_config_static_selectorELNS0_4arch9wavefront6targetE1EEEvT1_,comdat
.Lfunc_end697:
	.size	_ZN7rocprim17ROCPRIM_400000_NS6detail17trampoline_kernelINS0_14default_configENS1_35adjacent_difference_config_selectorILb1EtEEZNS1_24adjacent_difference_implIS3_Lb1ELb0EPKtPtN6thrust23THRUST_200600_302600_NS4plusItEEEE10hipError_tPvRmT2_T3_mT4_P12ihipStream_tbEUlT_E_NS1_11comp_targetILNS1_3genE8ELNS1_11target_archE1030ELNS1_3gpuE2ELNS1_3repE0EEENS1_30default_config_static_selectorELNS0_4arch9wavefront6targetE1EEEvT1_, .Lfunc_end697-_ZN7rocprim17ROCPRIM_400000_NS6detail17trampoline_kernelINS0_14default_configENS1_35adjacent_difference_config_selectorILb1EtEEZNS1_24adjacent_difference_implIS3_Lb1ELb0EPKtPtN6thrust23THRUST_200600_302600_NS4plusItEEEE10hipError_tPvRmT2_T3_mT4_P12ihipStream_tbEUlT_E_NS1_11comp_targetILNS1_3genE8ELNS1_11target_archE1030ELNS1_3gpuE2ELNS1_3repE0EEENS1_30default_config_static_selectorELNS0_4arch9wavefront6targetE1EEEvT1_
                                        ; -- End function
	.set _ZN7rocprim17ROCPRIM_400000_NS6detail17trampoline_kernelINS0_14default_configENS1_35adjacent_difference_config_selectorILb1EtEEZNS1_24adjacent_difference_implIS3_Lb1ELb0EPKtPtN6thrust23THRUST_200600_302600_NS4plusItEEEE10hipError_tPvRmT2_T3_mT4_P12ihipStream_tbEUlT_E_NS1_11comp_targetILNS1_3genE8ELNS1_11target_archE1030ELNS1_3gpuE2ELNS1_3repE0EEENS1_30default_config_static_selectorELNS0_4arch9wavefront6targetE1EEEvT1_.num_vgpr, 0
	.set _ZN7rocprim17ROCPRIM_400000_NS6detail17trampoline_kernelINS0_14default_configENS1_35adjacent_difference_config_selectorILb1EtEEZNS1_24adjacent_difference_implIS3_Lb1ELb0EPKtPtN6thrust23THRUST_200600_302600_NS4plusItEEEE10hipError_tPvRmT2_T3_mT4_P12ihipStream_tbEUlT_E_NS1_11comp_targetILNS1_3genE8ELNS1_11target_archE1030ELNS1_3gpuE2ELNS1_3repE0EEENS1_30default_config_static_selectorELNS0_4arch9wavefront6targetE1EEEvT1_.num_agpr, 0
	.set _ZN7rocprim17ROCPRIM_400000_NS6detail17trampoline_kernelINS0_14default_configENS1_35adjacent_difference_config_selectorILb1EtEEZNS1_24adjacent_difference_implIS3_Lb1ELb0EPKtPtN6thrust23THRUST_200600_302600_NS4plusItEEEE10hipError_tPvRmT2_T3_mT4_P12ihipStream_tbEUlT_E_NS1_11comp_targetILNS1_3genE8ELNS1_11target_archE1030ELNS1_3gpuE2ELNS1_3repE0EEENS1_30default_config_static_selectorELNS0_4arch9wavefront6targetE1EEEvT1_.numbered_sgpr, 0
	.set _ZN7rocprim17ROCPRIM_400000_NS6detail17trampoline_kernelINS0_14default_configENS1_35adjacent_difference_config_selectorILb1EtEEZNS1_24adjacent_difference_implIS3_Lb1ELb0EPKtPtN6thrust23THRUST_200600_302600_NS4plusItEEEE10hipError_tPvRmT2_T3_mT4_P12ihipStream_tbEUlT_E_NS1_11comp_targetILNS1_3genE8ELNS1_11target_archE1030ELNS1_3gpuE2ELNS1_3repE0EEENS1_30default_config_static_selectorELNS0_4arch9wavefront6targetE1EEEvT1_.num_named_barrier, 0
	.set _ZN7rocprim17ROCPRIM_400000_NS6detail17trampoline_kernelINS0_14default_configENS1_35adjacent_difference_config_selectorILb1EtEEZNS1_24adjacent_difference_implIS3_Lb1ELb0EPKtPtN6thrust23THRUST_200600_302600_NS4plusItEEEE10hipError_tPvRmT2_T3_mT4_P12ihipStream_tbEUlT_E_NS1_11comp_targetILNS1_3genE8ELNS1_11target_archE1030ELNS1_3gpuE2ELNS1_3repE0EEENS1_30default_config_static_selectorELNS0_4arch9wavefront6targetE1EEEvT1_.private_seg_size, 0
	.set _ZN7rocprim17ROCPRIM_400000_NS6detail17trampoline_kernelINS0_14default_configENS1_35adjacent_difference_config_selectorILb1EtEEZNS1_24adjacent_difference_implIS3_Lb1ELb0EPKtPtN6thrust23THRUST_200600_302600_NS4plusItEEEE10hipError_tPvRmT2_T3_mT4_P12ihipStream_tbEUlT_E_NS1_11comp_targetILNS1_3genE8ELNS1_11target_archE1030ELNS1_3gpuE2ELNS1_3repE0EEENS1_30default_config_static_selectorELNS0_4arch9wavefront6targetE1EEEvT1_.uses_vcc, 0
	.set _ZN7rocprim17ROCPRIM_400000_NS6detail17trampoline_kernelINS0_14default_configENS1_35adjacent_difference_config_selectorILb1EtEEZNS1_24adjacent_difference_implIS3_Lb1ELb0EPKtPtN6thrust23THRUST_200600_302600_NS4plusItEEEE10hipError_tPvRmT2_T3_mT4_P12ihipStream_tbEUlT_E_NS1_11comp_targetILNS1_3genE8ELNS1_11target_archE1030ELNS1_3gpuE2ELNS1_3repE0EEENS1_30default_config_static_selectorELNS0_4arch9wavefront6targetE1EEEvT1_.uses_flat_scratch, 0
	.set _ZN7rocprim17ROCPRIM_400000_NS6detail17trampoline_kernelINS0_14default_configENS1_35adjacent_difference_config_selectorILb1EtEEZNS1_24adjacent_difference_implIS3_Lb1ELb0EPKtPtN6thrust23THRUST_200600_302600_NS4plusItEEEE10hipError_tPvRmT2_T3_mT4_P12ihipStream_tbEUlT_E_NS1_11comp_targetILNS1_3genE8ELNS1_11target_archE1030ELNS1_3gpuE2ELNS1_3repE0EEENS1_30default_config_static_selectorELNS0_4arch9wavefront6targetE1EEEvT1_.has_dyn_sized_stack, 0
	.set _ZN7rocprim17ROCPRIM_400000_NS6detail17trampoline_kernelINS0_14default_configENS1_35adjacent_difference_config_selectorILb1EtEEZNS1_24adjacent_difference_implIS3_Lb1ELb0EPKtPtN6thrust23THRUST_200600_302600_NS4plusItEEEE10hipError_tPvRmT2_T3_mT4_P12ihipStream_tbEUlT_E_NS1_11comp_targetILNS1_3genE8ELNS1_11target_archE1030ELNS1_3gpuE2ELNS1_3repE0EEENS1_30default_config_static_selectorELNS0_4arch9wavefront6targetE1EEEvT1_.has_recursion, 0
	.set _ZN7rocprim17ROCPRIM_400000_NS6detail17trampoline_kernelINS0_14default_configENS1_35adjacent_difference_config_selectorILb1EtEEZNS1_24adjacent_difference_implIS3_Lb1ELb0EPKtPtN6thrust23THRUST_200600_302600_NS4plusItEEEE10hipError_tPvRmT2_T3_mT4_P12ihipStream_tbEUlT_E_NS1_11comp_targetILNS1_3genE8ELNS1_11target_archE1030ELNS1_3gpuE2ELNS1_3repE0EEENS1_30default_config_static_selectorELNS0_4arch9wavefront6targetE1EEEvT1_.has_indirect_call, 0
	.section	.AMDGPU.csdata,"",@progbits
; Kernel info:
; codeLenInByte = 0
; TotalNumSgprs: 4
; NumVgprs: 0
; ScratchSize: 0
; MemoryBound: 0
; FloatMode: 240
; IeeeMode: 1
; LDSByteSize: 0 bytes/workgroup (compile time only)
; SGPRBlocks: 0
; VGPRBlocks: 0
; NumSGPRsForWavesPerEU: 4
; NumVGPRsForWavesPerEU: 1
; Occupancy: 10
; WaveLimiterHint : 0
; COMPUTE_PGM_RSRC2:SCRATCH_EN: 0
; COMPUTE_PGM_RSRC2:USER_SGPR: 6
; COMPUTE_PGM_RSRC2:TRAP_HANDLER: 0
; COMPUTE_PGM_RSRC2:TGID_X_EN: 1
; COMPUTE_PGM_RSRC2:TGID_Y_EN: 0
; COMPUTE_PGM_RSRC2:TGID_Z_EN: 0
; COMPUTE_PGM_RSRC2:TIDIG_COMP_CNT: 0
	.section	.text._ZN7rocprim17ROCPRIM_400000_NS6detail17trampoline_kernelINS0_14default_configENS1_35adjacent_difference_config_selectorILb0ExEEZNS1_24adjacent_difference_implIS3_Lb0ELb0EPKxPxN6thrust23THRUST_200600_302600_NS4plusIxEEEE10hipError_tPvRmT2_T3_mT4_P12ihipStream_tbEUlT_E_NS1_11comp_targetILNS1_3genE0ELNS1_11target_archE4294967295ELNS1_3gpuE0ELNS1_3repE0EEENS1_30default_config_static_selectorELNS0_4arch9wavefront6targetE1EEEvT1_,"axG",@progbits,_ZN7rocprim17ROCPRIM_400000_NS6detail17trampoline_kernelINS0_14default_configENS1_35adjacent_difference_config_selectorILb0ExEEZNS1_24adjacent_difference_implIS3_Lb0ELb0EPKxPxN6thrust23THRUST_200600_302600_NS4plusIxEEEE10hipError_tPvRmT2_T3_mT4_P12ihipStream_tbEUlT_E_NS1_11comp_targetILNS1_3genE0ELNS1_11target_archE4294967295ELNS1_3gpuE0ELNS1_3repE0EEENS1_30default_config_static_selectorELNS0_4arch9wavefront6targetE1EEEvT1_,comdat
	.protected	_ZN7rocprim17ROCPRIM_400000_NS6detail17trampoline_kernelINS0_14default_configENS1_35adjacent_difference_config_selectorILb0ExEEZNS1_24adjacent_difference_implIS3_Lb0ELb0EPKxPxN6thrust23THRUST_200600_302600_NS4plusIxEEEE10hipError_tPvRmT2_T3_mT4_P12ihipStream_tbEUlT_E_NS1_11comp_targetILNS1_3genE0ELNS1_11target_archE4294967295ELNS1_3gpuE0ELNS1_3repE0EEENS1_30default_config_static_selectorELNS0_4arch9wavefront6targetE1EEEvT1_ ; -- Begin function _ZN7rocprim17ROCPRIM_400000_NS6detail17trampoline_kernelINS0_14default_configENS1_35adjacent_difference_config_selectorILb0ExEEZNS1_24adjacent_difference_implIS3_Lb0ELb0EPKxPxN6thrust23THRUST_200600_302600_NS4plusIxEEEE10hipError_tPvRmT2_T3_mT4_P12ihipStream_tbEUlT_E_NS1_11comp_targetILNS1_3genE0ELNS1_11target_archE4294967295ELNS1_3gpuE0ELNS1_3repE0EEENS1_30default_config_static_selectorELNS0_4arch9wavefront6targetE1EEEvT1_
	.globl	_ZN7rocprim17ROCPRIM_400000_NS6detail17trampoline_kernelINS0_14default_configENS1_35adjacent_difference_config_selectorILb0ExEEZNS1_24adjacent_difference_implIS3_Lb0ELb0EPKxPxN6thrust23THRUST_200600_302600_NS4plusIxEEEE10hipError_tPvRmT2_T3_mT4_P12ihipStream_tbEUlT_E_NS1_11comp_targetILNS1_3genE0ELNS1_11target_archE4294967295ELNS1_3gpuE0ELNS1_3repE0EEENS1_30default_config_static_selectorELNS0_4arch9wavefront6targetE1EEEvT1_
	.p2align	8
	.type	_ZN7rocprim17ROCPRIM_400000_NS6detail17trampoline_kernelINS0_14default_configENS1_35adjacent_difference_config_selectorILb0ExEEZNS1_24adjacent_difference_implIS3_Lb0ELb0EPKxPxN6thrust23THRUST_200600_302600_NS4plusIxEEEE10hipError_tPvRmT2_T3_mT4_P12ihipStream_tbEUlT_E_NS1_11comp_targetILNS1_3genE0ELNS1_11target_archE4294967295ELNS1_3gpuE0ELNS1_3repE0EEENS1_30default_config_static_selectorELNS0_4arch9wavefront6targetE1EEEvT1_,@function
_ZN7rocprim17ROCPRIM_400000_NS6detail17trampoline_kernelINS0_14default_configENS1_35adjacent_difference_config_selectorILb0ExEEZNS1_24adjacent_difference_implIS3_Lb0ELb0EPKxPxN6thrust23THRUST_200600_302600_NS4plusIxEEEE10hipError_tPvRmT2_T3_mT4_P12ihipStream_tbEUlT_E_NS1_11comp_targetILNS1_3genE0ELNS1_11target_archE4294967295ELNS1_3gpuE0ELNS1_3repE0EEENS1_30default_config_static_selectorELNS0_4arch9wavefront6targetE1EEEvT1_: ; @_ZN7rocprim17ROCPRIM_400000_NS6detail17trampoline_kernelINS0_14default_configENS1_35adjacent_difference_config_selectorILb0ExEEZNS1_24adjacent_difference_implIS3_Lb0ELb0EPKxPxN6thrust23THRUST_200600_302600_NS4plusIxEEEE10hipError_tPvRmT2_T3_mT4_P12ihipStream_tbEUlT_E_NS1_11comp_targetILNS1_3genE0ELNS1_11target_archE4294967295ELNS1_3gpuE0ELNS1_3repE0EEENS1_30default_config_static_selectorELNS0_4arch9wavefront6targetE1EEEvT1_
; %bb.0:
	.section	.rodata,"a",@progbits
	.p2align	6, 0x0
	.amdhsa_kernel _ZN7rocprim17ROCPRIM_400000_NS6detail17trampoline_kernelINS0_14default_configENS1_35adjacent_difference_config_selectorILb0ExEEZNS1_24adjacent_difference_implIS3_Lb0ELb0EPKxPxN6thrust23THRUST_200600_302600_NS4plusIxEEEE10hipError_tPvRmT2_T3_mT4_P12ihipStream_tbEUlT_E_NS1_11comp_targetILNS1_3genE0ELNS1_11target_archE4294967295ELNS1_3gpuE0ELNS1_3repE0EEENS1_30default_config_static_selectorELNS0_4arch9wavefront6targetE1EEEvT1_
		.amdhsa_group_segment_fixed_size 0
		.amdhsa_private_segment_fixed_size 0
		.amdhsa_kernarg_size 56
		.amdhsa_user_sgpr_count 6
		.amdhsa_user_sgpr_private_segment_buffer 1
		.amdhsa_user_sgpr_dispatch_ptr 0
		.amdhsa_user_sgpr_queue_ptr 0
		.amdhsa_user_sgpr_kernarg_segment_ptr 1
		.amdhsa_user_sgpr_dispatch_id 0
		.amdhsa_user_sgpr_flat_scratch_init 0
		.amdhsa_user_sgpr_private_segment_size 0
		.amdhsa_uses_dynamic_stack 0
		.amdhsa_system_sgpr_private_segment_wavefront_offset 0
		.amdhsa_system_sgpr_workgroup_id_x 1
		.amdhsa_system_sgpr_workgroup_id_y 0
		.amdhsa_system_sgpr_workgroup_id_z 0
		.amdhsa_system_sgpr_workgroup_info 0
		.amdhsa_system_vgpr_workitem_id 0
		.amdhsa_next_free_vgpr 1
		.amdhsa_next_free_sgpr 0
		.amdhsa_reserve_vcc 0
		.amdhsa_reserve_flat_scratch 0
		.amdhsa_float_round_mode_32 0
		.amdhsa_float_round_mode_16_64 0
		.amdhsa_float_denorm_mode_32 3
		.amdhsa_float_denorm_mode_16_64 3
		.amdhsa_dx10_clamp 1
		.amdhsa_ieee_mode 1
		.amdhsa_fp16_overflow 0
		.amdhsa_exception_fp_ieee_invalid_op 0
		.amdhsa_exception_fp_denorm_src 0
		.amdhsa_exception_fp_ieee_div_zero 0
		.amdhsa_exception_fp_ieee_overflow 0
		.amdhsa_exception_fp_ieee_underflow 0
		.amdhsa_exception_fp_ieee_inexact 0
		.amdhsa_exception_int_div_zero 0
	.end_amdhsa_kernel
	.section	.text._ZN7rocprim17ROCPRIM_400000_NS6detail17trampoline_kernelINS0_14default_configENS1_35adjacent_difference_config_selectorILb0ExEEZNS1_24adjacent_difference_implIS3_Lb0ELb0EPKxPxN6thrust23THRUST_200600_302600_NS4plusIxEEEE10hipError_tPvRmT2_T3_mT4_P12ihipStream_tbEUlT_E_NS1_11comp_targetILNS1_3genE0ELNS1_11target_archE4294967295ELNS1_3gpuE0ELNS1_3repE0EEENS1_30default_config_static_selectorELNS0_4arch9wavefront6targetE1EEEvT1_,"axG",@progbits,_ZN7rocprim17ROCPRIM_400000_NS6detail17trampoline_kernelINS0_14default_configENS1_35adjacent_difference_config_selectorILb0ExEEZNS1_24adjacent_difference_implIS3_Lb0ELb0EPKxPxN6thrust23THRUST_200600_302600_NS4plusIxEEEE10hipError_tPvRmT2_T3_mT4_P12ihipStream_tbEUlT_E_NS1_11comp_targetILNS1_3genE0ELNS1_11target_archE4294967295ELNS1_3gpuE0ELNS1_3repE0EEENS1_30default_config_static_selectorELNS0_4arch9wavefront6targetE1EEEvT1_,comdat
.Lfunc_end698:
	.size	_ZN7rocprim17ROCPRIM_400000_NS6detail17trampoline_kernelINS0_14default_configENS1_35adjacent_difference_config_selectorILb0ExEEZNS1_24adjacent_difference_implIS3_Lb0ELb0EPKxPxN6thrust23THRUST_200600_302600_NS4plusIxEEEE10hipError_tPvRmT2_T3_mT4_P12ihipStream_tbEUlT_E_NS1_11comp_targetILNS1_3genE0ELNS1_11target_archE4294967295ELNS1_3gpuE0ELNS1_3repE0EEENS1_30default_config_static_selectorELNS0_4arch9wavefront6targetE1EEEvT1_, .Lfunc_end698-_ZN7rocprim17ROCPRIM_400000_NS6detail17trampoline_kernelINS0_14default_configENS1_35adjacent_difference_config_selectorILb0ExEEZNS1_24adjacent_difference_implIS3_Lb0ELb0EPKxPxN6thrust23THRUST_200600_302600_NS4plusIxEEEE10hipError_tPvRmT2_T3_mT4_P12ihipStream_tbEUlT_E_NS1_11comp_targetILNS1_3genE0ELNS1_11target_archE4294967295ELNS1_3gpuE0ELNS1_3repE0EEENS1_30default_config_static_selectorELNS0_4arch9wavefront6targetE1EEEvT1_
                                        ; -- End function
	.set _ZN7rocprim17ROCPRIM_400000_NS6detail17trampoline_kernelINS0_14default_configENS1_35adjacent_difference_config_selectorILb0ExEEZNS1_24adjacent_difference_implIS3_Lb0ELb0EPKxPxN6thrust23THRUST_200600_302600_NS4plusIxEEEE10hipError_tPvRmT2_T3_mT4_P12ihipStream_tbEUlT_E_NS1_11comp_targetILNS1_3genE0ELNS1_11target_archE4294967295ELNS1_3gpuE0ELNS1_3repE0EEENS1_30default_config_static_selectorELNS0_4arch9wavefront6targetE1EEEvT1_.num_vgpr, 0
	.set _ZN7rocprim17ROCPRIM_400000_NS6detail17trampoline_kernelINS0_14default_configENS1_35adjacent_difference_config_selectorILb0ExEEZNS1_24adjacent_difference_implIS3_Lb0ELb0EPKxPxN6thrust23THRUST_200600_302600_NS4plusIxEEEE10hipError_tPvRmT2_T3_mT4_P12ihipStream_tbEUlT_E_NS1_11comp_targetILNS1_3genE0ELNS1_11target_archE4294967295ELNS1_3gpuE0ELNS1_3repE0EEENS1_30default_config_static_selectorELNS0_4arch9wavefront6targetE1EEEvT1_.num_agpr, 0
	.set _ZN7rocprim17ROCPRIM_400000_NS6detail17trampoline_kernelINS0_14default_configENS1_35adjacent_difference_config_selectorILb0ExEEZNS1_24adjacent_difference_implIS3_Lb0ELb0EPKxPxN6thrust23THRUST_200600_302600_NS4plusIxEEEE10hipError_tPvRmT2_T3_mT4_P12ihipStream_tbEUlT_E_NS1_11comp_targetILNS1_3genE0ELNS1_11target_archE4294967295ELNS1_3gpuE0ELNS1_3repE0EEENS1_30default_config_static_selectorELNS0_4arch9wavefront6targetE1EEEvT1_.numbered_sgpr, 0
	.set _ZN7rocprim17ROCPRIM_400000_NS6detail17trampoline_kernelINS0_14default_configENS1_35adjacent_difference_config_selectorILb0ExEEZNS1_24adjacent_difference_implIS3_Lb0ELb0EPKxPxN6thrust23THRUST_200600_302600_NS4plusIxEEEE10hipError_tPvRmT2_T3_mT4_P12ihipStream_tbEUlT_E_NS1_11comp_targetILNS1_3genE0ELNS1_11target_archE4294967295ELNS1_3gpuE0ELNS1_3repE0EEENS1_30default_config_static_selectorELNS0_4arch9wavefront6targetE1EEEvT1_.num_named_barrier, 0
	.set _ZN7rocprim17ROCPRIM_400000_NS6detail17trampoline_kernelINS0_14default_configENS1_35adjacent_difference_config_selectorILb0ExEEZNS1_24adjacent_difference_implIS3_Lb0ELb0EPKxPxN6thrust23THRUST_200600_302600_NS4plusIxEEEE10hipError_tPvRmT2_T3_mT4_P12ihipStream_tbEUlT_E_NS1_11comp_targetILNS1_3genE0ELNS1_11target_archE4294967295ELNS1_3gpuE0ELNS1_3repE0EEENS1_30default_config_static_selectorELNS0_4arch9wavefront6targetE1EEEvT1_.private_seg_size, 0
	.set _ZN7rocprim17ROCPRIM_400000_NS6detail17trampoline_kernelINS0_14default_configENS1_35adjacent_difference_config_selectorILb0ExEEZNS1_24adjacent_difference_implIS3_Lb0ELb0EPKxPxN6thrust23THRUST_200600_302600_NS4plusIxEEEE10hipError_tPvRmT2_T3_mT4_P12ihipStream_tbEUlT_E_NS1_11comp_targetILNS1_3genE0ELNS1_11target_archE4294967295ELNS1_3gpuE0ELNS1_3repE0EEENS1_30default_config_static_selectorELNS0_4arch9wavefront6targetE1EEEvT1_.uses_vcc, 0
	.set _ZN7rocprim17ROCPRIM_400000_NS6detail17trampoline_kernelINS0_14default_configENS1_35adjacent_difference_config_selectorILb0ExEEZNS1_24adjacent_difference_implIS3_Lb0ELb0EPKxPxN6thrust23THRUST_200600_302600_NS4plusIxEEEE10hipError_tPvRmT2_T3_mT4_P12ihipStream_tbEUlT_E_NS1_11comp_targetILNS1_3genE0ELNS1_11target_archE4294967295ELNS1_3gpuE0ELNS1_3repE0EEENS1_30default_config_static_selectorELNS0_4arch9wavefront6targetE1EEEvT1_.uses_flat_scratch, 0
	.set _ZN7rocprim17ROCPRIM_400000_NS6detail17trampoline_kernelINS0_14default_configENS1_35adjacent_difference_config_selectorILb0ExEEZNS1_24adjacent_difference_implIS3_Lb0ELb0EPKxPxN6thrust23THRUST_200600_302600_NS4plusIxEEEE10hipError_tPvRmT2_T3_mT4_P12ihipStream_tbEUlT_E_NS1_11comp_targetILNS1_3genE0ELNS1_11target_archE4294967295ELNS1_3gpuE0ELNS1_3repE0EEENS1_30default_config_static_selectorELNS0_4arch9wavefront6targetE1EEEvT1_.has_dyn_sized_stack, 0
	.set _ZN7rocprim17ROCPRIM_400000_NS6detail17trampoline_kernelINS0_14default_configENS1_35adjacent_difference_config_selectorILb0ExEEZNS1_24adjacent_difference_implIS3_Lb0ELb0EPKxPxN6thrust23THRUST_200600_302600_NS4plusIxEEEE10hipError_tPvRmT2_T3_mT4_P12ihipStream_tbEUlT_E_NS1_11comp_targetILNS1_3genE0ELNS1_11target_archE4294967295ELNS1_3gpuE0ELNS1_3repE0EEENS1_30default_config_static_selectorELNS0_4arch9wavefront6targetE1EEEvT1_.has_recursion, 0
	.set _ZN7rocprim17ROCPRIM_400000_NS6detail17trampoline_kernelINS0_14default_configENS1_35adjacent_difference_config_selectorILb0ExEEZNS1_24adjacent_difference_implIS3_Lb0ELb0EPKxPxN6thrust23THRUST_200600_302600_NS4plusIxEEEE10hipError_tPvRmT2_T3_mT4_P12ihipStream_tbEUlT_E_NS1_11comp_targetILNS1_3genE0ELNS1_11target_archE4294967295ELNS1_3gpuE0ELNS1_3repE0EEENS1_30default_config_static_selectorELNS0_4arch9wavefront6targetE1EEEvT1_.has_indirect_call, 0
	.section	.AMDGPU.csdata,"",@progbits
; Kernel info:
; codeLenInByte = 0
; TotalNumSgprs: 4
; NumVgprs: 0
; ScratchSize: 0
; MemoryBound: 0
; FloatMode: 240
; IeeeMode: 1
; LDSByteSize: 0 bytes/workgroup (compile time only)
; SGPRBlocks: 0
; VGPRBlocks: 0
; NumSGPRsForWavesPerEU: 4
; NumVGPRsForWavesPerEU: 1
; Occupancy: 10
; WaveLimiterHint : 0
; COMPUTE_PGM_RSRC2:SCRATCH_EN: 0
; COMPUTE_PGM_RSRC2:USER_SGPR: 6
; COMPUTE_PGM_RSRC2:TRAP_HANDLER: 0
; COMPUTE_PGM_RSRC2:TGID_X_EN: 1
; COMPUTE_PGM_RSRC2:TGID_Y_EN: 0
; COMPUTE_PGM_RSRC2:TGID_Z_EN: 0
; COMPUTE_PGM_RSRC2:TIDIG_COMP_CNT: 0
	.section	.text._ZN7rocprim17ROCPRIM_400000_NS6detail17trampoline_kernelINS0_14default_configENS1_35adjacent_difference_config_selectorILb0ExEEZNS1_24adjacent_difference_implIS3_Lb0ELb0EPKxPxN6thrust23THRUST_200600_302600_NS4plusIxEEEE10hipError_tPvRmT2_T3_mT4_P12ihipStream_tbEUlT_E_NS1_11comp_targetILNS1_3genE10ELNS1_11target_archE1201ELNS1_3gpuE5ELNS1_3repE0EEENS1_30default_config_static_selectorELNS0_4arch9wavefront6targetE1EEEvT1_,"axG",@progbits,_ZN7rocprim17ROCPRIM_400000_NS6detail17trampoline_kernelINS0_14default_configENS1_35adjacent_difference_config_selectorILb0ExEEZNS1_24adjacent_difference_implIS3_Lb0ELb0EPKxPxN6thrust23THRUST_200600_302600_NS4plusIxEEEE10hipError_tPvRmT2_T3_mT4_P12ihipStream_tbEUlT_E_NS1_11comp_targetILNS1_3genE10ELNS1_11target_archE1201ELNS1_3gpuE5ELNS1_3repE0EEENS1_30default_config_static_selectorELNS0_4arch9wavefront6targetE1EEEvT1_,comdat
	.protected	_ZN7rocprim17ROCPRIM_400000_NS6detail17trampoline_kernelINS0_14default_configENS1_35adjacent_difference_config_selectorILb0ExEEZNS1_24adjacent_difference_implIS3_Lb0ELb0EPKxPxN6thrust23THRUST_200600_302600_NS4plusIxEEEE10hipError_tPvRmT2_T3_mT4_P12ihipStream_tbEUlT_E_NS1_11comp_targetILNS1_3genE10ELNS1_11target_archE1201ELNS1_3gpuE5ELNS1_3repE0EEENS1_30default_config_static_selectorELNS0_4arch9wavefront6targetE1EEEvT1_ ; -- Begin function _ZN7rocprim17ROCPRIM_400000_NS6detail17trampoline_kernelINS0_14default_configENS1_35adjacent_difference_config_selectorILb0ExEEZNS1_24adjacent_difference_implIS3_Lb0ELb0EPKxPxN6thrust23THRUST_200600_302600_NS4plusIxEEEE10hipError_tPvRmT2_T3_mT4_P12ihipStream_tbEUlT_E_NS1_11comp_targetILNS1_3genE10ELNS1_11target_archE1201ELNS1_3gpuE5ELNS1_3repE0EEENS1_30default_config_static_selectorELNS0_4arch9wavefront6targetE1EEEvT1_
	.globl	_ZN7rocprim17ROCPRIM_400000_NS6detail17trampoline_kernelINS0_14default_configENS1_35adjacent_difference_config_selectorILb0ExEEZNS1_24adjacent_difference_implIS3_Lb0ELb0EPKxPxN6thrust23THRUST_200600_302600_NS4plusIxEEEE10hipError_tPvRmT2_T3_mT4_P12ihipStream_tbEUlT_E_NS1_11comp_targetILNS1_3genE10ELNS1_11target_archE1201ELNS1_3gpuE5ELNS1_3repE0EEENS1_30default_config_static_selectorELNS0_4arch9wavefront6targetE1EEEvT1_
	.p2align	8
	.type	_ZN7rocprim17ROCPRIM_400000_NS6detail17trampoline_kernelINS0_14default_configENS1_35adjacent_difference_config_selectorILb0ExEEZNS1_24adjacent_difference_implIS3_Lb0ELb0EPKxPxN6thrust23THRUST_200600_302600_NS4plusIxEEEE10hipError_tPvRmT2_T3_mT4_P12ihipStream_tbEUlT_E_NS1_11comp_targetILNS1_3genE10ELNS1_11target_archE1201ELNS1_3gpuE5ELNS1_3repE0EEENS1_30default_config_static_selectorELNS0_4arch9wavefront6targetE1EEEvT1_,@function
_ZN7rocprim17ROCPRIM_400000_NS6detail17trampoline_kernelINS0_14default_configENS1_35adjacent_difference_config_selectorILb0ExEEZNS1_24adjacent_difference_implIS3_Lb0ELb0EPKxPxN6thrust23THRUST_200600_302600_NS4plusIxEEEE10hipError_tPvRmT2_T3_mT4_P12ihipStream_tbEUlT_E_NS1_11comp_targetILNS1_3genE10ELNS1_11target_archE1201ELNS1_3gpuE5ELNS1_3repE0EEENS1_30default_config_static_selectorELNS0_4arch9wavefront6targetE1EEEvT1_: ; @_ZN7rocprim17ROCPRIM_400000_NS6detail17trampoline_kernelINS0_14default_configENS1_35adjacent_difference_config_selectorILb0ExEEZNS1_24adjacent_difference_implIS3_Lb0ELb0EPKxPxN6thrust23THRUST_200600_302600_NS4plusIxEEEE10hipError_tPvRmT2_T3_mT4_P12ihipStream_tbEUlT_E_NS1_11comp_targetILNS1_3genE10ELNS1_11target_archE1201ELNS1_3gpuE5ELNS1_3repE0EEENS1_30default_config_static_selectorELNS0_4arch9wavefront6targetE1EEEvT1_
; %bb.0:
	.section	.rodata,"a",@progbits
	.p2align	6, 0x0
	.amdhsa_kernel _ZN7rocprim17ROCPRIM_400000_NS6detail17trampoline_kernelINS0_14default_configENS1_35adjacent_difference_config_selectorILb0ExEEZNS1_24adjacent_difference_implIS3_Lb0ELb0EPKxPxN6thrust23THRUST_200600_302600_NS4plusIxEEEE10hipError_tPvRmT2_T3_mT4_P12ihipStream_tbEUlT_E_NS1_11comp_targetILNS1_3genE10ELNS1_11target_archE1201ELNS1_3gpuE5ELNS1_3repE0EEENS1_30default_config_static_selectorELNS0_4arch9wavefront6targetE1EEEvT1_
		.amdhsa_group_segment_fixed_size 0
		.amdhsa_private_segment_fixed_size 0
		.amdhsa_kernarg_size 56
		.amdhsa_user_sgpr_count 6
		.amdhsa_user_sgpr_private_segment_buffer 1
		.amdhsa_user_sgpr_dispatch_ptr 0
		.amdhsa_user_sgpr_queue_ptr 0
		.amdhsa_user_sgpr_kernarg_segment_ptr 1
		.amdhsa_user_sgpr_dispatch_id 0
		.amdhsa_user_sgpr_flat_scratch_init 0
		.amdhsa_user_sgpr_private_segment_size 0
		.amdhsa_uses_dynamic_stack 0
		.amdhsa_system_sgpr_private_segment_wavefront_offset 0
		.amdhsa_system_sgpr_workgroup_id_x 1
		.amdhsa_system_sgpr_workgroup_id_y 0
		.amdhsa_system_sgpr_workgroup_id_z 0
		.amdhsa_system_sgpr_workgroup_info 0
		.amdhsa_system_vgpr_workitem_id 0
		.amdhsa_next_free_vgpr 1
		.amdhsa_next_free_sgpr 0
		.amdhsa_reserve_vcc 0
		.amdhsa_reserve_flat_scratch 0
		.amdhsa_float_round_mode_32 0
		.amdhsa_float_round_mode_16_64 0
		.amdhsa_float_denorm_mode_32 3
		.amdhsa_float_denorm_mode_16_64 3
		.amdhsa_dx10_clamp 1
		.amdhsa_ieee_mode 1
		.amdhsa_fp16_overflow 0
		.amdhsa_exception_fp_ieee_invalid_op 0
		.amdhsa_exception_fp_denorm_src 0
		.amdhsa_exception_fp_ieee_div_zero 0
		.amdhsa_exception_fp_ieee_overflow 0
		.amdhsa_exception_fp_ieee_underflow 0
		.amdhsa_exception_fp_ieee_inexact 0
		.amdhsa_exception_int_div_zero 0
	.end_amdhsa_kernel
	.section	.text._ZN7rocprim17ROCPRIM_400000_NS6detail17trampoline_kernelINS0_14default_configENS1_35adjacent_difference_config_selectorILb0ExEEZNS1_24adjacent_difference_implIS3_Lb0ELb0EPKxPxN6thrust23THRUST_200600_302600_NS4plusIxEEEE10hipError_tPvRmT2_T3_mT4_P12ihipStream_tbEUlT_E_NS1_11comp_targetILNS1_3genE10ELNS1_11target_archE1201ELNS1_3gpuE5ELNS1_3repE0EEENS1_30default_config_static_selectorELNS0_4arch9wavefront6targetE1EEEvT1_,"axG",@progbits,_ZN7rocprim17ROCPRIM_400000_NS6detail17trampoline_kernelINS0_14default_configENS1_35adjacent_difference_config_selectorILb0ExEEZNS1_24adjacent_difference_implIS3_Lb0ELb0EPKxPxN6thrust23THRUST_200600_302600_NS4plusIxEEEE10hipError_tPvRmT2_T3_mT4_P12ihipStream_tbEUlT_E_NS1_11comp_targetILNS1_3genE10ELNS1_11target_archE1201ELNS1_3gpuE5ELNS1_3repE0EEENS1_30default_config_static_selectorELNS0_4arch9wavefront6targetE1EEEvT1_,comdat
.Lfunc_end699:
	.size	_ZN7rocprim17ROCPRIM_400000_NS6detail17trampoline_kernelINS0_14default_configENS1_35adjacent_difference_config_selectorILb0ExEEZNS1_24adjacent_difference_implIS3_Lb0ELb0EPKxPxN6thrust23THRUST_200600_302600_NS4plusIxEEEE10hipError_tPvRmT2_T3_mT4_P12ihipStream_tbEUlT_E_NS1_11comp_targetILNS1_3genE10ELNS1_11target_archE1201ELNS1_3gpuE5ELNS1_3repE0EEENS1_30default_config_static_selectorELNS0_4arch9wavefront6targetE1EEEvT1_, .Lfunc_end699-_ZN7rocprim17ROCPRIM_400000_NS6detail17trampoline_kernelINS0_14default_configENS1_35adjacent_difference_config_selectorILb0ExEEZNS1_24adjacent_difference_implIS3_Lb0ELb0EPKxPxN6thrust23THRUST_200600_302600_NS4plusIxEEEE10hipError_tPvRmT2_T3_mT4_P12ihipStream_tbEUlT_E_NS1_11comp_targetILNS1_3genE10ELNS1_11target_archE1201ELNS1_3gpuE5ELNS1_3repE0EEENS1_30default_config_static_selectorELNS0_4arch9wavefront6targetE1EEEvT1_
                                        ; -- End function
	.set _ZN7rocprim17ROCPRIM_400000_NS6detail17trampoline_kernelINS0_14default_configENS1_35adjacent_difference_config_selectorILb0ExEEZNS1_24adjacent_difference_implIS3_Lb0ELb0EPKxPxN6thrust23THRUST_200600_302600_NS4plusIxEEEE10hipError_tPvRmT2_T3_mT4_P12ihipStream_tbEUlT_E_NS1_11comp_targetILNS1_3genE10ELNS1_11target_archE1201ELNS1_3gpuE5ELNS1_3repE0EEENS1_30default_config_static_selectorELNS0_4arch9wavefront6targetE1EEEvT1_.num_vgpr, 0
	.set _ZN7rocprim17ROCPRIM_400000_NS6detail17trampoline_kernelINS0_14default_configENS1_35adjacent_difference_config_selectorILb0ExEEZNS1_24adjacent_difference_implIS3_Lb0ELb0EPKxPxN6thrust23THRUST_200600_302600_NS4plusIxEEEE10hipError_tPvRmT2_T3_mT4_P12ihipStream_tbEUlT_E_NS1_11comp_targetILNS1_3genE10ELNS1_11target_archE1201ELNS1_3gpuE5ELNS1_3repE0EEENS1_30default_config_static_selectorELNS0_4arch9wavefront6targetE1EEEvT1_.num_agpr, 0
	.set _ZN7rocprim17ROCPRIM_400000_NS6detail17trampoline_kernelINS0_14default_configENS1_35adjacent_difference_config_selectorILb0ExEEZNS1_24adjacent_difference_implIS3_Lb0ELb0EPKxPxN6thrust23THRUST_200600_302600_NS4plusIxEEEE10hipError_tPvRmT2_T3_mT4_P12ihipStream_tbEUlT_E_NS1_11comp_targetILNS1_3genE10ELNS1_11target_archE1201ELNS1_3gpuE5ELNS1_3repE0EEENS1_30default_config_static_selectorELNS0_4arch9wavefront6targetE1EEEvT1_.numbered_sgpr, 0
	.set _ZN7rocprim17ROCPRIM_400000_NS6detail17trampoline_kernelINS0_14default_configENS1_35adjacent_difference_config_selectorILb0ExEEZNS1_24adjacent_difference_implIS3_Lb0ELb0EPKxPxN6thrust23THRUST_200600_302600_NS4plusIxEEEE10hipError_tPvRmT2_T3_mT4_P12ihipStream_tbEUlT_E_NS1_11comp_targetILNS1_3genE10ELNS1_11target_archE1201ELNS1_3gpuE5ELNS1_3repE0EEENS1_30default_config_static_selectorELNS0_4arch9wavefront6targetE1EEEvT1_.num_named_barrier, 0
	.set _ZN7rocprim17ROCPRIM_400000_NS6detail17trampoline_kernelINS0_14default_configENS1_35adjacent_difference_config_selectorILb0ExEEZNS1_24adjacent_difference_implIS3_Lb0ELb0EPKxPxN6thrust23THRUST_200600_302600_NS4plusIxEEEE10hipError_tPvRmT2_T3_mT4_P12ihipStream_tbEUlT_E_NS1_11comp_targetILNS1_3genE10ELNS1_11target_archE1201ELNS1_3gpuE5ELNS1_3repE0EEENS1_30default_config_static_selectorELNS0_4arch9wavefront6targetE1EEEvT1_.private_seg_size, 0
	.set _ZN7rocprim17ROCPRIM_400000_NS6detail17trampoline_kernelINS0_14default_configENS1_35adjacent_difference_config_selectorILb0ExEEZNS1_24adjacent_difference_implIS3_Lb0ELb0EPKxPxN6thrust23THRUST_200600_302600_NS4plusIxEEEE10hipError_tPvRmT2_T3_mT4_P12ihipStream_tbEUlT_E_NS1_11comp_targetILNS1_3genE10ELNS1_11target_archE1201ELNS1_3gpuE5ELNS1_3repE0EEENS1_30default_config_static_selectorELNS0_4arch9wavefront6targetE1EEEvT1_.uses_vcc, 0
	.set _ZN7rocprim17ROCPRIM_400000_NS6detail17trampoline_kernelINS0_14default_configENS1_35adjacent_difference_config_selectorILb0ExEEZNS1_24adjacent_difference_implIS3_Lb0ELb0EPKxPxN6thrust23THRUST_200600_302600_NS4plusIxEEEE10hipError_tPvRmT2_T3_mT4_P12ihipStream_tbEUlT_E_NS1_11comp_targetILNS1_3genE10ELNS1_11target_archE1201ELNS1_3gpuE5ELNS1_3repE0EEENS1_30default_config_static_selectorELNS0_4arch9wavefront6targetE1EEEvT1_.uses_flat_scratch, 0
	.set _ZN7rocprim17ROCPRIM_400000_NS6detail17trampoline_kernelINS0_14default_configENS1_35adjacent_difference_config_selectorILb0ExEEZNS1_24adjacent_difference_implIS3_Lb0ELb0EPKxPxN6thrust23THRUST_200600_302600_NS4plusIxEEEE10hipError_tPvRmT2_T3_mT4_P12ihipStream_tbEUlT_E_NS1_11comp_targetILNS1_3genE10ELNS1_11target_archE1201ELNS1_3gpuE5ELNS1_3repE0EEENS1_30default_config_static_selectorELNS0_4arch9wavefront6targetE1EEEvT1_.has_dyn_sized_stack, 0
	.set _ZN7rocprim17ROCPRIM_400000_NS6detail17trampoline_kernelINS0_14default_configENS1_35adjacent_difference_config_selectorILb0ExEEZNS1_24adjacent_difference_implIS3_Lb0ELb0EPKxPxN6thrust23THRUST_200600_302600_NS4plusIxEEEE10hipError_tPvRmT2_T3_mT4_P12ihipStream_tbEUlT_E_NS1_11comp_targetILNS1_3genE10ELNS1_11target_archE1201ELNS1_3gpuE5ELNS1_3repE0EEENS1_30default_config_static_selectorELNS0_4arch9wavefront6targetE1EEEvT1_.has_recursion, 0
	.set _ZN7rocprim17ROCPRIM_400000_NS6detail17trampoline_kernelINS0_14default_configENS1_35adjacent_difference_config_selectorILb0ExEEZNS1_24adjacent_difference_implIS3_Lb0ELb0EPKxPxN6thrust23THRUST_200600_302600_NS4plusIxEEEE10hipError_tPvRmT2_T3_mT4_P12ihipStream_tbEUlT_E_NS1_11comp_targetILNS1_3genE10ELNS1_11target_archE1201ELNS1_3gpuE5ELNS1_3repE0EEENS1_30default_config_static_selectorELNS0_4arch9wavefront6targetE1EEEvT1_.has_indirect_call, 0
	.section	.AMDGPU.csdata,"",@progbits
; Kernel info:
; codeLenInByte = 0
; TotalNumSgprs: 4
; NumVgprs: 0
; ScratchSize: 0
; MemoryBound: 0
; FloatMode: 240
; IeeeMode: 1
; LDSByteSize: 0 bytes/workgroup (compile time only)
; SGPRBlocks: 0
; VGPRBlocks: 0
; NumSGPRsForWavesPerEU: 4
; NumVGPRsForWavesPerEU: 1
; Occupancy: 10
; WaveLimiterHint : 0
; COMPUTE_PGM_RSRC2:SCRATCH_EN: 0
; COMPUTE_PGM_RSRC2:USER_SGPR: 6
; COMPUTE_PGM_RSRC2:TRAP_HANDLER: 0
; COMPUTE_PGM_RSRC2:TGID_X_EN: 1
; COMPUTE_PGM_RSRC2:TGID_Y_EN: 0
; COMPUTE_PGM_RSRC2:TGID_Z_EN: 0
; COMPUTE_PGM_RSRC2:TIDIG_COMP_CNT: 0
	.section	.text._ZN7rocprim17ROCPRIM_400000_NS6detail17trampoline_kernelINS0_14default_configENS1_35adjacent_difference_config_selectorILb0ExEEZNS1_24adjacent_difference_implIS3_Lb0ELb0EPKxPxN6thrust23THRUST_200600_302600_NS4plusIxEEEE10hipError_tPvRmT2_T3_mT4_P12ihipStream_tbEUlT_E_NS1_11comp_targetILNS1_3genE5ELNS1_11target_archE942ELNS1_3gpuE9ELNS1_3repE0EEENS1_30default_config_static_selectorELNS0_4arch9wavefront6targetE1EEEvT1_,"axG",@progbits,_ZN7rocprim17ROCPRIM_400000_NS6detail17trampoline_kernelINS0_14default_configENS1_35adjacent_difference_config_selectorILb0ExEEZNS1_24adjacent_difference_implIS3_Lb0ELb0EPKxPxN6thrust23THRUST_200600_302600_NS4plusIxEEEE10hipError_tPvRmT2_T3_mT4_P12ihipStream_tbEUlT_E_NS1_11comp_targetILNS1_3genE5ELNS1_11target_archE942ELNS1_3gpuE9ELNS1_3repE0EEENS1_30default_config_static_selectorELNS0_4arch9wavefront6targetE1EEEvT1_,comdat
	.protected	_ZN7rocprim17ROCPRIM_400000_NS6detail17trampoline_kernelINS0_14default_configENS1_35adjacent_difference_config_selectorILb0ExEEZNS1_24adjacent_difference_implIS3_Lb0ELb0EPKxPxN6thrust23THRUST_200600_302600_NS4plusIxEEEE10hipError_tPvRmT2_T3_mT4_P12ihipStream_tbEUlT_E_NS1_11comp_targetILNS1_3genE5ELNS1_11target_archE942ELNS1_3gpuE9ELNS1_3repE0EEENS1_30default_config_static_selectorELNS0_4arch9wavefront6targetE1EEEvT1_ ; -- Begin function _ZN7rocprim17ROCPRIM_400000_NS6detail17trampoline_kernelINS0_14default_configENS1_35adjacent_difference_config_selectorILb0ExEEZNS1_24adjacent_difference_implIS3_Lb0ELb0EPKxPxN6thrust23THRUST_200600_302600_NS4plusIxEEEE10hipError_tPvRmT2_T3_mT4_P12ihipStream_tbEUlT_E_NS1_11comp_targetILNS1_3genE5ELNS1_11target_archE942ELNS1_3gpuE9ELNS1_3repE0EEENS1_30default_config_static_selectorELNS0_4arch9wavefront6targetE1EEEvT1_
	.globl	_ZN7rocprim17ROCPRIM_400000_NS6detail17trampoline_kernelINS0_14default_configENS1_35adjacent_difference_config_selectorILb0ExEEZNS1_24adjacent_difference_implIS3_Lb0ELb0EPKxPxN6thrust23THRUST_200600_302600_NS4plusIxEEEE10hipError_tPvRmT2_T3_mT4_P12ihipStream_tbEUlT_E_NS1_11comp_targetILNS1_3genE5ELNS1_11target_archE942ELNS1_3gpuE9ELNS1_3repE0EEENS1_30default_config_static_selectorELNS0_4arch9wavefront6targetE1EEEvT1_
	.p2align	8
	.type	_ZN7rocprim17ROCPRIM_400000_NS6detail17trampoline_kernelINS0_14default_configENS1_35adjacent_difference_config_selectorILb0ExEEZNS1_24adjacent_difference_implIS3_Lb0ELb0EPKxPxN6thrust23THRUST_200600_302600_NS4plusIxEEEE10hipError_tPvRmT2_T3_mT4_P12ihipStream_tbEUlT_E_NS1_11comp_targetILNS1_3genE5ELNS1_11target_archE942ELNS1_3gpuE9ELNS1_3repE0EEENS1_30default_config_static_selectorELNS0_4arch9wavefront6targetE1EEEvT1_,@function
_ZN7rocprim17ROCPRIM_400000_NS6detail17trampoline_kernelINS0_14default_configENS1_35adjacent_difference_config_selectorILb0ExEEZNS1_24adjacent_difference_implIS3_Lb0ELb0EPKxPxN6thrust23THRUST_200600_302600_NS4plusIxEEEE10hipError_tPvRmT2_T3_mT4_P12ihipStream_tbEUlT_E_NS1_11comp_targetILNS1_3genE5ELNS1_11target_archE942ELNS1_3gpuE9ELNS1_3repE0EEENS1_30default_config_static_selectorELNS0_4arch9wavefront6targetE1EEEvT1_: ; @_ZN7rocprim17ROCPRIM_400000_NS6detail17trampoline_kernelINS0_14default_configENS1_35adjacent_difference_config_selectorILb0ExEEZNS1_24adjacent_difference_implIS3_Lb0ELb0EPKxPxN6thrust23THRUST_200600_302600_NS4plusIxEEEE10hipError_tPvRmT2_T3_mT4_P12ihipStream_tbEUlT_E_NS1_11comp_targetILNS1_3genE5ELNS1_11target_archE942ELNS1_3gpuE9ELNS1_3repE0EEENS1_30default_config_static_selectorELNS0_4arch9wavefront6targetE1EEEvT1_
; %bb.0:
	.section	.rodata,"a",@progbits
	.p2align	6, 0x0
	.amdhsa_kernel _ZN7rocprim17ROCPRIM_400000_NS6detail17trampoline_kernelINS0_14default_configENS1_35adjacent_difference_config_selectorILb0ExEEZNS1_24adjacent_difference_implIS3_Lb0ELb0EPKxPxN6thrust23THRUST_200600_302600_NS4plusIxEEEE10hipError_tPvRmT2_T3_mT4_P12ihipStream_tbEUlT_E_NS1_11comp_targetILNS1_3genE5ELNS1_11target_archE942ELNS1_3gpuE9ELNS1_3repE0EEENS1_30default_config_static_selectorELNS0_4arch9wavefront6targetE1EEEvT1_
		.amdhsa_group_segment_fixed_size 0
		.amdhsa_private_segment_fixed_size 0
		.amdhsa_kernarg_size 56
		.amdhsa_user_sgpr_count 6
		.amdhsa_user_sgpr_private_segment_buffer 1
		.amdhsa_user_sgpr_dispatch_ptr 0
		.amdhsa_user_sgpr_queue_ptr 0
		.amdhsa_user_sgpr_kernarg_segment_ptr 1
		.amdhsa_user_sgpr_dispatch_id 0
		.amdhsa_user_sgpr_flat_scratch_init 0
		.amdhsa_user_sgpr_private_segment_size 0
		.amdhsa_uses_dynamic_stack 0
		.amdhsa_system_sgpr_private_segment_wavefront_offset 0
		.amdhsa_system_sgpr_workgroup_id_x 1
		.amdhsa_system_sgpr_workgroup_id_y 0
		.amdhsa_system_sgpr_workgroup_id_z 0
		.amdhsa_system_sgpr_workgroup_info 0
		.amdhsa_system_vgpr_workitem_id 0
		.amdhsa_next_free_vgpr 1
		.amdhsa_next_free_sgpr 0
		.amdhsa_reserve_vcc 0
		.amdhsa_reserve_flat_scratch 0
		.amdhsa_float_round_mode_32 0
		.amdhsa_float_round_mode_16_64 0
		.amdhsa_float_denorm_mode_32 3
		.amdhsa_float_denorm_mode_16_64 3
		.amdhsa_dx10_clamp 1
		.amdhsa_ieee_mode 1
		.amdhsa_fp16_overflow 0
		.amdhsa_exception_fp_ieee_invalid_op 0
		.amdhsa_exception_fp_denorm_src 0
		.amdhsa_exception_fp_ieee_div_zero 0
		.amdhsa_exception_fp_ieee_overflow 0
		.amdhsa_exception_fp_ieee_underflow 0
		.amdhsa_exception_fp_ieee_inexact 0
		.amdhsa_exception_int_div_zero 0
	.end_amdhsa_kernel
	.section	.text._ZN7rocprim17ROCPRIM_400000_NS6detail17trampoline_kernelINS0_14default_configENS1_35adjacent_difference_config_selectorILb0ExEEZNS1_24adjacent_difference_implIS3_Lb0ELb0EPKxPxN6thrust23THRUST_200600_302600_NS4plusIxEEEE10hipError_tPvRmT2_T3_mT4_P12ihipStream_tbEUlT_E_NS1_11comp_targetILNS1_3genE5ELNS1_11target_archE942ELNS1_3gpuE9ELNS1_3repE0EEENS1_30default_config_static_selectorELNS0_4arch9wavefront6targetE1EEEvT1_,"axG",@progbits,_ZN7rocprim17ROCPRIM_400000_NS6detail17trampoline_kernelINS0_14default_configENS1_35adjacent_difference_config_selectorILb0ExEEZNS1_24adjacent_difference_implIS3_Lb0ELb0EPKxPxN6thrust23THRUST_200600_302600_NS4plusIxEEEE10hipError_tPvRmT2_T3_mT4_P12ihipStream_tbEUlT_E_NS1_11comp_targetILNS1_3genE5ELNS1_11target_archE942ELNS1_3gpuE9ELNS1_3repE0EEENS1_30default_config_static_selectorELNS0_4arch9wavefront6targetE1EEEvT1_,comdat
.Lfunc_end700:
	.size	_ZN7rocprim17ROCPRIM_400000_NS6detail17trampoline_kernelINS0_14default_configENS1_35adjacent_difference_config_selectorILb0ExEEZNS1_24adjacent_difference_implIS3_Lb0ELb0EPKxPxN6thrust23THRUST_200600_302600_NS4plusIxEEEE10hipError_tPvRmT2_T3_mT4_P12ihipStream_tbEUlT_E_NS1_11comp_targetILNS1_3genE5ELNS1_11target_archE942ELNS1_3gpuE9ELNS1_3repE0EEENS1_30default_config_static_selectorELNS0_4arch9wavefront6targetE1EEEvT1_, .Lfunc_end700-_ZN7rocprim17ROCPRIM_400000_NS6detail17trampoline_kernelINS0_14default_configENS1_35adjacent_difference_config_selectorILb0ExEEZNS1_24adjacent_difference_implIS3_Lb0ELb0EPKxPxN6thrust23THRUST_200600_302600_NS4plusIxEEEE10hipError_tPvRmT2_T3_mT4_P12ihipStream_tbEUlT_E_NS1_11comp_targetILNS1_3genE5ELNS1_11target_archE942ELNS1_3gpuE9ELNS1_3repE0EEENS1_30default_config_static_selectorELNS0_4arch9wavefront6targetE1EEEvT1_
                                        ; -- End function
	.set _ZN7rocprim17ROCPRIM_400000_NS6detail17trampoline_kernelINS0_14default_configENS1_35adjacent_difference_config_selectorILb0ExEEZNS1_24adjacent_difference_implIS3_Lb0ELb0EPKxPxN6thrust23THRUST_200600_302600_NS4plusIxEEEE10hipError_tPvRmT2_T3_mT4_P12ihipStream_tbEUlT_E_NS1_11comp_targetILNS1_3genE5ELNS1_11target_archE942ELNS1_3gpuE9ELNS1_3repE0EEENS1_30default_config_static_selectorELNS0_4arch9wavefront6targetE1EEEvT1_.num_vgpr, 0
	.set _ZN7rocprim17ROCPRIM_400000_NS6detail17trampoline_kernelINS0_14default_configENS1_35adjacent_difference_config_selectorILb0ExEEZNS1_24adjacent_difference_implIS3_Lb0ELb0EPKxPxN6thrust23THRUST_200600_302600_NS4plusIxEEEE10hipError_tPvRmT2_T3_mT4_P12ihipStream_tbEUlT_E_NS1_11comp_targetILNS1_3genE5ELNS1_11target_archE942ELNS1_3gpuE9ELNS1_3repE0EEENS1_30default_config_static_selectorELNS0_4arch9wavefront6targetE1EEEvT1_.num_agpr, 0
	.set _ZN7rocprim17ROCPRIM_400000_NS6detail17trampoline_kernelINS0_14default_configENS1_35adjacent_difference_config_selectorILb0ExEEZNS1_24adjacent_difference_implIS3_Lb0ELb0EPKxPxN6thrust23THRUST_200600_302600_NS4plusIxEEEE10hipError_tPvRmT2_T3_mT4_P12ihipStream_tbEUlT_E_NS1_11comp_targetILNS1_3genE5ELNS1_11target_archE942ELNS1_3gpuE9ELNS1_3repE0EEENS1_30default_config_static_selectorELNS0_4arch9wavefront6targetE1EEEvT1_.numbered_sgpr, 0
	.set _ZN7rocprim17ROCPRIM_400000_NS6detail17trampoline_kernelINS0_14default_configENS1_35adjacent_difference_config_selectorILb0ExEEZNS1_24adjacent_difference_implIS3_Lb0ELb0EPKxPxN6thrust23THRUST_200600_302600_NS4plusIxEEEE10hipError_tPvRmT2_T3_mT4_P12ihipStream_tbEUlT_E_NS1_11comp_targetILNS1_3genE5ELNS1_11target_archE942ELNS1_3gpuE9ELNS1_3repE0EEENS1_30default_config_static_selectorELNS0_4arch9wavefront6targetE1EEEvT1_.num_named_barrier, 0
	.set _ZN7rocprim17ROCPRIM_400000_NS6detail17trampoline_kernelINS0_14default_configENS1_35adjacent_difference_config_selectorILb0ExEEZNS1_24adjacent_difference_implIS3_Lb0ELb0EPKxPxN6thrust23THRUST_200600_302600_NS4plusIxEEEE10hipError_tPvRmT2_T3_mT4_P12ihipStream_tbEUlT_E_NS1_11comp_targetILNS1_3genE5ELNS1_11target_archE942ELNS1_3gpuE9ELNS1_3repE0EEENS1_30default_config_static_selectorELNS0_4arch9wavefront6targetE1EEEvT1_.private_seg_size, 0
	.set _ZN7rocprim17ROCPRIM_400000_NS6detail17trampoline_kernelINS0_14default_configENS1_35adjacent_difference_config_selectorILb0ExEEZNS1_24adjacent_difference_implIS3_Lb0ELb0EPKxPxN6thrust23THRUST_200600_302600_NS4plusIxEEEE10hipError_tPvRmT2_T3_mT4_P12ihipStream_tbEUlT_E_NS1_11comp_targetILNS1_3genE5ELNS1_11target_archE942ELNS1_3gpuE9ELNS1_3repE0EEENS1_30default_config_static_selectorELNS0_4arch9wavefront6targetE1EEEvT1_.uses_vcc, 0
	.set _ZN7rocprim17ROCPRIM_400000_NS6detail17trampoline_kernelINS0_14default_configENS1_35adjacent_difference_config_selectorILb0ExEEZNS1_24adjacent_difference_implIS3_Lb0ELb0EPKxPxN6thrust23THRUST_200600_302600_NS4plusIxEEEE10hipError_tPvRmT2_T3_mT4_P12ihipStream_tbEUlT_E_NS1_11comp_targetILNS1_3genE5ELNS1_11target_archE942ELNS1_3gpuE9ELNS1_3repE0EEENS1_30default_config_static_selectorELNS0_4arch9wavefront6targetE1EEEvT1_.uses_flat_scratch, 0
	.set _ZN7rocprim17ROCPRIM_400000_NS6detail17trampoline_kernelINS0_14default_configENS1_35adjacent_difference_config_selectorILb0ExEEZNS1_24adjacent_difference_implIS3_Lb0ELb0EPKxPxN6thrust23THRUST_200600_302600_NS4plusIxEEEE10hipError_tPvRmT2_T3_mT4_P12ihipStream_tbEUlT_E_NS1_11comp_targetILNS1_3genE5ELNS1_11target_archE942ELNS1_3gpuE9ELNS1_3repE0EEENS1_30default_config_static_selectorELNS0_4arch9wavefront6targetE1EEEvT1_.has_dyn_sized_stack, 0
	.set _ZN7rocprim17ROCPRIM_400000_NS6detail17trampoline_kernelINS0_14default_configENS1_35adjacent_difference_config_selectorILb0ExEEZNS1_24adjacent_difference_implIS3_Lb0ELb0EPKxPxN6thrust23THRUST_200600_302600_NS4plusIxEEEE10hipError_tPvRmT2_T3_mT4_P12ihipStream_tbEUlT_E_NS1_11comp_targetILNS1_3genE5ELNS1_11target_archE942ELNS1_3gpuE9ELNS1_3repE0EEENS1_30default_config_static_selectorELNS0_4arch9wavefront6targetE1EEEvT1_.has_recursion, 0
	.set _ZN7rocprim17ROCPRIM_400000_NS6detail17trampoline_kernelINS0_14default_configENS1_35adjacent_difference_config_selectorILb0ExEEZNS1_24adjacent_difference_implIS3_Lb0ELb0EPKxPxN6thrust23THRUST_200600_302600_NS4plusIxEEEE10hipError_tPvRmT2_T3_mT4_P12ihipStream_tbEUlT_E_NS1_11comp_targetILNS1_3genE5ELNS1_11target_archE942ELNS1_3gpuE9ELNS1_3repE0EEENS1_30default_config_static_selectorELNS0_4arch9wavefront6targetE1EEEvT1_.has_indirect_call, 0
	.section	.AMDGPU.csdata,"",@progbits
; Kernel info:
; codeLenInByte = 0
; TotalNumSgprs: 4
; NumVgprs: 0
; ScratchSize: 0
; MemoryBound: 0
; FloatMode: 240
; IeeeMode: 1
; LDSByteSize: 0 bytes/workgroup (compile time only)
; SGPRBlocks: 0
; VGPRBlocks: 0
; NumSGPRsForWavesPerEU: 4
; NumVGPRsForWavesPerEU: 1
; Occupancy: 10
; WaveLimiterHint : 0
; COMPUTE_PGM_RSRC2:SCRATCH_EN: 0
; COMPUTE_PGM_RSRC2:USER_SGPR: 6
; COMPUTE_PGM_RSRC2:TRAP_HANDLER: 0
; COMPUTE_PGM_RSRC2:TGID_X_EN: 1
; COMPUTE_PGM_RSRC2:TGID_Y_EN: 0
; COMPUTE_PGM_RSRC2:TGID_Z_EN: 0
; COMPUTE_PGM_RSRC2:TIDIG_COMP_CNT: 0
	.section	.text._ZN7rocprim17ROCPRIM_400000_NS6detail17trampoline_kernelINS0_14default_configENS1_35adjacent_difference_config_selectorILb0ExEEZNS1_24adjacent_difference_implIS3_Lb0ELb0EPKxPxN6thrust23THRUST_200600_302600_NS4plusIxEEEE10hipError_tPvRmT2_T3_mT4_P12ihipStream_tbEUlT_E_NS1_11comp_targetILNS1_3genE4ELNS1_11target_archE910ELNS1_3gpuE8ELNS1_3repE0EEENS1_30default_config_static_selectorELNS0_4arch9wavefront6targetE1EEEvT1_,"axG",@progbits,_ZN7rocprim17ROCPRIM_400000_NS6detail17trampoline_kernelINS0_14default_configENS1_35adjacent_difference_config_selectorILb0ExEEZNS1_24adjacent_difference_implIS3_Lb0ELb0EPKxPxN6thrust23THRUST_200600_302600_NS4plusIxEEEE10hipError_tPvRmT2_T3_mT4_P12ihipStream_tbEUlT_E_NS1_11comp_targetILNS1_3genE4ELNS1_11target_archE910ELNS1_3gpuE8ELNS1_3repE0EEENS1_30default_config_static_selectorELNS0_4arch9wavefront6targetE1EEEvT1_,comdat
	.protected	_ZN7rocprim17ROCPRIM_400000_NS6detail17trampoline_kernelINS0_14default_configENS1_35adjacent_difference_config_selectorILb0ExEEZNS1_24adjacent_difference_implIS3_Lb0ELb0EPKxPxN6thrust23THRUST_200600_302600_NS4plusIxEEEE10hipError_tPvRmT2_T3_mT4_P12ihipStream_tbEUlT_E_NS1_11comp_targetILNS1_3genE4ELNS1_11target_archE910ELNS1_3gpuE8ELNS1_3repE0EEENS1_30default_config_static_selectorELNS0_4arch9wavefront6targetE1EEEvT1_ ; -- Begin function _ZN7rocprim17ROCPRIM_400000_NS6detail17trampoline_kernelINS0_14default_configENS1_35adjacent_difference_config_selectorILb0ExEEZNS1_24adjacent_difference_implIS3_Lb0ELb0EPKxPxN6thrust23THRUST_200600_302600_NS4plusIxEEEE10hipError_tPvRmT2_T3_mT4_P12ihipStream_tbEUlT_E_NS1_11comp_targetILNS1_3genE4ELNS1_11target_archE910ELNS1_3gpuE8ELNS1_3repE0EEENS1_30default_config_static_selectorELNS0_4arch9wavefront6targetE1EEEvT1_
	.globl	_ZN7rocprim17ROCPRIM_400000_NS6detail17trampoline_kernelINS0_14default_configENS1_35adjacent_difference_config_selectorILb0ExEEZNS1_24adjacent_difference_implIS3_Lb0ELb0EPKxPxN6thrust23THRUST_200600_302600_NS4plusIxEEEE10hipError_tPvRmT2_T3_mT4_P12ihipStream_tbEUlT_E_NS1_11comp_targetILNS1_3genE4ELNS1_11target_archE910ELNS1_3gpuE8ELNS1_3repE0EEENS1_30default_config_static_selectorELNS0_4arch9wavefront6targetE1EEEvT1_
	.p2align	8
	.type	_ZN7rocprim17ROCPRIM_400000_NS6detail17trampoline_kernelINS0_14default_configENS1_35adjacent_difference_config_selectorILb0ExEEZNS1_24adjacent_difference_implIS3_Lb0ELb0EPKxPxN6thrust23THRUST_200600_302600_NS4plusIxEEEE10hipError_tPvRmT2_T3_mT4_P12ihipStream_tbEUlT_E_NS1_11comp_targetILNS1_3genE4ELNS1_11target_archE910ELNS1_3gpuE8ELNS1_3repE0EEENS1_30default_config_static_selectorELNS0_4arch9wavefront6targetE1EEEvT1_,@function
_ZN7rocprim17ROCPRIM_400000_NS6detail17trampoline_kernelINS0_14default_configENS1_35adjacent_difference_config_selectorILb0ExEEZNS1_24adjacent_difference_implIS3_Lb0ELb0EPKxPxN6thrust23THRUST_200600_302600_NS4plusIxEEEE10hipError_tPvRmT2_T3_mT4_P12ihipStream_tbEUlT_E_NS1_11comp_targetILNS1_3genE4ELNS1_11target_archE910ELNS1_3gpuE8ELNS1_3repE0EEENS1_30default_config_static_selectorELNS0_4arch9wavefront6targetE1EEEvT1_: ; @_ZN7rocprim17ROCPRIM_400000_NS6detail17trampoline_kernelINS0_14default_configENS1_35adjacent_difference_config_selectorILb0ExEEZNS1_24adjacent_difference_implIS3_Lb0ELb0EPKxPxN6thrust23THRUST_200600_302600_NS4plusIxEEEE10hipError_tPvRmT2_T3_mT4_P12ihipStream_tbEUlT_E_NS1_11comp_targetILNS1_3genE4ELNS1_11target_archE910ELNS1_3gpuE8ELNS1_3repE0EEENS1_30default_config_static_selectorELNS0_4arch9wavefront6targetE1EEEvT1_
; %bb.0:
	.section	.rodata,"a",@progbits
	.p2align	6, 0x0
	.amdhsa_kernel _ZN7rocprim17ROCPRIM_400000_NS6detail17trampoline_kernelINS0_14default_configENS1_35adjacent_difference_config_selectorILb0ExEEZNS1_24adjacent_difference_implIS3_Lb0ELb0EPKxPxN6thrust23THRUST_200600_302600_NS4plusIxEEEE10hipError_tPvRmT2_T3_mT4_P12ihipStream_tbEUlT_E_NS1_11comp_targetILNS1_3genE4ELNS1_11target_archE910ELNS1_3gpuE8ELNS1_3repE0EEENS1_30default_config_static_selectorELNS0_4arch9wavefront6targetE1EEEvT1_
		.amdhsa_group_segment_fixed_size 0
		.amdhsa_private_segment_fixed_size 0
		.amdhsa_kernarg_size 56
		.amdhsa_user_sgpr_count 6
		.amdhsa_user_sgpr_private_segment_buffer 1
		.amdhsa_user_sgpr_dispatch_ptr 0
		.amdhsa_user_sgpr_queue_ptr 0
		.amdhsa_user_sgpr_kernarg_segment_ptr 1
		.amdhsa_user_sgpr_dispatch_id 0
		.amdhsa_user_sgpr_flat_scratch_init 0
		.amdhsa_user_sgpr_private_segment_size 0
		.amdhsa_uses_dynamic_stack 0
		.amdhsa_system_sgpr_private_segment_wavefront_offset 0
		.amdhsa_system_sgpr_workgroup_id_x 1
		.amdhsa_system_sgpr_workgroup_id_y 0
		.amdhsa_system_sgpr_workgroup_id_z 0
		.amdhsa_system_sgpr_workgroup_info 0
		.amdhsa_system_vgpr_workitem_id 0
		.amdhsa_next_free_vgpr 1
		.amdhsa_next_free_sgpr 0
		.amdhsa_reserve_vcc 0
		.amdhsa_reserve_flat_scratch 0
		.amdhsa_float_round_mode_32 0
		.amdhsa_float_round_mode_16_64 0
		.amdhsa_float_denorm_mode_32 3
		.amdhsa_float_denorm_mode_16_64 3
		.amdhsa_dx10_clamp 1
		.amdhsa_ieee_mode 1
		.amdhsa_fp16_overflow 0
		.amdhsa_exception_fp_ieee_invalid_op 0
		.amdhsa_exception_fp_denorm_src 0
		.amdhsa_exception_fp_ieee_div_zero 0
		.amdhsa_exception_fp_ieee_overflow 0
		.amdhsa_exception_fp_ieee_underflow 0
		.amdhsa_exception_fp_ieee_inexact 0
		.amdhsa_exception_int_div_zero 0
	.end_amdhsa_kernel
	.section	.text._ZN7rocprim17ROCPRIM_400000_NS6detail17trampoline_kernelINS0_14default_configENS1_35adjacent_difference_config_selectorILb0ExEEZNS1_24adjacent_difference_implIS3_Lb0ELb0EPKxPxN6thrust23THRUST_200600_302600_NS4plusIxEEEE10hipError_tPvRmT2_T3_mT4_P12ihipStream_tbEUlT_E_NS1_11comp_targetILNS1_3genE4ELNS1_11target_archE910ELNS1_3gpuE8ELNS1_3repE0EEENS1_30default_config_static_selectorELNS0_4arch9wavefront6targetE1EEEvT1_,"axG",@progbits,_ZN7rocprim17ROCPRIM_400000_NS6detail17trampoline_kernelINS0_14default_configENS1_35adjacent_difference_config_selectorILb0ExEEZNS1_24adjacent_difference_implIS3_Lb0ELb0EPKxPxN6thrust23THRUST_200600_302600_NS4plusIxEEEE10hipError_tPvRmT2_T3_mT4_P12ihipStream_tbEUlT_E_NS1_11comp_targetILNS1_3genE4ELNS1_11target_archE910ELNS1_3gpuE8ELNS1_3repE0EEENS1_30default_config_static_selectorELNS0_4arch9wavefront6targetE1EEEvT1_,comdat
.Lfunc_end701:
	.size	_ZN7rocprim17ROCPRIM_400000_NS6detail17trampoline_kernelINS0_14default_configENS1_35adjacent_difference_config_selectorILb0ExEEZNS1_24adjacent_difference_implIS3_Lb0ELb0EPKxPxN6thrust23THRUST_200600_302600_NS4plusIxEEEE10hipError_tPvRmT2_T3_mT4_P12ihipStream_tbEUlT_E_NS1_11comp_targetILNS1_3genE4ELNS1_11target_archE910ELNS1_3gpuE8ELNS1_3repE0EEENS1_30default_config_static_selectorELNS0_4arch9wavefront6targetE1EEEvT1_, .Lfunc_end701-_ZN7rocprim17ROCPRIM_400000_NS6detail17trampoline_kernelINS0_14default_configENS1_35adjacent_difference_config_selectorILb0ExEEZNS1_24adjacent_difference_implIS3_Lb0ELb0EPKxPxN6thrust23THRUST_200600_302600_NS4plusIxEEEE10hipError_tPvRmT2_T3_mT4_P12ihipStream_tbEUlT_E_NS1_11comp_targetILNS1_3genE4ELNS1_11target_archE910ELNS1_3gpuE8ELNS1_3repE0EEENS1_30default_config_static_selectorELNS0_4arch9wavefront6targetE1EEEvT1_
                                        ; -- End function
	.set _ZN7rocprim17ROCPRIM_400000_NS6detail17trampoline_kernelINS0_14default_configENS1_35adjacent_difference_config_selectorILb0ExEEZNS1_24adjacent_difference_implIS3_Lb0ELb0EPKxPxN6thrust23THRUST_200600_302600_NS4plusIxEEEE10hipError_tPvRmT2_T3_mT4_P12ihipStream_tbEUlT_E_NS1_11comp_targetILNS1_3genE4ELNS1_11target_archE910ELNS1_3gpuE8ELNS1_3repE0EEENS1_30default_config_static_selectorELNS0_4arch9wavefront6targetE1EEEvT1_.num_vgpr, 0
	.set _ZN7rocprim17ROCPRIM_400000_NS6detail17trampoline_kernelINS0_14default_configENS1_35adjacent_difference_config_selectorILb0ExEEZNS1_24adjacent_difference_implIS3_Lb0ELb0EPKxPxN6thrust23THRUST_200600_302600_NS4plusIxEEEE10hipError_tPvRmT2_T3_mT4_P12ihipStream_tbEUlT_E_NS1_11comp_targetILNS1_3genE4ELNS1_11target_archE910ELNS1_3gpuE8ELNS1_3repE0EEENS1_30default_config_static_selectorELNS0_4arch9wavefront6targetE1EEEvT1_.num_agpr, 0
	.set _ZN7rocprim17ROCPRIM_400000_NS6detail17trampoline_kernelINS0_14default_configENS1_35adjacent_difference_config_selectorILb0ExEEZNS1_24adjacent_difference_implIS3_Lb0ELb0EPKxPxN6thrust23THRUST_200600_302600_NS4plusIxEEEE10hipError_tPvRmT2_T3_mT4_P12ihipStream_tbEUlT_E_NS1_11comp_targetILNS1_3genE4ELNS1_11target_archE910ELNS1_3gpuE8ELNS1_3repE0EEENS1_30default_config_static_selectorELNS0_4arch9wavefront6targetE1EEEvT1_.numbered_sgpr, 0
	.set _ZN7rocprim17ROCPRIM_400000_NS6detail17trampoline_kernelINS0_14default_configENS1_35adjacent_difference_config_selectorILb0ExEEZNS1_24adjacent_difference_implIS3_Lb0ELb0EPKxPxN6thrust23THRUST_200600_302600_NS4plusIxEEEE10hipError_tPvRmT2_T3_mT4_P12ihipStream_tbEUlT_E_NS1_11comp_targetILNS1_3genE4ELNS1_11target_archE910ELNS1_3gpuE8ELNS1_3repE0EEENS1_30default_config_static_selectorELNS0_4arch9wavefront6targetE1EEEvT1_.num_named_barrier, 0
	.set _ZN7rocprim17ROCPRIM_400000_NS6detail17trampoline_kernelINS0_14default_configENS1_35adjacent_difference_config_selectorILb0ExEEZNS1_24adjacent_difference_implIS3_Lb0ELb0EPKxPxN6thrust23THRUST_200600_302600_NS4plusIxEEEE10hipError_tPvRmT2_T3_mT4_P12ihipStream_tbEUlT_E_NS1_11comp_targetILNS1_3genE4ELNS1_11target_archE910ELNS1_3gpuE8ELNS1_3repE0EEENS1_30default_config_static_selectorELNS0_4arch9wavefront6targetE1EEEvT1_.private_seg_size, 0
	.set _ZN7rocprim17ROCPRIM_400000_NS6detail17trampoline_kernelINS0_14default_configENS1_35adjacent_difference_config_selectorILb0ExEEZNS1_24adjacent_difference_implIS3_Lb0ELb0EPKxPxN6thrust23THRUST_200600_302600_NS4plusIxEEEE10hipError_tPvRmT2_T3_mT4_P12ihipStream_tbEUlT_E_NS1_11comp_targetILNS1_3genE4ELNS1_11target_archE910ELNS1_3gpuE8ELNS1_3repE0EEENS1_30default_config_static_selectorELNS0_4arch9wavefront6targetE1EEEvT1_.uses_vcc, 0
	.set _ZN7rocprim17ROCPRIM_400000_NS6detail17trampoline_kernelINS0_14default_configENS1_35adjacent_difference_config_selectorILb0ExEEZNS1_24adjacent_difference_implIS3_Lb0ELb0EPKxPxN6thrust23THRUST_200600_302600_NS4plusIxEEEE10hipError_tPvRmT2_T3_mT4_P12ihipStream_tbEUlT_E_NS1_11comp_targetILNS1_3genE4ELNS1_11target_archE910ELNS1_3gpuE8ELNS1_3repE0EEENS1_30default_config_static_selectorELNS0_4arch9wavefront6targetE1EEEvT1_.uses_flat_scratch, 0
	.set _ZN7rocprim17ROCPRIM_400000_NS6detail17trampoline_kernelINS0_14default_configENS1_35adjacent_difference_config_selectorILb0ExEEZNS1_24adjacent_difference_implIS3_Lb0ELb0EPKxPxN6thrust23THRUST_200600_302600_NS4plusIxEEEE10hipError_tPvRmT2_T3_mT4_P12ihipStream_tbEUlT_E_NS1_11comp_targetILNS1_3genE4ELNS1_11target_archE910ELNS1_3gpuE8ELNS1_3repE0EEENS1_30default_config_static_selectorELNS0_4arch9wavefront6targetE1EEEvT1_.has_dyn_sized_stack, 0
	.set _ZN7rocprim17ROCPRIM_400000_NS6detail17trampoline_kernelINS0_14default_configENS1_35adjacent_difference_config_selectorILb0ExEEZNS1_24adjacent_difference_implIS3_Lb0ELb0EPKxPxN6thrust23THRUST_200600_302600_NS4plusIxEEEE10hipError_tPvRmT2_T3_mT4_P12ihipStream_tbEUlT_E_NS1_11comp_targetILNS1_3genE4ELNS1_11target_archE910ELNS1_3gpuE8ELNS1_3repE0EEENS1_30default_config_static_selectorELNS0_4arch9wavefront6targetE1EEEvT1_.has_recursion, 0
	.set _ZN7rocprim17ROCPRIM_400000_NS6detail17trampoline_kernelINS0_14default_configENS1_35adjacent_difference_config_selectorILb0ExEEZNS1_24adjacent_difference_implIS3_Lb0ELb0EPKxPxN6thrust23THRUST_200600_302600_NS4plusIxEEEE10hipError_tPvRmT2_T3_mT4_P12ihipStream_tbEUlT_E_NS1_11comp_targetILNS1_3genE4ELNS1_11target_archE910ELNS1_3gpuE8ELNS1_3repE0EEENS1_30default_config_static_selectorELNS0_4arch9wavefront6targetE1EEEvT1_.has_indirect_call, 0
	.section	.AMDGPU.csdata,"",@progbits
; Kernel info:
; codeLenInByte = 0
; TotalNumSgprs: 4
; NumVgprs: 0
; ScratchSize: 0
; MemoryBound: 0
; FloatMode: 240
; IeeeMode: 1
; LDSByteSize: 0 bytes/workgroup (compile time only)
; SGPRBlocks: 0
; VGPRBlocks: 0
; NumSGPRsForWavesPerEU: 4
; NumVGPRsForWavesPerEU: 1
; Occupancy: 10
; WaveLimiterHint : 0
; COMPUTE_PGM_RSRC2:SCRATCH_EN: 0
; COMPUTE_PGM_RSRC2:USER_SGPR: 6
; COMPUTE_PGM_RSRC2:TRAP_HANDLER: 0
; COMPUTE_PGM_RSRC2:TGID_X_EN: 1
; COMPUTE_PGM_RSRC2:TGID_Y_EN: 0
; COMPUTE_PGM_RSRC2:TGID_Z_EN: 0
; COMPUTE_PGM_RSRC2:TIDIG_COMP_CNT: 0
	.section	.text._ZN7rocprim17ROCPRIM_400000_NS6detail17trampoline_kernelINS0_14default_configENS1_35adjacent_difference_config_selectorILb0ExEEZNS1_24adjacent_difference_implIS3_Lb0ELb0EPKxPxN6thrust23THRUST_200600_302600_NS4plusIxEEEE10hipError_tPvRmT2_T3_mT4_P12ihipStream_tbEUlT_E_NS1_11comp_targetILNS1_3genE3ELNS1_11target_archE908ELNS1_3gpuE7ELNS1_3repE0EEENS1_30default_config_static_selectorELNS0_4arch9wavefront6targetE1EEEvT1_,"axG",@progbits,_ZN7rocprim17ROCPRIM_400000_NS6detail17trampoline_kernelINS0_14default_configENS1_35adjacent_difference_config_selectorILb0ExEEZNS1_24adjacent_difference_implIS3_Lb0ELb0EPKxPxN6thrust23THRUST_200600_302600_NS4plusIxEEEE10hipError_tPvRmT2_T3_mT4_P12ihipStream_tbEUlT_E_NS1_11comp_targetILNS1_3genE3ELNS1_11target_archE908ELNS1_3gpuE7ELNS1_3repE0EEENS1_30default_config_static_selectorELNS0_4arch9wavefront6targetE1EEEvT1_,comdat
	.protected	_ZN7rocprim17ROCPRIM_400000_NS6detail17trampoline_kernelINS0_14default_configENS1_35adjacent_difference_config_selectorILb0ExEEZNS1_24adjacent_difference_implIS3_Lb0ELb0EPKxPxN6thrust23THRUST_200600_302600_NS4plusIxEEEE10hipError_tPvRmT2_T3_mT4_P12ihipStream_tbEUlT_E_NS1_11comp_targetILNS1_3genE3ELNS1_11target_archE908ELNS1_3gpuE7ELNS1_3repE0EEENS1_30default_config_static_selectorELNS0_4arch9wavefront6targetE1EEEvT1_ ; -- Begin function _ZN7rocprim17ROCPRIM_400000_NS6detail17trampoline_kernelINS0_14default_configENS1_35adjacent_difference_config_selectorILb0ExEEZNS1_24adjacent_difference_implIS3_Lb0ELb0EPKxPxN6thrust23THRUST_200600_302600_NS4plusIxEEEE10hipError_tPvRmT2_T3_mT4_P12ihipStream_tbEUlT_E_NS1_11comp_targetILNS1_3genE3ELNS1_11target_archE908ELNS1_3gpuE7ELNS1_3repE0EEENS1_30default_config_static_selectorELNS0_4arch9wavefront6targetE1EEEvT1_
	.globl	_ZN7rocprim17ROCPRIM_400000_NS6detail17trampoline_kernelINS0_14default_configENS1_35adjacent_difference_config_selectorILb0ExEEZNS1_24adjacent_difference_implIS3_Lb0ELb0EPKxPxN6thrust23THRUST_200600_302600_NS4plusIxEEEE10hipError_tPvRmT2_T3_mT4_P12ihipStream_tbEUlT_E_NS1_11comp_targetILNS1_3genE3ELNS1_11target_archE908ELNS1_3gpuE7ELNS1_3repE0EEENS1_30default_config_static_selectorELNS0_4arch9wavefront6targetE1EEEvT1_
	.p2align	8
	.type	_ZN7rocprim17ROCPRIM_400000_NS6detail17trampoline_kernelINS0_14default_configENS1_35adjacent_difference_config_selectorILb0ExEEZNS1_24adjacent_difference_implIS3_Lb0ELb0EPKxPxN6thrust23THRUST_200600_302600_NS4plusIxEEEE10hipError_tPvRmT2_T3_mT4_P12ihipStream_tbEUlT_E_NS1_11comp_targetILNS1_3genE3ELNS1_11target_archE908ELNS1_3gpuE7ELNS1_3repE0EEENS1_30default_config_static_selectorELNS0_4arch9wavefront6targetE1EEEvT1_,@function
_ZN7rocprim17ROCPRIM_400000_NS6detail17trampoline_kernelINS0_14default_configENS1_35adjacent_difference_config_selectorILb0ExEEZNS1_24adjacent_difference_implIS3_Lb0ELb0EPKxPxN6thrust23THRUST_200600_302600_NS4plusIxEEEE10hipError_tPvRmT2_T3_mT4_P12ihipStream_tbEUlT_E_NS1_11comp_targetILNS1_3genE3ELNS1_11target_archE908ELNS1_3gpuE7ELNS1_3repE0EEENS1_30default_config_static_selectorELNS0_4arch9wavefront6targetE1EEEvT1_: ; @_ZN7rocprim17ROCPRIM_400000_NS6detail17trampoline_kernelINS0_14default_configENS1_35adjacent_difference_config_selectorILb0ExEEZNS1_24adjacent_difference_implIS3_Lb0ELb0EPKxPxN6thrust23THRUST_200600_302600_NS4plusIxEEEE10hipError_tPvRmT2_T3_mT4_P12ihipStream_tbEUlT_E_NS1_11comp_targetILNS1_3genE3ELNS1_11target_archE908ELNS1_3gpuE7ELNS1_3repE0EEENS1_30default_config_static_selectorELNS0_4arch9wavefront6targetE1EEEvT1_
; %bb.0:
	.section	.rodata,"a",@progbits
	.p2align	6, 0x0
	.amdhsa_kernel _ZN7rocprim17ROCPRIM_400000_NS6detail17trampoline_kernelINS0_14default_configENS1_35adjacent_difference_config_selectorILb0ExEEZNS1_24adjacent_difference_implIS3_Lb0ELb0EPKxPxN6thrust23THRUST_200600_302600_NS4plusIxEEEE10hipError_tPvRmT2_T3_mT4_P12ihipStream_tbEUlT_E_NS1_11comp_targetILNS1_3genE3ELNS1_11target_archE908ELNS1_3gpuE7ELNS1_3repE0EEENS1_30default_config_static_selectorELNS0_4arch9wavefront6targetE1EEEvT1_
		.amdhsa_group_segment_fixed_size 0
		.amdhsa_private_segment_fixed_size 0
		.amdhsa_kernarg_size 56
		.amdhsa_user_sgpr_count 6
		.amdhsa_user_sgpr_private_segment_buffer 1
		.amdhsa_user_sgpr_dispatch_ptr 0
		.amdhsa_user_sgpr_queue_ptr 0
		.amdhsa_user_sgpr_kernarg_segment_ptr 1
		.amdhsa_user_sgpr_dispatch_id 0
		.amdhsa_user_sgpr_flat_scratch_init 0
		.amdhsa_user_sgpr_private_segment_size 0
		.amdhsa_uses_dynamic_stack 0
		.amdhsa_system_sgpr_private_segment_wavefront_offset 0
		.amdhsa_system_sgpr_workgroup_id_x 1
		.amdhsa_system_sgpr_workgroup_id_y 0
		.amdhsa_system_sgpr_workgroup_id_z 0
		.amdhsa_system_sgpr_workgroup_info 0
		.amdhsa_system_vgpr_workitem_id 0
		.amdhsa_next_free_vgpr 1
		.amdhsa_next_free_sgpr 0
		.amdhsa_reserve_vcc 0
		.amdhsa_reserve_flat_scratch 0
		.amdhsa_float_round_mode_32 0
		.amdhsa_float_round_mode_16_64 0
		.amdhsa_float_denorm_mode_32 3
		.amdhsa_float_denorm_mode_16_64 3
		.amdhsa_dx10_clamp 1
		.amdhsa_ieee_mode 1
		.amdhsa_fp16_overflow 0
		.amdhsa_exception_fp_ieee_invalid_op 0
		.amdhsa_exception_fp_denorm_src 0
		.amdhsa_exception_fp_ieee_div_zero 0
		.amdhsa_exception_fp_ieee_overflow 0
		.amdhsa_exception_fp_ieee_underflow 0
		.amdhsa_exception_fp_ieee_inexact 0
		.amdhsa_exception_int_div_zero 0
	.end_amdhsa_kernel
	.section	.text._ZN7rocprim17ROCPRIM_400000_NS6detail17trampoline_kernelINS0_14default_configENS1_35adjacent_difference_config_selectorILb0ExEEZNS1_24adjacent_difference_implIS3_Lb0ELb0EPKxPxN6thrust23THRUST_200600_302600_NS4plusIxEEEE10hipError_tPvRmT2_T3_mT4_P12ihipStream_tbEUlT_E_NS1_11comp_targetILNS1_3genE3ELNS1_11target_archE908ELNS1_3gpuE7ELNS1_3repE0EEENS1_30default_config_static_selectorELNS0_4arch9wavefront6targetE1EEEvT1_,"axG",@progbits,_ZN7rocprim17ROCPRIM_400000_NS6detail17trampoline_kernelINS0_14default_configENS1_35adjacent_difference_config_selectorILb0ExEEZNS1_24adjacent_difference_implIS3_Lb0ELb0EPKxPxN6thrust23THRUST_200600_302600_NS4plusIxEEEE10hipError_tPvRmT2_T3_mT4_P12ihipStream_tbEUlT_E_NS1_11comp_targetILNS1_3genE3ELNS1_11target_archE908ELNS1_3gpuE7ELNS1_3repE0EEENS1_30default_config_static_selectorELNS0_4arch9wavefront6targetE1EEEvT1_,comdat
.Lfunc_end702:
	.size	_ZN7rocprim17ROCPRIM_400000_NS6detail17trampoline_kernelINS0_14default_configENS1_35adjacent_difference_config_selectorILb0ExEEZNS1_24adjacent_difference_implIS3_Lb0ELb0EPKxPxN6thrust23THRUST_200600_302600_NS4plusIxEEEE10hipError_tPvRmT2_T3_mT4_P12ihipStream_tbEUlT_E_NS1_11comp_targetILNS1_3genE3ELNS1_11target_archE908ELNS1_3gpuE7ELNS1_3repE0EEENS1_30default_config_static_selectorELNS0_4arch9wavefront6targetE1EEEvT1_, .Lfunc_end702-_ZN7rocprim17ROCPRIM_400000_NS6detail17trampoline_kernelINS0_14default_configENS1_35adjacent_difference_config_selectorILb0ExEEZNS1_24adjacent_difference_implIS3_Lb0ELb0EPKxPxN6thrust23THRUST_200600_302600_NS4plusIxEEEE10hipError_tPvRmT2_T3_mT4_P12ihipStream_tbEUlT_E_NS1_11comp_targetILNS1_3genE3ELNS1_11target_archE908ELNS1_3gpuE7ELNS1_3repE0EEENS1_30default_config_static_selectorELNS0_4arch9wavefront6targetE1EEEvT1_
                                        ; -- End function
	.set _ZN7rocprim17ROCPRIM_400000_NS6detail17trampoline_kernelINS0_14default_configENS1_35adjacent_difference_config_selectorILb0ExEEZNS1_24adjacent_difference_implIS3_Lb0ELb0EPKxPxN6thrust23THRUST_200600_302600_NS4plusIxEEEE10hipError_tPvRmT2_T3_mT4_P12ihipStream_tbEUlT_E_NS1_11comp_targetILNS1_3genE3ELNS1_11target_archE908ELNS1_3gpuE7ELNS1_3repE0EEENS1_30default_config_static_selectorELNS0_4arch9wavefront6targetE1EEEvT1_.num_vgpr, 0
	.set _ZN7rocprim17ROCPRIM_400000_NS6detail17trampoline_kernelINS0_14default_configENS1_35adjacent_difference_config_selectorILb0ExEEZNS1_24adjacent_difference_implIS3_Lb0ELb0EPKxPxN6thrust23THRUST_200600_302600_NS4plusIxEEEE10hipError_tPvRmT2_T3_mT4_P12ihipStream_tbEUlT_E_NS1_11comp_targetILNS1_3genE3ELNS1_11target_archE908ELNS1_3gpuE7ELNS1_3repE0EEENS1_30default_config_static_selectorELNS0_4arch9wavefront6targetE1EEEvT1_.num_agpr, 0
	.set _ZN7rocprim17ROCPRIM_400000_NS6detail17trampoline_kernelINS0_14default_configENS1_35adjacent_difference_config_selectorILb0ExEEZNS1_24adjacent_difference_implIS3_Lb0ELb0EPKxPxN6thrust23THRUST_200600_302600_NS4plusIxEEEE10hipError_tPvRmT2_T3_mT4_P12ihipStream_tbEUlT_E_NS1_11comp_targetILNS1_3genE3ELNS1_11target_archE908ELNS1_3gpuE7ELNS1_3repE0EEENS1_30default_config_static_selectorELNS0_4arch9wavefront6targetE1EEEvT1_.numbered_sgpr, 0
	.set _ZN7rocprim17ROCPRIM_400000_NS6detail17trampoline_kernelINS0_14default_configENS1_35adjacent_difference_config_selectorILb0ExEEZNS1_24adjacent_difference_implIS3_Lb0ELb0EPKxPxN6thrust23THRUST_200600_302600_NS4plusIxEEEE10hipError_tPvRmT2_T3_mT4_P12ihipStream_tbEUlT_E_NS1_11comp_targetILNS1_3genE3ELNS1_11target_archE908ELNS1_3gpuE7ELNS1_3repE0EEENS1_30default_config_static_selectorELNS0_4arch9wavefront6targetE1EEEvT1_.num_named_barrier, 0
	.set _ZN7rocprim17ROCPRIM_400000_NS6detail17trampoline_kernelINS0_14default_configENS1_35adjacent_difference_config_selectorILb0ExEEZNS1_24adjacent_difference_implIS3_Lb0ELb0EPKxPxN6thrust23THRUST_200600_302600_NS4plusIxEEEE10hipError_tPvRmT2_T3_mT4_P12ihipStream_tbEUlT_E_NS1_11comp_targetILNS1_3genE3ELNS1_11target_archE908ELNS1_3gpuE7ELNS1_3repE0EEENS1_30default_config_static_selectorELNS0_4arch9wavefront6targetE1EEEvT1_.private_seg_size, 0
	.set _ZN7rocprim17ROCPRIM_400000_NS6detail17trampoline_kernelINS0_14default_configENS1_35adjacent_difference_config_selectorILb0ExEEZNS1_24adjacent_difference_implIS3_Lb0ELb0EPKxPxN6thrust23THRUST_200600_302600_NS4plusIxEEEE10hipError_tPvRmT2_T3_mT4_P12ihipStream_tbEUlT_E_NS1_11comp_targetILNS1_3genE3ELNS1_11target_archE908ELNS1_3gpuE7ELNS1_3repE0EEENS1_30default_config_static_selectorELNS0_4arch9wavefront6targetE1EEEvT1_.uses_vcc, 0
	.set _ZN7rocprim17ROCPRIM_400000_NS6detail17trampoline_kernelINS0_14default_configENS1_35adjacent_difference_config_selectorILb0ExEEZNS1_24adjacent_difference_implIS3_Lb0ELb0EPKxPxN6thrust23THRUST_200600_302600_NS4plusIxEEEE10hipError_tPvRmT2_T3_mT4_P12ihipStream_tbEUlT_E_NS1_11comp_targetILNS1_3genE3ELNS1_11target_archE908ELNS1_3gpuE7ELNS1_3repE0EEENS1_30default_config_static_selectorELNS0_4arch9wavefront6targetE1EEEvT1_.uses_flat_scratch, 0
	.set _ZN7rocprim17ROCPRIM_400000_NS6detail17trampoline_kernelINS0_14default_configENS1_35adjacent_difference_config_selectorILb0ExEEZNS1_24adjacent_difference_implIS3_Lb0ELb0EPKxPxN6thrust23THRUST_200600_302600_NS4plusIxEEEE10hipError_tPvRmT2_T3_mT4_P12ihipStream_tbEUlT_E_NS1_11comp_targetILNS1_3genE3ELNS1_11target_archE908ELNS1_3gpuE7ELNS1_3repE0EEENS1_30default_config_static_selectorELNS0_4arch9wavefront6targetE1EEEvT1_.has_dyn_sized_stack, 0
	.set _ZN7rocprim17ROCPRIM_400000_NS6detail17trampoline_kernelINS0_14default_configENS1_35adjacent_difference_config_selectorILb0ExEEZNS1_24adjacent_difference_implIS3_Lb0ELb0EPKxPxN6thrust23THRUST_200600_302600_NS4plusIxEEEE10hipError_tPvRmT2_T3_mT4_P12ihipStream_tbEUlT_E_NS1_11comp_targetILNS1_3genE3ELNS1_11target_archE908ELNS1_3gpuE7ELNS1_3repE0EEENS1_30default_config_static_selectorELNS0_4arch9wavefront6targetE1EEEvT1_.has_recursion, 0
	.set _ZN7rocprim17ROCPRIM_400000_NS6detail17trampoline_kernelINS0_14default_configENS1_35adjacent_difference_config_selectorILb0ExEEZNS1_24adjacent_difference_implIS3_Lb0ELb0EPKxPxN6thrust23THRUST_200600_302600_NS4plusIxEEEE10hipError_tPvRmT2_T3_mT4_P12ihipStream_tbEUlT_E_NS1_11comp_targetILNS1_3genE3ELNS1_11target_archE908ELNS1_3gpuE7ELNS1_3repE0EEENS1_30default_config_static_selectorELNS0_4arch9wavefront6targetE1EEEvT1_.has_indirect_call, 0
	.section	.AMDGPU.csdata,"",@progbits
; Kernel info:
; codeLenInByte = 0
; TotalNumSgprs: 4
; NumVgprs: 0
; ScratchSize: 0
; MemoryBound: 0
; FloatMode: 240
; IeeeMode: 1
; LDSByteSize: 0 bytes/workgroup (compile time only)
; SGPRBlocks: 0
; VGPRBlocks: 0
; NumSGPRsForWavesPerEU: 4
; NumVGPRsForWavesPerEU: 1
; Occupancy: 10
; WaveLimiterHint : 0
; COMPUTE_PGM_RSRC2:SCRATCH_EN: 0
; COMPUTE_PGM_RSRC2:USER_SGPR: 6
; COMPUTE_PGM_RSRC2:TRAP_HANDLER: 0
; COMPUTE_PGM_RSRC2:TGID_X_EN: 1
; COMPUTE_PGM_RSRC2:TGID_Y_EN: 0
; COMPUTE_PGM_RSRC2:TGID_Z_EN: 0
; COMPUTE_PGM_RSRC2:TIDIG_COMP_CNT: 0
	.section	.text._ZN7rocprim17ROCPRIM_400000_NS6detail17trampoline_kernelINS0_14default_configENS1_35adjacent_difference_config_selectorILb0ExEEZNS1_24adjacent_difference_implIS3_Lb0ELb0EPKxPxN6thrust23THRUST_200600_302600_NS4plusIxEEEE10hipError_tPvRmT2_T3_mT4_P12ihipStream_tbEUlT_E_NS1_11comp_targetILNS1_3genE2ELNS1_11target_archE906ELNS1_3gpuE6ELNS1_3repE0EEENS1_30default_config_static_selectorELNS0_4arch9wavefront6targetE1EEEvT1_,"axG",@progbits,_ZN7rocprim17ROCPRIM_400000_NS6detail17trampoline_kernelINS0_14default_configENS1_35adjacent_difference_config_selectorILb0ExEEZNS1_24adjacent_difference_implIS3_Lb0ELb0EPKxPxN6thrust23THRUST_200600_302600_NS4plusIxEEEE10hipError_tPvRmT2_T3_mT4_P12ihipStream_tbEUlT_E_NS1_11comp_targetILNS1_3genE2ELNS1_11target_archE906ELNS1_3gpuE6ELNS1_3repE0EEENS1_30default_config_static_selectorELNS0_4arch9wavefront6targetE1EEEvT1_,comdat
	.protected	_ZN7rocprim17ROCPRIM_400000_NS6detail17trampoline_kernelINS0_14default_configENS1_35adjacent_difference_config_selectorILb0ExEEZNS1_24adjacent_difference_implIS3_Lb0ELb0EPKxPxN6thrust23THRUST_200600_302600_NS4plusIxEEEE10hipError_tPvRmT2_T3_mT4_P12ihipStream_tbEUlT_E_NS1_11comp_targetILNS1_3genE2ELNS1_11target_archE906ELNS1_3gpuE6ELNS1_3repE0EEENS1_30default_config_static_selectorELNS0_4arch9wavefront6targetE1EEEvT1_ ; -- Begin function _ZN7rocprim17ROCPRIM_400000_NS6detail17trampoline_kernelINS0_14default_configENS1_35adjacent_difference_config_selectorILb0ExEEZNS1_24adjacent_difference_implIS3_Lb0ELb0EPKxPxN6thrust23THRUST_200600_302600_NS4plusIxEEEE10hipError_tPvRmT2_T3_mT4_P12ihipStream_tbEUlT_E_NS1_11comp_targetILNS1_3genE2ELNS1_11target_archE906ELNS1_3gpuE6ELNS1_3repE0EEENS1_30default_config_static_selectorELNS0_4arch9wavefront6targetE1EEEvT1_
	.globl	_ZN7rocprim17ROCPRIM_400000_NS6detail17trampoline_kernelINS0_14default_configENS1_35adjacent_difference_config_selectorILb0ExEEZNS1_24adjacent_difference_implIS3_Lb0ELb0EPKxPxN6thrust23THRUST_200600_302600_NS4plusIxEEEE10hipError_tPvRmT2_T3_mT4_P12ihipStream_tbEUlT_E_NS1_11comp_targetILNS1_3genE2ELNS1_11target_archE906ELNS1_3gpuE6ELNS1_3repE0EEENS1_30default_config_static_selectorELNS0_4arch9wavefront6targetE1EEEvT1_
	.p2align	8
	.type	_ZN7rocprim17ROCPRIM_400000_NS6detail17trampoline_kernelINS0_14default_configENS1_35adjacent_difference_config_selectorILb0ExEEZNS1_24adjacent_difference_implIS3_Lb0ELb0EPKxPxN6thrust23THRUST_200600_302600_NS4plusIxEEEE10hipError_tPvRmT2_T3_mT4_P12ihipStream_tbEUlT_E_NS1_11comp_targetILNS1_3genE2ELNS1_11target_archE906ELNS1_3gpuE6ELNS1_3repE0EEENS1_30default_config_static_selectorELNS0_4arch9wavefront6targetE1EEEvT1_,@function
_ZN7rocprim17ROCPRIM_400000_NS6detail17trampoline_kernelINS0_14default_configENS1_35adjacent_difference_config_selectorILb0ExEEZNS1_24adjacent_difference_implIS3_Lb0ELb0EPKxPxN6thrust23THRUST_200600_302600_NS4plusIxEEEE10hipError_tPvRmT2_T3_mT4_P12ihipStream_tbEUlT_E_NS1_11comp_targetILNS1_3genE2ELNS1_11target_archE906ELNS1_3gpuE6ELNS1_3repE0EEENS1_30default_config_static_selectorELNS0_4arch9wavefront6targetE1EEEvT1_: ; @_ZN7rocprim17ROCPRIM_400000_NS6detail17trampoline_kernelINS0_14default_configENS1_35adjacent_difference_config_selectorILb0ExEEZNS1_24adjacent_difference_implIS3_Lb0ELb0EPKxPxN6thrust23THRUST_200600_302600_NS4plusIxEEEE10hipError_tPvRmT2_T3_mT4_P12ihipStream_tbEUlT_E_NS1_11comp_targetILNS1_3genE2ELNS1_11target_archE906ELNS1_3gpuE6ELNS1_3repE0EEENS1_30default_config_static_selectorELNS0_4arch9wavefront6targetE1EEEvT1_
; %bb.0:
	s_load_dwordx8 s[8:15], s[4:5], 0x0
	s_load_dwordx2 s[0:1], s[4:5], 0x30
	s_mov_b32 s5, 0
	s_mov_b64 s[16:17], -1
	s_waitcnt lgkmcnt(0)
	s_lshl_b64 s[10:11], s[10:11], 3
	s_add_u32 s20, s8, s10
	s_addc_u32 s21, s9, s11
	s_lshl_b32 s4, s6, 8
	s_lshr_b64 s[2:3], s[14:15], 8
	s_and_b32 s8, s14, 0xff
	s_mov_b32 s9, s5
	s_cmp_lg_u64 s[8:9], 0
	s_cselect_b64 s[8:9], -1, 0
	v_cndmask_b32_e64 v1, 0, 1, s[8:9]
	v_readfirstlane_b32 s7, v1
	s_add_u32 s2, s2, s7
	s_addc_u32 s3, s3, 0
	s_add_u32 s8, s0, s6
	s_addc_u32 s9, s1, 0
	s_add_u32 s6, s2, -1
	s_addc_u32 s7, s3, -1
	v_mov_b32_e32 v1, s6
	v_mov_b32_e32 v2, s7
	v_cmp_ge_u64_e64 s[0:1], s[8:9], v[1:2]
	s_and_b64 vcc, exec, s[0:1]
	s_cbranch_vccz .LBB703_6
; %bb.1:
	s_lshl_b32 s15, s6, 8
	s_sub_i32 s15, s14, s15
	s_lshl_b64 s[16:17], s[4:5], 3
	s_add_u32 s16, s20, s16
	v_mov_b32_e32 v1, 0
	s_addc_u32 s17, s21, s17
	v_cmp_gt_u32_e32 vcc, s15, v0
	v_mov_b32_e32 v2, v1
	v_mov_b32_e32 v3, v1
	;; [unrolled: 1-line block ×3, first 2 shown]
	s_and_saveexec_b64 s[18:19], vcc
	s_cbranch_execz .LBB703_3
; %bb.2:
	v_lshlrev_b32_e32 v2, 3, v0
	global_load_dwordx2 v[2:3], v2, s[16:17]
	v_mov_b32_e32 v4, v1
	v_mov_b32_e32 v5, v1
	s_waitcnt vmcnt(0)
	v_mov_b32_e32 v1, v2
	v_mov_b32_e32 v2, v3
	;; [unrolled: 1-line block ×4, first 2 shown]
.LBB703_3:
	s_or_b64 exec, exec, s[18:19]
	v_or_b32_e32 v5, 0x80, v0
	v_cmp_gt_u32_e32 vcc, s15, v5
	s_and_saveexec_b64 s[18:19], vcc
	s_cbranch_execz .LBB703_5
; %bb.4:
	v_lshlrev_b32_e32 v3, 3, v0
	global_load_dwordx2 v[3:4], v3, s[16:17] offset:1024
.LBB703_5:
	s_or_b64 exec, exec, s[18:19]
	v_lshrrev_b32_e32 v6, 2, v0
	v_and_b32_e32 v6, 24, v6
	v_lshlrev_b32_e32 v7, 3, v0
	v_add_u32_e32 v6, v6, v7
	ds_write_b64 v6, v[1:2]
	v_lshrrev_b32_e32 v1, 2, v5
	v_and_b32_e32 v1, 56, v1
	v_add_u32_e32 v1, v1, v7
	s_mov_b64 s[16:17], 0
	s_waitcnt vmcnt(0)
	ds_write_b64 v1, v[3:4] offset:1024
	s_waitcnt lgkmcnt(0)
	s_barrier
.LBB703_6:
	s_and_b64 vcc, exec, s[16:17]
	v_lshlrev_b32_e32 v9, 3, v0
	v_lshrrev_b32_e32 v10, 2, v0
	s_cbranch_vccz .LBB703_8
; %bb.7:
	s_lshl_b64 s[16:17], s[4:5], 3
	s_add_u32 s16, s20, s16
	s_addc_u32 s17, s21, s17
	global_load_dwordx2 v[1:2], v9, s[16:17]
	global_load_dwordx2 v[3:4], v9, s[16:17] offset:1024
	v_or_b32_e32 v6, 0x80, v0
	v_and_b32_e32 v5, 24, v10
	v_lshrrev_b32_e32 v6, 2, v6
	v_add_u32_e32 v5, v5, v9
	v_and_b32_e32 v6, 56, v6
	v_add_u32_e32 v6, v6, v9
	s_waitcnt vmcnt(1)
	ds_write_b64 v5, v[1:2]
	s_waitcnt vmcnt(0)
	ds_write_b64 v6, v[3:4] offset:1024
	s_waitcnt lgkmcnt(0)
	s_barrier
.LBB703_8:
	v_lshrrev_b32_e32 v1, 1, v0
	v_and_b32_e32 v1, 56, v1
	v_lshl_add_u32 v11, v0, 4, v1
	ds_read2_b64 v[1:4], v11 offset1:1
	s_cmp_eq_u64 s[8:9], 0
	s_waitcnt lgkmcnt(0)
	s_barrier
	s_cbranch_scc1 .LBB703_13
; %bb.9:
	s_lshl_b64 s[16:17], s[4:5], 3
	s_add_u32 s5, s20, s16
	s_addc_u32 s15, s21, s17
	s_add_u32 s16, s5, -8
	s_addc_u32 s17, s15, -1
	s_load_dwordx2 s[16:17], s[16:17], 0x0
	s_cmp_eq_u64 s[8:9], s[6:7]
	s_cbranch_scc1 .LBB703_14
; %bb.10:
	v_add_co_u32_e32 v5, vcc, v3, v1
	v_addc_co_u32_e32 v6, vcc, v4, v2, vcc
	s_waitcnt lgkmcnt(0)
	v_mov_b32_e32 v7, s16
	v_cmp_ne_u32_e32 vcc, 0, v0
	v_mov_b32_e32 v8, s17
	ds_write_b64 v9, v[3:4]
	s_waitcnt lgkmcnt(0)
	s_barrier
	s_and_saveexec_b64 s[18:19], vcc
; %bb.11:
	v_add_u32_e32 v7, -8, v9
	ds_read_b64 v[7:8], v7
; %bb.12:
	s_or_b64 exec, exec, s[18:19]
	s_cbranch_execz .LBB703_15
	s_branch .LBB703_18
.LBB703_13:
	s_mov_b64 s[8:9], 0
                                        ; implicit-def: $vgpr7_vgpr8
                                        ; implicit-def: $vgpr5_vgpr6
	s_branch .LBB703_19
.LBB703_14:
                                        ; implicit-def: $vgpr5_vgpr6
                                        ; implicit-def: $vgpr7_vgpr8
.LBB703_15:
	s_lshl_b32 s5, s8, 8
	v_lshlrev_b32_e32 v12, 1, v0
	s_sub_i32 s5, s14, s5
	v_or_b32_e32 v5, 1, v12
	v_cmp_gt_u32_e32 vcc, s5, v5
	v_cndmask_b32_e32 v5, 0, v1, vcc
	v_cndmask_b32_e32 v6, 0, v2, vcc
	v_add_co_u32_e32 v5, vcc, v5, v3
	v_addc_co_u32_e32 v6, vcc, v6, v4, vcc
	s_waitcnt lgkmcnt(0)
	v_mov_b32_e32 v7, s16
	v_cmp_ne_u32_e32 vcc, 0, v0
	v_mov_b32_e32 v8, s17
	ds_write_b64 v9, v[3:4]
	s_waitcnt lgkmcnt(0)
	s_barrier
	s_and_saveexec_b64 s[8:9], vcc
; %bb.16:
	v_add_u32_e32 v7, -8, v9
	ds_read_b64 v[7:8], v7
; %bb.17:
	s_or_b64 exec, exec, s[8:9]
	v_cmp_gt_u32_e32 vcc, s5, v12
	s_waitcnt lgkmcnt(0)
	v_cndmask_b32_e32 v8, 0, v8, vcc
	v_cndmask_b32_e32 v7, 0, v7, vcc
.LBB703_18:
	s_waitcnt lgkmcnt(0)
	s_mov_b64 s[8:9], -1
	s_cbranch_execnz .LBB703_27
.LBB703_19:
	s_cmp_lg_u64 s[2:3], 1
	v_cmp_ne_u32_e32 vcc, 0, v0
	s_cbranch_scc0 .LBB703_23
; %bb.20:
	v_add_co_u32_e64 v5, s[2:3], v3, v1
	v_addc_co_u32_e64 v6, s[2:3], v4, v2, s[2:3]
	ds_write_b64 v9, v[3:4]
	s_waitcnt lgkmcnt(0)
	s_barrier
                                        ; implicit-def: $vgpr7_vgpr8
	s_and_saveexec_b64 s[2:3], vcc
; %bb.21:
	v_add_u32_e32 v7, -8, v9
	ds_read_b64 v[7:8], v7
	s_or_b64 s[8:9], s[8:9], exec
; %bb.22:
	s_or_b64 exec, exec, s[2:3]
	s_branch .LBB703_27
.LBB703_23:
                                        ; implicit-def: $vgpr5_vgpr6
                                        ; implicit-def: $vgpr7_vgpr8
	s_cbranch_execz .LBB703_27
; %bb.24:
	s_waitcnt lgkmcnt(0)
	v_lshlrev_b32_e32 v7, 1, v0
	v_or_b32_e32 v5, 1, v7
	v_cmp_gt_u32_e32 vcc, s14, v5
	v_cndmask_b32_e32 v5, 0, v1, vcc
	v_cndmask_b32_e32 v6, 0, v2, vcc
	v_add_co_u32_e32 v5, vcc, v5, v3
	v_addc_co_u32_e32 v6, vcc, v6, v4, vcc
	v_cmp_ne_u32_e32 vcc, 0, v0
	v_cmp_gt_u32_e64 s[2:3], s14, v7
	s_and_b64 s[16:17], vcc, s[2:3]
	ds_write_b64 v9, v[3:4]
	s_waitcnt lgkmcnt(0)
	s_barrier
                                        ; implicit-def: $vgpr7_vgpr8
	s_and_saveexec_b64 s[2:3], s[16:17]
; %bb.25:
	v_add_u32_e32 v3, -8, v9
	ds_read_b64 v[7:8], v3
	s_or_b64 s[8:9], s[8:9], exec
; %bb.26:
	s_or_b64 exec, exec, s[2:3]
.LBB703_27:
	s_and_saveexec_b64 s[2:3], s[8:9]
	s_cbranch_execz .LBB703_29
; %bb.28:
	s_waitcnt lgkmcnt(0)
	v_add_co_u32_e32 v1, vcc, v7, v1
	v_addc_co_u32_e32 v2, vcc, v8, v2, vcc
.LBB703_29:
	s_or_b64 exec, exec, s[2:3]
	s_add_u32 s7, s12, s10
	s_addc_u32 s8, s13, s11
	s_and_b64 vcc, exec, s[0:1]
	s_waitcnt lgkmcnt(0)
	s_barrier
	s_cbranch_vccz .LBB703_33
; %bb.30:
	v_mov_b32_e32 v3, v5
	v_mov_b32_e32 v4, v6
	v_or_b32_e32 v12, 0x80, v0
	ds_write2_b64 v11, v[1:2], v[3:4] offset1:1
	v_lshrrev_b32_e32 v3, 2, v12
	s_lshl_b32 s0, s6, 8
	s_mov_b32 s5, 0
	v_and_b32_e32 v3, 56, v3
	s_sub_i32 s2, s14, s0
	s_lshl_b64 s[0:1], s[4:5], 3
	v_add_u32_e32 v3, v3, v9
	s_add_u32 s0, s7, s0
	s_waitcnt lgkmcnt(0)
	s_barrier
	ds_read_b64 v[3:4], v3 offset:1024
	s_addc_u32 s1, s8, s1
	v_mov_b32_e32 v8, s1
	v_add_co_u32_e32 v7, vcc, s0, v9
	v_addc_co_u32_e32 v8, vcc, 0, v8, vcc
	v_cmp_gt_u32_e32 vcc, s2, v0
	s_and_saveexec_b64 s[0:1], vcc
	s_cbranch_execz .LBB703_32
; %bb.31:
	v_and_b32_e32 v13, 24, v10
	v_lshl_add_u32 v13, v0, 3, v13
	ds_read_b64 v[13:14], v13
	s_waitcnt lgkmcnt(0)
	global_store_dwordx2 v[7:8], v[13:14], off
.LBB703_32:
	s_or_b64 exec, exec, s[0:1]
	v_cmp_gt_u32_e64 s[0:1], s2, v12
	s_branch .LBB703_35
.LBB703_33:
	s_mov_b64 s[0:1], 0
                                        ; implicit-def: $vgpr3_vgpr4
                                        ; implicit-def: $vgpr7_vgpr8
	s_cbranch_execz .LBB703_35
; %bb.34:
	v_or_b32_e32 v0, 0x80, v0
	s_mov_b32 s5, 0
	ds_write2_b64 v11, v[1:2], v[5:6] offset1:1
	v_and_b32_e32 v1, 24, v10
	v_lshrrev_b32_e32 v0, 2, v0
	s_lshl_b64 s[2:3], s[4:5], 3
	v_add_u32_e32 v1, v1, v9
	v_and_b32_e32 v0, 56, v0
	s_add_u32 s2, s7, s2
	s_waitcnt vmcnt(0) lgkmcnt(0)
	s_barrier
	v_add_u32_e32 v2, v0, v9
	ds_read_b64 v[0:1], v1
	ds_read_b64 v[3:4], v2 offset:1024
	s_addc_u32 s3, s8, s3
	v_mov_b32_e32 v2, s3
	v_add_co_u32_e32 v7, vcc, s2, v9
	v_addc_co_u32_e32 v8, vcc, 0, v2, vcc
	s_or_b64 s[0:1], s[0:1], exec
	s_waitcnt lgkmcnt(1)
	global_store_dwordx2 v9, v[0:1], s[2:3]
.LBB703_35:
	s_and_saveexec_b64 s[2:3], s[0:1]
	s_cbranch_execnz .LBB703_37
; %bb.36:
	s_endpgm
.LBB703_37:
	s_waitcnt lgkmcnt(0)
	global_store_dwordx2 v[7:8], v[3:4], off offset:1024
	s_endpgm
	.section	.rodata,"a",@progbits
	.p2align	6, 0x0
	.amdhsa_kernel _ZN7rocprim17ROCPRIM_400000_NS6detail17trampoline_kernelINS0_14default_configENS1_35adjacent_difference_config_selectorILb0ExEEZNS1_24adjacent_difference_implIS3_Lb0ELb0EPKxPxN6thrust23THRUST_200600_302600_NS4plusIxEEEE10hipError_tPvRmT2_T3_mT4_P12ihipStream_tbEUlT_E_NS1_11comp_targetILNS1_3genE2ELNS1_11target_archE906ELNS1_3gpuE6ELNS1_3repE0EEENS1_30default_config_static_selectorELNS0_4arch9wavefront6targetE1EEEvT1_
		.amdhsa_group_segment_fixed_size 2112
		.amdhsa_private_segment_fixed_size 0
		.amdhsa_kernarg_size 56
		.amdhsa_user_sgpr_count 6
		.amdhsa_user_sgpr_private_segment_buffer 1
		.amdhsa_user_sgpr_dispatch_ptr 0
		.amdhsa_user_sgpr_queue_ptr 0
		.amdhsa_user_sgpr_kernarg_segment_ptr 1
		.amdhsa_user_sgpr_dispatch_id 0
		.amdhsa_user_sgpr_flat_scratch_init 0
		.amdhsa_user_sgpr_private_segment_size 0
		.amdhsa_uses_dynamic_stack 0
		.amdhsa_system_sgpr_private_segment_wavefront_offset 0
		.amdhsa_system_sgpr_workgroup_id_x 1
		.amdhsa_system_sgpr_workgroup_id_y 0
		.amdhsa_system_sgpr_workgroup_id_z 0
		.amdhsa_system_sgpr_workgroup_info 0
		.amdhsa_system_vgpr_workitem_id 0
		.amdhsa_next_free_vgpr 29
		.amdhsa_next_free_sgpr 61
		.amdhsa_reserve_vcc 1
		.amdhsa_reserve_flat_scratch 0
		.amdhsa_float_round_mode_32 0
		.amdhsa_float_round_mode_16_64 0
		.amdhsa_float_denorm_mode_32 3
		.amdhsa_float_denorm_mode_16_64 3
		.amdhsa_dx10_clamp 1
		.amdhsa_ieee_mode 1
		.amdhsa_fp16_overflow 0
		.amdhsa_exception_fp_ieee_invalid_op 0
		.amdhsa_exception_fp_denorm_src 0
		.amdhsa_exception_fp_ieee_div_zero 0
		.amdhsa_exception_fp_ieee_overflow 0
		.amdhsa_exception_fp_ieee_underflow 0
		.amdhsa_exception_fp_ieee_inexact 0
		.amdhsa_exception_int_div_zero 0
	.end_amdhsa_kernel
	.section	.text._ZN7rocprim17ROCPRIM_400000_NS6detail17trampoline_kernelINS0_14default_configENS1_35adjacent_difference_config_selectorILb0ExEEZNS1_24adjacent_difference_implIS3_Lb0ELb0EPKxPxN6thrust23THRUST_200600_302600_NS4plusIxEEEE10hipError_tPvRmT2_T3_mT4_P12ihipStream_tbEUlT_E_NS1_11comp_targetILNS1_3genE2ELNS1_11target_archE906ELNS1_3gpuE6ELNS1_3repE0EEENS1_30default_config_static_selectorELNS0_4arch9wavefront6targetE1EEEvT1_,"axG",@progbits,_ZN7rocprim17ROCPRIM_400000_NS6detail17trampoline_kernelINS0_14default_configENS1_35adjacent_difference_config_selectorILb0ExEEZNS1_24adjacent_difference_implIS3_Lb0ELb0EPKxPxN6thrust23THRUST_200600_302600_NS4plusIxEEEE10hipError_tPvRmT2_T3_mT4_P12ihipStream_tbEUlT_E_NS1_11comp_targetILNS1_3genE2ELNS1_11target_archE906ELNS1_3gpuE6ELNS1_3repE0EEENS1_30default_config_static_selectorELNS0_4arch9wavefront6targetE1EEEvT1_,comdat
.Lfunc_end703:
	.size	_ZN7rocprim17ROCPRIM_400000_NS6detail17trampoline_kernelINS0_14default_configENS1_35adjacent_difference_config_selectorILb0ExEEZNS1_24adjacent_difference_implIS3_Lb0ELb0EPKxPxN6thrust23THRUST_200600_302600_NS4plusIxEEEE10hipError_tPvRmT2_T3_mT4_P12ihipStream_tbEUlT_E_NS1_11comp_targetILNS1_3genE2ELNS1_11target_archE906ELNS1_3gpuE6ELNS1_3repE0EEENS1_30default_config_static_selectorELNS0_4arch9wavefront6targetE1EEEvT1_, .Lfunc_end703-_ZN7rocprim17ROCPRIM_400000_NS6detail17trampoline_kernelINS0_14default_configENS1_35adjacent_difference_config_selectorILb0ExEEZNS1_24adjacent_difference_implIS3_Lb0ELb0EPKxPxN6thrust23THRUST_200600_302600_NS4plusIxEEEE10hipError_tPvRmT2_T3_mT4_P12ihipStream_tbEUlT_E_NS1_11comp_targetILNS1_3genE2ELNS1_11target_archE906ELNS1_3gpuE6ELNS1_3repE0EEENS1_30default_config_static_selectorELNS0_4arch9wavefront6targetE1EEEvT1_
                                        ; -- End function
	.set _ZN7rocprim17ROCPRIM_400000_NS6detail17trampoline_kernelINS0_14default_configENS1_35adjacent_difference_config_selectorILb0ExEEZNS1_24adjacent_difference_implIS3_Lb0ELb0EPKxPxN6thrust23THRUST_200600_302600_NS4plusIxEEEE10hipError_tPvRmT2_T3_mT4_P12ihipStream_tbEUlT_E_NS1_11comp_targetILNS1_3genE2ELNS1_11target_archE906ELNS1_3gpuE6ELNS1_3repE0EEENS1_30default_config_static_selectorELNS0_4arch9wavefront6targetE1EEEvT1_.num_vgpr, 15
	.set _ZN7rocprim17ROCPRIM_400000_NS6detail17trampoline_kernelINS0_14default_configENS1_35adjacent_difference_config_selectorILb0ExEEZNS1_24adjacent_difference_implIS3_Lb0ELb0EPKxPxN6thrust23THRUST_200600_302600_NS4plusIxEEEE10hipError_tPvRmT2_T3_mT4_P12ihipStream_tbEUlT_E_NS1_11comp_targetILNS1_3genE2ELNS1_11target_archE906ELNS1_3gpuE6ELNS1_3repE0EEENS1_30default_config_static_selectorELNS0_4arch9wavefront6targetE1EEEvT1_.num_agpr, 0
	.set _ZN7rocprim17ROCPRIM_400000_NS6detail17trampoline_kernelINS0_14default_configENS1_35adjacent_difference_config_selectorILb0ExEEZNS1_24adjacent_difference_implIS3_Lb0ELb0EPKxPxN6thrust23THRUST_200600_302600_NS4plusIxEEEE10hipError_tPvRmT2_T3_mT4_P12ihipStream_tbEUlT_E_NS1_11comp_targetILNS1_3genE2ELNS1_11target_archE906ELNS1_3gpuE6ELNS1_3repE0EEENS1_30default_config_static_selectorELNS0_4arch9wavefront6targetE1EEEvT1_.numbered_sgpr, 22
	.set _ZN7rocprim17ROCPRIM_400000_NS6detail17trampoline_kernelINS0_14default_configENS1_35adjacent_difference_config_selectorILb0ExEEZNS1_24adjacent_difference_implIS3_Lb0ELb0EPKxPxN6thrust23THRUST_200600_302600_NS4plusIxEEEE10hipError_tPvRmT2_T3_mT4_P12ihipStream_tbEUlT_E_NS1_11comp_targetILNS1_3genE2ELNS1_11target_archE906ELNS1_3gpuE6ELNS1_3repE0EEENS1_30default_config_static_selectorELNS0_4arch9wavefront6targetE1EEEvT1_.num_named_barrier, 0
	.set _ZN7rocprim17ROCPRIM_400000_NS6detail17trampoline_kernelINS0_14default_configENS1_35adjacent_difference_config_selectorILb0ExEEZNS1_24adjacent_difference_implIS3_Lb0ELb0EPKxPxN6thrust23THRUST_200600_302600_NS4plusIxEEEE10hipError_tPvRmT2_T3_mT4_P12ihipStream_tbEUlT_E_NS1_11comp_targetILNS1_3genE2ELNS1_11target_archE906ELNS1_3gpuE6ELNS1_3repE0EEENS1_30default_config_static_selectorELNS0_4arch9wavefront6targetE1EEEvT1_.private_seg_size, 0
	.set _ZN7rocprim17ROCPRIM_400000_NS6detail17trampoline_kernelINS0_14default_configENS1_35adjacent_difference_config_selectorILb0ExEEZNS1_24adjacent_difference_implIS3_Lb0ELb0EPKxPxN6thrust23THRUST_200600_302600_NS4plusIxEEEE10hipError_tPvRmT2_T3_mT4_P12ihipStream_tbEUlT_E_NS1_11comp_targetILNS1_3genE2ELNS1_11target_archE906ELNS1_3gpuE6ELNS1_3repE0EEENS1_30default_config_static_selectorELNS0_4arch9wavefront6targetE1EEEvT1_.uses_vcc, 1
	.set _ZN7rocprim17ROCPRIM_400000_NS6detail17trampoline_kernelINS0_14default_configENS1_35adjacent_difference_config_selectorILb0ExEEZNS1_24adjacent_difference_implIS3_Lb0ELb0EPKxPxN6thrust23THRUST_200600_302600_NS4plusIxEEEE10hipError_tPvRmT2_T3_mT4_P12ihipStream_tbEUlT_E_NS1_11comp_targetILNS1_3genE2ELNS1_11target_archE906ELNS1_3gpuE6ELNS1_3repE0EEENS1_30default_config_static_selectorELNS0_4arch9wavefront6targetE1EEEvT1_.uses_flat_scratch, 0
	.set _ZN7rocprim17ROCPRIM_400000_NS6detail17trampoline_kernelINS0_14default_configENS1_35adjacent_difference_config_selectorILb0ExEEZNS1_24adjacent_difference_implIS3_Lb0ELb0EPKxPxN6thrust23THRUST_200600_302600_NS4plusIxEEEE10hipError_tPvRmT2_T3_mT4_P12ihipStream_tbEUlT_E_NS1_11comp_targetILNS1_3genE2ELNS1_11target_archE906ELNS1_3gpuE6ELNS1_3repE0EEENS1_30default_config_static_selectorELNS0_4arch9wavefront6targetE1EEEvT1_.has_dyn_sized_stack, 0
	.set _ZN7rocprim17ROCPRIM_400000_NS6detail17trampoline_kernelINS0_14default_configENS1_35adjacent_difference_config_selectorILb0ExEEZNS1_24adjacent_difference_implIS3_Lb0ELb0EPKxPxN6thrust23THRUST_200600_302600_NS4plusIxEEEE10hipError_tPvRmT2_T3_mT4_P12ihipStream_tbEUlT_E_NS1_11comp_targetILNS1_3genE2ELNS1_11target_archE906ELNS1_3gpuE6ELNS1_3repE0EEENS1_30default_config_static_selectorELNS0_4arch9wavefront6targetE1EEEvT1_.has_recursion, 0
	.set _ZN7rocprim17ROCPRIM_400000_NS6detail17trampoline_kernelINS0_14default_configENS1_35adjacent_difference_config_selectorILb0ExEEZNS1_24adjacent_difference_implIS3_Lb0ELb0EPKxPxN6thrust23THRUST_200600_302600_NS4plusIxEEEE10hipError_tPvRmT2_T3_mT4_P12ihipStream_tbEUlT_E_NS1_11comp_targetILNS1_3genE2ELNS1_11target_archE906ELNS1_3gpuE6ELNS1_3repE0EEENS1_30default_config_static_selectorELNS0_4arch9wavefront6targetE1EEEvT1_.has_indirect_call, 0
	.section	.AMDGPU.csdata,"",@progbits
; Kernel info:
; codeLenInByte = 1188
; TotalNumSgprs: 26
; NumVgprs: 15
; ScratchSize: 0
; MemoryBound: 0
; FloatMode: 240
; IeeeMode: 1
; LDSByteSize: 2112 bytes/workgroup (compile time only)
; SGPRBlocks: 8
; VGPRBlocks: 7
; NumSGPRsForWavesPerEU: 65
; NumVGPRsForWavesPerEU: 29
; Occupancy: 8
; WaveLimiterHint : 1
; COMPUTE_PGM_RSRC2:SCRATCH_EN: 0
; COMPUTE_PGM_RSRC2:USER_SGPR: 6
; COMPUTE_PGM_RSRC2:TRAP_HANDLER: 0
; COMPUTE_PGM_RSRC2:TGID_X_EN: 1
; COMPUTE_PGM_RSRC2:TGID_Y_EN: 0
; COMPUTE_PGM_RSRC2:TGID_Z_EN: 0
; COMPUTE_PGM_RSRC2:TIDIG_COMP_CNT: 0
	.section	.text._ZN7rocprim17ROCPRIM_400000_NS6detail17trampoline_kernelINS0_14default_configENS1_35adjacent_difference_config_selectorILb0ExEEZNS1_24adjacent_difference_implIS3_Lb0ELb0EPKxPxN6thrust23THRUST_200600_302600_NS4plusIxEEEE10hipError_tPvRmT2_T3_mT4_P12ihipStream_tbEUlT_E_NS1_11comp_targetILNS1_3genE9ELNS1_11target_archE1100ELNS1_3gpuE3ELNS1_3repE0EEENS1_30default_config_static_selectorELNS0_4arch9wavefront6targetE1EEEvT1_,"axG",@progbits,_ZN7rocprim17ROCPRIM_400000_NS6detail17trampoline_kernelINS0_14default_configENS1_35adjacent_difference_config_selectorILb0ExEEZNS1_24adjacent_difference_implIS3_Lb0ELb0EPKxPxN6thrust23THRUST_200600_302600_NS4plusIxEEEE10hipError_tPvRmT2_T3_mT4_P12ihipStream_tbEUlT_E_NS1_11comp_targetILNS1_3genE9ELNS1_11target_archE1100ELNS1_3gpuE3ELNS1_3repE0EEENS1_30default_config_static_selectorELNS0_4arch9wavefront6targetE1EEEvT1_,comdat
	.protected	_ZN7rocprim17ROCPRIM_400000_NS6detail17trampoline_kernelINS0_14default_configENS1_35adjacent_difference_config_selectorILb0ExEEZNS1_24adjacent_difference_implIS3_Lb0ELb0EPKxPxN6thrust23THRUST_200600_302600_NS4plusIxEEEE10hipError_tPvRmT2_T3_mT4_P12ihipStream_tbEUlT_E_NS1_11comp_targetILNS1_3genE9ELNS1_11target_archE1100ELNS1_3gpuE3ELNS1_3repE0EEENS1_30default_config_static_selectorELNS0_4arch9wavefront6targetE1EEEvT1_ ; -- Begin function _ZN7rocprim17ROCPRIM_400000_NS6detail17trampoline_kernelINS0_14default_configENS1_35adjacent_difference_config_selectorILb0ExEEZNS1_24adjacent_difference_implIS3_Lb0ELb0EPKxPxN6thrust23THRUST_200600_302600_NS4plusIxEEEE10hipError_tPvRmT2_T3_mT4_P12ihipStream_tbEUlT_E_NS1_11comp_targetILNS1_3genE9ELNS1_11target_archE1100ELNS1_3gpuE3ELNS1_3repE0EEENS1_30default_config_static_selectorELNS0_4arch9wavefront6targetE1EEEvT1_
	.globl	_ZN7rocprim17ROCPRIM_400000_NS6detail17trampoline_kernelINS0_14default_configENS1_35adjacent_difference_config_selectorILb0ExEEZNS1_24adjacent_difference_implIS3_Lb0ELb0EPKxPxN6thrust23THRUST_200600_302600_NS4plusIxEEEE10hipError_tPvRmT2_T3_mT4_P12ihipStream_tbEUlT_E_NS1_11comp_targetILNS1_3genE9ELNS1_11target_archE1100ELNS1_3gpuE3ELNS1_3repE0EEENS1_30default_config_static_selectorELNS0_4arch9wavefront6targetE1EEEvT1_
	.p2align	8
	.type	_ZN7rocprim17ROCPRIM_400000_NS6detail17trampoline_kernelINS0_14default_configENS1_35adjacent_difference_config_selectorILb0ExEEZNS1_24adjacent_difference_implIS3_Lb0ELb0EPKxPxN6thrust23THRUST_200600_302600_NS4plusIxEEEE10hipError_tPvRmT2_T3_mT4_P12ihipStream_tbEUlT_E_NS1_11comp_targetILNS1_3genE9ELNS1_11target_archE1100ELNS1_3gpuE3ELNS1_3repE0EEENS1_30default_config_static_selectorELNS0_4arch9wavefront6targetE1EEEvT1_,@function
_ZN7rocprim17ROCPRIM_400000_NS6detail17trampoline_kernelINS0_14default_configENS1_35adjacent_difference_config_selectorILb0ExEEZNS1_24adjacent_difference_implIS3_Lb0ELb0EPKxPxN6thrust23THRUST_200600_302600_NS4plusIxEEEE10hipError_tPvRmT2_T3_mT4_P12ihipStream_tbEUlT_E_NS1_11comp_targetILNS1_3genE9ELNS1_11target_archE1100ELNS1_3gpuE3ELNS1_3repE0EEENS1_30default_config_static_selectorELNS0_4arch9wavefront6targetE1EEEvT1_: ; @_ZN7rocprim17ROCPRIM_400000_NS6detail17trampoline_kernelINS0_14default_configENS1_35adjacent_difference_config_selectorILb0ExEEZNS1_24adjacent_difference_implIS3_Lb0ELb0EPKxPxN6thrust23THRUST_200600_302600_NS4plusIxEEEE10hipError_tPvRmT2_T3_mT4_P12ihipStream_tbEUlT_E_NS1_11comp_targetILNS1_3genE9ELNS1_11target_archE1100ELNS1_3gpuE3ELNS1_3repE0EEENS1_30default_config_static_selectorELNS0_4arch9wavefront6targetE1EEEvT1_
; %bb.0:
	.section	.rodata,"a",@progbits
	.p2align	6, 0x0
	.amdhsa_kernel _ZN7rocprim17ROCPRIM_400000_NS6detail17trampoline_kernelINS0_14default_configENS1_35adjacent_difference_config_selectorILb0ExEEZNS1_24adjacent_difference_implIS3_Lb0ELb0EPKxPxN6thrust23THRUST_200600_302600_NS4plusIxEEEE10hipError_tPvRmT2_T3_mT4_P12ihipStream_tbEUlT_E_NS1_11comp_targetILNS1_3genE9ELNS1_11target_archE1100ELNS1_3gpuE3ELNS1_3repE0EEENS1_30default_config_static_selectorELNS0_4arch9wavefront6targetE1EEEvT1_
		.amdhsa_group_segment_fixed_size 0
		.amdhsa_private_segment_fixed_size 0
		.amdhsa_kernarg_size 56
		.amdhsa_user_sgpr_count 6
		.amdhsa_user_sgpr_private_segment_buffer 1
		.amdhsa_user_sgpr_dispatch_ptr 0
		.amdhsa_user_sgpr_queue_ptr 0
		.amdhsa_user_sgpr_kernarg_segment_ptr 1
		.amdhsa_user_sgpr_dispatch_id 0
		.amdhsa_user_sgpr_flat_scratch_init 0
		.amdhsa_user_sgpr_private_segment_size 0
		.amdhsa_uses_dynamic_stack 0
		.amdhsa_system_sgpr_private_segment_wavefront_offset 0
		.amdhsa_system_sgpr_workgroup_id_x 1
		.amdhsa_system_sgpr_workgroup_id_y 0
		.amdhsa_system_sgpr_workgroup_id_z 0
		.amdhsa_system_sgpr_workgroup_info 0
		.amdhsa_system_vgpr_workitem_id 0
		.amdhsa_next_free_vgpr 1
		.amdhsa_next_free_sgpr 0
		.amdhsa_reserve_vcc 0
		.amdhsa_reserve_flat_scratch 0
		.amdhsa_float_round_mode_32 0
		.amdhsa_float_round_mode_16_64 0
		.amdhsa_float_denorm_mode_32 3
		.amdhsa_float_denorm_mode_16_64 3
		.amdhsa_dx10_clamp 1
		.amdhsa_ieee_mode 1
		.amdhsa_fp16_overflow 0
		.amdhsa_exception_fp_ieee_invalid_op 0
		.amdhsa_exception_fp_denorm_src 0
		.amdhsa_exception_fp_ieee_div_zero 0
		.amdhsa_exception_fp_ieee_overflow 0
		.amdhsa_exception_fp_ieee_underflow 0
		.amdhsa_exception_fp_ieee_inexact 0
		.amdhsa_exception_int_div_zero 0
	.end_amdhsa_kernel
	.section	.text._ZN7rocprim17ROCPRIM_400000_NS6detail17trampoline_kernelINS0_14default_configENS1_35adjacent_difference_config_selectorILb0ExEEZNS1_24adjacent_difference_implIS3_Lb0ELb0EPKxPxN6thrust23THRUST_200600_302600_NS4plusIxEEEE10hipError_tPvRmT2_T3_mT4_P12ihipStream_tbEUlT_E_NS1_11comp_targetILNS1_3genE9ELNS1_11target_archE1100ELNS1_3gpuE3ELNS1_3repE0EEENS1_30default_config_static_selectorELNS0_4arch9wavefront6targetE1EEEvT1_,"axG",@progbits,_ZN7rocprim17ROCPRIM_400000_NS6detail17trampoline_kernelINS0_14default_configENS1_35adjacent_difference_config_selectorILb0ExEEZNS1_24adjacent_difference_implIS3_Lb0ELb0EPKxPxN6thrust23THRUST_200600_302600_NS4plusIxEEEE10hipError_tPvRmT2_T3_mT4_P12ihipStream_tbEUlT_E_NS1_11comp_targetILNS1_3genE9ELNS1_11target_archE1100ELNS1_3gpuE3ELNS1_3repE0EEENS1_30default_config_static_selectorELNS0_4arch9wavefront6targetE1EEEvT1_,comdat
.Lfunc_end704:
	.size	_ZN7rocprim17ROCPRIM_400000_NS6detail17trampoline_kernelINS0_14default_configENS1_35adjacent_difference_config_selectorILb0ExEEZNS1_24adjacent_difference_implIS3_Lb0ELb0EPKxPxN6thrust23THRUST_200600_302600_NS4plusIxEEEE10hipError_tPvRmT2_T3_mT4_P12ihipStream_tbEUlT_E_NS1_11comp_targetILNS1_3genE9ELNS1_11target_archE1100ELNS1_3gpuE3ELNS1_3repE0EEENS1_30default_config_static_selectorELNS0_4arch9wavefront6targetE1EEEvT1_, .Lfunc_end704-_ZN7rocprim17ROCPRIM_400000_NS6detail17trampoline_kernelINS0_14default_configENS1_35adjacent_difference_config_selectorILb0ExEEZNS1_24adjacent_difference_implIS3_Lb0ELb0EPKxPxN6thrust23THRUST_200600_302600_NS4plusIxEEEE10hipError_tPvRmT2_T3_mT4_P12ihipStream_tbEUlT_E_NS1_11comp_targetILNS1_3genE9ELNS1_11target_archE1100ELNS1_3gpuE3ELNS1_3repE0EEENS1_30default_config_static_selectorELNS0_4arch9wavefront6targetE1EEEvT1_
                                        ; -- End function
	.set _ZN7rocprim17ROCPRIM_400000_NS6detail17trampoline_kernelINS0_14default_configENS1_35adjacent_difference_config_selectorILb0ExEEZNS1_24adjacent_difference_implIS3_Lb0ELb0EPKxPxN6thrust23THRUST_200600_302600_NS4plusIxEEEE10hipError_tPvRmT2_T3_mT4_P12ihipStream_tbEUlT_E_NS1_11comp_targetILNS1_3genE9ELNS1_11target_archE1100ELNS1_3gpuE3ELNS1_3repE0EEENS1_30default_config_static_selectorELNS0_4arch9wavefront6targetE1EEEvT1_.num_vgpr, 0
	.set _ZN7rocprim17ROCPRIM_400000_NS6detail17trampoline_kernelINS0_14default_configENS1_35adjacent_difference_config_selectorILb0ExEEZNS1_24adjacent_difference_implIS3_Lb0ELb0EPKxPxN6thrust23THRUST_200600_302600_NS4plusIxEEEE10hipError_tPvRmT2_T3_mT4_P12ihipStream_tbEUlT_E_NS1_11comp_targetILNS1_3genE9ELNS1_11target_archE1100ELNS1_3gpuE3ELNS1_3repE0EEENS1_30default_config_static_selectorELNS0_4arch9wavefront6targetE1EEEvT1_.num_agpr, 0
	.set _ZN7rocprim17ROCPRIM_400000_NS6detail17trampoline_kernelINS0_14default_configENS1_35adjacent_difference_config_selectorILb0ExEEZNS1_24adjacent_difference_implIS3_Lb0ELb0EPKxPxN6thrust23THRUST_200600_302600_NS4plusIxEEEE10hipError_tPvRmT2_T3_mT4_P12ihipStream_tbEUlT_E_NS1_11comp_targetILNS1_3genE9ELNS1_11target_archE1100ELNS1_3gpuE3ELNS1_3repE0EEENS1_30default_config_static_selectorELNS0_4arch9wavefront6targetE1EEEvT1_.numbered_sgpr, 0
	.set _ZN7rocprim17ROCPRIM_400000_NS6detail17trampoline_kernelINS0_14default_configENS1_35adjacent_difference_config_selectorILb0ExEEZNS1_24adjacent_difference_implIS3_Lb0ELb0EPKxPxN6thrust23THRUST_200600_302600_NS4plusIxEEEE10hipError_tPvRmT2_T3_mT4_P12ihipStream_tbEUlT_E_NS1_11comp_targetILNS1_3genE9ELNS1_11target_archE1100ELNS1_3gpuE3ELNS1_3repE0EEENS1_30default_config_static_selectorELNS0_4arch9wavefront6targetE1EEEvT1_.num_named_barrier, 0
	.set _ZN7rocprim17ROCPRIM_400000_NS6detail17trampoline_kernelINS0_14default_configENS1_35adjacent_difference_config_selectorILb0ExEEZNS1_24adjacent_difference_implIS3_Lb0ELb0EPKxPxN6thrust23THRUST_200600_302600_NS4plusIxEEEE10hipError_tPvRmT2_T3_mT4_P12ihipStream_tbEUlT_E_NS1_11comp_targetILNS1_3genE9ELNS1_11target_archE1100ELNS1_3gpuE3ELNS1_3repE0EEENS1_30default_config_static_selectorELNS0_4arch9wavefront6targetE1EEEvT1_.private_seg_size, 0
	.set _ZN7rocprim17ROCPRIM_400000_NS6detail17trampoline_kernelINS0_14default_configENS1_35adjacent_difference_config_selectorILb0ExEEZNS1_24adjacent_difference_implIS3_Lb0ELb0EPKxPxN6thrust23THRUST_200600_302600_NS4plusIxEEEE10hipError_tPvRmT2_T3_mT4_P12ihipStream_tbEUlT_E_NS1_11comp_targetILNS1_3genE9ELNS1_11target_archE1100ELNS1_3gpuE3ELNS1_3repE0EEENS1_30default_config_static_selectorELNS0_4arch9wavefront6targetE1EEEvT1_.uses_vcc, 0
	.set _ZN7rocprim17ROCPRIM_400000_NS6detail17trampoline_kernelINS0_14default_configENS1_35adjacent_difference_config_selectorILb0ExEEZNS1_24adjacent_difference_implIS3_Lb0ELb0EPKxPxN6thrust23THRUST_200600_302600_NS4plusIxEEEE10hipError_tPvRmT2_T3_mT4_P12ihipStream_tbEUlT_E_NS1_11comp_targetILNS1_3genE9ELNS1_11target_archE1100ELNS1_3gpuE3ELNS1_3repE0EEENS1_30default_config_static_selectorELNS0_4arch9wavefront6targetE1EEEvT1_.uses_flat_scratch, 0
	.set _ZN7rocprim17ROCPRIM_400000_NS6detail17trampoline_kernelINS0_14default_configENS1_35adjacent_difference_config_selectorILb0ExEEZNS1_24adjacent_difference_implIS3_Lb0ELb0EPKxPxN6thrust23THRUST_200600_302600_NS4plusIxEEEE10hipError_tPvRmT2_T3_mT4_P12ihipStream_tbEUlT_E_NS1_11comp_targetILNS1_3genE9ELNS1_11target_archE1100ELNS1_3gpuE3ELNS1_3repE0EEENS1_30default_config_static_selectorELNS0_4arch9wavefront6targetE1EEEvT1_.has_dyn_sized_stack, 0
	.set _ZN7rocprim17ROCPRIM_400000_NS6detail17trampoline_kernelINS0_14default_configENS1_35adjacent_difference_config_selectorILb0ExEEZNS1_24adjacent_difference_implIS3_Lb0ELb0EPKxPxN6thrust23THRUST_200600_302600_NS4plusIxEEEE10hipError_tPvRmT2_T3_mT4_P12ihipStream_tbEUlT_E_NS1_11comp_targetILNS1_3genE9ELNS1_11target_archE1100ELNS1_3gpuE3ELNS1_3repE0EEENS1_30default_config_static_selectorELNS0_4arch9wavefront6targetE1EEEvT1_.has_recursion, 0
	.set _ZN7rocprim17ROCPRIM_400000_NS6detail17trampoline_kernelINS0_14default_configENS1_35adjacent_difference_config_selectorILb0ExEEZNS1_24adjacent_difference_implIS3_Lb0ELb0EPKxPxN6thrust23THRUST_200600_302600_NS4plusIxEEEE10hipError_tPvRmT2_T3_mT4_P12ihipStream_tbEUlT_E_NS1_11comp_targetILNS1_3genE9ELNS1_11target_archE1100ELNS1_3gpuE3ELNS1_3repE0EEENS1_30default_config_static_selectorELNS0_4arch9wavefront6targetE1EEEvT1_.has_indirect_call, 0
	.section	.AMDGPU.csdata,"",@progbits
; Kernel info:
; codeLenInByte = 0
; TotalNumSgprs: 4
; NumVgprs: 0
; ScratchSize: 0
; MemoryBound: 0
; FloatMode: 240
; IeeeMode: 1
; LDSByteSize: 0 bytes/workgroup (compile time only)
; SGPRBlocks: 0
; VGPRBlocks: 0
; NumSGPRsForWavesPerEU: 4
; NumVGPRsForWavesPerEU: 1
; Occupancy: 10
; WaveLimiterHint : 0
; COMPUTE_PGM_RSRC2:SCRATCH_EN: 0
; COMPUTE_PGM_RSRC2:USER_SGPR: 6
; COMPUTE_PGM_RSRC2:TRAP_HANDLER: 0
; COMPUTE_PGM_RSRC2:TGID_X_EN: 1
; COMPUTE_PGM_RSRC2:TGID_Y_EN: 0
; COMPUTE_PGM_RSRC2:TGID_Z_EN: 0
; COMPUTE_PGM_RSRC2:TIDIG_COMP_CNT: 0
	.section	.text._ZN7rocprim17ROCPRIM_400000_NS6detail17trampoline_kernelINS0_14default_configENS1_35adjacent_difference_config_selectorILb0ExEEZNS1_24adjacent_difference_implIS3_Lb0ELb0EPKxPxN6thrust23THRUST_200600_302600_NS4plusIxEEEE10hipError_tPvRmT2_T3_mT4_P12ihipStream_tbEUlT_E_NS1_11comp_targetILNS1_3genE8ELNS1_11target_archE1030ELNS1_3gpuE2ELNS1_3repE0EEENS1_30default_config_static_selectorELNS0_4arch9wavefront6targetE1EEEvT1_,"axG",@progbits,_ZN7rocprim17ROCPRIM_400000_NS6detail17trampoline_kernelINS0_14default_configENS1_35adjacent_difference_config_selectorILb0ExEEZNS1_24adjacent_difference_implIS3_Lb0ELb0EPKxPxN6thrust23THRUST_200600_302600_NS4plusIxEEEE10hipError_tPvRmT2_T3_mT4_P12ihipStream_tbEUlT_E_NS1_11comp_targetILNS1_3genE8ELNS1_11target_archE1030ELNS1_3gpuE2ELNS1_3repE0EEENS1_30default_config_static_selectorELNS0_4arch9wavefront6targetE1EEEvT1_,comdat
	.protected	_ZN7rocprim17ROCPRIM_400000_NS6detail17trampoline_kernelINS0_14default_configENS1_35adjacent_difference_config_selectorILb0ExEEZNS1_24adjacent_difference_implIS3_Lb0ELb0EPKxPxN6thrust23THRUST_200600_302600_NS4plusIxEEEE10hipError_tPvRmT2_T3_mT4_P12ihipStream_tbEUlT_E_NS1_11comp_targetILNS1_3genE8ELNS1_11target_archE1030ELNS1_3gpuE2ELNS1_3repE0EEENS1_30default_config_static_selectorELNS0_4arch9wavefront6targetE1EEEvT1_ ; -- Begin function _ZN7rocprim17ROCPRIM_400000_NS6detail17trampoline_kernelINS0_14default_configENS1_35adjacent_difference_config_selectorILb0ExEEZNS1_24adjacent_difference_implIS3_Lb0ELb0EPKxPxN6thrust23THRUST_200600_302600_NS4plusIxEEEE10hipError_tPvRmT2_T3_mT4_P12ihipStream_tbEUlT_E_NS1_11comp_targetILNS1_3genE8ELNS1_11target_archE1030ELNS1_3gpuE2ELNS1_3repE0EEENS1_30default_config_static_selectorELNS0_4arch9wavefront6targetE1EEEvT1_
	.globl	_ZN7rocprim17ROCPRIM_400000_NS6detail17trampoline_kernelINS0_14default_configENS1_35adjacent_difference_config_selectorILb0ExEEZNS1_24adjacent_difference_implIS3_Lb0ELb0EPKxPxN6thrust23THRUST_200600_302600_NS4plusIxEEEE10hipError_tPvRmT2_T3_mT4_P12ihipStream_tbEUlT_E_NS1_11comp_targetILNS1_3genE8ELNS1_11target_archE1030ELNS1_3gpuE2ELNS1_3repE0EEENS1_30default_config_static_selectorELNS0_4arch9wavefront6targetE1EEEvT1_
	.p2align	8
	.type	_ZN7rocprim17ROCPRIM_400000_NS6detail17trampoline_kernelINS0_14default_configENS1_35adjacent_difference_config_selectorILb0ExEEZNS1_24adjacent_difference_implIS3_Lb0ELb0EPKxPxN6thrust23THRUST_200600_302600_NS4plusIxEEEE10hipError_tPvRmT2_T3_mT4_P12ihipStream_tbEUlT_E_NS1_11comp_targetILNS1_3genE8ELNS1_11target_archE1030ELNS1_3gpuE2ELNS1_3repE0EEENS1_30default_config_static_selectorELNS0_4arch9wavefront6targetE1EEEvT1_,@function
_ZN7rocprim17ROCPRIM_400000_NS6detail17trampoline_kernelINS0_14default_configENS1_35adjacent_difference_config_selectorILb0ExEEZNS1_24adjacent_difference_implIS3_Lb0ELb0EPKxPxN6thrust23THRUST_200600_302600_NS4plusIxEEEE10hipError_tPvRmT2_T3_mT4_P12ihipStream_tbEUlT_E_NS1_11comp_targetILNS1_3genE8ELNS1_11target_archE1030ELNS1_3gpuE2ELNS1_3repE0EEENS1_30default_config_static_selectorELNS0_4arch9wavefront6targetE1EEEvT1_: ; @_ZN7rocprim17ROCPRIM_400000_NS6detail17trampoline_kernelINS0_14default_configENS1_35adjacent_difference_config_selectorILb0ExEEZNS1_24adjacent_difference_implIS3_Lb0ELb0EPKxPxN6thrust23THRUST_200600_302600_NS4plusIxEEEE10hipError_tPvRmT2_T3_mT4_P12ihipStream_tbEUlT_E_NS1_11comp_targetILNS1_3genE8ELNS1_11target_archE1030ELNS1_3gpuE2ELNS1_3repE0EEENS1_30default_config_static_selectorELNS0_4arch9wavefront6targetE1EEEvT1_
; %bb.0:
	.section	.rodata,"a",@progbits
	.p2align	6, 0x0
	.amdhsa_kernel _ZN7rocprim17ROCPRIM_400000_NS6detail17trampoline_kernelINS0_14default_configENS1_35adjacent_difference_config_selectorILb0ExEEZNS1_24adjacent_difference_implIS3_Lb0ELb0EPKxPxN6thrust23THRUST_200600_302600_NS4plusIxEEEE10hipError_tPvRmT2_T3_mT4_P12ihipStream_tbEUlT_E_NS1_11comp_targetILNS1_3genE8ELNS1_11target_archE1030ELNS1_3gpuE2ELNS1_3repE0EEENS1_30default_config_static_selectorELNS0_4arch9wavefront6targetE1EEEvT1_
		.amdhsa_group_segment_fixed_size 0
		.amdhsa_private_segment_fixed_size 0
		.amdhsa_kernarg_size 56
		.amdhsa_user_sgpr_count 6
		.amdhsa_user_sgpr_private_segment_buffer 1
		.amdhsa_user_sgpr_dispatch_ptr 0
		.amdhsa_user_sgpr_queue_ptr 0
		.amdhsa_user_sgpr_kernarg_segment_ptr 1
		.amdhsa_user_sgpr_dispatch_id 0
		.amdhsa_user_sgpr_flat_scratch_init 0
		.amdhsa_user_sgpr_private_segment_size 0
		.amdhsa_uses_dynamic_stack 0
		.amdhsa_system_sgpr_private_segment_wavefront_offset 0
		.amdhsa_system_sgpr_workgroup_id_x 1
		.amdhsa_system_sgpr_workgroup_id_y 0
		.amdhsa_system_sgpr_workgroup_id_z 0
		.amdhsa_system_sgpr_workgroup_info 0
		.amdhsa_system_vgpr_workitem_id 0
		.amdhsa_next_free_vgpr 1
		.amdhsa_next_free_sgpr 0
		.amdhsa_reserve_vcc 0
		.amdhsa_reserve_flat_scratch 0
		.amdhsa_float_round_mode_32 0
		.amdhsa_float_round_mode_16_64 0
		.amdhsa_float_denorm_mode_32 3
		.amdhsa_float_denorm_mode_16_64 3
		.amdhsa_dx10_clamp 1
		.amdhsa_ieee_mode 1
		.amdhsa_fp16_overflow 0
		.amdhsa_exception_fp_ieee_invalid_op 0
		.amdhsa_exception_fp_denorm_src 0
		.amdhsa_exception_fp_ieee_div_zero 0
		.amdhsa_exception_fp_ieee_overflow 0
		.amdhsa_exception_fp_ieee_underflow 0
		.amdhsa_exception_fp_ieee_inexact 0
		.amdhsa_exception_int_div_zero 0
	.end_amdhsa_kernel
	.section	.text._ZN7rocprim17ROCPRIM_400000_NS6detail17trampoline_kernelINS0_14default_configENS1_35adjacent_difference_config_selectorILb0ExEEZNS1_24adjacent_difference_implIS3_Lb0ELb0EPKxPxN6thrust23THRUST_200600_302600_NS4plusIxEEEE10hipError_tPvRmT2_T3_mT4_P12ihipStream_tbEUlT_E_NS1_11comp_targetILNS1_3genE8ELNS1_11target_archE1030ELNS1_3gpuE2ELNS1_3repE0EEENS1_30default_config_static_selectorELNS0_4arch9wavefront6targetE1EEEvT1_,"axG",@progbits,_ZN7rocprim17ROCPRIM_400000_NS6detail17trampoline_kernelINS0_14default_configENS1_35adjacent_difference_config_selectorILb0ExEEZNS1_24adjacent_difference_implIS3_Lb0ELb0EPKxPxN6thrust23THRUST_200600_302600_NS4plusIxEEEE10hipError_tPvRmT2_T3_mT4_P12ihipStream_tbEUlT_E_NS1_11comp_targetILNS1_3genE8ELNS1_11target_archE1030ELNS1_3gpuE2ELNS1_3repE0EEENS1_30default_config_static_selectorELNS0_4arch9wavefront6targetE1EEEvT1_,comdat
.Lfunc_end705:
	.size	_ZN7rocprim17ROCPRIM_400000_NS6detail17trampoline_kernelINS0_14default_configENS1_35adjacent_difference_config_selectorILb0ExEEZNS1_24adjacent_difference_implIS3_Lb0ELb0EPKxPxN6thrust23THRUST_200600_302600_NS4plusIxEEEE10hipError_tPvRmT2_T3_mT4_P12ihipStream_tbEUlT_E_NS1_11comp_targetILNS1_3genE8ELNS1_11target_archE1030ELNS1_3gpuE2ELNS1_3repE0EEENS1_30default_config_static_selectorELNS0_4arch9wavefront6targetE1EEEvT1_, .Lfunc_end705-_ZN7rocprim17ROCPRIM_400000_NS6detail17trampoline_kernelINS0_14default_configENS1_35adjacent_difference_config_selectorILb0ExEEZNS1_24adjacent_difference_implIS3_Lb0ELb0EPKxPxN6thrust23THRUST_200600_302600_NS4plusIxEEEE10hipError_tPvRmT2_T3_mT4_P12ihipStream_tbEUlT_E_NS1_11comp_targetILNS1_3genE8ELNS1_11target_archE1030ELNS1_3gpuE2ELNS1_3repE0EEENS1_30default_config_static_selectorELNS0_4arch9wavefront6targetE1EEEvT1_
                                        ; -- End function
	.set _ZN7rocprim17ROCPRIM_400000_NS6detail17trampoline_kernelINS0_14default_configENS1_35adjacent_difference_config_selectorILb0ExEEZNS1_24adjacent_difference_implIS3_Lb0ELb0EPKxPxN6thrust23THRUST_200600_302600_NS4plusIxEEEE10hipError_tPvRmT2_T3_mT4_P12ihipStream_tbEUlT_E_NS1_11comp_targetILNS1_3genE8ELNS1_11target_archE1030ELNS1_3gpuE2ELNS1_3repE0EEENS1_30default_config_static_selectorELNS0_4arch9wavefront6targetE1EEEvT1_.num_vgpr, 0
	.set _ZN7rocprim17ROCPRIM_400000_NS6detail17trampoline_kernelINS0_14default_configENS1_35adjacent_difference_config_selectorILb0ExEEZNS1_24adjacent_difference_implIS3_Lb0ELb0EPKxPxN6thrust23THRUST_200600_302600_NS4plusIxEEEE10hipError_tPvRmT2_T3_mT4_P12ihipStream_tbEUlT_E_NS1_11comp_targetILNS1_3genE8ELNS1_11target_archE1030ELNS1_3gpuE2ELNS1_3repE0EEENS1_30default_config_static_selectorELNS0_4arch9wavefront6targetE1EEEvT1_.num_agpr, 0
	.set _ZN7rocprim17ROCPRIM_400000_NS6detail17trampoline_kernelINS0_14default_configENS1_35adjacent_difference_config_selectorILb0ExEEZNS1_24adjacent_difference_implIS3_Lb0ELb0EPKxPxN6thrust23THRUST_200600_302600_NS4plusIxEEEE10hipError_tPvRmT2_T3_mT4_P12ihipStream_tbEUlT_E_NS1_11comp_targetILNS1_3genE8ELNS1_11target_archE1030ELNS1_3gpuE2ELNS1_3repE0EEENS1_30default_config_static_selectorELNS0_4arch9wavefront6targetE1EEEvT1_.numbered_sgpr, 0
	.set _ZN7rocprim17ROCPRIM_400000_NS6detail17trampoline_kernelINS0_14default_configENS1_35adjacent_difference_config_selectorILb0ExEEZNS1_24adjacent_difference_implIS3_Lb0ELb0EPKxPxN6thrust23THRUST_200600_302600_NS4plusIxEEEE10hipError_tPvRmT2_T3_mT4_P12ihipStream_tbEUlT_E_NS1_11comp_targetILNS1_3genE8ELNS1_11target_archE1030ELNS1_3gpuE2ELNS1_3repE0EEENS1_30default_config_static_selectorELNS0_4arch9wavefront6targetE1EEEvT1_.num_named_barrier, 0
	.set _ZN7rocprim17ROCPRIM_400000_NS6detail17trampoline_kernelINS0_14default_configENS1_35adjacent_difference_config_selectorILb0ExEEZNS1_24adjacent_difference_implIS3_Lb0ELb0EPKxPxN6thrust23THRUST_200600_302600_NS4plusIxEEEE10hipError_tPvRmT2_T3_mT4_P12ihipStream_tbEUlT_E_NS1_11comp_targetILNS1_3genE8ELNS1_11target_archE1030ELNS1_3gpuE2ELNS1_3repE0EEENS1_30default_config_static_selectorELNS0_4arch9wavefront6targetE1EEEvT1_.private_seg_size, 0
	.set _ZN7rocprim17ROCPRIM_400000_NS6detail17trampoline_kernelINS0_14default_configENS1_35adjacent_difference_config_selectorILb0ExEEZNS1_24adjacent_difference_implIS3_Lb0ELb0EPKxPxN6thrust23THRUST_200600_302600_NS4plusIxEEEE10hipError_tPvRmT2_T3_mT4_P12ihipStream_tbEUlT_E_NS1_11comp_targetILNS1_3genE8ELNS1_11target_archE1030ELNS1_3gpuE2ELNS1_3repE0EEENS1_30default_config_static_selectorELNS0_4arch9wavefront6targetE1EEEvT1_.uses_vcc, 0
	.set _ZN7rocprim17ROCPRIM_400000_NS6detail17trampoline_kernelINS0_14default_configENS1_35adjacent_difference_config_selectorILb0ExEEZNS1_24adjacent_difference_implIS3_Lb0ELb0EPKxPxN6thrust23THRUST_200600_302600_NS4plusIxEEEE10hipError_tPvRmT2_T3_mT4_P12ihipStream_tbEUlT_E_NS1_11comp_targetILNS1_3genE8ELNS1_11target_archE1030ELNS1_3gpuE2ELNS1_3repE0EEENS1_30default_config_static_selectorELNS0_4arch9wavefront6targetE1EEEvT1_.uses_flat_scratch, 0
	.set _ZN7rocprim17ROCPRIM_400000_NS6detail17trampoline_kernelINS0_14default_configENS1_35adjacent_difference_config_selectorILb0ExEEZNS1_24adjacent_difference_implIS3_Lb0ELb0EPKxPxN6thrust23THRUST_200600_302600_NS4plusIxEEEE10hipError_tPvRmT2_T3_mT4_P12ihipStream_tbEUlT_E_NS1_11comp_targetILNS1_3genE8ELNS1_11target_archE1030ELNS1_3gpuE2ELNS1_3repE0EEENS1_30default_config_static_selectorELNS0_4arch9wavefront6targetE1EEEvT1_.has_dyn_sized_stack, 0
	.set _ZN7rocprim17ROCPRIM_400000_NS6detail17trampoline_kernelINS0_14default_configENS1_35adjacent_difference_config_selectorILb0ExEEZNS1_24adjacent_difference_implIS3_Lb0ELb0EPKxPxN6thrust23THRUST_200600_302600_NS4plusIxEEEE10hipError_tPvRmT2_T3_mT4_P12ihipStream_tbEUlT_E_NS1_11comp_targetILNS1_3genE8ELNS1_11target_archE1030ELNS1_3gpuE2ELNS1_3repE0EEENS1_30default_config_static_selectorELNS0_4arch9wavefront6targetE1EEEvT1_.has_recursion, 0
	.set _ZN7rocprim17ROCPRIM_400000_NS6detail17trampoline_kernelINS0_14default_configENS1_35adjacent_difference_config_selectorILb0ExEEZNS1_24adjacent_difference_implIS3_Lb0ELb0EPKxPxN6thrust23THRUST_200600_302600_NS4plusIxEEEE10hipError_tPvRmT2_T3_mT4_P12ihipStream_tbEUlT_E_NS1_11comp_targetILNS1_3genE8ELNS1_11target_archE1030ELNS1_3gpuE2ELNS1_3repE0EEENS1_30default_config_static_selectorELNS0_4arch9wavefront6targetE1EEEvT1_.has_indirect_call, 0
	.section	.AMDGPU.csdata,"",@progbits
; Kernel info:
; codeLenInByte = 0
; TotalNumSgprs: 4
; NumVgprs: 0
; ScratchSize: 0
; MemoryBound: 0
; FloatMode: 240
; IeeeMode: 1
; LDSByteSize: 0 bytes/workgroup (compile time only)
; SGPRBlocks: 0
; VGPRBlocks: 0
; NumSGPRsForWavesPerEU: 4
; NumVGPRsForWavesPerEU: 1
; Occupancy: 10
; WaveLimiterHint : 0
; COMPUTE_PGM_RSRC2:SCRATCH_EN: 0
; COMPUTE_PGM_RSRC2:USER_SGPR: 6
; COMPUTE_PGM_RSRC2:TRAP_HANDLER: 0
; COMPUTE_PGM_RSRC2:TGID_X_EN: 1
; COMPUTE_PGM_RSRC2:TGID_Y_EN: 0
; COMPUTE_PGM_RSRC2:TGID_Z_EN: 0
; COMPUTE_PGM_RSRC2:TIDIG_COMP_CNT: 0
	.section	.text._ZN7rocprim17ROCPRIM_400000_NS6detail17trampoline_kernelINS0_14default_configENS1_25transform_config_selectorIxLb0EEEZNS1_14transform_implILb0ES3_S5_NS0_18transform_iteratorINS0_17counting_iteratorImlEEZNS1_24adjacent_difference_implIS3_Lb1ELb0EPKxPxN6thrust23THRUST_200600_302600_NS4plusIxEEEE10hipError_tPvRmT2_T3_mT4_P12ihipStream_tbEUlmE_xEESD_NS0_8identityIvEEEESI_SL_SM_mSN_SP_bEUlT_E_NS1_11comp_targetILNS1_3genE0ELNS1_11target_archE4294967295ELNS1_3gpuE0ELNS1_3repE0EEENS1_30default_config_static_selectorELNS0_4arch9wavefront6targetE1EEEvT1_,"axG",@progbits,_ZN7rocprim17ROCPRIM_400000_NS6detail17trampoline_kernelINS0_14default_configENS1_25transform_config_selectorIxLb0EEEZNS1_14transform_implILb0ES3_S5_NS0_18transform_iteratorINS0_17counting_iteratorImlEEZNS1_24adjacent_difference_implIS3_Lb1ELb0EPKxPxN6thrust23THRUST_200600_302600_NS4plusIxEEEE10hipError_tPvRmT2_T3_mT4_P12ihipStream_tbEUlmE_xEESD_NS0_8identityIvEEEESI_SL_SM_mSN_SP_bEUlT_E_NS1_11comp_targetILNS1_3genE0ELNS1_11target_archE4294967295ELNS1_3gpuE0ELNS1_3repE0EEENS1_30default_config_static_selectorELNS0_4arch9wavefront6targetE1EEEvT1_,comdat
	.protected	_ZN7rocprim17ROCPRIM_400000_NS6detail17trampoline_kernelINS0_14default_configENS1_25transform_config_selectorIxLb0EEEZNS1_14transform_implILb0ES3_S5_NS0_18transform_iteratorINS0_17counting_iteratorImlEEZNS1_24adjacent_difference_implIS3_Lb1ELb0EPKxPxN6thrust23THRUST_200600_302600_NS4plusIxEEEE10hipError_tPvRmT2_T3_mT4_P12ihipStream_tbEUlmE_xEESD_NS0_8identityIvEEEESI_SL_SM_mSN_SP_bEUlT_E_NS1_11comp_targetILNS1_3genE0ELNS1_11target_archE4294967295ELNS1_3gpuE0ELNS1_3repE0EEENS1_30default_config_static_selectorELNS0_4arch9wavefront6targetE1EEEvT1_ ; -- Begin function _ZN7rocprim17ROCPRIM_400000_NS6detail17trampoline_kernelINS0_14default_configENS1_25transform_config_selectorIxLb0EEEZNS1_14transform_implILb0ES3_S5_NS0_18transform_iteratorINS0_17counting_iteratorImlEEZNS1_24adjacent_difference_implIS3_Lb1ELb0EPKxPxN6thrust23THRUST_200600_302600_NS4plusIxEEEE10hipError_tPvRmT2_T3_mT4_P12ihipStream_tbEUlmE_xEESD_NS0_8identityIvEEEESI_SL_SM_mSN_SP_bEUlT_E_NS1_11comp_targetILNS1_3genE0ELNS1_11target_archE4294967295ELNS1_3gpuE0ELNS1_3repE0EEENS1_30default_config_static_selectorELNS0_4arch9wavefront6targetE1EEEvT1_
	.globl	_ZN7rocprim17ROCPRIM_400000_NS6detail17trampoline_kernelINS0_14default_configENS1_25transform_config_selectorIxLb0EEEZNS1_14transform_implILb0ES3_S5_NS0_18transform_iteratorINS0_17counting_iteratorImlEEZNS1_24adjacent_difference_implIS3_Lb1ELb0EPKxPxN6thrust23THRUST_200600_302600_NS4plusIxEEEE10hipError_tPvRmT2_T3_mT4_P12ihipStream_tbEUlmE_xEESD_NS0_8identityIvEEEESI_SL_SM_mSN_SP_bEUlT_E_NS1_11comp_targetILNS1_3genE0ELNS1_11target_archE4294967295ELNS1_3gpuE0ELNS1_3repE0EEENS1_30default_config_static_selectorELNS0_4arch9wavefront6targetE1EEEvT1_
	.p2align	8
	.type	_ZN7rocprim17ROCPRIM_400000_NS6detail17trampoline_kernelINS0_14default_configENS1_25transform_config_selectorIxLb0EEEZNS1_14transform_implILb0ES3_S5_NS0_18transform_iteratorINS0_17counting_iteratorImlEEZNS1_24adjacent_difference_implIS3_Lb1ELb0EPKxPxN6thrust23THRUST_200600_302600_NS4plusIxEEEE10hipError_tPvRmT2_T3_mT4_P12ihipStream_tbEUlmE_xEESD_NS0_8identityIvEEEESI_SL_SM_mSN_SP_bEUlT_E_NS1_11comp_targetILNS1_3genE0ELNS1_11target_archE4294967295ELNS1_3gpuE0ELNS1_3repE0EEENS1_30default_config_static_selectorELNS0_4arch9wavefront6targetE1EEEvT1_,@function
_ZN7rocprim17ROCPRIM_400000_NS6detail17trampoline_kernelINS0_14default_configENS1_25transform_config_selectorIxLb0EEEZNS1_14transform_implILb0ES3_S5_NS0_18transform_iteratorINS0_17counting_iteratorImlEEZNS1_24adjacent_difference_implIS3_Lb1ELb0EPKxPxN6thrust23THRUST_200600_302600_NS4plusIxEEEE10hipError_tPvRmT2_T3_mT4_P12ihipStream_tbEUlmE_xEESD_NS0_8identityIvEEEESI_SL_SM_mSN_SP_bEUlT_E_NS1_11comp_targetILNS1_3genE0ELNS1_11target_archE4294967295ELNS1_3gpuE0ELNS1_3repE0EEENS1_30default_config_static_selectorELNS0_4arch9wavefront6targetE1EEEvT1_: ; @_ZN7rocprim17ROCPRIM_400000_NS6detail17trampoline_kernelINS0_14default_configENS1_25transform_config_selectorIxLb0EEEZNS1_14transform_implILb0ES3_S5_NS0_18transform_iteratorINS0_17counting_iteratorImlEEZNS1_24adjacent_difference_implIS3_Lb1ELb0EPKxPxN6thrust23THRUST_200600_302600_NS4plusIxEEEE10hipError_tPvRmT2_T3_mT4_P12ihipStream_tbEUlmE_xEESD_NS0_8identityIvEEEESI_SL_SM_mSN_SP_bEUlT_E_NS1_11comp_targetILNS1_3genE0ELNS1_11target_archE4294967295ELNS1_3gpuE0ELNS1_3repE0EEENS1_30default_config_static_selectorELNS0_4arch9wavefront6targetE1EEEvT1_
; %bb.0:
	.section	.rodata,"a",@progbits
	.p2align	6, 0x0
	.amdhsa_kernel _ZN7rocprim17ROCPRIM_400000_NS6detail17trampoline_kernelINS0_14default_configENS1_25transform_config_selectorIxLb0EEEZNS1_14transform_implILb0ES3_S5_NS0_18transform_iteratorINS0_17counting_iteratorImlEEZNS1_24adjacent_difference_implIS3_Lb1ELb0EPKxPxN6thrust23THRUST_200600_302600_NS4plusIxEEEE10hipError_tPvRmT2_T3_mT4_P12ihipStream_tbEUlmE_xEESD_NS0_8identityIvEEEESI_SL_SM_mSN_SP_bEUlT_E_NS1_11comp_targetILNS1_3genE0ELNS1_11target_archE4294967295ELNS1_3gpuE0ELNS1_3repE0EEENS1_30default_config_static_selectorELNS0_4arch9wavefront6targetE1EEEvT1_
		.amdhsa_group_segment_fixed_size 0
		.amdhsa_private_segment_fixed_size 0
		.amdhsa_kernarg_size 56
		.amdhsa_user_sgpr_count 6
		.amdhsa_user_sgpr_private_segment_buffer 1
		.amdhsa_user_sgpr_dispatch_ptr 0
		.amdhsa_user_sgpr_queue_ptr 0
		.amdhsa_user_sgpr_kernarg_segment_ptr 1
		.amdhsa_user_sgpr_dispatch_id 0
		.amdhsa_user_sgpr_flat_scratch_init 0
		.amdhsa_user_sgpr_private_segment_size 0
		.amdhsa_uses_dynamic_stack 0
		.amdhsa_system_sgpr_private_segment_wavefront_offset 0
		.amdhsa_system_sgpr_workgroup_id_x 1
		.amdhsa_system_sgpr_workgroup_id_y 0
		.amdhsa_system_sgpr_workgroup_id_z 0
		.amdhsa_system_sgpr_workgroup_info 0
		.amdhsa_system_vgpr_workitem_id 0
		.amdhsa_next_free_vgpr 1
		.amdhsa_next_free_sgpr 0
		.amdhsa_reserve_vcc 0
		.amdhsa_reserve_flat_scratch 0
		.amdhsa_float_round_mode_32 0
		.amdhsa_float_round_mode_16_64 0
		.amdhsa_float_denorm_mode_32 3
		.amdhsa_float_denorm_mode_16_64 3
		.amdhsa_dx10_clamp 1
		.amdhsa_ieee_mode 1
		.amdhsa_fp16_overflow 0
		.amdhsa_exception_fp_ieee_invalid_op 0
		.amdhsa_exception_fp_denorm_src 0
		.amdhsa_exception_fp_ieee_div_zero 0
		.amdhsa_exception_fp_ieee_overflow 0
		.amdhsa_exception_fp_ieee_underflow 0
		.amdhsa_exception_fp_ieee_inexact 0
		.amdhsa_exception_int_div_zero 0
	.end_amdhsa_kernel
	.section	.text._ZN7rocprim17ROCPRIM_400000_NS6detail17trampoline_kernelINS0_14default_configENS1_25transform_config_selectorIxLb0EEEZNS1_14transform_implILb0ES3_S5_NS0_18transform_iteratorINS0_17counting_iteratorImlEEZNS1_24adjacent_difference_implIS3_Lb1ELb0EPKxPxN6thrust23THRUST_200600_302600_NS4plusIxEEEE10hipError_tPvRmT2_T3_mT4_P12ihipStream_tbEUlmE_xEESD_NS0_8identityIvEEEESI_SL_SM_mSN_SP_bEUlT_E_NS1_11comp_targetILNS1_3genE0ELNS1_11target_archE4294967295ELNS1_3gpuE0ELNS1_3repE0EEENS1_30default_config_static_selectorELNS0_4arch9wavefront6targetE1EEEvT1_,"axG",@progbits,_ZN7rocprim17ROCPRIM_400000_NS6detail17trampoline_kernelINS0_14default_configENS1_25transform_config_selectorIxLb0EEEZNS1_14transform_implILb0ES3_S5_NS0_18transform_iteratorINS0_17counting_iteratorImlEEZNS1_24adjacent_difference_implIS3_Lb1ELb0EPKxPxN6thrust23THRUST_200600_302600_NS4plusIxEEEE10hipError_tPvRmT2_T3_mT4_P12ihipStream_tbEUlmE_xEESD_NS0_8identityIvEEEESI_SL_SM_mSN_SP_bEUlT_E_NS1_11comp_targetILNS1_3genE0ELNS1_11target_archE4294967295ELNS1_3gpuE0ELNS1_3repE0EEENS1_30default_config_static_selectorELNS0_4arch9wavefront6targetE1EEEvT1_,comdat
.Lfunc_end706:
	.size	_ZN7rocprim17ROCPRIM_400000_NS6detail17trampoline_kernelINS0_14default_configENS1_25transform_config_selectorIxLb0EEEZNS1_14transform_implILb0ES3_S5_NS0_18transform_iteratorINS0_17counting_iteratorImlEEZNS1_24adjacent_difference_implIS3_Lb1ELb0EPKxPxN6thrust23THRUST_200600_302600_NS4plusIxEEEE10hipError_tPvRmT2_T3_mT4_P12ihipStream_tbEUlmE_xEESD_NS0_8identityIvEEEESI_SL_SM_mSN_SP_bEUlT_E_NS1_11comp_targetILNS1_3genE0ELNS1_11target_archE4294967295ELNS1_3gpuE0ELNS1_3repE0EEENS1_30default_config_static_selectorELNS0_4arch9wavefront6targetE1EEEvT1_, .Lfunc_end706-_ZN7rocprim17ROCPRIM_400000_NS6detail17trampoline_kernelINS0_14default_configENS1_25transform_config_selectorIxLb0EEEZNS1_14transform_implILb0ES3_S5_NS0_18transform_iteratorINS0_17counting_iteratorImlEEZNS1_24adjacent_difference_implIS3_Lb1ELb0EPKxPxN6thrust23THRUST_200600_302600_NS4plusIxEEEE10hipError_tPvRmT2_T3_mT4_P12ihipStream_tbEUlmE_xEESD_NS0_8identityIvEEEESI_SL_SM_mSN_SP_bEUlT_E_NS1_11comp_targetILNS1_3genE0ELNS1_11target_archE4294967295ELNS1_3gpuE0ELNS1_3repE0EEENS1_30default_config_static_selectorELNS0_4arch9wavefront6targetE1EEEvT1_
                                        ; -- End function
	.set _ZN7rocprim17ROCPRIM_400000_NS6detail17trampoline_kernelINS0_14default_configENS1_25transform_config_selectorIxLb0EEEZNS1_14transform_implILb0ES3_S5_NS0_18transform_iteratorINS0_17counting_iteratorImlEEZNS1_24adjacent_difference_implIS3_Lb1ELb0EPKxPxN6thrust23THRUST_200600_302600_NS4plusIxEEEE10hipError_tPvRmT2_T3_mT4_P12ihipStream_tbEUlmE_xEESD_NS0_8identityIvEEEESI_SL_SM_mSN_SP_bEUlT_E_NS1_11comp_targetILNS1_3genE0ELNS1_11target_archE4294967295ELNS1_3gpuE0ELNS1_3repE0EEENS1_30default_config_static_selectorELNS0_4arch9wavefront6targetE1EEEvT1_.num_vgpr, 0
	.set _ZN7rocprim17ROCPRIM_400000_NS6detail17trampoline_kernelINS0_14default_configENS1_25transform_config_selectorIxLb0EEEZNS1_14transform_implILb0ES3_S5_NS0_18transform_iteratorINS0_17counting_iteratorImlEEZNS1_24adjacent_difference_implIS3_Lb1ELb0EPKxPxN6thrust23THRUST_200600_302600_NS4plusIxEEEE10hipError_tPvRmT2_T3_mT4_P12ihipStream_tbEUlmE_xEESD_NS0_8identityIvEEEESI_SL_SM_mSN_SP_bEUlT_E_NS1_11comp_targetILNS1_3genE0ELNS1_11target_archE4294967295ELNS1_3gpuE0ELNS1_3repE0EEENS1_30default_config_static_selectorELNS0_4arch9wavefront6targetE1EEEvT1_.num_agpr, 0
	.set _ZN7rocprim17ROCPRIM_400000_NS6detail17trampoline_kernelINS0_14default_configENS1_25transform_config_selectorIxLb0EEEZNS1_14transform_implILb0ES3_S5_NS0_18transform_iteratorINS0_17counting_iteratorImlEEZNS1_24adjacent_difference_implIS3_Lb1ELb0EPKxPxN6thrust23THRUST_200600_302600_NS4plusIxEEEE10hipError_tPvRmT2_T3_mT4_P12ihipStream_tbEUlmE_xEESD_NS0_8identityIvEEEESI_SL_SM_mSN_SP_bEUlT_E_NS1_11comp_targetILNS1_3genE0ELNS1_11target_archE4294967295ELNS1_3gpuE0ELNS1_3repE0EEENS1_30default_config_static_selectorELNS0_4arch9wavefront6targetE1EEEvT1_.numbered_sgpr, 0
	.set _ZN7rocprim17ROCPRIM_400000_NS6detail17trampoline_kernelINS0_14default_configENS1_25transform_config_selectorIxLb0EEEZNS1_14transform_implILb0ES3_S5_NS0_18transform_iteratorINS0_17counting_iteratorImlEEZNS1_24adjacent_difference_implIS3_Lb1ELb0EPKxPxN6thrust23THRUST_200600_302600_NS4plusIxEEEE10hipError_tPvRmT2_T3_mT4_P12ihipStream_tbEUlmE_xEESD_NS0_8identityIvEEEESI_SL_SM_mSN_SP_bEUlT_E_NS1_11comp_targetILNS1_3genE0ELNS1_11target_archE4294967295ELNS1_3gpuE0ELNS1_3repE0EEENS1_30default_config_static_selectorELNS0_4arch9wavefront6targetE1EEEvT1_.num_named_barrier, 0
	.set _ZN7rocprim17ROCPRIM_400000_NS6detail17trampoline_kernelINS0_14default_configENS1_25transform_config_selectorIxLb0EEEZNS1_14transform_implILb0ES3_S5_NS0_18transform_iteratorINS0_17counting_iteratorImlEEZNS1_24adjacent_difference_implIS3_Lb1ELb0EPKxPxN6thrust23THRUST_200600_302600_NS4plusIxEEEE10hipError_tPvRmT2_T3_mT4_P12ihipStream_tbEUlmE_xEESD_NS0_8identityIvEEEESI_SL_SM_mSN_SP_bEUlT_E_NS1_11comp_targetILNS1_3genE0ELNS1_11target_archE4294967295ELNS1_3gpuE0ELNS1_3repE0EEENS1_30default_config_static_selectorELNS0_4arch9wavefront6targetE1EEEvT1_.private_seg_size, 0
	.set _ZN7rocprim17ROCPRIM_400000_NS6detail17trampoline_kernelINS0_14default_configENS1_25transform_config_selectorIxLb0EEEZNS1_14transform_implILb0ES3_S5_NS0_18transform_iteratorINS0_17counting_iteratorImlEEZNS1_24adjacent_difference_implIS3_Lb1ELb0EPKxPxN6thrust23THRUST_200600_302600_NS4plusIxEEEE10hipError_tPvRmT2_T3_mT4_P12ihipStream_tbEUlmE_xEESD_NS0_8identityIvEEEESI_SL_SM_mSN_SP_bEUlT_E_NS1_11comp_targetILNS1_3genE0ELNS1_11target_archE4294967295ELNS1_3gpuE0ELNS1_3repE0EEENS1_30default_config_static_selectorELNS0_4arch9wavefront6targetE1EEEvT1_.uses_vcc, 0
	.set _ZN7rocprim17ROCPRIM_400000_NS6detail17trampoline_kernelINS0_14default_configENS1_25transform_config_selectorIxLb0EEEZNS1_14transform_implILb0ES3_S5_NS0_18transform_iteratorINS0_17counting_iteratorImlEEZNS1_24adjacent_difference_implIS3_Lb1ELb0EPKxPxN6thrust23THRUST_200600_302600_NS4plusIxEEEE10hipError_tPvRmT2_T3_mT4_P12ihipStream_tbEUlmE_xEESD_NS0_8identityIvEEEESI_SL_SM_mSN_SP_bEUlT_E_NS1_11comp_targetILNS1_3genE0ELNS1_11target_archE4294967295ELNS1_3gpuE0ELNS1_3repE0EEENS1_30default_config_static_selectorELNS0_4arch9wavefront6targetE1EEEvT1_.uses_flat_scratch, 0
	.set _ZN7rocprim17ROCPRIM_400000_NS6detail17trampoline_kernelINS0_14default_configENS1_25transform_config_selectorIxLb0EEEZNS1_14transform_implILb0ES3_S5_NS0_18transform_iteratorINS0_17counting_iteratorImlEEZNS1_24adjacent_difference_implIS3_Lb1ELb0EPKxPxN6thrust23THRUST_200600_302600_NS4plusIxEEEE10hipError_tPvRmT2_T3_mT4_P12ihipStream_tbEUlmE_xEESD_NS0_8identityIvEEEESI_SL_SM_mSN_SP_bEUlT_E_NS1_11comp_targetILNS1_3genE0ELNS1_11target_archE4294967295ELNS1_3gpuE0ELNS1_3repE0EEENS1_30default_config_static_selectorELNS0_4arch9wavefront6targetE1EEEvT1_.has_dyn_sized_stack, 0
	.set _ZN7rocprim17ROCPRIM_400000_NS6detail17trampoline_kernelINS0_14default_configENS1_25transform_config_selectorIxLb0EEEZNS1_14transform_implILb0ES3_S5_NS0_18transform_iteratorINS0_17counting_iteratorImlEEZNS1_24adjacent_difference_implIS3_Lb1ELb0EPKxPxN6thrust23THRUST_200600_302600_NS4plusIxEEEE10hipError_tPvRmT2_T3_mT4_P12ihipStream_tbEUlmE_xEESD_NS0_8identityIvEEEESI_SL_SM_mSN_SP_bEUlT_E_NS1_11comp_targetILNS1_3genE0ELNS1_11target_archE4294967295ELNS1_3gpuE0ELNS1_3repE0EEENS1_30default_config_static_selectorELNS0_4arch9wavefront6targetE1EEEvT1_.has_recursion, 0
	.set _ZN7rocprim17ROCPRIM_400000_NS6detail17trampoline_kernelINS0_14default_configENS1_25transform_config_selectorIxLb0EEEZNS1_14transform_implILb0ES3_S5_NS0_18transform_iteratorINS0_17counting_iteratorImlEEZNS1_24adjacent_difference_implIS3_Lb1ELb0EPKxPxN6thrust23THRUST_200600_302600_NS4plusIxEEEE10hipError_tPvRmT2_T3_mT4_P12ihipStream_tbEUlmE_xEESD_NS0_8identityIvEEEESI_SL_SM_mSN_SP_bEUlT_E_NS1_11comp_targetILNS1_3genE0ELNS1_11target_archE4294967295ELNS1_3gpuE0ELNS1_3repE0EEENS1_30default_config_static_selectorELNS0_4arch9wavefront6targetE1EEEvT1_.has_indirect_call, 0
	.section	.AMDGPU.csdata,"",@progbits
; Kernel info:
; codeLenInByte = 0
; TotalNumSgprs: 4
; NumVgprs: 0
; ScratchSize: 0
; MemoryBound: 0
; FloatMode: 240
; IeeeMode: 1
; LDSByteSize: 0 bytes/workgroup (compile time only)
; SGPRBlocks: 0
; VGPRBlocks: 0
; NumSGPRsForWavesPerEU: 4
; NumVGPRsForWavesPerEU: 1
; Occupancy: 10
; WaveLimiterHint : 0
; COMPUTE_PGM_RSRC2:SCRATCH_EN: 0
; COMPUTE_PGM_RSRC2:USER_SGPR: 6
; COMPUTE_PGM_RSRC2:TRAP_HANDLER: 0
; COMPUTE_PGM_RSRC2:TGID_X_EN: 1
; COMPUTE_PGM_RSRC2:TGID_Y_EN: 0
; COMPUTE_PGM_RSRC2:TGID_Z_EN: 0
; COMPUTE_PGM_RSRC2:TIDIG_COMP_CNT: 0
	.section	.text._ZN7rocprim17ROCPRIM_400000_NS6detail17trampoline_kernelINS0_14default_configENS1_25transform_config_selectorIxLb0EEEZNS1_14transform_implILb0ES3_S5_NS0_18transform_iteratorINS0_17counting_iteratorImlEEZNS1_24adjacent_difference_implIS3_Lb1ELb0EPKxPxN6thrust23THRUST_200600_302600_NS4plusIxEEEE10hipError_tPvRmT2_T3_mT4_P12ihipStream_tbEUlmE_xEESD_NS0_8identityIvEEEESI_SL_SM_mSN_SP_bEUlT_E_NS1_11comp_targetILNS1_3genE5ELNS1_11target_archE942ELNS1_3gpuE9ELNS1_3repE0EEENS1_30default_config_static_selectorELNS0_4arch9wavefront6targetE1EEEvT1_,"axG",@progbits,_ZN7rocprim17ROCPRIM_400000_NS6detail17trampoline_kernelINS0_14default_configENS1_25transform_config_selectorIxLb0EEEZNS1_14transform_implILb0ES3_S5_NS0_18transform_iteratorINS0_17counting_iteratorImlEEZNS1_24adjacent_difference_implIS3_Lb1ELb0EPKxPxN6thrust23THRUST_200600_302600_NS4plusIxEEEE10hipError_tPvRmT2_T3_mT4_P12ihipStream_tbEUlmE_xEESD_NS0_8identityIvEEEESI_SL_SM_mSN_SP_bEUlT_E_NS1_11comp_targetILNS1_3genE5ELNS1_11target_archE942ELNS1_3gpuE9ELNS1_3repE0EEENS1_30default_config_static_selectorELNS0_4arch9wavefront6targetE1EEEvT1_,comdat
	.protected	_ZN7rocprim17ROCPRIM_400000_NS6detail17trampoline_kernelINS0_14default_configENS1_25transform_config_selectorIxLb0EEEZNS1_14transform_implILb0ES3_S5_NS0_18transform_iteratorINS0_17counting_iteratorImlEEZNS1_24adjacent_difference_implIS3_Lb1ELb0EPKxPxN6thrust23THRUST_200600_302600_NS4plusIxEEEE10hipError_tPvRmT2_T3_mT4_P12ihipStream_tbEUlmE_xEESD_NS0_8identityIvEEEESI_SL_SM_mSN_SP_bEUlT_E_NS1_11comp_targetILNS1_3genE5ELNS1_11target_archE942ELNS1_3gpuE9ELNS1_3repE0EEENS1_30default_config_static_selectorELNS0_4arch9wavefront6targetE1EEEvT1_ ; -- Begin function _ZN7rocprim17ROCPRIM_400000_NS6detail17trampoline_kernelINS0_14default_configENS1_25transform_config_selectorIxLb0EEEZNS1_14transform_implILb0ES3_S5_NS0_18transform_iteratorINS0_17counting_iteratorImlEEZNS1_24adjacent_difference_implIS3_Lb1ELb0EPKxPxN6thrust23THRUST_200600_302600_NS4plusIxEEEE10hipError_tPvRmT2_T3_mT4_P12ihipStream_tbEUlmE_xEESD_NS0_8identityIvEEEESI_SL_SM_mSN_SP_bEUlT_E_NS1_11comp_targetILNS1_3genE5ELNS1_11target_archE942ELNS1_3gpuE9ELNS1_3repE0EEENS1_30default_config_static_selectorELNS0_4arch9wavefront6targetE1EEEvT1_
	.globl	_ZN7rocprim17ROCPRIM_400000_NS6detail17trampoline_kernelINS0_14default_configENS1_25transform_config_selectorIxLb0EEEZNS1_14transform_implILb0ES3_S5_NS0_18transform_iteratorINS0_17counting_iteratorImlEEZNS1_24adjacent_difference_implIS3_Lb1ELb0EPKxPxN6thrust23THRUST_200600_302600_NS4plusIxEEEE10hipError_tPvRmT2_T3_mT4_P12ihipStream_tbEUlmE_xEESD_NS0_8identityIvEEEESI_SL_SM_mSN_SP_bEUlT_E_NS1_11comp_targetILNS1_3genE5ELNS1_11target_archE942ELNS1_3gpuE9ELNS1_3repE0EEENS1_30default_config_static_selectorELNS0_4arch9wavefront6targetE1EEEvT1_
	.p2align	8
	.type	_ZN7rocprim17ROCPRIM_400000_NS6detail17trampoline_kernelINS0_14default_configENS1_25transform_config_selectorIxLb0EEEZNS1_14transform_implILb0ES3_S5_NS0_18transform_iteratorINS0_17counting_iteratorImlEEZNS1_24adjacent_difference_implIS3_Lb1ELb0EPKxPxN6thrust23THRUST_200600_302600_NS4plusIxEEEE10hipError_tPvRmT2_T3_mT4_P12ihipStream_tbEUlmE_xEESD_NS0_8identityIvEEEESI_SL_SM_mSN_SP_bEUlT_E_NS1_11comp_targetILNS1_3genE5ELNS1_11target_archE942ELNS1_3gpuE9ELNS1_3repE0EEENS1_30default_config_static_selectorELNS0_4arch9wavefront6targetE1EEEvT1_,@function
_ZN7rocprim17ROCPRIM_400000_NS6detail17trampoline_kernelINS0_14default_configENS1_25transform_config_selectorIxLb0EEEZNS1_14transform_implILb0ES3_S5_NS0_18transform_iteratorINS0_17counting_iteratorImlEEZNS1_24adjacent_difference_implIS3_Lb1ELb0EPKxPxN6thrust23THRUST_200600_302600_NS4plusIxEEEE10hipError_tPvRmT2_T3_mT4_P12ihipStream_tbEUlmE_xEESD_NS0_8identityIvEEEESI_SL_SM_mSN_SP_bEUlT_E_NS1_11comp_targetILNS1_3genE5ELNS1_11target_archE942ELNS1_3gpuE9ELNS1_3repE0EEENS1_30default_config_static_selectorELNS0_4arch9wavefront6targetE1EEEvT1_: ; @_ZN7rocprim17ROCPRIM_400000_NS6detail17trampoline_kernelINS0_14default_configENS1_25transform_config_selectorIxLb0EEEZNS1_14transform_implILb0ES3_S5_NS0_18transform_iteratorINS0_17counting_iteratorImlEEZNS1_24adjacent_difference_implIS3_Lb1ELb0EPKxPxN6thrust23THRUST_200600_302600_NS4plusIxEEEE10hipError_tPvRmT2_T3_mT4_P12ihipStream_tbEUlmE_xEESD_NS0_8identityIvEEEESI_SL_SM_mSN_SP_bEUlT_E_NS1_11comp_targetILNS1_3genE5ELNS1_11target_archE942ELNS1_3gpuE9ELNS1_3repE0EEENS1_30default_config_static_selectorELNS0_4arch9wavefront6targetE1EEEvT1_
; %bb.0:
	.section	.rodata,"a",@progbits
	.p2align	6, 0x0
	.amdhsa_kernel _ZN7rocprim17ROCPRIM_400000_NS6detail17trampoline_kernelINS0_14default_configENS1_25transform_config_selectorIxLb0EEEZNS1_14transform_implILb0ES3_S5_NS0_18transform_iteratorINS0_17counting_iteratorImlEEZNS1_24adjacent_difference_implIS3_Lb1ELb0EPKxPxN6thrust23THRUST_200600_302600_NS4plusIxEEEE10hipError_tPvRmT2_T3_mT4_P12ihipStream_tbEUlmE_xEESD_NS0_8identityIvEEEESI_SL_SM_mSN_SP_bEUlT_E_NS1_11comp_targetILNS1_3genE5ELNS1_11target_archE942ELNS1_3gpuE9ELNS1_3repE0EEENS1_30default_config_static_selectorELNS0_4arch9wavefront6targetE1EEEvT1_
		.amdhsa_group_segment_fixed_size 0
		.amdhsa_private_segment_fixed_size 0
		.amdhsa_kernarg_size 56
		.amdhsa_user_sgpr_count 6
		.amdhsa_user_sgpr_private_segment_buffer 1
		.amdhsa_user_sgpr_dispatch_ptr 0
		.amdhsa_user_sgpr_queue_ptr 0
		.amdhsa_user_sgpr_kernarg_segment_ptr 1
		.amdhsa_user_sgpr_dispatch_id 0
		.amdhsa_user_sgpr_flat_scratch_init 0
		.amdhsa_user_sgpr_private_segment_size 0
		.amdhsa_uses_dynamic_stack 0
		.amdhsa_system_sgpr_private_segment_wavefront_offset 0
		.amdhsa_system_sgpr_workgroup_id_x 1
		.amdhsa_system_sgpr_workgroup_id_y 0
		.amdhsa_system_sgpr_workgroup_id_z 0
		.amdhsa_system_sgpr_workgroup_info 0
		.amdhsa_system_vgpr_workitem_id 0
		.amdhsa_next_free_vgpr 1
		.amdhsa_next_free_sgpr 0
		.amdhsa_reserve_vcc 0
		.amdhsa_reserve_flat_scratch 0
		.amdhsa_float_round_mode_32 0
		.amdhsa_float_round_mode_16_64 0
		.amdhsa_float_denorm_mode_32 3
		.amdhsa_float_denorm_mode_16_64 3
		.amdhsa_dx10_clamp 1
		.amdhsa_ieee_mode 1
		.amdhsa_fp16_overflow 0
		.amdhsa_exception_fp_ieee_invalid_op 0
		.amdhsa_exception_fp_denorm_src 0
		.amdhsa_exception_fp_ieee_div_zero 0
		.amdhsa_exception_fp_ieee_overflow 0
		.amdhsa_exception_fp_ieee_underflow 0
		.amdhsa_exception_fp_ieee_inexact 0
		.amdhsa_exception_int_div_zero 0
	.end_amdhsa_kernel
	.section	.text._ZN7rocprim17ROCPRIM_400000_NS6detail17trampoline_kernelINS0_14default_configENS1_25transform_config_selectorIxLb0EEEZNS1_14transform_implILb0ES3_S5_NS0_18transform_iteratorINS0_17counting_iteratorImlEEZNS1_24adjacent_difference_implIS3_Lb1ELb0EPKxPxN6thrust23THRUST_200600_302600_NS4plusIxEEEE10hipError_tPvRmT2_T3_mT4_P12ihipStream_tbEUlmE_xEESD_NS0_8identityIvEEEESI_SL_SM_mSN_SP_bEUlT_E_NS1_11comp_targetILNS1_3genE5ELNS1_11target_archE942ELNS1_3gpuE9ELNS1_3repE0EEENS1_30default_config_static_selectorELNS0_4arch9wavefront6targetE1EEEvT1_,"axG",@progbits,_ZN7rocprim17ROCPRIM_400000_NS6detail17trampoline_kernelINS0_14default_configENS1_25transform_config_selectorIxLb0EEEZNS1_14transform_implILb0ES3_S5_NS0_18transform_iteratorINS0_17counting_iteratorImlEEZNS1_24adjacent_difference_implIS3_Lb1ELb0EPKxPxN6thrust23THRUST_200600_302600_NS4plusIxEEEE10hipError_tPvRmT2_T3_mT4_P12ihipStream_tbEUlmE_xEESD_NS0_8identityIvEEEESI_SL_SM_mSN_SP_bEUlT_E_NS1_11comp_targetILNS1_3genE5ELNS1_11target_archE942ELNS1_3gpuE9ELNS1_3repE0EEENS1_30default_config_static_selectorELNS0_4arch9wavefront6targetE1EEEvT1_,comdat
.Lfunc_end707:
	.size	_ZN7rocprim17ROCPRIM_400000_NS6detail17trampoline_kernelINS0_14default_configENS1_25transform_config_selectorIxLb0EEEZNS1_14transform_implILb0ES3_S5_NS0_18transform_iteratorINS0_17counting_iteratorImlEEZNS1_24adjacent_difference_implIS3_Lb1ELb0EPKxPxN6thrust23THRUST_200600_302600_NS4plusIxEEEE10hipError_tPvRmT2_T3_mT4_P12ihipStream_tbEUlmE_xEESD_NS0_8identityIvEEEESI_SL_SM_mSN_SP_bEUlT_E_NS1_11comp_targetILNS1_3genE5ELNS1_11target_archE942ELNS1_3gpuE9ELNS1_3repE0EEENS1_30default_config_static_selectorELNS0_4arch9wavefront6targetE1EEEvT1_, .Lfunc_end707-_ZN7rocprim17ROCPRIM_400000_NS6detail17trampoline_kernelINS0_14default_configENS1_25transform_config_selectorIxLb0EEEZNS1_14transform_implILb0ES3_S5_NS0_18transform_iteratorINS0_17counting_iteratorImlEEZNS1_24adjacent_difference_implIS3_Lb1ELb0EPKxPxN6thrust23THRUST_200600_302600_NS4plusIxEEEE10hipError_tPvRmT2_T3_mT4_P12ihipStream_tbEUlmE_xEESD_NS0_8identityIvEEEESI_SL_SM_mSN_SP_bEUlT_E_NS1_11comp_targetILNS1_3genE5ELNS1_11target_archE942ELNS1_3gpuE9ELNS1_3repE0EEENS1_30default_config_static_selectorELNS0_4arch9wavefront6targetE1EEEvT1_
                                        ; -- End function
	.set _ZN7rocprim17ROCPRIM_400000_NS6detail17trampoline_kernelINS0_14default_configENS1_25transform_config_selectorIxLb0EEEZNS1_14transform_implILb0ES3_S5_NS0_18transform_iteratorINS0_17counting_iteratorImlEEZNS1_24adjacent_difference_implIS3_Lb1ELb0EPKxPxN6thrust23THRUST_200600_302600_NS4plusIxEEEE10hipError_tPvRmT2_T3_mT4_P12ihipStream_tbEUlmE_xEESD_NS0_8identityIvEEEESI_SL_SM_mSN_SP_bEUlT_E_NS1_11comp_targetILNS1_3genE5ELNS1_11target_archE942ELNS1_3gpuE9ELNS1_3repE0EEENS1_30default_config_static_selectorELNS0_4arch9wavefront6targetE1EEEvT1_.num_vgpr, 0
	.set _ZN7rocprim17ROCPRIM_400000_NS6detail17trampoline_kernelINS0_14default_configENS1_25transform_config_selectorIxLb0EEEZNS1_14transform_implILb0ES3_S5_NS0_18transform_iteratorINS0_17counting_iteratorImlEEZNS1_24adjacent_difference_implIS3_Lb1ELb0EPKxPxN6thrust23THRUST_200600_302600_NS4plusIxEEEE10hipError_tPvRmT2_T3_mT4_P12ihipStream_tbEUlmE_xEESD_NS0_8identityIvEEEESI_SL_SM_mSN_SP_bEUlT_E_NS1_11comp_targetILNS1_3genE5ELNS1_11target_archE942ELNS1_3gpuE9ELNS1_3repE0EEENS1_30default_config_static_selectorELNS0_4arch9wavefront6targetE1EEEvT1_.num_agpr, 0
	.set _ZN7rocprim17ROCPRIM_400000_NS6detail17trampoline_kernelINS0_14default_configENS1_25transform_config_selectorIxLb0EEEZNS1_14transform_implILb0ES3_S5_NS0_18transform_iteratorINS0_17counting_iteratorImlEEZNS1_24adjacent_difference_implIS3_Lb1ELb0EPKxPxN6thrust23THRUST_200600_302600_NS4plusIxEEEE10hipError_tPvRmT2_T3_mT4_P12ihipStream_tbEUlmE_xEESD_NS0_8identityIvEEEESI_SL_SM_mSN_SP_bEUlT_E_NS1_11comp_targetILNS1_3genE5ELNS1_11target_archE942ELNS1_3gpuE9ELNS1_3repE0EEENS1_30default_config_static_selectorELNS0_4arch9wavefront6targetE1EEEvT1_.numbered_sgpr, 0
	.set _ZN7rocprim17ROCPRIM_400000_NS6detail17trampoline_kernelINS0_14default_configENS1_25transform_config_selectorIxLb0EEEZNS1_14transform_implILb0ES3_S5_NS0_18transform_iteratorINS0_17counting_iteratorImlEEZNS1_24adjacent_difference_implIS3_Lb1ELb0EPKxPxN6thrust23THRUST_200600_302600_NS4plusIxEEEE10hipError_tPvRmT2_T3_mT4_P12ihipStream_tbEUlmE_xEESD_NS0_8identityIvEEEESI_SL_SM_mSN_SP_bEUlT_E_NS1_11comp_targetILNS1_3genE5ELNS1_11target_archE942ELNS1_3gpuE9ELNS1_3repE0EEENS1_30default_config_static_selectorELNS0_4arch9wavefront6targetE1EEEvT1_.num_named_barrier, 0
	.set _ZN7rocprim17ROCPRIM_400000_NS6detail17trampoline_kernelINS0_14default_configENS1_25transform_config_selectorIxLb0EEEZNS1_14transform_implILb0ES3_S5_NS0_18transform_iteratorINS0_17counting_iteratorImlEEZNS1_24adjacent_difference_implIS3_Lb1ELb0EPKxPxN6thrust23THRUST_200600_302600_NS4plusIxEEEE10hipError_tPvRmT2_T3_mT4_P12ihipStream_tbEUlmE_xEESD_NS0_8identityIvEEEESI_SL_SM_mSN_SP_bEUlT_E_NS1_11comp_targetILNS1_3genE5ELNS1_11target_archE942ELNS1_3gpuE9ELNS1_3repE0EEENS1_30default_config_static_selectorELNS0_4arch9wavefront6targetE1EEEvT1_.private_seg_size, 0
	.set _ZN7rocprim17ROCPRIM_400000_NS6detail17trampoline_kernelINS0_14default_configENS1_25transform_config_selectorIxLb0EEEZNS1_14transform_implILb0ES3_S5_NS0_18transform_iteratorINS0_17counting_iteratorImlEEZNS1_24adjacent_difference_implIS3_Lb1ELb0EPKxPxN6thrust23THRUST_200600_302600_NS4plusIxEEEE10hipError_tPvRmT2_T3_mT4_P12ihipStream_tbEUlmE_xEESD_NS0_8identityIvEEEESI_SL_SM_mSN_SP_bEUlT_E_NS1_11comp_targetILNS1_3genE5ELNS1_11target_archE942ELNS1_3gpuE9ELNS1_3repE0EEENS1_30default_config_static_selectorELNS0_4arch9wavefront6targetE1EEEvT1_.uses_vcc, 0
	.set _ZN7rocprim17ROCPRIM_400000_NS6detail17trampoline_kernelINS0_14default_configENS1_25transform_config_selectorIxLb0EEEZNS1_14transform_implILb0ES3_S5_NS0_18transform_iteratorINS0_17counting_iteratorImlEEZNS1_24adjacent_difference_implIS3_Lb1ELb0EPKxPxN6thrust23THRUST_200600_302600_NS4plusIxEEEE10hipError_tPvRmT2_T3_mT4_P12ihipStream_tbEUlmE_xEESD_NS0_8identityIvEEEESI_SL_SM_mSN_SP_bEUlT_E_NS1_11comp_targetILNS1_3genE5ELNS1_11target_archE942ELNS1_3gpuE9ELNS1_3repE0EEENS1_30default_config_static_selectorELNS0_4arch9wavefront6targetE1EEEvT1_.uses_flat_scratch, 0
	.set _ZN7rocprim17ROCPRIM_400000_NS6detail17trampoline_kernelINS0_14default_configENS1_25transform_config_selectorIxLb0EEEZNS1_14transform_implILb0ES3_S5_NS0_18transform_iteratorINS0_17counting_iteratorImlEEZNS1_24adjacent_difference_implIS3_Lb1ELb0EPKxPxN6thrust23THRUST_200600_302600_NS4plusIxEEEE10hipError_tPvRmT2_T3_mT4_P12ihipStream_tbEUlmE_xEESD_NS0_8identityIvEEEESI_SL_SM_mSN_SP_bEUlT_E_NS1_11comp_targetILNS1_3genE5ELNS1_11target_archE942ELNS1_3gpuE9ELNS1_3repE0EEENS1_30default_config_static_selectorELNS0_4arch9wavefront6targetE1EEEvT1_.has_dyn_sized_stack, 0
	.set _ZN7rocprim17ROCPRIM_400000_NS6detail17trampoline_kernelINS0_14default_configENS1_25transform_config_selectorIxLb0EEEZNS1_14transform_implILb0ES3_S5_NS0_18transform_iteratorINS0_17counting_iteratorImlEEZNS1_24adjacent_difference_implIS3_Lb1ELb0EPKxPxN6thrust23THRUST_200600_302600_NS4plusIxEEEE10hipError_tPvRmT2_T3_mT4_P12ihipStream_tbEUlmE_xEESD_NS0_8identityIvEEEESI_SL_SM_mSN_SP_bEUlT_E_NS1_11comp_targetILNS1_3genE5ELNS1_11target_archE942ELNS1_3gpuE9ELNS1_3repE0EEENS1_30default_config_static_selectorELNS0_4arch9wavefront6targetE1EEEvT1_.has_recursion, 0
	.set _ZN7rocprim17ROCPRIM_400000_NS6detail17trampoline_kernelINS0_14default_configENS1_25transform_config_selectorIxLb0EEEZNS1_14transform_implILb0ES3_S5_NS0_18transform_iteratorINS0_17counting_iteratorImlEEZNS1_24adjacent_difference_implIS3_Lb1ELb0EPKxPxN6thrust23THRUST_200600_302600_NS4plusIxEEEE10hipError_tPvRmT2_T3_mT4_P12ihipStream_tbEUlmE_xEESD_NS0_8identityIvEEEESI_SL_SM_mSN_SP_bEUlT_E_NS1_11comp_targetILNS1_3genE5ELNS1_11target_archE942ELNS1_3gpuE9ELNS1_3repE0EEENS1_30default_config_static_selectorELNS0_4arch9wavefront6targetE1EEEvT1_.has_indirect_call, 0
	.section	.AMDGPU.csdata,"",@progbits
; Kernel info:
; codeLenInByte = 0
; TotalNumSgprs: 4
; NumVgprs: 0
; ScratchSize: 0
; MemoryBound: 0
; FloatMode: 240
; IeeeMode: 1
; LDSByteSize: 0 bytes/workgroup (compile time only)
; SGPRBlocks: 0
; VGPRBlocks: 0
; NumSGPRsForWavesPerEU: 4
; NumVGPRsForWavesPerEU: 1
; Occupancy: 10
; WaveLimiterHint : 0
; COMPUTE_PGM_RSRC2:SCRATCH_EN: 0
; COMPUTE_PGM_RSRC2:USER_SGPR: 6
; COMPUTE_PGM_RSRC2:TRAP_HANDLER: 0
; COMPUTE_PGM_RSRC2:TGID_X_EN: 1
; COMPUTE_PGM_RSRC2:TGID_Y_EN: 0
; COMPUTE_PGM_RSRC2:TGID_Z_EN: 0
; COMPUTE_PGM_RSRC2:TIDIG_COMP_CNT: 0
	.section	.text._ZN7rocprim17ROCPRIM_400000_NS6detail17trampoline_kernelINS0_14default_configENS1_25transform_config_selectorIxLb0EEEZNS1_14transform_implILb0ES3_S5_NS0_18transform_iteratorINS0_17counting_iteratorImlEEZNS1_24adjacent_difference_implIS3_Lb1ELb0EPKxPxN6thrust23THRUST_200600_302600_NS4plusIxEEEE10hipError_tPvRmT2_T3_mT4_P12ihipStream_tbEUlmE_xEESD_NS0_8identityIvEEEESI_SL_SM_mSN_SP_bEUlT_E_NS1_11comp_targetILNS1_3genE4ELNS1_11target_archE910ELNS1_3gpuE8ELNS1_3repE0EEENS1_30default_config_static_selectorELNS0_4arch9wavefront6targetE1EEEvT1_,"axG",@progbits,_ZN7rocprim17ROCPRIM_400000_NS6detail17trampoline_kernelINS0_14default_configENS1_25transform_config_selectorIxLb0EEEZNS1_14transform_implILb0ES3_S5_NS0_18transform_iteratorINS0_17counting_iteratorImlEEZNS1_24adjacent_difference_implIS3_Lb1ELb0EPKxPxN6thrust23THRUST_200600_302600_NS4plusIxEEEE10hipError_tPvRmT2_T3_mT4_P12ihipStream_tbEUlmE_xEESD_NS0_8identityIvEEEESI_SL_SM_mSN_SP_bEUlT_E_NS1_11comp_targetILNS1_3genE4ELNS1_11target_archE910ELNS1_3gpuE8ELNS1_3repE0EEENS1_30default_config_static_selectorELNS0_4arch9wavefront6targetE1EEEvT1_,comdat
	.protected	_ZN7rocprim17ROCPRIM_400000_NS6detail17trampoline_kernelINS0_14default_configENS1_25transform_config_selectorIxLb0EEEZNS1_14transform_implILb0ES3_S5_NS0_18transform_iteratorINS0_17counting_iteratorImlEEZNS1_24adjacent_difference_implIS3_Lb1ELb0EPKxPxN6thrust23THRUST_200600_302600_NS4plusIxEEEE10hipError_tPvRmT2_T3_mT4_P12ihipStream_tbEUlmE_xEESD_NS0_8identityIvEEEESI_SL_SM_mSN_SP_bEUlT_E_NS1_11comp_targetILNS1_3genE4ELNS1_11target_archE910ELNS1_3gpuE8ELNS1_3repE0EEENS1_30default_config_static_selectorELNS0_4arch9wavefront6targetE1EEEvT1_ ; -- Begin function _ZN7rocprim17ROCPRIM_400000_NS6detail17trampoline_kernelINS0_14default_configENS1_25transform_config_selectorIxLb0EEEZNS1_14transform_implILb0ES3_S5_NS0_18transform_iteratorINS0_17counting_iteratorImlEEZNS1_24adjacent_difference_implIS3_Lb1ELb0EPKxPxN6thrust23THRUST_200600_302600_NS4plusIxEEEE10hipError_tPvRmT2_T3_mT4_P12ihipStream_tbEUlmE_xEESD_NS0_8identityIvEEEESI_SL_SM_mSN_SP_bEUlT_E_NS1_11comp_targetILNS1_3genE4ELNS1_11target_archE910ELNS1_3gpuE8ELNS1_3repE0EEENS1_30default_config_static_selectorELNS0_4arch9wavefront6targetE1EEEvT1_
	.globl	_ZN7rocprim17ROCPRIM_400000_NS6detail17trampoline_kernelINS0_14default_configENS1_25transform_config_selectorIxLb0EEEZNS1_14transform_implILb0ES3_S5_NS0_18transform_iteratorINS0_17counting_iteratorImlEEZNS1_24adjacent_difference_implIS3_Lb1ELb0EPKxPxN6thrust23THRUST_200600_302600_NS4plusIxEEEE10hipError_tPvRmT2_T3_mT4_P12ihipStream_tbEUlmE_xEESD_NS0_8identityIvEEEESI_SL_SM_mSN_SP_bEUlT_E_NS1_11comp_targetILNS1_3genE4ELNS1_11target_archE910ELNS1_3gpuE8ELNS1_3repE0EEENS1_30default_config_static_selectorELNS0_4arch9wavefront6targetE1EEEvT1_
	.p2align	8
	.type	_ZN7rocprim17ROCPRIM_400000_NS6detail17trampoline_kernelINS0_14default_configENS1_25transform_config_selectorIxLb0EEEZNS1_14transform_implILb0ES3_S5_NS0_18transform_iteratorINS0_17counting_iteratorImlEEZNS1_24adjacent_difference_implIS3_Lb1ELb0EPKxPxN6thrust23THRUST_200600_302600_NS4plusIxEEEE10hipError_tPvRmT2_T3_mT4_P12ihipStream_tbEUlmE_xEESD_NS0_8identityIvEEEESI_SL_SM_mSN_SP_bEUlT_E_NS1_11comp_targetILNS1_3genE4ELNS1_11target_archE910ELNS1_3gpuE8ELNS1_3repE0EEENS1_30default_config_static_selectorELNS0_4arch9wavefront6targetE1EEEvT1_,@function
_ZN7rocprim17ROCPRIM_400000_NS6detail17trampoline_kernelINS0_14default_configENS1_25transform_config_selectorIxLb0EEEZNS1_14transform_implILb0ES3_S5_NS0_18transform_iteratorINS0_17counting_iteratorImlEEZNS1_24adjacent_difference_implIS3_Lb1ELb0EPKxPxN6thrust23THRUST_200600_302600_NS4plusIxEEEE10hipError_tPvRmT2_T3_mT4_P12ihipStream_tbEUlmE_xEESD_NS0_8identityIvEEEESI_SL_SM_mSN_SP_bEUlT_E_NS1_11comp_targetILNS1_3genE4ELNS1_11target_archE910ELNS1_3gpuE8ELNS1_3repE0EEENS1_30default_config_static_selectorELNS0_4arch9wavefront6targetE1EEEvT1_: ; @_ZN7rocprim17ROCPRIM_400000_NS6detail17trampoline_kernelINS0_14default_configENS1_25transform_config_selectorIxLb0EEEZNS1_14transform_implILb0ES3_S5_NS0_18transform_iteratorINS0_17counting_iteratorImlEEZNS1_24adjacent_difference_implIS3_Lb1ELb0EPKxPxN6thrust23THRUST_200600_302600_NS4plusIxEEEE10hipError_tPvRmT2_T3_mT4_P12ihipStream_tbEUlmE_xEESD_NS0_8identityIvEEEESI_SL_SM_mSN_SP_bEUlT_E_NS1_11comp_targetILNS1_3genE4ELNS1_11target_archE910ELNS1_3gpuE8ELNS1_3repE0EEENS1_30default_config_static_selectorELNS0_4arch9wavefront6targetE1EEEvT1_
; %bb.0:
	.section	.rodata,"a",@progbits
	.p2align	6, 0x0
	.amdhsa_kernel _ZN7rocprim17ROCPRIM_400000_NS6detail17trampoline_kernelINS0_14default_configENS1_25transform_config_selectorIxLb0EEEZNS1_14transform_implILb0ES3_S5_NS0_18transform_iteratorINS0_17counting_iteratorImlEEZNS1_24adjacent_difference_implIS3_Lb1ELb0EPKxPxN6thrust23THRUST_200600_302600_NS4plusIxEEEE10hipError_tPvRmT2_T3_mT4_P12ihipStream_tbEUlmE_xEESD_NS0_8identityIvEEEESI_SL_SM_mSN_SP_bEUlT_E_NS1_11comp_targetILNS1_3genE4ELNS1_11target_archE910ELNS1_3gpuE8ELNS1_3repE0EEENS1_30default_config_static_selectorELNS0_4arch9wavefront6targetE1EEEvT1_
		.amdhsa_group_segment_fixed_size 0
		.amdhsa_private_segment_fixed_size 0
		.amdhsa_kernarg_size 56
		.amdhsa_user_sgpr_count 6
		.amdhsa_user_sgpr_private_segment_buffer 1
		.amdhsa_user_sgpr_dispatch_ptr 0
		.amdhsa_user_sgpr_queue_ptr 0
		.amdhsa_user_sgpr_kernarg_segment_ptr 1
		.amdhsa_user_sgpr_dispatch_id 0
		.amdhsa_user_sgpr_flat_scratch_init 0
		.amdhsa_user_sgpr_private_segment_size 0
		.amdhsa_uses_dynamic_stack 0
		.amdhsa_system_sgpr_private_segment_wavefront_offset 0
		.amdhsa_system_sgpr_workgroup_id_x 1
		.amdhsa_system_sgpr_workgroup_id_y 0
		.amdhsa_system_sgpr_workgroup_id_z 0
		.amdhsa_system_sgpr_workgroup_info 0
		.amdhsa_system_vgpr_workitem_id 0
		.amdhsa_next_free_vgpr 1
		.amdhsa_next_free_sgpr 0
		.amdhsa_reserve_vcc 0
		.amdhsa_reserve_flat_scratch 0
		.amdhsa_float_round_mode_32 0
		.amdhsa_float_round_mode_16_64 0
		.amdhsa_float_denorm_mode_32 3
		.amdhsa_float_denorm_mode_16_64 3
		.amdhsa_dx10_clamp 1
		.amdhsa_ieee_mode 1
		.amdhsa_fp16_overflow 0
		.amdhsa_exception_fp_ieee_invalid_op 0
		.amdhsa_exception_fp_denorm_src 0
		.amdhsa_exception_fp_ieee_div_zero 0
		.amdhsa_exception_fp_ieee_overflow 0
		.amdhsa_exception_fp_ieee_underflow 0
		.amdhsa_exception_fp_ieee_inexact 0
		.amdhsa_exception_int_div_zero 0
	.end_amdhsa_kernel
	.section	.text._ZN7rocprim17ROCPRIM_400000_NS6detail17trampoline_kernelINS0_14default_configENS1_25transform_config_selectorIxLb0EEEZNS1_14transform_implILb0ES3_S5_NS0_18transform_iteratorINS0_17counting_iteratorImlEEZNS1_24adjacent_difference_implIS3_Lb1ELb0EPKxPxN6thrust23THRUST_200600_302600_NS4plusIxEEEE10hipError_tPvRmT2_T3_mT4_P12ihipStream_tbEUlmE_xEESD_NS0_8identityIvEEEESI_SL_SM_mSN_SP_bEUlT_E_NS1_11comp_targetILNS1_3genE4ELNS1_11target_archE910ELNS1_3gpuE8ELNS1_3repE0EEENS1_30default_config_static_selectorELNS0_4arch9wavefront6targetE1EEEvT1_,"axG",@progbits,_ZN7rocprim17ROCPRIM_400000_NS6detail17trampoline_kernelINS0_14default_configENS1_25transform_config_selectorIxLb0EEEZNS1_14transform_implILb0ES3_S5_NS0_18transform_iteratorINS0_17counting_iteratorImlEEZNS1_24adjacent_difference_implIS3_Lb1ELb0EPKxPxN6thrust23THRUST_200600_302600_NS4plusIxEEEE10hipError_tPvRmT2_T3_mT4_P12ihipStream_tbEUlmE_xEESD_NS0_8identityIvEEEESI_SL_SM_mSN_SP_bEUlT_E_NS1_11comp_targetILNS1_3genE4ELNS1_11target_archE910ELNS1_3gpuE8ELNS1_3repE0EEENS1_30default_config_static_selectorELNS0_4arch9wavefront6targetE1EEEvT1_,comdat
.Lfunc_end708:
	.size	_ZN7rocprim17ROCPRIM_400000_NS6detail17trampoline_kernelINS0_14default_configENS1_25transform_config_selectorIxLb0EEEZNS1_14transform_implILb0ES3_S5_NS0_18transform_iteratorINS0_17counting_iteratorImlEEZNS1_24adjacent_difference_implIS3_Lb1ELb0EPKxPxN6thrust23THRUST_200600_302600_NS4plusIxEEEE10hipError_tPvRmT2_T3_mT4_P12ihipStream_tbEUlmE_xEESD_NS0_8identityIvEEEESI_SL_SM_mSN_SP_bEUlT_E_NS1_11comp_targetILNS1_3genE4ELNS1_11target_archE910ELNS1_3gpuE8ELNS1_3repE0EEENS1_30default_config_static_selectorELNS0_4arch9wavefront6targetE1EEEvT1_, .Lfunc_end708-_ZN7rocprim17ROCPRIM_400000_NS6detail17trampoline_kernelINS0_14default_configENS1_25transform_config_selectorIxLb0EEEZNS1_14transform_implILb0ES3_S5_NS0_18transform_iteratorINS0_17counting_iteratorImlEEZNS1_24adjacent_difference_implIS3_Lb1ELb0EPKxPxN6thrust23THRUST_200600_302600_NS4plusIxEEEE10hipError_tPvRmT2_T3_mT4_P12ihipStream_tbEUlmE_xEESD_NS0_8identityIvEEEESI_SL_SM_mSN_SP_bEUlT_E_NS1_11comp_targetILNS1_3genE4ELNS1_11target_archE910ELNS1_3gpuE8ELNS1_3repE0EEENS1_30default_config_static_selectorELNS0_4arch9wavefront6targetE1EEEvT1_
                                        ; -- End function
	.set _ZN7rocprim17ROCPRIM_400000_NS6detail17trampoline_kernelINS0_14default_configENS1_25transform_config_selectorIxLb0EEEZNS1_14transform_implILb0ES3_S5_NS0_18transform_iteratorINS0_17counting_iteratorImlEEZNS1_24adjacent_difference_implIS3_Lb1ELb0EPKxPxN6thrust23THRUST_200600_302600_NS4plusIxEEEE10hipError_tPvRmT2_T3_mT4_P12ihipStream_tbEUlmE_xEESD_NS0_8identityIvEEEESI_SL_SM_mSN_SP_bEUlT_E_NS1_11comp_targetILNS1_3genE4ELNS1_11target_archE910ELNS1_3gpuE8ELNS1_3repE0EEENS1_30default_config_static_selectorELNS0_4arch9wavefront6targetE1EEEvT1_.num_vgpr, 0
	.set _ZN7rocprim17ROCPRIM_400000_NS6detail17trampoline_kernelINS0_14default_configENS1_25transform_config_selectorIxLb0EEEZNS1_14transform_implILb0ES3_S5_NS0_18transform_iteratorINS0_17counting_iteratorImlEEZNS1_24adjacent_difference_implIS3_Lb1ELb0EPKxPxN6thrust23THRUST_200600_302600_NS4plusIxEEEE10hipError_tPvRmT2_T3_mT4_P12ihipStream_tbEUlmE_xEESD_NS0_8identityIvEEEESI_SL_SM_mSN_SP_bEUlT_E_NS1_11comp_targetILNS1_3genE4ELNS1_11target_archE910ELNS1_3gpuE8ELNS1_3repE0EEENS1_30default_config_static_selectorELNS0_4arch9wavefront6targetE1EEEvT1_.num_agpr, 0
	.set _ZN7rocprim17ROCPRIM_400000_NS6detail17trampoline_kernelINS0_14default_configENS1_25transform_config_selectorIxLb0EEEZNS1_14transform_implILb0ES3_S5_NS0_18transform_iteratorINS0_17counting_iteratorImlEEZNS1_24adjacent_difference_implIS3_Lb1ELb0EPKxPxN6thrust23THRUST_200600_302600_NS4plusIxEEEE10hipError_tPvRmT2_T3_mT4_P12ihipStream_tbEUlmE_xEESD_NS0_8identityIvEEEESI_SL_SM_mSN_SP_bEUlT_E_NS1_11comp_targetILNS1_3genE4ELNS1_11target_archE910ELNS1_3gpuE8ELNS1_3repE0EEENS1_30default_config_static_selectorELNS0_4arch9wavefront6targetE1EEEvT1_.numbered_sgpr, 0
	.set _ZN7rocprim17ROCPRIM_400000_NS6detail17trampoline_kernelINS0_14default_configENS1_25transform_config_selectorIxLb0EEEZNS1_14transform_implILb0ES3_S5_NS0_18transform_iteratorINS0_17counting_iteratorImlEEZNS1_24adjacent_difference_implIS3_Lb1ELb0EPKxPxN6thrust23THRUST_200600_302600_NS4plusIxEEEE10hipError_tPvRmT2_T3_mT4_P12ihipStream_tbEUlmE_xEESD_NS0_8identityIvEEEESI_SL_SM_mSN_SP_bEUlT_E_NS1_11comp_targetILNS1_3genE4ELNS1_11target_archE910ELNS1_3gpuE8ELNS1_3repE0EEENS1_30default_config_static_selectorELNS0_4arch9wavefront6targetE1EEEvT1_.num_named_barrier, 0
	.set _ZN7rocprim17ROCPRIM_400000_NS6detail17trampoline_kernelINS0_14default_configENS1_25transform_config_selectorIxLb0EEEZNS1_14transform_implILb0ES3_S5_NS0_18transform_iteratorINS0_17counting_iteratorImlEEZNS1_24adjacent_difference_implIS3_Lb1ELb0EPKxPxN6thrust23THRUST_200600_302600_NS4plusIxEEEE10hipError_tPvRmT2_T3_mT4_P12ihipStream_tbEUlmE_xEESD_NS0_8identityIvEEEESI_SL_SM_mSN_SP_bEUlT_E_NS1_11comp_targetILNS1_3genE4ELNS1_11target_archE910ELNS1_3gpuE8ELNS1_3repE0EEENS1_30default_config_static_selectorELNS0_4arch9wavefront6targetE1EEEvT1_.private_seg_size, 0
	.set _ZN7rocprim17ROCPRIM_400000_NS6detail17trampoline_kernelINS0_14default_configENS1_25transform_config_selectorIxLb0EEEZNS1_14transform_implILb0ES3_S5_NS0_18transform_iteratorINS0_17counting_iteratorImlEEZNS1_24adjacent_difference_implIS3_Lb1ELb0EPKxPxN6thrust23THRUST_200600_302600_NS4plusIxEEEE10hipError_tPvRmT2_T3_mT4_P12ihipStream_tbEUlmE_xEESD_NS0_8identityIvEEEESI_SL_SM_mSN_SP_bEUlT_E_NS1_11comp_targetILNS1_3genE4ELNS1_11target_archE910ELNS1_3gpuE8ELNS1_3repE0EEENS1_30default_config_static_selectorELNS0_4arch9wavefront6targetE1EEEvT1_.uses_vcc, 0
	.set _ZN7rocprim17ROCPRIM_400000_NS6detail17trampoline_kernelINS0_14default_configENS1_25transform_config_selectorIxLb0EEEZNS1_14transform_implILb0ES3_S5_NS0_18transform_iteratorINS0_17counting_iteratorImlEEZNS1_24adjacent_difference_implIS3_Lb1ELb0EPKxPxN6thrust23THRUST_200600_302600_NS4plusIxEEEE10hipError_tPvRmT2_T3_mT4_P12ihipStream_tbEUlmE_xEESD_NS0_8identityIvEEEESI_SL_SM_mSN_SP_bEUlT_E_NS1_11comp_targetILNS1_3genE4ELNS1_11target_archE910ELNS1_3gpuE8ELNS1_3repE0EEENS1_30default_config_static_selectorELNS0_4arch9wavefront6targetE1EEEvT1_.uses_flat_scratch, 0
	.set _ZN7rocprim17ROCPRIM_400000_NS6detail17trampoline_kernelINS0_14default_configENS1_25transform_config_selectorIxLb0EEEZNS1_14transform_implILb0ES3_S5_NS0_18transform_iteratorINS0_17counting_iteratorImlEEZNS1_24adjacent_difference_implIS3_Lb1ELb0EPKxPxN6thrust23THRUST_200600_302600_NS4plusIxEEEE10hipError_tPvRmT2_T3_mT4_P12ihipStream_tbEUlmE_xEESD_NS0_8identityIvEEEESI_SL_SM_mSN_SP_bEUlT_E_NS1_11comp_targetILNS1_3genE4ELNS1_11target_archE910ELNS1_3gpuE8ELNS1_3repE0EEENS1_30default_config_static_selectorELNS0_4arch9wavefront6targetE1EEEvT1_.has_dyn_sized_stack, 0
	.set _ZN7rocprim17ROCPRIM_400000_NS6detail17trampoline_kernelINS0_14default_configENS1_25transform_config_selectorIxLb0EEEZNS1_14transform_implILb0ES3_S5_NS0_18transform_iteratorINS0_17counting_iteratorImlEEZNS1_24adjacent_difference_implIS3_Lb1ELb0EPKxPxN6thrust23THRUST_200600_302600_NS4plusIxEEEE10hipError_tPvRmT2_T3_mT4_P12ihipStream_tbEUlmE_xEESD_NS0_8identityIvEEEESI_SL_SM_mSN_SP_bEUlT_E_NS1_11comp_targetILNS1_3genE4ELNS1_11target_archE910ELNS1_3gpuE8ELNS1_3repE0EEENS1_30default_config_static_selectorELNS0_4arch9wavefront6targetE1EEEvT1_.has_recursion, 0
	.set _ZN7rocprim17ROCPRIM_400000_NS6detail17trampoline_kernelINS0_14default_configENS1_25transform_config_selectorIxLb0EEEZNS1_14transform_implILb0ES3_S5_NS0_18transform_iteratorINS0_17counting_iteratorImlEEZNS1_24adjacent_difference_implIS3_Lb1ELb0EPKxPxN6thrust23THRUST_200600_302600_NS4plusIxEEEE10hipError_tPvRmT2_T3_mT4_P12ihipStream_tbEUlmE_xEESD_NS0_8identityIvEEEESI_SL_SM_mSN_SP_bEUlT_E_NS1_11comp_targetILNS1_3genE4ELNS1_11target_archE910ELNS1_3gpuE8ELNS1_3repE0EEENS1_30default_config_static_selectorELNS0_4arch9wavefront6targetE1EEEvT1_.has_indirect_call, 0
	.section	.AMDGPU.csdata,"",@progbits
; Kernel info:
; codeLenInByte = 0
; TotalNumSgprs: 4
; NumVgprs: 0
; ScratchSize: 0
; MemoryBound: 0
; FloatMode: 240
; IeeeMode: 1
; LDSByteSize: 0 bytes/workgroup (compile time only)
; SGPRBlocks: 0
; VGPRBlocks: 0
; NumSGPRsForWavesPerEU: 4
; NumVGPRsForWavesPerEU: 1
; Occupancy: 10
; WaveLimiterHint : 0
; COMPUTE_PGM_RSRC2:SCRATCH_EN: 0
; COMPUTE_PGM_RSRC2:USER_SGPR: 6
; COMPUTE_PGM_RSRC2:TRAP_HANDLER: 0
; COMPUTE_PGM_RSRC2:TGID_X_EN: 1
; COMPUTE_PGM_RSRC2:TGID_Y_EN: 0
; COMPUTE_PGM_RSRC2:TGID_Z_EN: 0
; COMPUTE_PGM_RSRC2:TIDIG_COMP_CNT: 0
	.section	.text._ZN7rocprim17ROCPRIM_400000_NS6detail17trampoline_kernelINS0_14default_configENS1_25transform_config_selectorIxLb0EEEZNS1_14transform_implILb0ES3_S5_NS0_18transform_iteratorINS0_17counting_iteratorImlEEZNS1_24adjacent_difference_implIS3_Lb1ELb0EPKxPxN6thrust23THRUST_200600_302600_NS4plusIxEEEE10hipError_tPvRmT2_T3_mT4_P12ihipStream_tbEUlmE_xEESD_NS0_8identityIvEEEESI_SL_SM_mSN_SP_bEUlT_E_NS1_11comp_targetILNS1_3genE3ELNS1_11target_archE908ELNS1_3gpuE7ELNS1_3repE0EEENS1_30default_config_static_selectorELNS0_4arch9wavefront6targetE1EEEvT1_,"axG",@progbits,_ZN7rocprim17ROCPRIM_400000_NS6detail17trampoline_kernelINS0_14default_configENS1_25transform_config_selectorIxLb0EEEZNS1_14transform_implILb0ES3_S5_NS0_18transform_iteratorINS0_17counting_iteratorImlEEZNS1_24adjacent_difference_implIS3_Lb1ELb0EPKxPxN6thrust23THRUST_200600_302600_NS4plusIxEEEE10hipError_tPvRmT2_T3_mT4_P12ihipStream_tbEUlmE_xEESD_NS0_8identityIvEEEESI_SL_SM_mSN_SP_bEUlT_E_NS1_11comp_targetILNS1_3genE3ELNS1_11target_archE908ELNS1_3gpuE7ELNS1_3repE0EEENS1_30default_config_static_selectorELNS0_4arch9wavefront6targetE1EEEvT1_,comdat
	.protected	_ZN7rocprim17ROCPRIM_400000_NS6detail17trampoline_kernelINS0_14default_configENS1_25transform_config_selectorIxLb0EEEZNS1_14transform_implILb0ES3_S5_NS0_18transform_iteratorINS0_17counting_iteratorImlEEZNS1_24adjacent_difference_implIS3_Lb1ELb0EPKxPxN6thrust23THRUST_200600_302600_NS4plusIxEEEE10hipError_tPvRmT2_T3_mT4_P12ihipStream_tbEUlmE_xEESD_NS0_8identityIvEEEESI_SL_SM_mSN_SP_bEUlT_E_NS1_11comp_targetILNS1_3genE3ELNS1_11target_archE908ELNS1_3gpuE7ELNS1_3repE0EEENS1_30default_config_static_selectorELNS0_4arch9wavefront6targetE1EEEvT1_ ; -- Begin function _ZN7rocprim17ROCPRIM_400000_NS6detail17trampoline_kernelINS0_14default_configENS1_25transform_config_selectorIxLb0EEEZNS1_14transform_implILb0ES3_S5_NS0_18transform_iteratorINS0_17counting_iteratorImlEEZNS1_24adjacent_difference_implIS3_Lb1ELb0EPKxPxN6thrust23THRUST_200600_302600_NS4plusIxEEEE10hipError_tPvRmT2_T3_mT4_P12ihipStream_tbEUlmE_xEESD_NS0_8identityIvEEEESI_SL_SM_mSN_SP_bEUlT_E_NS1_11comp_targetILNS1_3genE3ELNS1_11target_archE908ELNS1_3gpuE7ELNS1_3repE0EEENS1_30default_config_static_selectorELNS0_4arch9wavefront6targetE1EEEvT1_
	.globl	_ZN7rocprim17ROCPRIM_400000_NS6detail17trampoline_kernelINS0_14default_configENS1_25transform_config_selectorIxLb0EEEZNS1_14transform_implILb0ES3_S5_NS0_18transform_iteratorINS0_17counting_iteratorImlEEZNS1_24adjacent_difference_implIS3_Lb1ELb0EPKxPxN6thrust23THRUST_200600_302600_NS4plusIxEEEE10hipError_tPvRmT2_T3_mT4_P12ihipStream_tbEUlmE_xEESD_NS0_8identityIvEEEESI_SL_SM_mSN_SP_bEUlT_E_NS1_11comp_targetILNS1_3genE3ELNS1_11target_archE908ELNS1_3gpuE7ELNS1_3repE0EEENS1_30default_config_static_selectorELNS0_4arch9wavefront6targetE1EEEvT1_
	.p2align	8
	.type	_ZN7rocprim17ROCPRIM_400000_NS6detail17trampoline_kernelINS0_14default_configENS1_25transform_config_selectorIxLb0EEEZNS1_14transform_implILb0ES3_S5_NS0_18transform_iteratorINS0_17counting_iteratorImlEEZNS1_24adjacent_difference_implIS3_Lb1ELb0EPKxPxN6thrust23THRUST_200600_302600_NS4plusIxEEEE10hipError_tPvRmT2_T3_mT4_P12ihipStream_tbEUlmE_xEESD_NS0_8identityIvEEEESI_SL_SM_mSN_SP_bEUlT_E_NS1_11comp_targetILNS1_3genE3ELNS1_11target_archE908ELNS1_3gpuE7ELNS1_3repE0EEENS1_30default_config_static_selectorELNS0_4arch9wavefront6targetE1EEEvT1_,@function
_ZN7rocprim17ROCPRIM_400000_NS6detail17trampoline_kernelINS0_14default_configENS1_25transform_config_selectorIxLb0EEEZNS1_14transform_implILb0ES3_S5_NS0_18transform_iteratorINS0_17counting_iteratorImlEEZNS1_24adjacent_difference_implIS3_Lb1ELb0EPKxPxN6thrust23THRUST_200600_302600_NS4plusIxEEEE10hipError_tPvRmT2_T3_mT4_P12ihipStream_tbEUlmE_xEESD_NS0_8identityIvEEEESI_SL_SM_mSN_SP_bEUlT_E_NS1_11comp_targetILNS1_3genE3ELNS1_11target_archE908ELNS1_3gpuE7ELNS1_3repE0EEENS1_30default_config_static_selectorELNS0_4arch9wavefront6targetE1EEEvT1_: ; @_ZN7rocprim17ROCPRIM_400000_NS6detail17trampoline_kernelINS0_14default_configENS1_25transform_config_selectorIxLb0EEEZNS1_14transform_implILb0ES3_S5_NS0_18transform_iteratorINS0_17counting_iteratorImlEEZNS1_24adjacent_difference_implIS3_Lb1ELb0EPKxPxN6thrust23THRUST_200600_302600_NS4plusIxEEEE10hipError_tPvRmT2_T3_mT4_P12ihipStream_tbEUlmE_xEESD_NS0_8identityIvEEEESI_SL_SM_mSN_SP_bEUlT_E_NS1_11comp_targetILNS1_3genE3ELNS1_11target_archE908ELNS1_3gpuE7ELNS1_3repE0EEENS1_30default_config_static_selectorELNS0_4arch9wavefront6targetE1EEEvT1_
; %bb.0:
	.section	.rodata,"a",@progbits
	.p2align	6, 0x0
	.amdhsa_kernel _ZN7rocprim17ROCPRIM_400000_NS6detail17trampoline_kernelINS0_14default_configENS1_25transform_config_selectorIxLb0EEEZNS1_14transform_implILb0ES3_S5_NS0_18transform_iteratorINS0_17counting_iteratorImlEEZNS1_24adjacent_difference_implIS3_Lb1ELb0EPKxPxN6thrust23THRUST_200600_302600_NS4plusIxEEEE10hipError_tPvRmT2_T3_mT4_P12ihipStream_tbEUlmE_xEESD_NS0_8identityIvEEEESI_SL_SM_mSN_SP_bEUlT_E_NS1_11comp_targetILNS1_3genE3ELNS1_11target_archE908ELNS1_3gpuE7ELNS1_3repE0EEENS1_30default_config_static_selectorELNS0_4arch9wavefront6targetE1EEEvT1_
		.amdhsa_group_segment_fixed_size 0
		.amdhsa_private_segment_fixed_size 0
		.amdhsa_kernarg_size 56
		.amdhsa_user_sgpr_count 6
		.amdhsa_user_sgpr_private_segment_buffer 1
		.amdhsa_user_sgpr_dispatch_ptr 0
		.amdhsa_user_sgpr_queue_ptr 0
		.amdhsa_user_sgpr_kernarg_segment_ptr 1
		.amdhsa_user_sgpr_dispatch_id 0
		.amdhsa_user_sgpr_flat_scratch_init 0
		.amdhsa_user_sgpr_private_segment_size 0
		.amdhsa_uses_dynamic_stack 0
		.amdhsa_system_sgpr_private_segment_wavefront_offset 0
		.amdhsa_system_sgpr_workgroup_id_x 1
		.amdhsa_system_sgpr_workgroup_id_y 0
		.amdhsa_system_sgpr_workgroup_id_z 0
		.amdhsa_system_sgpr_workgroup_info 0
		.amdhsa_system_vgpr_workitem_id 0
		.amdhsa_next_free_vgpr 1
		.amdhsa_next_free_sgpr 0
		.amdhsa_reserve_vcc 0
		.amdhsa_reserve_flat_scratch 0
		.amdhsa_float_round_mode_32 0
		.amdhsa_float_round_mode_16_64 0
		.amdhsa_float_denorm_mode_32 3
		.amdhsa_float_denorm_mode_16_64 3
		.amdhsa_dx10_clamp 1
		.amdhsa_ieee_mode 1
		.amdhsa_fp16_overflow 0
		.amdhsa_exception_fp_ieee_invalid_op 0
		.amdhsa_exception_fp_denorm_src 0
		.amdhsa_exception_fp_ieee_div_zero 0
		.amdhsa_exception_fp_ieee_overflow 0
		.amdhsa_exception_fp_ieee_underflow 0
		.amdhsa_exception_fp_ieee_inexact 0
		.amdhsa_exception_int_div_zero 0
	.end_amdhsa_kernel
	.section	.text._ZN7rocprim17ROCPRIM_400000_NS6detail17trampoline_kernelINS0_14default_configENS1_25transform_config_selectorIxLb0EEEZNS1_14transform_implILb0ES3_S5_NS0_18transform_iteratorINS0_17counting_iteratorImlEEZNS1_24adjacent_difference_implIS3_Lb1ELb0EPKxPxN6thrust23THRUST_200600_302600_NS4plusIxEEEE10hipError_tPvRmT2_T3_mT4_P12ihipStream_tbEUlmE_xEESD_NS0_8identityIvEEEESI_SL_SM_mSN_SP_bEUlT_E_NS1_11comp_targetILNS1_3genE3ELNS1_11target_archE908ELNS1_3gpuE7ELNS1_3repE0EEENS1_30default_config_static_selectorELNS0_4arch9wavefront6targetE1EEEvT1_,"axG",@progbits,_ZN7rocprim17ROCPRIM_400000_NS6detail17trampoline_kernelINS0_14default_configENS1_25transform_config_selectorIxLb0EEEZNS1_14transform_implILb0ES3_S5_NS0_18transform_iteratorINS0_17counting_iteratorImlEEZNS1_24adjacent_difference_implIS3_Lb1ELb0EPKxPxN6thrust23THRUST_200600_302600_NS4plusIxEEEE10hipError_tPvRmT2_T3_mT4_P12ihipStream_tbEUlmE_xEESD_NS0_8identityIvEEEESI_SL_SM_mSN_SP_bEUlT_E_NS1_11comp_targetILNS1_3genE3ELNS1_11target_archE908ELNS1_3gpuE7ELNS1_3repE0EEENS1_30default_config_static_selectorELNS0_4arch9wavefront6targetE1EEEvT1_,comdat
.Lfunc_end709:
	.size	_ZN7rocprim17ROCPRIM_400000_NS6detail17trampoline_kernelINS0_14default_configENS1_25transform_config_selectorIxLb0EEEZNS1_14transform_implILb0ES3_S5_NS0_18transform_iteratorINS0_17counting_iteratorImlEEZNS1_24adjacent_difference_implIS3_Lb1ELb0EPKxPxN6thrust23THRUST_200600_302600_NS4plusIxEEEE10hipError_tPvRmT2_T3_mT4_P12ihipStream_tbEUlmE_xEESD_NS0_8identityIvEEEESI_SL_SM_mSN_SP_bEUlT_E_NS1_11comp_targetILNS1_3genE3ELNS1_11target_archE908ELNS1_3gpuE7ELNS1_3repE0EEENS1_30default_config_static_selectorELNS0_4arch9wavefront6targetE1EEEvT1_, .Lfunc_end709-_ZN7rocprim17ROCPRIM_400000_NS6detail17trampoline_kernelINS0_14default_configENS1_25transform_config_selectorIxLb0EEEZNS1_14transform_implILb0ES3_S5_NS0_18transform_iteratorINS0_17counting_iteratorImlEEZNS1_24adjacent_difference_implIS3_Lb1ELb0EPKxPxN6thrust23THRUST_200600_302600_NS4plusIxEEEE10hipError_tPvRmT2_T3_mT4_P12ihipStream_tbEUlmE_xEESD_NS0_8identityIvEEEESI_SL_SM_mSN_SP_bEUlT_E_NS1_11comp_targetILNS1_3genE3ELNS1_11target_archE908ELNS1_3gpuE7ELNS1_3repE0EEENS1_30default_config_static_selectorELNS0_4arch9wavefront6targetE1EEEvT1_
                                        ; -- End function
	.set _ZN7rocprim17ROCPRIM_400000_NS6detail17trampoline_kernelINS0_14default_configENS1_25transform_config_selectorIxLb0EEEZNS1_14transform_implILb0ES3_S5_NS0_18transform_iteratorINS0_17counting_iteratorImlEEZNS1_24adjacent_difference_implIS3_Lb1ELb0EPKxPxN6thrust23THRUST_200600_302600_NS4plusIxEEEE10hipError_tPvRmT2_T3_mT4_P12ihipStream_tbEUlmE_xEESD_NS0_8identityIvEEEESI_SL_SM_mSN_SP_bEUlT_E_NS1_11comp_targetILNS1_3genE3ELNS1_11target_archE908ELNS1_3gpuE7ELNS1_3repE0EEENS1_30default_config_static_selectorELNS0_4arch9wavefront6targetE1EEEvT1_.num_vgpr, 0
	.set _ZN7rocprim17ROCPRIM_400000_NS6detail17trampoline_kernelINS0_14default_configENS1_25transform_config_selectorIxLb0EEEZNS1_14transform_implILb0ES3_S5_NS0_18transform_iteratorINS0_17counting_iteratorImlEEZNS1_24adjacent_difference_implIS3_Lb1ELb0EPKxPxN6thrust23THRUST_200600_302600_NS4plusIxEEEE10hipError_tPvRmT2_T3_mT4_P12ihipStream_tbEUlmE_xEESD_NS0_8identityIvEEEESI_SL_SM_mSN_SP_bEUlT_E_NS1_11comp_targetILNS1_3genE3ELNS1_11target_archE908ELNS1_3gpuE7ELNS1_3repE0EEENS1_30default_config_static_selectorELNS0_4arch9wavefront6targetE1EEEvT1_.num_agpr, 0
	.set _ZN7rocprim17ROCPRIM_400000_NS6detail17trampoline_kernelINS0_14default_configENS1_25transform_config_selectorIxLb0EEEZNS1_14transform_implILb0ES3_S5_NS0_18transform_iteratorINS0_17counting_iteratorImlEEZNS1_24adjacent_difference_implIS3_Lb1ELb0EPKxPxN6thrust23THRUST_200600_302600_NS4plusIxEEEE10hipError_tPvRmT2_T3_mT4_P12ihipStream_tbEUlmE_xEESD_NS0_8identityIvEEEESI_SL_SM_mSN_SP_bEUlT_E_NS1_11comp_targetILNS1_3genE3ELNS1_11target_archE908ELNS1_3gpuE7ELNS1_3repE0EEENS1_30default_config_static_selectorELNS0_4arch9wavefront6targetE1EEEvT1_.numbered_sgpr, 0
	.set _ZN7rocprim17ROCPRIM_400000_NS6detail17trampoline_kernelINS0_14default_configENS1_25transform_config_selectorIxLb0EEEZNS1_14transform_implILb0ES3_S5_NS0_18transform_iteratorINS0_17counting_iteratorImlEEZNS1_24adjacent_difference_implIS3_Lb1ELb0EPKxPxN6thrust23THRUST_200600_302600_NS4plusIxEEEE10hipError_tPvRmT2_T3_mT4_P12ihipStream_tbEUlmE_xEESD_NS0_8identityIvEEEESI_SL_SM_mSN_SP_bEUlT_E_NS1_11comp_targetILNS1_3genE3ELNS1_11target_archE908ELNS1_3gpuE7ELNS1_3repE0EEENS1_30default_config_static_selectorELNS0_4arch9wavefront6targetE1EEEvT1_.num_named_barrier, 0
	.set _ZN7rocprim17ROCPRIM_400000_NS6detail17trampoline_kernelINS0_14default_configENS1_25transform_config_selectorIxLb0EEEZNS1_14transform_implILb0ES3_S5_NS0_18transform_iteratorINS0_17counting_iteratorImlEEZNS1_24adjacent_difference_implIS3_Lb1ELb0EPKxPxN6thrust23THRUST_200600_302600_NS4plusIxEEEE10hipError_tPvRmT2_T3_mT4_P12ihipStream_tbEUlmE_xEESD_NS0_8identityIvEEEESI_SL_SM_mSN_SP_bEUlT_E_NS1_11comp_targetILNS1_3genE3ELNS1_11target_archE908ELNS1_3gpuE7ELNS1_3repE0EEENS1_30default_config_static_selectorELNS0_4arch9wavefront6targetE1EEEvT1_.private_seg_size, 0
	.set _ZN7rocprim17ROCPRIM_400000_NS6detail17trampoline_kernelINS0_14default_configENS1_25transform_config_selectorIxLb0EEEZNS1_14transform_implILb0ES3_S5_NS0_18transform_iteratorINS0_17counting_iteratorImlEEZNS1_24adjacent_difference_implIS3_Lb1ELb0EPKxPxN6thrust23THRUST_200600_302600_NS4plusIxEEEE10hipError_tPvRmT2_T3_mT4_P12ihipStream_tbEUlmE_xEESD_NS0_8identityIvEEEESI_SL_SM_mSN_SP_bEUlT_E_NS1_11comp_targetILNS1_3genE3ELNS1_11target_archE908ELNS1_3gpuE7ELNS1_3repE0EEENS1_30default_config_static_selectorELNS0_4arch9wavefront6targetE1EEEvT1_.uses_vcc, 0
	.set _ZN7rocprim17ROCPRIM_400000_NS6detail17trampoline_kernelINS0_14default_configENS1_25transform_config_selectorIxLb0EEEZNS1_14transform_implILb0ES3_S5_NS0_18transform_iteratorINS0_17counting_iteratorImlEEZNS1_24adjacent_difference_implIS3_Lb1ELb0EPKxPxN6thrust23THRUST_200600_302600_NS4plusIxEEEE10hipError_tPvRmT2_T3_mT4_P12ihipStream_tbEUlmE_xEESD_NS0_8identityIvEEEESI_SL_SM_mSN_SP_bEUlT_E_NS1_11comp_targetILNS1_3genE3ELNS1_11target_archE908ELNS1_3gpuE7ELNS1_3repE0EEENS1_30default_config_static_selectorELNS0_4arch9wavefront6targetE1EEEvT1_.uses_flat_scratch, 0
	.set _ZN7rocprim17ROCPRIM_400000_NS6detail17trampoline_kernelINS0_14default_configENS1_25transform_config_selectorIxLb0EEEZNS1_14transform_implILb0ES3_S5_NS0_18transform_iteratorINS0_17counting_iteratorImlEEZNS1_24adjacent_difference_implIS3_Lb1ELb0EPKxPxN6thrust23THRUST_200600_302600_NS4plusIxEEEE10hipError_tPvRmT2_T3_mT4_P12ihipStream_tbEUlmE_xEESD_NS0_8identityIvEEEESI_SL_SM_mSN_SP_bEUlT_E_NS1_11comp_targetILNS1_3genE3ELNS1_11target_archE908ELNS1_3gpuE7ELNS1_3repE0EEENS1_30default_config_static_selectorELNS0_4arch9wavefront6targetE1EEEvT1_.has_dyn_sized_stack, 0
	.set _ZN7rocprim17ROCPRIM_400000_NS6detail17trampoline_kernelINS0_14default_configENS1_25transform_config_selectorIxLb0EEEZNS1_14transform_implILb0ES3_S5_NS0_18transform_iteratorINS0_17counting_iteratorImlEEZNS1_24adjacent_difference_implIS3_Lb1ELb0EPKxPxN6thrust23THRUST_200600_302600_NS4plusIxEEEE10hipError_tPvRmT2_T3_mT4_P12ihipStream_tbEUlmE_xEESD_NS0_8identityIvEEEESI_SL_SM_mSN_SP_bEUlT_E_NS1_11comp_targetILNS1_3genE3ELNS1_11target_archE908ELNS1_3gpuE7ELNS1_3repE0EEENS1_30default_config_static_selectorELNS0_4arch9wavefront6targetE1EEEvT1_.has_recursion, 0
	.set _ZN7rocprim17ROCPRIM_400000_NS6detail17trampoline_kernelINS0_14default_configENS1_25transform_config_selectorIxLb0EEEZNS1_14transform_implILb0ES3_S5_NS0_18transform_iteratorINS0_17counting_iteratorImlEEZNS1_24adjacent_difference_implIS3_Lb1ELb0EPKxPxN6thrust23THRUST_200600_302600_NS4plusIxEEEE10hipError_tPvRmT2_T3_mT4_P12ihipStream_tbEUlmE_xEESD_NS0_8identityIvEEEESI_SL_SM_mSN_SP_bEUlT_E_NS1_11comp_targetILNS1_3genE3ELNS1_11target_archE908ELNS1_3gpuE7ELNS1_3repE0EEENS1_30default_config_static_selectorELNS0_4arch9wavefront6targetE1EEEvT1_.has_indirect_call, 0
	.section	.AMDGPU.csdata,"",@progbits
; Kernel info:
; codeLenInByte = 0
; TotalNumSgprs: 4
; NumVgprs: 0
; ScratchSize: 0
; MemoryBound: 0
; FloatMode: 240
; IeeeMode: 1
; LDSByteSize: 0 bytes/workgroup (compile time only)
; SGPRBlocks: 0
; VGPRBlocks: 0
; NumSGPRsForWavesPerEU: 4
; NumVGPRsForWavesPerEU: 1
; Occupancy: 10
; WaveLimiterHint : 0
; COMPUTE_PGM_RSRC2:SCRATCH_EN: 0
; COMPUTE_PGM_RSRC2:USER_SGPR: 6
; COMPUTE_PGM_RSRC2:TRAP_HANDLER: 0
; COMPUTE_PGM_RSRC2:TGID_X_EN: 1
; COMPUTE_PGM_RSRC2:TGID_Y_EN: 0
; COMPUTE_PGM_RSRC2:TGID_Z_EN: 0
; COMPUTE_PGM_RSRC2:TIDIG_COMP_CNT: 0
	.section	.text._ZN7rocprim17ROCPRIM_400000_NS6detail17trampoline_kernelINS0_14default_configENS1_25transform_config_selectorIxLb0EEEZNS1_14transform_implILb0ES3_S5_NS0_18transform_iteratorINS0_17counting_iteratorImlEEZNS1_24adjacent_difference_implIS3_Lb1ELb0EPKxPxN6thrust23THRUST_200600_302600_NS4plusIxEEEE10hipError_tPvRmT2_T3_mT4_P12ihipStream_tbEUlmE_xEESD_NS0_8identityIvEEEESI_SL_SM_mSN_SP_bEUlT_E_NS1_11comp_targetILNS1_3genE2ELNS1_11target_archE906ELNS1_3gpuE6ELNS1_3repE0EEENS1_30default_config_static_selectorELNS0_4arch9wavefront6targetE1EEEvT1_,"axG",@progbits,_ZN7rocprim17ROCPRIM_400000_NS6detail17trampoline_kernelINS0_14default_configENS1_25transform_config_selectorIxLb0EEEZNS1_14transform_implILb0ES3_S5_NS0_18transform_iteratorINS0_17counting_iteratorImlEEZNS1_24adjacent_difference_implIS3_Lb1ELb0EPKxPxN6thrust23THRUST_200600_302600_NS4plusIxEEEE10hipError_tPvRmT2_T3_mT4_P12ihipStream_tbEUlmE_xEESD_NS0_8identityIvEEEESI_SL_SM_mSN_SP_bEUlT_E_NS1_11comp_targetILNS1_3genE2ELNS1_11target_archE906ELNS1_3gpuE6ELNS1_3repE0EEENS1_30default_config_static_selectorELNS0_4arch9wavefront6targetE1EEEvT1_,comdat
	.protected	_ZN7rocprim17ROCPRIM_400000_NS6detail17trampoline_kernelINS0_14default_configENS1_25transform_config_selectorIxLb0EEEZNS1_14transform_implILb0ES3_S5_NS0_18transform_iteratorINS0_17counting_iteratorImlEEZNS1_24adjacent_difference_implIS3_Lb1ELb0EPKxPxN6thrust23THRUST_200600_302600_NS4plusIxEEEE10hipError_tPvRmT2_T3_mT4_P12ihipStream_tbEUlmE_xEESD_NS0_8identityIvEEEESI_SL_SM_mSN_SP_bEUlT_E_NS1_11comp_targetILNS1_3genE2ELNS1_11target_archE906ELNS1_3gpuE6ELNS1_3repE0EEENS1_30default_config_static_selectorELNS0_4arch9wavefront6targetE1EEEvT1_ ; -- Begin function _ZN7rocprim17ROCPRIM_400000_NS6detail17trampoline_kernelINS0_14default_configENS1_25transform_config_selectorIxLb0EEEZNS1_14transform_implILb0ES3_S5_NS0_18transform_iteratorINS0_17counting_iteratorImlEEZNS1_24adjacent_difference_implIS3_Lb1ELb0EPKxPxN6thrust23THRUST_200600_302600_NS4plusIxEEEE10hipError_tPvRmT2_T3_mT4_P12ihipStream_tbEUlmE_xEESD_NS0_8identityIvEEEESI_SL_SM_mSN_SP_bEUlT_E_NS1_11comp_targetILNS1_3genE2ELNS1_11target_archE906ELNS1_3gpuE6ELNS1_3repE0EEENS1_30default_config_static_selectorELNS0_4arch9wavefront6targetE1EEEvT1_
	.globl	_ZN7rocprim17ROCPRIM_400000_NS6detail17trampoline_kernelINS0_14default_configENS1_25transform_config_selectorIxLb0EEEZNS1_14transform_implILb0ES3_S5_NS0_18transform_iteratorINS0_17counting_iteratorImlEEZNS1_24adjacent_difference_implIS3_Lb1ELb0EPKxPxN6thrust23THRUST_200600_302600_NS4plusIxEEEE10hipError_tPvRmT2_T3_mT4_P12ihipStream_tbEUlmE_xEESD_NS0_8identityIvEEEESI_SL_SM_mSN_SP_bEUlT_E_NS1_11comp_targetILNS1_3genE2ELNS1_11target_archE906ELNS1_3gpuE6ELNS1_3repE0EEENS1_30default_config_static_selectorELNS0_4arch9wavefront6targetE1EEEvT1_
	.p2align	8
	.type	_ZN7rocprim17ROCPRIM_400000_NS6detail17trampoline_kernelINS0_14default_configENS1_25transform_config_selectorIxLb0EEEZNS1_14transform_implILb0ES3_S5_NS0_18transform_iteratorINS0_17counting_iteratorImlEEZNS1_24adjacent_difference_implIS3_Lb1ELb0EPKxPxN6thrust23THRUST_200600_302600_NS4plusIxEEEE10hipError_tPvRmT2_T3_mT4_P12ihipStream_tbEUlmE_xEESD_NS0_8identityIvEEEESI_SL_SM_mSN_SP_bEUlT_E_NS1_11comp_targetILNS1_3genE2ELNS1_11target_archE906ELNS1_3gpuE6ELNS1_3repE0EEENS1_30default_config_static_selectorELNS0_4arch9wavefront6targetE1EEEvT1_,@function
_ZN7rocprim17ROCPRIM_400000_NS6detail17trampoline_kernelINS0_14default_configENS1_25transform_config_selectorIxLb0EEEZNS1_14transform_implILb0ES3_S5_NS0_18transform_iteratorINS0_17counting_iteratorImlEEZNS1_24adjacent_difference_implIS3_Lb1ELb0EPKxPxN6thrust23THRUST_200600_302600_NS4plusIxEEEE10hipError_tPvRmT2_T3_mT4_P12ihipStream_tbEUlmE_xEESD_NS0_8identityIvEEEESI_SL_SM_mSN_SP_bEUlT_E_NS1_11comp_targetILNS1_3genE2ELNS1_11target_archE906ELNS1_3gpuE6ELNS1_3repE0EEENS1_30default_config_static_selectorELNS0_4arch9wavefront6targetE1EEEvT1_: ; @_ZN7rocprim17ROCPRIM_400000_NS6detail17trampoline_kernelINS0_14default_configENS1_25transform_config_selectorIxLb0EEEZNS1_14transform_implILb0ES3_S5_NS0_18transform_iteratorINS0_17counting_iteratorImlEEZNS1_24adjacent_difference_implIS3_Lb1ELb0EPKxPxN6thrust23THRUST_200600_302600_NS4plusIxEEEE10hipError_tPvRmT2_T3_mT4_P12ihipStream_tbEUlmE_xEESD_NS0_8identityIvEEEESI_SL_SM_mSN_SP_bEUlT_E_NS1_11comp_targetILNS1_3genE2ELNS1_11target_archE906ELNS1_3gpuE6ELNS1_3repE0EEENS1_30default_config_static_selectorELNS0_4arch9wavefront6targetE1EEEvT1_
; %bb.0:
	s_load_dword s1, s[4:5], 0x38
	s_load_dword s7, s[4:5], 0x20
	s_lshl_b32 s0, s6, 9
	s_waitcnt lgkmcnt(0)
	s_add_i32 s1, s1, -1
	s_cmp_lg_u32 s6, s1
	s_cselect_b64 s[2:3], -1, 0
	s_sub_i32 s1, s7, s0
	v_cmp_gt_u32_e32 vcc, s1, v0
	s_or_b64 s[2:3], s[2:3], vcc
	s_and_saveexec_b64 s[6:7], s[2:3]
	s_cbranch_execz .LBB710_2
; %bb.1:
	s_load_dwordx2 s[2:3], s[4:5], 0x18
	s_load_dwordx2 s[6:7], s[4:5], 0x28
	s_load_dwordx4 s[8:11], s[4:5], 0x0
	s_load_dword s1, s[4:5], 0x10
	s_waitcnt lgkmcnt(0)
	s_lshl_b64 s[4:5], s[2:3], 3
	s_add_u32 s4, s6, s4
	s_addc_u32 s5, s7, s5
	s_add_u32 s2, s8, s2
	s_addc_u32 s3, s9, s3
	;; [unrolled: 2-line block ×3, first 2 shown]
	v_mov_b32_e32 v1, s3
	v_add_co_u32_e32 v2, vcc, s2, v0
	v_addc_co_u32_e32 v3, vcc, 0, v1, vcc
	v_mad_u64_u32 v[1:2], s[2:3], v2, s1, 0
	v_mad_u64_u32 v[2:3], s[2:3], v3, s1, v[2:3]
	v_mov_b32_e32 v3, s11
	s_mov_b32 s1, 0
	v_lshlrev_b64 v[1:2], 3, v[1:2]
	s_lshl_b64 s[0:1], s[0:1], 3
	v_add_co_u32_e32 v1, vcc, s10, v1
	v_addc_co_u32_e32 v2, vcc, v3, v2, vcc
	global_load_dwordx2 v[2:3], v[1:2], off
	v_mov_b32_e32 v1, 0
	s_add_u32 s0, s4, s0
	v_lshlrev_b64 v[0:1], 3, v[0:1]
	s_addc_u32 s1, s5, s1
	v_mov_b32_e32 v4, s1
	v_add_co_u32_e32 v0, vcc, s0, v0
	v_addc_co_u32_e32 v1, vcc, v4, v1, vcc
	s_waitcnt vmcnt(0)
	global_store_dwordx2 v[0:1], v[2:3], off
.LBB710_2:
	s_endpgm
	.section	.rodata,"a",@progbits
	.p2align	6, 0x0
	.amdhsa_kernel _ZN7rocprim17ROCPRIM_400000_NS6detail17trampoline_kernelINS0_14default_configENS1_25transform_config_selectorIxLb0EEEZNS1_14transform_implILb0ES3_S5_NS0_18transform_iteratorINS0_17counting_iteratorImlEEZNS1_24adjacent_difference_implIS3_Lb1ELb0EPKxPxN6thrust23THRUST_200600_302600_NS4plusIxEEEE10hipError_tPvRmT2_T3_mT4_P12ihipStream_tbEUlmE_xEESD_NS0_8identityIvEEEESI_SL_SM_mSN_SP_bEUlT_E_NS1_11comp_targetILNS1_3genE2ELNS1_11target_archE906ELNS1_3gpuE6ELNS1_3repE0EEENS1_30default_config_static_selectorELNS0_4arch9wavefront6targetE1EEEvT1_
		.amdhsa_group_segment_fixed_size 0
		.amdhsa_private_segment_fixed_size 0
		.amdhsa_kernarg_size 312
		.amdhsa_user_sgpr_count 6
		.amdhsa_user_sgpr_private_segment_buffer 1
		.amdhsa_user_sgpr_dispatch_ptr 0
		.amdhsa_user_sgpr_queue_ptr 0
		.amdhsa_user_sgpr_kernarg_segment_ptr 1
		.amdhsa_user_sgpr_dispatch_id 0
		.amdhsa_user_sgpr_flat_scratch_init 0
		.amdhsa_user_sgpr_private_segment_size 0
		.amdhsa_uses_dynamic_stack 0
		.amdhsa_system_sgpr_private_segment_wavefront_offset 0
		.amdhsa_system_sgpr_workgroup_id_x 1
		.amdhsa_system_sgpr_workgroup_id_y 0
		.amdhsa_system_sgpr_workgroup_id_z 0
		.amdhsa_system_sgpr_workgroup_info 0
		.amdhsa_system_vgpr_workitem_id 0
		.amdhsa_next_free_vgpr 5
		.amdhsa_next_free_sgpr 12
		.amdhsa_reserve_vcc 1
		.amdhsa_reserve_flat_scratch 0
		.amdhsa_float_round_mode_32 0
		.amdhsa_float_round_mode_16_64 0
		.amdhsa_float_denorm_mode_32 3
		.amdhsa_float_denorm_mode_16_64 3
		.amdhsa_dx10_clamp 1
		.amdhsa_ieee_mode 1
		.amdhsa_fp16_overflow 0
		.amdhsa_exception_fp_ieee_invalid_op 0
		.amdhsa_exception_fp_denorm_src 0
		.amdhsa_exception_fp_ieee_div_zero 0
		.amdhsa_exception_fp_ieee_overflow 0
		.amdhsa_exception_fp_ieee_underflow 0
		.amdhsa_exception_fp_ieee_inexact 0
		.amdhsa_exception_int_div_zero 0
	.end_amdhsa_kernel
	.section	.text._ZN7rocprim17ROCPRIM_400000_NS6detail17trampoline_kernelINS0_14default_configENS1_25transform_config_selectorIxLb0EEEZNS1_14transform_implILb0ES3_S5_NS0_18transform_iteratorINS0_17counting_iteratorImlEEZNS1_24adjacent_difference_implIS3_Lb1ELb0EPKxPxN6thrust23THRUST_200600_302600_NS4plusIxEEEE10hipError_tPvRmT2_T3_mT4_P12ihipStream_tbEUlmE_xEESD_NS0_8identityIvEEEESI_SL_SM_mSN_SP_bEUlT_E_NS1_11comp_targetILNS1_3genE2ELNS1_11target_archE906ELNS1_3gpuE6ELNS1_3repE0EEENS1_30default_config_static_selectorELNS0_4arch9wavefront6targetE1EEEvT1_,"axG",@progbits,_ZN7rocprim17ROCPRIM_400000_NS6detail17trampoline_kernelINS0_14default_configENS1_25transform_config_selectorIxLb0EEEZNS1_14transform_implILb0ES3_S5_NS0_18transform_iteratorINS0_17counting_iteratorImlEEZNS1_24adjacent_difference_implIS3_Lb1ELb0EPKxPxN6thrust23THRUST_200600_302600_NS4plusIxEEEE10hipError_tPvRmT2_T3_mT4_P12ihipStream_tbEUlmE_xEESD_NS0_8identityIvEEEESI_SL_SM_mSN_SP_bEUlT_E_NS1_11comp_targetILNS1_3genE2ELNS1_11target_archE906ELNS1_3gpuE6ELNS1_3repE0EEENS1_30default_config_static_selectorELNS0_4arch9wavefront6targetE1EEEvT1_,comdat
.Lfunc_end710:
	.size	_ZN7rocprim17ROCPRIM_400000_NS6detail17trampoline_kernelINS0_14default_configENS1_25transform_config_selectorIxLb0EEEZNS1_14transform_implILb0ES3_S5_NS0_18transform_iteratorINS0_17counting_iteratorImlEEZNS1_24adjacent_difference_implIS3_Lb1ELb0EPKxPxN6thrust23THRUST_200600_302600_NS4plusIxEEEE10hipError_tPvRmT2_T3_mT4_P12ihipStream_tbEUlmE_xEESD_NS0_8identityIvEEEESI_SL_SM_mSN_SP_bEUlT_E_NS1_11comp_targetILNS1_3genE2ELNS1_11target_archE906ELNS1_3gpuE6ELNS1_3repE0EEENS1_30default_config_static_selectorELNS0_4arch9wavefront6targetE1EEEvT1_, .Lfunc_end710-_ZN7rocprim17ROCPRIM_400000_NS6detail17trampoline_kernelINS0_14default_configENS1_25transform_config_selectorIxLb0EEEZNS1_14transform_implILb0ES3_S5_NS0_18transform_iteratorINS0_17counting_iteratorImlEEZNS1_24adjacent_difference_implIS3_Lb1ELb0EPKxPxN6thrust23THRUST_200600_302600_NS4plusIxEEEE10hipError_tPvRmT2_T3_mT4_P12ihipStream_tbEUlmE_xEESD_NS0_8identityIvEEEESI_SL_SM_mSN_SP_bEUlT_E_NS1_11comp_targetILNS1_3genE2ELNS1_11target_archE906ELNS1_3gpuE6ELNS1_3repE0EEENS1_30default_config_static_selectorELNS0_4arch9wavefront6targetE1EEEvT1_
                                        ; -- End function
	.set _ZN7rocprim17ROCPRIM_400000_NS6detail17trampoline_kernelINS0_14default_configENS1_25transform_config_selectorIxLb0EEEZNS1_14transform_implILb0ES3_S5_NS0_18transform_iteratorINS0_17counting_iteratorImlEEZNS1_24adjacent_difference_implIS3_Lb1ELb0EPKxPxN6thrust23THRUST_200600_302600_NS4plusIxEEEE10hipError_tPvRmT2_T3_mT4_P12ihipStream_tbEUlmE_xEESD_NS0_8identityIvEEEESI_SL_SM_mSN_SP_bEUlT_E_NS1_11comp_targetILNS1_3genE2ELNS1_11target_archE906ELNS1_3gpuE6ELNS1_3repE0EEENS1_30default_config_static_selectorELNS0_4arch9wavefront6targetE1EEEvT1_.num_vgpr, 5
	.set _ZN7rocprim17ROCPRIM_400000_NS6detail17trampoline_kernelINS0_14default_configENS1_25transform_config_selectorIxLb0EEEZNS1_14transform_implILb0ES3_S5_NS0_18transform_iteratorINS0_17counting_iteratorImlEEZNS1_24adjacent_difference_implIS3_Lb1ELb0EPKxPxN6thrust23THRUST_200600_302600_NS4plusIxEEEE10hipError_tPvRmT2_T3_mT4_P12ihipStream_tbEUlmE_xEESD_NS0_8identityIvEEEESI_SL_SM_mSN_SP_bEUlT_E_NS1_11comp_targetILNS1_3genE2ELNS1_11target_archE906ELNS1_3gpuE6ELNS1_3repE0EEENS1_30default_config_static_selectorELNS0_4arch9wavefront6targetE1EEEvT1_.num_agpr, 0
	.set _ZN7rocprim17ROCPRIM_400000_NS6detail17trampoline_kernelINS0_14default_configENS1_25transform_config_selectorIxLb0EEEZNS1_14transform_implILb0ES3_S5_NS0_18transform_iteratorINS0_17counting_iteratorImlEEZNS1_24adjacent_difference_implIS3_Lb1ELb0EPKxPxN6thrust23THRUST_200600_302600_NS4plusIxEEEE10hipError_tPvRmT2_T3_mT4_P12ihipStream_tbEUlmE_xEESD_NS0_8identityIvEEEESI_SL_SM_mSN_SP_bEUlT_E_NS1_11comp_targetILNS1_3genE2ELNS1_11target_archE906ELNS1_3gpuE6ELNS1_3repE0EEENS1_30default_config_static_selectorELNS0_4arch9wavefront6targetE1EEEvT1_.numbered_sgpr, 12
	.set _ZN7rocprim17ROCPRIM_400000_NS6detail17trampoline_kernelINS0_14default_configENS1_25transform_config_selectorIxLb0EEEZNS1_14transform_implILb0ES3_S5_NS0_18transform_iteratorINS0_17counting_iteratorImlEEZNS1_24adjacent_difference_implIS3_Lb1ELb0EPKxPxN6thrust23THRUST_200600_302600_NS4plusIxEEEE10hipError_tPvRmT2_T3_mT4_P12ihipStream_tbEUlmE_xEESD_NS0_8identityIvEEEESI_SL_SM_mSN_SP_bEUlT_E_NS1_11comp_targetILNS1_3genE2ELNS1_11target_archE906ELNS1_3gpuE6ELNS1_3repE0EEENS1_30default_config_static_selectorELNS0_4arch9wavefront6targetE1EEEvT1_.num_named_barrier, 0
	.set _ZN7rocprim17ROCPRIM_400000_NS6detail17trampoline_kernelINS0_14default_configENS1_25transform_config_selectorIxLb0EEEZNS1_14transform_implILb0ES3_S5_NS0_18transform_iteratorINS0_17counting_iteratorImlEEZNS1_24adjacent_difference_implIS3_Lb1ELb0EPKxPxN6thrust23THRUST_200600_302600_NS4plusIxEEEE10hipError_tPvRmT2_T3_mT4_P12ihipStream_tbEUlmE_xEESD_NS0_8identityIvEEEESI_SL_SM_mSN_SP_bEUlT_E_NS1_11comp_targetILNS1_3genE2ELNS1_11target_archE906ELNS1_3gpuE6ELNS1_3repE0EEENS1_30default_config_static_selectorELNS0_4arch9wavefront6targetE1EEEvT1_.private_seg_size, 0
	.set _ZN7rocprim17ROCPRIM_400000_NS6detail17trampoline_kernelINS0_14default_configENS1_25transform_config_selectorIxLb0EEEZNS1_14transform_implILb0ES3_S5_NS0_18transform_iteratorINS0_17counting_iteratorImlEEZNS1_24adjacent_difference_implIS3_Lb1ELb0EPKxPxN6thrust23THRUST_200600_302600_NS4plusIxEEEE10hipError_tPvRmT2_T3_mT4_P12ihipStream_tbEUlmE_xEESD_NS0_8identityIvEEEESI_SL_SM_mSN_SP_bEUlT_E_NS1_11comp_targetILNS1_3genE2ELNS1_11target_archE906ELNS1_3gpuE6ELNS1_3repE0EEENS1_30default_config_static_selectorELNS0_4arch9wavefront6targetE1EEEvT1_.uses_vcc, 1
	.set _ZN7rocprim17ROCPRIM_400000_NS6detail17trampoline_kernelINS0_14default_configENS1_25transform_config_selectorIxLb0EEEZNS1_14transform_implILb0ES3_S5_NS0_18transform_iteratorINS0_17counting_iteratorImlEEZNS1_24adjacent_difference_implIS3_Lb1ELb0EPKxPxN6thrust23THRUST_200600_302600_NS4plusIxEEEE10hipError_tPvRmT2_T3_mT4_P12ihipStream_tbEUlmE_xEESD_NS0_8identityIvEEEESI_SL_SM_mSN_SP_bEUlT_E_NS1_11comp_targetILNS1_3genE2ELNS1_11target_archE906ELNS1_3gpuE6ELNS1_3repE0EEENS1_30default_config_static_selectorELNS0_4arch9wavefront6targetE1EEEvT1_.uses_flat_scratch, 0
	.set _ZN7rocprim17ROCPRIM_400000_NS6detail17trampoline_kernelINS0_14default_configENS1_25transform_config_selectorIxLb0EEEZNS1_14transform_implILb0ES3_S5_NS0_18transform_iteratorINS0_17counting_iteratorImlEEZNS1_24adjacent_difference_implIS3_Lb1ELb0EPKxPxN6thrust23THRUST_200600_302600_NS4plusIxEEEE10hipError_tPvRmT2_T3_mT4_P12ihipStream_tbEUlmE_xEESD_NS0_8identityIvEEEESI_SL_SM_mSN_SP_bEUlT_E_NS1_11comp_targetILNS1_3genE2ELNS1_11target_archE906ELNS1_3gpuE6ELNS1_3repE0EEENS1_30default_config_static_selectorELNS0_4arch9wavefront6targetE1EEEvT1_.has_dyn_sized_stack, 0
	.set _ZN7rocprim17ROCPRIM_400000_NS6detail17trampoline_kernelINS0_14default_configENS1_25transform_config_selectorIxLb0EEEZNS1_14transform_implILb0ES3_S5_NS0_18transform_iteratorINS0_17counting_iteratorImlEEZNS1_24adjacent_difference_implIS3_Lb1ELb0EPKxPxN6thrust23THRUST_200600_302600_NS4plusIxEEEE10hipError_tPvRmT2_T3_mT4_P12ihipStream_tbEUlmE_xEESD_NS0_8identityIvEEEESI_SL_SM_mSN_SP_bEUlT_E_NS1_11comp_targetILNS1_3genE2ELNS1_11target_archE906ELNS1_3gpuE6ELNS1_3repE0EEENS1_30default_config_static_selectorELNS0_4arch9wavefront6targetE1EEEvT1_.has_recursion, 0
	.set _ZN7rocprim17ROCPRIM_400000_NS6detail17trampoline_kernelINS0_14default_configENS1_25transform_config_selectorIxLb0EEEZNS1_14transform_implILb0ES3_S5_NS0_18transform_iteratorINS0_17counting_iteratorImlEEZNS1_24adjacent_difference_implIS3_Lb1ELb0EPKxPxN6thrust23THRUST_200600_302600_NS4plusIxEEEE10hipError_tPvRmT2_T3_mT4_P12ihipStream_tbEUlmE_xEESD_NS0_8identityIvEEEESI_SL_SM_mSN_SP_bEUlT_E_NS1_11comp_targetILNS1_3genE2ELNS1_11target_archE906ELNS1_3gpuE6ELNS1_3repE0EEENS1_30default_config_static_selectorELNS0_4arch9wavefront6targetE1EEEvT1_.has_indirect_call, 0
	.section	.AMDGPU.csdata,"",@progbits
; Kernel info:
; codeLenInByte = 232
; TotalNumSgprs: 16
; NumVgprs: 5
; ScratchSize: 0
; MemoryBound: 0
; FloatMode: 240
; IeeeMode: 1
; LDSByteSize: 0 bytes/workgroup (compile time only)
; SGPRBlocks: 1
; VGPRBlocks: 1
; NumSGPRsForWavesPerEU: 16
; NumVGPRsForWavesPerEU: 5
; Occupancy: 10
; WaveLimiterHint : 0
; COMPUTE_PGM_RSRC2:SCRATCH_EN: 0
; COMPUTE_PGM_RSRC2:USER_SGPR: 6
; COMPUTE_PGM_RSRC2:TRAP_HANDLER: 0
; COMPUTE_PGM_RSRC2:TGID_X_EN: 1
; COMPUTE_PGM_RSRC2:TGID_Y_EN: 0
; COMPUTE_PGM_RSRC2:TGID_Z_EN: 0
; COMPUTE_PGM_RSRC2:TIDIG_COMP_CNT: 0
	.section	.text._ZN7rocprim17ROCPRIM_400000_NS6detail17trampoline_kernelINS0_14default_configENS1_25transform_config_selectorIxLb0EEEZNS1_14transform_implILb0ES3_S5_NS0_18transform_iteratorINS0_17counting_iteratorImlEEZNS1_24adjacent_difference_implIS3_Lb1ELb0EPKxPxN6thrust23THRUST_200600_302600_NS4plusIxEEEE10hipError_tPvRmT2_T3_mT4_P12ihipStream_tbEUlmE_xEESD_NS0_8identityIvEEEESI_SL_SM_mSN_SP_bEUlT_E_NS1_11comp_targetILNS1_3genE10ELNS1_11target_archE1201ELNS1_3gpuE5ELNS1_3repE0EEENS1_30default_config_static_selectorELNS0_4arch9wavefront6targetE1EEEvT1_,"axG",@progbits,_ZN7rocprim17ROCPRIM_400000_NS6detail17trampoline_kernelINS0_14default_configENS1_25transform_config_selectorIxLb0EEEZNS1_14transform_implILb0ES3_S5_NS0_18transform_iteratorINS0_17counting_iteratorImlEEZNS1_24adjacent_difference_implIS3_Lb1ELb0EPKxPxN6thrust23THRUST_200600_302600_NS4plusIxEEEE10hipError_tPvRmT2_T3_mT4_P12ihipStream_tbEUlmE_xEESD_NS0_8identityIvEEEESI_SL_SM_mSN_SP_bEUlT_E_NS1_11comp_targetILNS1_3genE10ELNS1_11target_archE1201ELNS1_3gpuE5ELNS1_3repE0EEENS1_30default_config_static_selectorELNS0_4arch9wavefront6targetE1EEEvT1_,comdat
	.protected	_ZN7rocprim17ROCPRIM_400000_NS6detail17trampoline_kernelINS0_14default_configENS1_25transform_config_selectorIxLb0EEEZNS1_14transform_implILb0ES3_S5_NS0_18transform_iteratorINS0_17counting_iteratorImlEEZNS1_24adjacent_difference_implIS3_Lb1ELb0EPKxPxN6thrust23THRUST_200600_302600_NS4plusIxEEEE10hipError_tPvRmT2_T3_mT4_P12ihipStream_tbEUlmE_xEESD_NS0_8identityIvEEEESI_SL_SM_mSN_SP_bEUlT_E_NS1_11comp_targetILNS1_3genE10ELNS1_11target_archE1201ELNS1_3gpuE5ELNS1_3repE0EEENS1_30default_config_static_selectorELNS0_4arch9wavefront6targetE1EEEvT1_ ; -- Begin function _ZN7rocprim17ROCPRIM_400000_NS6detail17trampoline_kernelINS0_14default_configENS1_25transform_config_selectorIxLb0EEEZNS1_14transform_implILb0ES3_S5_NS0_18transform_iteratorINS0_17counting_iteratorImlEEZNS1_24adjacent_difference_implIS3_Lb1ELb0EPKxPxN6thrust23THRUST_200600_302600_NS4plusIxEEEE10hipError_tPvRmT2_T3_mT4_P12ihipStream_tbEUlmE_xEESD_NS0_8identityIvEEEESI_SL_SM_mSN_SP_bEUlT_E_NS1_11comp_targetILNS1_3genE10ELNS1_11target_archE1201ELNS1_3gpuE5ELNS1_3repE0EEENS1_30default_config_static_selectorELNS0_4arch9wavefront6targetE1EEEvT1_
	.globl	_ZN7rocprim17ROCPRIM_400000_NS6detail17trampoline_kernelINS0_14default_configENS1_25transform_config_selectorIxLb0EEEZNS1_14transform_implILb0ES3_S5_NS0_18transform_iteratorINS0_17counting_iteratorImlEEZNS1_24adjacent_difference_implIS3_Lb1ELb0EPKxPxN6thrust23THRUST_200600_302600_NS4plusIxEEEE10hipError_tPvRmT2_T3_mT4_P12ihipStream_tbEUlmE_xEESD_NS0_8identityIvEEEESI_SL_SM_mSN_SP_bEUlT_E_NS1_11comp_targetILNS1_3genE10ELNS1_11target_archE1201ELNS1_3gpuE5ELNS1_3repE0EEENS1_30default_config_static_selectorELNS0_4arch9wavefront6targetE1EEEvT1_
	.p2align	8
	.type	_ZN7rocprim17ROCPRIM_400000_NS6detail17trampoline_kernelINS0_14default_configENS1_25transform_config_selectorIxLb0EEEZNS1_14transform_implILb0ES3_S5_NS0_18transform_iteratorINS0_17counting_iteratorImlEEZNS1_24adjacent_difference_implIS3_Lb1ELb0EPKxPxN6thrust23THRUST_200600_302600_NS4plusIxEEEE10hipError_tPvRmT2_T3_mT4_P12ihipStream_tbEUlmE_xEESD_NS0_8identityIvEEEESI_SL_SM_mSN_SP_bEUlT_E_NS1_11comp_targetILNS1_3genE10ELNS1_11target_archE1201ELNS1_3gpuE5ELNS1_3repE0EEENS1_30default_config_static_selectorELNS0_4arch9wavefront6targetE1EEEvT1_,@function
_ZN7rocprim17ROCPRIM_400000_NS6detail17trampoline_kernelINS0_14default_configENS1_25transform_config_selectorIxLb0EEEZNS1_14transform_implILb0ES3_S5_NS0_18transform_iteratorINS0_17counting_iteratorImlEEZNS1_24adjacent_difference_implIS3_Lb1ELb0EPKxPxN6thrust23THRUST_200600_302600_NS4plusIxEEEE10hipError_tPvRmT2_T3_mT4_P12ihipStream_tbEUlmE_xEESD_NS0_8identityIvEEEESI_SL_SM_mSN_SP_bEUlT_E_NS1_11comp_targetILNS1_3genE10ELNS1_11target_archE1201ELNS1_3gpuE5ELNS1_3repE0EEENS1_30default_config_static_selectorELNS0_4arch9wavefront6targetE1EEEvT1_: ; @_ZN7rocprim17ROCPRIM_400000_NS6detail17trampoline_kernelINS0_14default_configENS1_25transform_config_selectorIxLb0EEEZNS1_14transform_implILb0ES3_S5_NS0_18transform_iteratorINS0_17counting_iteratorImlEEZNS1_24adjacent_difference_implIS3_Lb1ELb0EPKxPxN6thrust23THRUST_200600_302600_NS4plusIxEEEE10hipError_tPvRmT2_T3_mT4_P12ihipStream_tbEUlmE_xEESD_NS0_8identityIvEEEESI_SL_SM_mSN_SP_bEUlT_E_NS1_11comp_targetILNS1_3genE10ELNS1_11target_archE1201ELNS1_3gpuE5ELNS1_3repE0EEENS1_30default_config_static_selectorELNS0_4arch9wavefront6targetE1EEEvT1_
; %bb.0:
	.section	.rodata,"a",@progbits
	.p2align	6, 0x0
	.amdhsa_kernel _ZN7rocprim17ROCPRIM_400000_NS6detail17trampoline_kernelINS0_14default_configENS1_25transform_config_selectorIxLb0EEEZNS1_14transform_implILb0ES3_S5_NS0_18transform_iteratorINS0_17counting_iteratorImlEEZNS1_24adjacent_difference_implIS3_Lb1ELb0EPKxPxN6thrust23THRUST_200600_302600_NS4plusIxEEEE10hipError_tPvRmT2_T3_mT4_P12ihipStream_tbEUlmE_xEESD_NS0_8identityIvEEEESI_SL_SM_mSN_SP_bEUlT_E_NS1_11comp_targetILNS1_3genE10ELNS1_11target_archE1201ELNS1_3gpuE5ELNS1_3repE0EEENS1_30default_config_static_selectorELNS0_4arch9wavefront6targetE1EEEvT1_
		.amdhsa_group_segment_fixed_size 0
		.amdhsa_private_segment_fixed_size 0
		.amdhsa_kernarg_size 56
		.amdhsa_user_sgpr_count 6
		.amdhsa_user_sgpr_private_segment_buffer 1
		.amdhsa_user_sgpr_dispatch_ptr 0
		.amdhsa_user_sgpr_queue_ptr 0
		.amdhsa_user_sgpr_kernarg_segment_ptr 1
		.amdhsa_user_sgpr_dispatch_id 0
		.amdhsa_user_sgpr_flat_scratch_init 0
		.amdhsa_user_sgpr_private_segment_size 0
		.amdhsa_uses_dynamic_stack 0
		.amdhsa_system_sgpr_private_segment_wavefront_offset 0
		.amdhsa_system_sgpr_workgroup_id_x 1
		.amdhsa_system_sgpr_workgroup_id_y 0
		.amdhsa_system_sgpr_workgroup_id_z 0
		.amdhsa_system_sgpr_workgroup_info 0
		.amdhsa_system_vgpr_workitem_id 0
		.amdhsa_next_free_vgpr 1
		.amdhsa_next_free_sgpr 0
		.amdhsa_reserve_vcc 0
		.amdhsa_reserve_flat_scratch 0
		.amdhsa_float_round_mode_32 0
		.amdhsa_float_round_mode_16_64 0
		.amdhsa_float_denorm_mode_32 3
		.amdhsa_float_denorm_mode_16_64 3
		.amdhsa_dx10_clamp 1
		.amdhsa_ieee_mode 1
		.amdhsa_fp16_overflow 0
		.amdhsa_exception_fp_ieee_invalid_op 0
		.amdhsa_exception_fp_denorm_src 0
		.amdhsa_exception_fp_ieee_div_zero 0
		.amdhsa_exception_fp_ieee_overflow 0
		.amdhsa_exception_fp_ieee_underflow 0
		.amdhsa_exception_fp_ieee_inexact 0
		.amdhsa_exception_int_div_zero 0
	.end_amdhsa_kernel
	.section	.text._ZN7rocprim17ROCPRIM_400000_NS6detail17trampoline_kernelINS0_14default_configENS1_25transform_config_selectorIxLb0EEEZNS1_14transform_implILb0ES3_S5_NS0_18transform_iteratorINS0_17counting_iteratorImlEEZNS1_24adjacent_difference_implIS3_Lb1ELb0EPKxPxN6thrust23THRUST_200600_302600_NS4plusIxEEEE10hipError_tPvRmT2_T3_mT4_P12ihipStream_tbEUlmE_xEESD_NS0_8identityIvEEEESI_SL_SM_mSN_SP_bEUlT_E_NS1_11comp_targetILNS1_3genE10ELNS1_11target_archE1201ELNS1_3gpuE5ELNS1_3repE0EEENS1_30default_config_static_selectorELNS0_4arch9wavefront6targetE1EEEvT1_,"axG",@progbits,_ZN7rocprim17ROCPRIM_400000_NS6detail17trampoline_kernelINS0_14default_configENS1_25transform_config_selectorIxLb0EEEZNS1_14transform_implILb0ES3_S5_NS0_18transform_iteratorINS0_17counting_iteratorImlEEZNS1_24adjacent_difference_implIS3_Lb1ELb0EPKxPxN6thrust23THRUST_200600_302600_NS4plusIxEEEE10hipError_tPvRmT2_T3_mT4_P12ihipStream_tbEUlmE_xEESD_NS0_8identityIvEEEESI_SL_SM_mSN_SP_bEUlT_E_NS1_11comp_targetILNS1_3genE10ELNS1_11target_archE1201ELNS1_3gpuE5ELNS1_3repE0EEENS1_30default_config_static_selectorELNS0_4arch9wavefront6targetE1EEEvT1_,comdat
.Lfunc_end711:
	.size	_ZN7rocprim17ROCPRIM_400000_NS6detail17trampoline_kernelINS0_14default_configENS1_25transform_config_selectorIxLb0EEEZNS1_14transform_implILb0ES3_S5_NS0_18transform_iteratorINS0_17counting_iteratorImlEEZNS1_24adjacent_difference_implIS3_Lb1ELb0EPKxPxN6thrust23THRUST_200600_302600_NS4plusIxEEEE10hipError_tPvRmT2_T3_mT4_P12ihipStream_tbEUlmE_xEESD_NS0_8identityIvEEEESI_SL_SM_mSN_SP_bEUlT_E_NS1_11comp_targetILNS1_3genE10ELNS1_11target_archE1201ELNS1_3gpuE5ELNS1_3repE0EEENS1_30default_config_static_selectorELNS0_4arch9wavefront6targetE1EEEvT1_, .Lfunc_end711-_ZN7rocprim17ROCPRIM_400000_NS6detail17trampoline_kernelINS0_14default_configENS1_25transform_config_selectorIxLb0EEEZNS1_14transform_implILb0ES3_S5_NS0_18transform_iteratorINS0_17counting_iteratorImlEEZNS1_24adjacent_difference_implIS3_Lb1ELb0EPKxPxN6thrust23THRUST_200600_302600_NS4plusIxEEEE10hipError_tPvRmT2_T3_mT4_P12ihipStream_tbEUlmE_xEESD_NS0_8identityIvEEEESI_SL_SM_mSN_SP_bEUlT_E_NS1_11comp_targetILNS1_3genE10ELNS1_11target_archE1201ELNS1_3gpuE5ELNS1_3repE0EEENS1_30default_config_static_selectorELNS0_4arch9wavefront6targetE1EEEvT1_
                                        ; -- End function
	.set _ZN7rocprim17ROCPRIM_400000_NS6detail17trampoline_kernelINS0_14default_configENS1_25transform_config_selectorIxLb0EEEZNS1_14transform_implILb0ES3_S5_NS0_18transform_iteratorINS0_17counting_iteratorImlEEZNS1_24adjacent_difference_implIS3_Lb1ELb0EPKxPxN6thrust23THRUST_200600_302600_NS4plusIxEEEE10hipError_tPvRmT2_T3_mT4_P12ihipStream_tbEUlmE_xEESD_NS0_8identityIvEEEESI_SL_SM_mSN_SP_bEUlT_E_NS1_11comp_targetILNS1_3genE10ELNS1_11target_archE1201ELNS1_3gpuE5ELNS1_3repE0EEENS1_30default_config_static_selectorELNS0_4arch9wavefront6targetE1EEEvT1_.num_vgpr, 0
	.set _ZN7rocprim17ROCPRIM_400000_NS6detail17trampoline_kernelINS0_14default_configENS1_25transform_config_selectorIxLb0EEEZNS1_14transform_implILb0ES3_S5_NS0_18transform_iteratorINS0_17counting_iteratorImlEEZNS1_24adjacent_difference_implIS3_Lb1ELb0EPKxPxN6thrust23THRUST_200600_302600_NS4plusIxEEEE10hipError_tPvRmT2_T3_mT4_P12ihipStream_tbEUlmE_xEESD_NS0_8identityIvEEEESI_SL_SM_mSN_SP_bEUlT_E_NS1_11comp_targetILNS1_3genE10ELNS1_11target_archE1201ELNS1_3gpuE5ELNS1_3repE0EEENS1_30default_config_static_selectorELNS0_4arch9wavefront6targetE1EEEvT1_.num_agpr, 0
	.set _ZN7rocprim17ROCPRIM_400000_NS6detail17trampoline_kernelINS0_14default_configENS1_25transform_config_selectorIxLb0EEEZNS1_14transform_implILb0ES3_S5_NS0_18transform_iteratorINS0_17counting_iteratorImlEEZNS1_24adjacent_difference_implIS3_Lb1ELb0EPKxPxN6thrust23THRUST_200600_302600_NS4plusIxEEEE10hipError_tPvRmT2_T3_mT4_P12ihipStream_tbEUlmE_xEESD_NS0_8identityIvEEEESI_SL_SM_mSN_SP_bEUlT_E_NS1_11comp_targetILNS1_3genE10ELNS1_11target_archE1201ELNS1_3gpuE5ELNS1_3repE0EEENS1_30default_config_static_selectorELNS0_4arch9wavefront6targetE1EEEvT1_.numbered_sgpr, 0
	.set _ZN7rocprim17ROCPRIM_400000_NS6detail17trampoline_kernelINS0_14default_configENS1_25transform_config_selectorIxLb0EEEZNS1_14transform_implILb0ES3_S5_NS0_18transform_iteratorINS0_17counting_iteratorImlEEZNS1_24adjacent_difference_implIS3_Lb1ELb0EPKxPxN6thrust23THRUST_200600_302600_NS4plusIxEEEE10hipError_tPvRmT2_T3_mT4_P12ihipStream_tbEUlmE_xEESD_NS0_8identityIvEEEESI_SL_SM_mSN_SP_bEUlT_E_NS1_11comp_targetILNS1_3genE10ELNS1_11target_archE1201ELNS1_3gpuE5ELNS1_3repE0EEENS1_30default_config_static_selectorELNS0_4arch9wavefront6targetE1EEEvT1_.num_named_barrier, 0
	.set _ZN7rocprim17ROCPRIM_400000_NS6detail17trampoline_kernelINS0_14default_configENS1_25transform_config_selectorIxLb0EEEZNS1_14transform_implILb0ES3_S5_NS0_18transform_iteratorINS0_17counting_iteratorImlEEZNS1_24adjacent_difference_implIS3_Lb1ELb0EPKxPxN6thrust23THRUST_200600_302600_NS4plusIxEEEE10hipError_tPvRmT2_T3_mT4_P12ihipStream_tbEUlmE_xEESD_NS0_8identityIvEEEESI_SL_SM_mSN_SP_bEUlT_E_NS1_11comp_targetILNS1_3genE10ELNS1_11target_archE1201ELNS1_3gpuE5ELNS1_3repE0EEENS1_30default_config_static_selectorELNS0_4arch9wavefront6targetE1EEEvT1_.private_seg_size, 0
	.set _ZN7rocprim17ROCPRIM_400000_NS6detail17trampoline_kernelINS0_14default_configENS1_25transform_config_selectorIxLb0EEEZNS1_14transform_implILb0ES3_S5_NS0_18transform_iteratorINS0_17counting_iteratorImlEEZNS1_24adjacent_difference_implIS3_Lb1ELb0EPKxPxN6thrust23THRUST_200600_302600_NS4plusIxEEEE10hipError_tPvRmT2_T3_mT4_P12ihipStream_tbEUlmE_xEESD_NS0_8identityIvEEEESI_SL_SM_mSN_SP_bEUlT_E_NS1_11comp_targetILNS1_3genE10ELNS1_11target_archE1201ELNS1_3gpuE5ELNS1_3repE0EEENS1_30default_config_static_selectorELNS0_4arch9wavefront6targetE1EEEvT1_.uses_vcc, 0
	.set _ZN7rocprim17ROCPRIM_400000_NS6detail17trampoline_kernelINS0_14default_configENS1_25transform_config_selectorIxLb0EEEZNS1_14transform_implILb0ES3_S5_NS0_18transform_iteratorINS0_17counting_iteratorImlEEZNS1_24adjacent_difference_implIS3_Lb1ELb0EPKxPxN6thrust23THRUST_200600_302600_NS4plusIxEEEE10hipError_tPvRmT2_T3_mT4_P12ihipStream_tbEUlmE_xEESD_NS0_8identityIvEEEESI_SL_SM_mSN_SP_bEUlT_E_NS1_11comp_targetILNS1_3genE10ELNS1_11target_archE1201ELNS1_3gpuE5ELNS1_3repE0EEENS1_30default_config_static_selectorELNS0_4arch9wavefront6targetE1EEEvT1_.uses_flat_scratch, 0
	.set _ZN7rocprim17ROCPRIM_400000_NS6detail17trampoline_kernelINS0_14default_configENS1_25transform_config_selectorIxLb0EEEZNS1_14transform_implILb0ES3_S5_NS0_18transform_iteratorINS0_17counting_iteratorImlEEZNS1_24adjacent_difference_implIS3_Lb1ELb0EPKxPxN6thrust23THRUST_200600_302600_NS4plusIxEEEE10hipError_tPvRmT2_T3_mT4_P12ihipStream_tbEUlmE_xEESD_NS0_8identityIvEEEESI_SL_SM_mSN_SP_bEUlT_E_NS1_11comp_targetILNS1_3genE10ELNS1_11target_archE1201ELNS1_3gpuE5ELNS1_3repE0EEENS1_30default_config_static_selectorELNS0_4arch9wavefront6targetE1EEEvT1_.has_dyn_sized_stack, 0
	.set _ZN7rocprim17ROCPRIM_400000_NS6detail17trampoline_kernelINS0_14default_configENS1_25transform_config_selectorIxLb0EEEZNS1_14transform_implILb0ES3_S5_NS0_18transform_iteratorINS0_17counting_iteratorImlEEZNS1_24adjacent_difference_implIS3_Lb1ELb0EPKxPxN6thrust23THRUST_200600_302600_NS4plusIxEEEE10hipError_tPvRmT2_T3_mT4_P12ihipStream_tbEUlmE_xEESD_NS0_8identityIvEEEESI_SL_SM_mSN_SP_bEUlT_E_NS1_11comp_targetILNS1_3genE10ELNS1_11target_archE1201ELNS1_3gpuE5ELNS1_3repE0EEENS1_30default_config_static_selectorELNS0_4arch9wavefront6targetE1EEEvT1_.has_recursion, 0
	.set _ZN7rocprim17ROCPRIM_400000_NS6detail17trampoline_kernelINS0_14default_configENS1_25transform_config_selectorIxLb0EEEZNS1_14transform_implILb0ES3_S5_NS0_18transform_iteratorINS0_17counting_iteratorImlEEZNS1_24adjacent_difference_implIS3_Lb1ELb0EPKxPxN6thrust23THRUST_200600_302600_NS4plusIxEEEE10hipError_tPvRmT2_T3_mT4_P12ihipStream_tbEUlmE_xEESD_NS0_8identityIvEEEESI_SL_SM_mSN_SP_bEUlT_E_NS1_11comp_targetILNS1_3genE10ELNS1_11target_archE1201ELNS1_3gpuE5ELNS1_3repE0EEENS1_30default_config_static_selectorELNS0_4arch9wavefront6targetE1EEEvT1_.has_indirect_call, 0
	.section	.AMDGPU.csdata,"",@progbits
; Kernel info:
; codeLenInByte = 0
; TotalNumSgprs: 4
; NumVgprs: 0
; ScratchSize: 0
; MemoryBound: 0
; FloatMode: 240
; IeeeMode: 1
; LDSByteSize: 0 bytes/workgroup (compile time only)
; SGPRBlocks: 0
; VGPRBlocks: 0
; NumSGPRsForWavesPerEU: 4
; NumVGPRsForWavesPerEU: 1
; Occupancy: 10
; WaveLimiterHint : 0
; COMPUTE_PGM_RSRC2:SCRATCH_EN: 0
; COMPUTE_PGM_RSRC2:USER_SGPR: 6
; COMPUTE_PGM_RSRC2:TRAP_HANDLER: 0
; COMPUTE_PGM_RSRC2:TGID_X_EN: 1
; COMPUTE_PGM_RSRC2:TGID_Y_EN: 0
; COMPUTE_PGM_RSRC2:TGID_Z_EN: 0
; COMPUTE_PGM_RSRC2:TIDIG_COMP_CNT: 0
	.section	.text._ZN7rocprim17ROCPRIM_400000_NS6detail17trampoline_kernelINS0_14default_configENS1_25transform_config_selectorIxLb0EEEZNS1_14transform_implILb0ES3_S5_NS0_18transform_iteratorINS0_17counting_iteratorImlEEZNS1_24adjacent_difference_implIS3_Lb1ELb0EPKxPxN6thrust23THRUST_200600_302600_NS4plusIxEEEE10hipError_tPvRmT2_T3_mT4_P12ihipStream_tbEUlmE_xEESD_NS0_8identityIvEEEESI_SL_SM_mSN_SP_bEUlT_E_NS1_11comp_targetILNS1_3genE10ELNS1_11target_archE1200ELNS1_3gpuE4ELNS1_3repE0EEENS1_30default_config_static_selectorELNS0_4arch9wavefront6targetE1EEEvT1_,"axG",@progbits,_ZN7rocprim17ROCPRIM_400000_NS6detail17trampoline_kernelINS0_14default_configENS1_25transform_config_selectorIxLb0EEEZNS1_14transform_implILb0ES3_S5_NS0_18transform_iteratorINS0_17counting_iteratorImlEEZNS1_24adjacent_difference_implIS3_Lb1ELb0EPKxPxN6thrust23THRUST_200600_302600_NS4plusIxEEEE10hipError_tPvRmT2_T3_mT4_P12ihipStream_tbEUlmE_xEESD_NS0_8identityIvEEEESI_SL_SM_mSN_SP_bEUlT_E_NS1_11comp_targetILNS1_3genE10ELNS1_11target_archE1200ELNS1_3gpuE4ELNS1_3repE0EEENS1_30default_config_static_selectorELNS0_4arch9wavefront6targetE1EEEvT1_,comdat
	.protected	_ZN7rocprim17ROCPRIM_400000_NS6detail17trampoline_kernelINS0_14default_configENS1_25transform_config_selectorIxLb0EEEZNS1_14transform_implILb0ES3_S5_NS0_18transform_iteratorINS0_17counting_iteratorImlEEZNS1_24adjacent_difference_implIS3_Lb1ELb0EPKxPxN6thrust23THRUST_200600_302600_NS4plusIxEEEE10hipError_tPvRmT2_T3_mT4_P12ihipStream_tbEUlmE_xEESD_NS0_8identityIvEEEESI_SL_SM_mSN_SP_bEUlT_E_NS1_11comp_targetILNS1_3genE10ELNS1_11target_archE1200ELNS1_3gpuE4ELNS1_3repE0EEENS1_30default_config_static_selectorELNS0_4arch9wavefront6targetE1EEEvT1_ ; -- Begin function _ZN7rocprim17ROCPRIM_400000_NS6detail17trampoline_kernelINS0_14default_configENS1_25transform_config_selectorIxLb0EEEZNS1_14transform_implILb0ES3_S5_NS0_18transform_iteratorINS0_17counting_iteratorImlEEZNS1_24adjacent_difference_implIS3_Lb1ELb0EPKxPxN6thrust23THRUST_200600_302600_NS4plusIxEEEE10hipError_tPvRmT2_T3_mT4_P12ihipStream_tbEUlmE_xEESD_NS0_8identityIvEEEESI_SL_SM_mSN_SP_bEUlT_E_NS1_11comp_targetILNS1_3genE10ELNS1_11target_archE1200ELNS1_3gpuE4ELNS1_3repE0EEENS1_30default_config_static_selectorELNS0_4arch9wavefront6targetE1EEEvT1_
	.globl	_ZN7rocprim17ROCPRIM_400000_NS6detail17trampoline_kernelINS0_14default_configENS1_25transform_config_selectorIxLb0EEEZNS1_14transform_implILb0ES3_S5_NS0_18transform_iteratorINS0_17counting_iteratorImlEEZNS1_24adjacent_difference_implIS3_Lb1ELb0EPKxPxN6thrust23THRUST_200600_302600_NS4plusIxEEEE10hipError_tPvRmT2_T3_mT4_P12ihipStream_tbEUlmE_xEESD_NS0_8identityIvEEEESI_SL_SM_mSN_SP_bEUlT_E_NS1_11comp_targetILNS1_3genE10ELNS1_11target_archE1200ELNS1_3gpuE4ELNS1_3repE0EEENS1_30default_config_static_selectorELNS0_4arch9wavefront6targetE1EEEvT1_
	.p2align	8
	.type	_ZN7rocprim17ROCPRIM_400000_NS6detail17trampoline_kernelINS0_14default_configENS1_25transform_config_selectorIxLb0EEEZNS1_14transform_implILb0ES3_S5_NS0_18transform_iteratorINS0_17counting_iteratorImlEEZNS1_24adjacent_difference_implIS3_Lb1ELb0EPKxPxN6thrust23THRUST_200600_302600_NS4plusIxEEEE10hipError_tPvRmT2_T3_mT4_P12ihipStream_tbEUlmE_xEESD_NS0_8identityIvEEEESI_SL_SM_mSN_SP_bEUlT_E_NS1_11comp_targetILNS1_3genE10ELNS1_11target_archE1200ELNS1_3gpuE4ELNS1_3repE0EEENS1_30default_config_static_selectorELNS0_4arch9wavefront6targetE1EEEvT1_,@function
_ZN7rocprim17ROCPRIM_400000_NS6detail17trampoline_kernelINS0_14default_configENS1_25transform_config_selectorIxLb0EEEZNS1_14transform_implILb0ES3_S5_NS0_18transform_iteratorINS0_17counting_iteratorImlEEZNS1_24adjacent_difference_implIS3_Lb1ELb0EPKxPxN6thrust23THRUST_200600_302600_NS4plusIxEEEE10hipError_tPvRmT2_T3_mT4_P12ihipStream_tbEUlmE_xEESD_NS0_8identityIvEEEESI_SL_SM_mSN_SP_bEUlT_E_NS1_11comp_targetILNS1_3genE10ELNS1_11target_archE1200ELNS1_3gpuE4ELNS1_3repE0EEENS1_30default_config_static_selectorELNS0_4arch9wavefront6targetE1EEEvT1_: ; @_ZN7rocprim17ROCPRIM_400000_NS6detail17trampoline_kernelINS0_14default_configENS1_25transform_config_selectorIxLb0EEEZNS1_14transform_implILb0ES3_S5_NS0_18transform_iteratorINS0_17counting_iteratorImlEEZNS1_24adjacent_difference_implIS3_Lb1ELb0EPKxPxN6thrust23THRUST_200600_302600_NS4plusIxEEEE10hipError_tPvRmT2_T3_mT4_P12ihipStream_tbEUlmE_xEESD_NS0_8identityIvEEEESI_SL_SM_mSN_SP_bEUlT_E_NS1_11comp_targetILNS1_3genE10ELNS1_11target_archE1200ELNS1_3gpuE4ELNS1_3repE0EEENS1_30default_config_static_selectorELNS0_4arch9wavefront6targetE1EEEvT1_
; %bb.0:
	.section	.rodata,"a",@progbits
	.p2align	6, 0x0
	.amdhsa_kernel _ZN7rocprim17ROCPRIM_400000_NS6detail17trampoline_kernelINS0_14default_configENS1_25transform_config_selectorIxLb0EEEZNS1_14transform_implILb0ES3_S5_NS0_18transform_iteratorINS0_17counting_iteratorImlEEZNS1_24adjacent_difference_implIS3_Lb1ELb0EPKxPxN6thrust23THRUST_200600_302600_NS4plusIxEEEE10hipError_tPvRmT2_T3_mT4_P12ihipStream_tbEUlmE_xEESD_NS0_8identityIvEEEESI_SL_SM_mSN_SP_bEUlT_E_NS1_11comp_targetILNS1_3genE10ELNS1_11target_archE1200ELNS1_3gpuE4ELNS1_3repE0EEENS1_30default_config_static_selectorELNS0_4arch9wavefront6targetE1EEEvT1_
		.amdhsa_group_segment_fixed_size 0
		.amdhsa_private_segment_fixed_size 0
		.amdhsa_kernarg_size 56
		.amdhsa_user_sgpr_count 6
		.amdhsa_user_sgpr_private_segment_buffer 1
		.amdhsa_user_sgpr_dispatch_ptr 0
		.amdhsa_user_sgpr_queue_ptr 0
		.amdhsa_user_sgpr_kernarg_segment_ptr 1
		.amdhsa_user_sgpr_dispatch_id 0
		.amdhsa_user_sgpr_flat_scratch_init 0
		.amdhsa_user_sgpr_private_segment_size 0
		.amdhsa_uses_dynamic_stack 0
		.amdhsa_system_sgpr_private_segment_wavefront_offset 0
		.amdhsa_system_sgpr_workgroup_id_x 1
		.amdhsa_system_sgpr_workgroup_id_y 0
		.amdhsa_system_sgpr_workgroup_id_z 0
		.amdhsa_system_sgpr_workgroup_info 0
		.amdhsa_system_vgpr_workitem_id 0
		.amdhsa_next_free_vgpr 1
		.amdhsa_next_free_sgpr 0
		.amdhsa_reserve_vcc 0
		.amdhsa_reserve_flat_scratch 0
		.amdhsa_float_round_mode_32 0
		.amdhsa_float_round_mode_16_64 0
		.amdhsa_float_denorm_mode_32 3
		.amdhsa_float_denorm_mode_16_64 3
		.amdhsa_dx10_clamp 1
		.amdhsa_ieee_mode 1
		.amdhsa_fp16_overflow 0
		.amdhsa_exception_fp_ieee_invalid_op 0
		.amdhsa_exception_fp_denorm_src 0
		.amdhsa_exception_fp_ieee_div_zero 0
		.amdhsa_exception_fp_ieee_overflow 0
		.amdhsa_exception_fp_ieee_underflow 0
		.amdhsa_exception_fp_ieee_inexact 0
		.amdhsa_exception_int_div_zero 0
	.end_amdhsa_kernel
	.section	.text._ZN7rocprim17ROCPRIM_400000_NS6detail17trampoline_kernelINS0_14default_configENS1_25transform_config_selectorIxLb0EEEZNS1_14transform_implILb0ES3_S5_NS0_18transform_iteratorINS0_17counting_iteratorImlEEZNS1_24adjacent_difference_implIS3_Lb1ELb0EPKxPxN6thrust23THRUST_200600_302600_NS4plusIxEEEE10hipError_tPvRmT2_T3_mT4_P12ihipStream_tbEUlmE_xEESD_NS0_8identityIvEEEESI_SL_SM_mSN_SP_bEUlT_E_NS1_11comp_targetILNS1_3genE10ELNS1_11target_archE1200ELNS1_3gpuE4ELNS1_3repE0EEENS1_30default_config_static_selectorELNS0_4arch9wavefront6targetE1EEEvT1_,"axG",@progbits,_ZN7rocprim17ROCPRIM_400000_NS6detail17trampoline_kernelINS0_14default_configENS1_25transform_config_selectorIxLb0EEEZNS1_14transform_implILb0ES3_S5_NS0_18transform_iteratorINS0_17counting_iteratorImlEEZNS1_24adjacent_difference_implIS3_Lb1ELb0EPKxPxN6thrust23THRUST_200600_302600_NS4plusIxEEEE10hipError_tPvRmT2_T3_mT4_P12ihipStream_tbEUlmE_xEESD_NS0_8identityIvEEEESI_SL_SM_mSN_SP_bEUlT_E_NS1_11comp_targetILNS1_3genE10ELNS1_11target_archE1200ELNS1_3gpuE4ELNS1_3repE0EEENS1_30default_config_static_selectorELNS0_4arch9wavefront6targetE1EEEvT1_,comdat
.Lfunc_end712:
	.size	_ZN7rocprim17ROCPRIM_400000_NS6detail17trampoline_kernelINS0_14default_configENS1_25transform_config_selectorIxLb0EEEZNS1_14transform_implILb0ES3_S5_NS0_18transform_iteratorINS0_17counting_iteratorImlEEZNS1_24adjacent_difference_implIS3_Lb1ELb0EPKxPxN6thrust23THRUST_200600_302600_NS4plusIxEEEE10hipError_tPvRmT2_T3_mT4_P12ihipStream_tbEUlmE_xEESD_NS0_8identityIvEEEESI_SL_SM_mSN_SP_bEUlT_E_NS1_11comp_targetILNS1_3genE10ELNS1_11target_archE1200ELNS1_3gpuE4ELNS1_3repE0EEENS1_30default_config_static_selectorELNS0_4arch9wavefront6targetE1EEEvT1_, .Lfunc_end712-_ZN7rocprim17ROCPRIM_400000_NS6detail17trampoline_kernelINS0_14default_configENS1_25transform_config_selectorIxLb0EEEZNS1_14transform_implILb0ES3_S5_NS0_18transform_iteratorINS0_17counting_iteratorImlEEZNS1_24adjacent_difference_implIS3_Lb1ELb0EPKxPxN6thrust23THRUST_200600_302600_NS4plusIxEEEE10hipError_tPvRmT2_T3_mT4_P12ihipStream_tbEUlmE_xEESD_NS0_8identityIvEEEESI_SL_SM_mSN_SP_bEUlT_E_NS1_11comp_targetILNS1_3genE10ELNS1_11target_archE1200ELNS1_3gpuE4ELNS1_3repE0EEENS1_30default_config_static_selectorELNS0_4arch9wavefront6targetE1EEEvT1_
                                        ; -- End function
	.set _ZN7rocprim17ROCPRIM_400000_NS6detail17trampoline_kernelINS0_14default_configENS1_25transform_config_selectorIxLb0EEEZNS1_14transform_implILb0ES3_S5_NS0_18transform_iteratorINS0_17counting_iteratorImlEEZNS1_24adjacent_difference_implIS3_Lb1ELb0EPKxPxN6thrust23THRUST_200600_302600_NS4plusIxEEEE10hipError_tPvRmT2_T3_mT4_P12ihipStream_tbEUlmE_xEESD_NS0_8identityIvEEEESI_SL_SM_mSN_SP_bEUlT_E_NS1_11comp_targetILNS1_3genE10ELNS1_11target_archE1200ELNS1_3gpuE4ELNS1_3repE0EEENS1_30default_config_static_selectorELNS0_4arch9wavefront6targetE1EEEvT1_.num_vgpr, 0
	.set _ZN7rocprim17ROCPRIM_400000_NS6detail17trampoline_kernelINS0_14default_configENS1_25transform_config_selectorIxLb0EEEZNS1_14transform_implILb0ES3_S5_NS0_18transform_iteratorINS0_17counting_iteratorImlEEZNS1_24adjacent_difference_implIS3_Lb1ELb0EPKxPxN6thrust23THRUST_200600_302600_NS4plusIxEEEE10hipError_tPvRmT2_T3_mT4_P12ihipStream_tbEUlmE_xEESD_NS0_8identityIvEEEESI_SL_SM_mSN_SP_bEUlT_E_NS1_11comp_targetILNS1_3genE10ELNS1_11target_archE1200ELNS1_3gpuE4ELNS1_3repE0EEENS1_30default_config_static_selectorELNS0_4arch9wavefront6targetE1EEEvT1_.num_agpr, 0
	.set _ZN7rocprim17ROCPRIM_400000_NS6detail17trampoline_kernelINS0_14default_configENS1_25transform_config_selectorIxLb0EEEZNS1_14transform_implILb0ES3_S5_NS0_18transform_iteratorINS0_17counting_iteratorImlEEZNS1_24adjacent_difference_implIS3_Lb1ELb0EPKxPxN6thrust23THRUST_200600_302600_NS4plusIxEEEE10hipError_tPvRmT2_T3_mT4_P12ihipStream_tbEUlmE_xEESD_NS0_8identityIvEEEESI_SL_SM_mSN_SP_bEUlT_E_NS1_11comp_targetILNS1_3genE10ELNS1_11target_archE1200ELNS1_3gpuE4ELNS1_3repE0EEENS1_30default_config_static_selectorELNS0_4arch9wavefront6targetE1EEEvT1_.numbered_sgpr, 0
	.set _ZN7rocprim17ROCPRIM_400000_NS6detail17trampoline_kernelINS0_14default_configENS1_25transform_config_selectorIxLb0EEEZNS1_14transform_implILb0ES3_S5_NS0_18transform_iteratorINS0_17counting_iteratorImlEEZNS1_24adjacent_difference_implIS3_Lb1ELb0EPKxPxN6thrust23THRUST_200600_302600_NS4plusIxEEEE10hipError_tPvRmT2_T3_mT4_P12ihipStream_tbEUlmE_xEESD_NS0_8identityIvEEEESI_SL_SM_mSN_SP_bEUlT_E_NS1_11comp_targetILNS1_3genE10ELNS1_11target_archE1200ELNS1_3gpuE4ELNS1_3repE0EEENS1_30default_config_static_selectorELNS0_4arch9wavefront6targetE1EEEvT1_.num_named_barrier, 0
	.set _ZN7rocprim17ROCPRIM_400000_NS6detail17trampoline_kernelINS0_14default_configENS1_25transform_config_selectorIxLb0EEEZNS1_14transform_implILb0ES3_S5_NS0_18transform_iteratorINS0_17counting_iteratorImlEEZNS1_24adjacent_difference_implIS3_Lb1ELb0EPKxPxN6thrust23THRUST_200600_302600_NS4plusIxEEEE10hipError_tPvRmT2_T3_mT4_P12ihipStream_tbEUlmE_xEESD_NS0_8identityIvEEEESI_SL_SM_mSN_SP_bEUlT_E_NS1_11comp_targetILNS1_3genE10ELNS1_11target_archE1200ELNS1_3gpuE4ELNS1_3repE0EEENS1_30default_config_static_selectorELNS0_4arch9wavefront6targetE1EEEvT1_.private_seg_size, 0
	.set _ZN7rocprim17ROCPRIM_400000_NS6detail17trampoline_kernelINS0_14default_configENS1_25transform_config_selectorIxLb0EEEZNS1_14transform_implILb0ES3_S5_NS0_18transform_iteratorINS0_17counting_iteratorImlEEZNS1_24adjacent_difference_implIS3_Lb1ELb0EPKxPxN6thrust23THRUST_200600_302600_NS4plusIxEEEE10hipError_tPvRmT2_T3_mT4_P12ihipStream_tbEUlmE_xEESD_NS0_8identityIvEEEESI_SL_SM_mSN_SP_bEUlT_E_NS1_11comp_targetILNS1_3genE10ELNS1_11target_archE1200ELNS1_3gpuE4ELNS1_3repE0EEENS1_30default_config_static_selectorELNS0_4arch9wavefront6targetE1EEEvT1_.uses_vcc, 0
	.set _ZN7rocprim17ROCPRIM_400000_NS6detail17trampoline_kernelINS0_14default_configENS1_25transform_config_selectorIxLb0EEEZNS1_14transform_implILb0ES3_S5_NS0_18transform_iteratorINS0_17counting_iteratorImlEEZNS1_24adjacent_difference_implIS3_Lb1ELb0EPKxPxN6thrust23THRUST_200600_302600_NS4plusIxEEEE10hipError_tPvRmT2_T3_mT4_P12ihipStream_tbEUlmE_xEESD_NS0_8identityIvEEEESI_SL_SM_mSN_SP_bEUlT_E_NS1_11comp_targetILNS1_3genE10ELNS1_11target_archE1200ELNS1_3gpuE4ELNS1_3repE0EEENS1_30default_config_static_selectorELNS0_4arch9wavefront6targetE1EEEvT1_.uses_flat_scratch, 0
	.set _ZN7rocprim17ROCPRIM_400000_NS6detail17trampoline_kernelINS0_14default_configENS1_25transform_config_selectorIxLb0EEEZNS1_14transform_implILb0ES3_S5_NS0_18transform_iteratorINS0_17counting_iteratorImlEEZNS1_24adjacent_difference_implIS3_Lb1ELb0EPKxPxN6thrust23THRUST_200600_302600_NS4plusIxEEEE10hipError_tPvRmT2_T3_mT4_P12ihipStream_tbEUlmE_xEESD_NS0_8identityIvEEEESI_SL_SM_mSN_SP_bEUlT_E_NS1_11comp_targetILNS1_3genE10ELNS1_11target_archE1200ELNS1_3gpuE4ELNS1_3repE0EEENS1_30default_config_static_selectorELNS0_4arch9wavefront6targetE1EEEvT1_.has_dyn_sized_stack, 0
	.set _ZN7rocprim17ROCPRIM_400000_NS6detail17trampoline_kernelINS0_14default_configENS1_25transform_config_selectorIxLb0EEEZNS1_14transform_implILb0ES3_S5_NS0_18transform_iteratorINS0_17counting_iteratorImlEEZNS1_24adjacent_difference_implIS3_Lb1ELb0EPKxPxN6thrust23THRUST_200600_302600_NS4plusIxEEEE10hipError_tPvRmT2_T3_mT4_P12ihipStream_tbEUlmE_xEESD_NS0_8identityIvEEEESI_SL_SM_mSN_SP_bEUlT_E_NS1_11comp_targetILNS1_3genE10ELNS1_11target_archE1200ELNS1_3gpuE4ELNS1_3repE0EEENS1_30default_config_static_selectorELNS0_4arch9wavefront6targetE1EEEvT1_.has_recursion, 0
	.set _ZN7rocprim17ROCPRIM_400000_NS6detail17trampoline_kernelINS0_14default_configENS1_25transform_config_selectorIxLb0EEEZNS1_14transform_implILb0ES3_S5_NS0_18transform_iteratorINS0_17counting_iteratorImlEEZNS1_24adjacent_difference_implIS3_Lb1ELb0EPKxPxN6thrust23THRUST_200600_302600_NS4plusIxEEEE10hipError_tPvRmT2_T3_mT4_P12ihipStream_tbEUlmE_xEESD_NS0_8identityIvEEEESI_SL_SM_mSN_SP_bEUlT_E_NS1_11comp_targetILNS1_3genE10ELNS1_11target_archE1200ELNS1_3gpuE4ELNS1_3repE0EEENS1_30default_config_static_selectorELNS0_4arch9wavefront6targetE1EEEvT1_.has_indirect_call, 0
	.section	.AMDGPU.csdata,"",@progbits
; Kernel info:
; codeLenInByte = 0
; TotalNumSgprs: 4
; NumVgprs: 0
; ScratchSize: 0
; MemoryBound: 0
; FloatMode: 240
; IeeeMode: 1
; LDSByteSize: 0 bytes/workgroup (compile time only)
; SGPRBlocks: 0
; VGPRBlocks: 0
; NumSGPRsForWavesPerEU: 4
; NumVGPRsForWavesPerEU: 1
; Occupancy: 10
; WaveLimiterHint : 0
; COMPUTE_PGM_RSRC2:SCRATCH_EN: 0
; COMPUTE_PGM_RSRC2:USER_SGPR: 6
; COMPUTE_PGM_RSRC2:TRAP_HANDLER: 0
; COMPUTE_PGM_RSRC2:TGID_X_EN: 1
; COMPUTE_PGM_RSRC2:TGID_Y_EN: 0
; COMPUTE_PGM_RSRC2:TGID_Z_EN: 0
; COMPUTE_PGM_RSRC2:TIDIG_COMP_CNT: 0
	.section	.text._ZN7rocprim17ROCPRIM_400000_NS6detail17trampoline_kernelINS0_14default_configENS1_25transform_config_selectorIxLb0EEEZNS1_14transform_implILb0ES3_S5_NS0_18transform_iteratorINS0_17counting_iteratorImlEEZNS1_24adjacent_difference_implIS3_Lb1ELb0EPKxPxN6thrust23THRUST_200600_302600_NS4plusIxEEEE10hipError_tPvRmT2_T3_mT4_P12ihipStream_tbEUlmE_xEESD_NS0_8identityIvEEEESI_SL_SM_mSN_SP_bEUlT_E_NS1_11comp_targetILNS1_3genE9ELNS1_11target_archE1100ELNS1_3gpuE3ELNS1_3repE0EEENS1_30default_config_static_selectorELNS0_4arch9wavefront6targetE1EEEvT1_,"axG",@progbits,_ZN7rocprim17ROCPRIM_400000_NS6detail17trampoline_kernelINS0_14default_configENS1_25transform_config_selectorIxLb0EEEZNS1_14transform_implILb0ES3_S5_NS0_18transform_iteratorINS0_17counting_iteratorImlEEZNS1_24adjacent_difference_implIS3_Lb1ELb0EPKxPxN6thrust23THRUST_200600_302600_NS4plusIxEEEE10hipError_tPvRmT2_T3_mT4_P12ihipStream_tbEUlmE_xEESD_NS0_8identityIvEEEESI_SL_SM_mSN_SP_bEUlT_E_NS1_11comp_targetILNS1_3genE9ELNS1_11target_archE1100ELNS1_3gpuE3ELNS1_3repE0EEENS1_30default_config_static_selectorELNS0_4arch9wavefront6targetE1EEEvT1_,comdat
	.protected	_ZN7rocprim17ROCPRIM_400000_NS6detail17trampoline_kernelINS0_14default_configENS1_25transform_config_selectorIxLb0EEEZNS1_14transform_implILb0ES3_S5_NS0_18transform_iteratorINS0_17counting_iteratorImlEEZNS1_24adjacent_difference_implIS3_Lb1ELb0EPKxPxN6thrust23THRUST_200600_302600_NS4plusIxEEEE10hipError_tPvRmT2_T3_mT4_P12ihipStream_tbEUlmE_xEESD_NS0_8identityIvEEEESI_SL_SM_mSN_SP_bEUlT_E_NS1_11comp_targetILNS1_3genE9ELNS1_11target_archE1100ELNS1_3gpuE3ELNS1_3repE0EEENS1_30default_config_static_selectorELNS0_4arch9wavefront6targetE1EEEvT1_ ; -- Begin function _ZN7rocprim17ROCPRIM_400000_NS6detail17trampoline_kernelINS0_14default_configENS1_25transform_config_selectorIxLb0EEEZNS1_14transform_implILb0ES3_S5_NS0_18transform_iteratorINS0_17counting_iteratorImlEEZNS1_24adjacent_difference_implIS3_Lb1ELb0EPKxPxN6thrust23THRUST_200600_302600_NS4plusIxEEEE10hipError_tPvRmT2_T3_mT4_P12ihipStream_tbEUlmE_xEESD_NS0_8identityIvEEEESI_SL_SM_mSN_SP_bEUlT_E_NS1_11comp_targetILNS1_3genE9ELNS1_11target_archE1100ELNS1_3gpuE3ELNS1_3repE0EEENS1_30default_config_static_selectorELNS0_4arch9wavefront6targetE1EEEvT1_
	.globl	_ZN7rocprim17ROCPRIM_400000_NS6detail17trampoline_kernelINS0_14default_configENS1_25transform_config_selectorIxLb0EEEZNS1_14transform_implILb0ES3_S5_NS0_18transform_iteratorINS0_17counting_iteratorImlEEZNS1_24adjacent_difference_implIS3_Lb1ELb0EPKxPxN6thrust23THRUST_200600_302600_NS4plusIxEEEE10hipError_tPvRmT2_T3_mT4_P12ihipStream_tbEUlmE_xEESD_NS0_8identityIvEEEESI_SL_SM_mSN_SP_bEUlT_E_NS1_11comp_targetILNS1_3genE9ELNS1_11target_archE1100ELNS1_3gpuE3ELNS1_3repE0EEENS1_30default_config_static_selectorELNS0_4arch9wavefront6targetE1EEEvT1_
	.p2align	8
	.type	_ZN7rocprim17ROCPRIM_400000_NS6detail17trampoline_kernelINS0_14default_configENS1_25transform_config_selectorIxLb0EEEZNS1_14transform_implILb0ES3_S5_NS0_18transform_iteratorINS0_17counting_iteratorImlEEZNS1_24adjacent_difference_implIS3_Lb1ELb0EPKxPxN6thrust23THRUST_200600_302600_NS4plusIxEEEE10hipError_tPvRmT2_T3_mT4_P12ihipStream_tbEUlmE_xEESD_NS0_8identityIvEEEESI_SL_SM_mSN_SP_bEUlT_E_NS1_11comp_targetILNS1_3genE9ELNS1_11target_archE1100ELNS1_3gpuE3ELNS1_3repE0EEENS1_30default_config_static_selectorELNS0_4arch9wavefront6targetE1EEEvT1_,@function
_ZN7rocprim17ROCPRIM_400000_NS6detail17trampoline_kernelINS0_14default_configENS1_25transform_config_selectorIxLb0EEEZNS1_14transform_implILb0ES3_S5_NS0_18transform_iteratorINS0_17counting_iteratorImlEEZNS1_24adjacent_difference_implIS3_Lb1ELb0EPKxPxN6thrust23THRUST_200600_302600_NS4plusIxEEEE10hipError_tPvRmT2_T3_mT4_P12ihipStream_tbEUlmE_xEESD_NS0_8identityIvEEEESI_SL_SM_mSN_SP_bEUlT_E_NS1_11comp_targetILNS1_3genE9ELNS1_11target_archE1100ELNS1_3gpuE3ELNS1_3repE0EEENS1_30default_config_static_selectorELNS0_4arch9wavefront6targetE1EEEvT1_: ; @_ZN7rocprim17ROCPRIM_400000_NS6detail17trampoline_kernelINS0_14default_configENS1_25transform_config_selectorIxLb0EEEZNS1_14transform_implILb0ES3_S5_NS0_18transform_iteratorINS0_17counting_iteratorImlEEZNS1_24adjacent_difference_implIS3_Lb1ELb0EPKxPxN6thrust23THRUST_200600_302600_NS4plusIxEEEE10hipError_tPvRmT2_T3_mT4_P12ihipStream_tbEUlmE_xEESD_NS0_8identityIvEEEESI_SL_SM_mSN_SP_bEUlT_E_NS1_11comp_targetILNS1_3genE9ELNS1_11target_archE1100ELNS1_3gpuE3ELNS1_3repE0EEENS1_30default_config_static_selectorELNS0_4arch9wavefront6targetE1EEEvT1_
; %bb.0:
	.section	.rodata,"a",@progbits
	.p2align	6, 0x0
	.amdhsa_kernel _ZN7rocprim17ROCPRIM_400000_NS6detail17trampoline_kernelINS0_14default_configENS1_25transform_config_selectorIxLb0EEEZNS1_14transform_implILb0ES3_S5_NS0_18transform_iteratorINS0_17counting_iteratorImlEEZNS1_24adjacent_difference_implIS3_Lb1ELb0EPKxPxN6thrust23THRUST_200600_302600_NS4plusIxEEEE10hipError_tPvRmT2_T3_mT4_P12ihipStream_tbEUlmE_xEESD_NS0_8identityIvEEEESI_SL_SM_mSN_SP_bEUlT_E_NS1_11comp_targetILNS1_3genE9ELNS1_11target_archE1100ELNS1_3gpuE3ELNS1_3repE0EEENS1_30default_config_static_selectorELNS0_4arch9wavefront6targetE1EEEvT1_
		.amdhsa_group_segment_fixed_size 0
		.amdhsa_private_segment_fixed_size 0
		.amdhsa_kernarg_size 56
		.amdhsa_user_sgpr_count 6
		.amdhsa_user_sgpr_private_segment_buffer 1
		.amdhsa_user_sgpr_dispatch_ptr 0
		.amdhsa_user_sgpr_queue_ptr 0
		.amdhsa_user_sgpr_kernarg_segment_ptr 1
		.amdhsa_user_sgpr_dispatch_id 0
		.amdhsa_user_sgpr_flat_scratch_init 0
		.amdhsa_user_sgpr_private_segment_size 0
		.amdhsa_uses_dynamic_stack 0
		.amdhsa_system_sgpr_private_segment_wavefront_offset 0
		.amdhsa_system_sgpr_workgroup_id_x 1
		.amdhsa_system_sgpr_workgroup_id_y 0
		.amdhsa_system_sgpr_workgroup_id_z 0
		.amdhsa_system_sgpr_workgroup_info 0
		.amdhsa_system_vgpr_workitem_id 0
		.amdhsa_next_free_vgpr 1
		.amdhsa_next_free_sgpr 0
		.amdhsa_reserve_vcc 0
		.amdhsa_reserve_flat_scratch 0
		.amdhsa_float_round_mode_32 0
		.amdhsa_float_round_mode_16_64 0
		.amdhsa_float_denorm_mode_32 3
		.amdhsa_float_denorm_mode_16_64 3
		.amdhsa_dx10_clamp 1
		.amdhsa_ieee_mode 1
		.amdhsa_fp16_overflow 0
		.amdhsa_exception_fp_ieee_invalid_op 0
		.amdhsa_exception_fp_denorm_src 0
		.amdhsa_exception_fp_ieee_div_zero 0
		.amdhsa_exception_fp_ieee_overflow 0
		.amdhsa_exception_fp_ieee_underflow 0
		.amdhsa_exception_fp_ieee_inexact 0
		.amdhsa_exception_int_div_zero 0
	.end_amdhsa_kernel
	.section	.text._ZN7rocprim17ROCPRIM_400000_NS6detail17trampoline_kernelINS0_14default_configENS1_25transform_config_selectorIxLb0EEEZNS1_14transform_implILb0ES3_S5_NS0_18transform_iteratorINS0_17counting_iteratorImlEEZNS1_24adjacent_difference_implIS3_Lb1ELb0EPKxPxN6thrust23THRUST_200600_302600_NS4plusIxEEEE10hipError_tPvRmT2_T3_mT4_P12ihipStream_tbEUlmE_xEESD_NS0_8identityIvEEEESI_SL_SM_mSN_SP_bEUlT_E_NS1_11comp_targetILNS1_3genE9ELNS1_11target_archE1100ELNS1_3gpuE3ELNS1_3repE0EEENS1_30default_config_static_selectorELNS0_4arch9wavefront6targetE1EEEvT1_,"axG",@progbits,_ZN7rocprim17ROCPRIM_400000_NS6detail17trampoline_kernelINS0_14default_configENS1_25transform_config_selectorIxLb0EEEZNS1_14transform_implILb0ES3_S5_NS0_18transform_iteratorINS0_17counting_iteratorImlEEZNS1_24adjacent_difference_implIS3_Lb1ELb0EPKxPxN6thrust23THRUST_200600_302600_NS4plusIxEEEE10hipError_tPvRmT2_T3_mT4_P12ihipStream_tbEUlmE_xEESD_NS0_8identityIvEEEESI_SL_SM_mSN_SP_bEUlT_E_NS1_11comp_targetILNS1_3genE9ELNS1_11target_archE1100ELNS1_3gpuE3ELNS1_3repE0EEENS1_30default_config_static_selectorELNS0_4arch9wavefront6targetE1EEEvT1_,comdat
.Lfunc_end713:
	.size	_ZN7rocprim17ROCPRIM_400000_NS6detail17trampoline_kernelINS0_14default_configENS1_25transform_config_selectorIxLb0EEEZNS1_14transform_implILb0ES3_S5_NS0_18transform_iteratorINS0_17counting_iteratorImlEEZNS1_24adjacent_difference_implIS3_Lb1ELb0EPKxPxN6thrust23THRUST_200600_302600_NS4plusIxEEEE10hipError_tPvRmT2_T3_mT4_P12ihipStream_tbEUlmE_xEESD_NS0_8identityIvEEEESI_SL_SM_mSN_SP_bEUlT_E_NS1_11comp_targetILNS1_3genE9ELNS1_11target_archE1100ELNS1_3gpuE3ELNS1_3repE0EEENS1_30default_config_static_selectorELNS0_4arch9wavefront6targetE1EEEvT1_, .Lfunc_end713-_ZN7rocprim17ROCPRIM_400000_NS6detail17trampoline_kernelINS0_14default_configENS1_25transform_config_selectorIxLb0EEEZNS1_14transform_implILb0ES3_S5_NS0_18transform_iteratorINS0_17counting_iteratorImlEEZNS1_24adjacent_difference_implIS3_Lb1ELb0EPKxPxN6thrust23THRUST_200600_302600_NS4plusIxEEEE10hipError_tPvRmT2_T3_mT4_P12ihipStream_tbEUlmE_xEESD_NS0_8identityIvEEEESI_SL_SM_mSN_SP_bEUlT_E_NS1_11comp_targetILNS1_3genE9ELNS1_11target_archE1100ELNS1_3gpuE3ELNS1_3repE0EEENS1_30default_config_static_selectorELNS0_4arch9wavefront6targetE1EEEvT1_
                                        ; -- End function
	.set _ZN7rocprim17ROCPRIM_400000_NS6detail17trampoline_kernelINS0_14default_configENS1_25transform_config_selectorIxLb0EEEZNS1_14transform_implILb0ES3_S5_NS0_18transform_iteratorINS0_17counting_iteratorImlEEZNS1_24adjacent_difference_implIS3_Lb1ELb0EPKxPxN6thrust23THRUST_200600_302600_NS4plusIxEEEE10hipError_tPvRmT2_T3_mT4_P12ihipStream_tbEUlmE_xEESD_NS0_8identityIvEEEESI_SL_SM_mSN_SP_bEUlT_E_NS1_11comp_targetILNS1_3genE9ELNS1_11target_archE1100ELNS1_3gpuE3ELNS1_3repE0EEENS1_30default_config_static_selectorELNS0_4arch9wavefront6targetE1EEEvT1_.num_vgpr, 0
	.set _ZN7rocprim17ROCPRIM_400000_NS6detail17trampoline_kernelINS0_14default_configENS1_25transform_config_selectorIxLb0EEEZNS1_14transform_implILb0ES3_S5_NS0_18transform_iteratorINS0_17counting_iteratorImlEEZNS1_24adjacent_difference_implIS3_Lb1ELb0EPKxPxN6thrust23THRUST_200600_302600_NS4plusIxEEEE10hipError_tPvRmT2_T3_mT4_P12ihipStream_tbEUlmE_xEESD_NS0_8identityIvEEEESI_SL_SM_mSN_SP_bEUlT_E_NS1_11comp_targetILNS1_3genE9ELNS1_11target_archE1100ELNS1_3gpuE3ELNS1_3repE0EEENS1_30default_config_static_selectorELNS0_4arch9wavefront6targetE1EEEvT1_.num_agpr, 0
	.set _ZN7rocprim17ROCPRIM_400000_NS6detail17trampoline_kernelINS0_14default_configENS1_25transform_config_selectorIxLb0EEEZNS1_14transform_implILb0ES3_S5_NS0_18transform_iteratorINS0_17counting_iteratorImlEEZNS1_24adjacent_difference_implIS3_Lb1ELb0EPKxPxN6thrust23THRUST_200600_302600_NS4plusIxEEEE10hipError_tPvRmT2_T3_mT4_P12ihipStream_tbEUlmE_xEESD_NS0_8identityIvEEEESI_SL_SM_mSN_SP_bEUlT_E_NS1_11comp_targetILNS1_3genE9ELNS1_11target_archE1100ELNS1_3gpuE3ELNS1_3repE0EEENS1_30default_config_static_selectorELNS0_4arch9wavefront6targetE1EEEvT1_.numbered_sgpr, 0
	.set _ZN7rocprim17ROCPRIM_400000_NS6detail17trampoline_kernelINS0_14default_configENS1_25transform_config_selectorIxLb0EEEZNS1_14transform_implILb0ES3_S5_NS0_18transform_iteratorINS0_17counting_iteratorImlEEZNS1_24adjacent_difference_implIS3_Lb1ELb0EPKxPxN6thrust23THRUST_200600_302600_NS4plusIxEEEE10hipError_tPvRmT2_T3_mT4_P12ihipStream_tbEUlmE_xEESD_NS0_8identityIvEEEESI_SL_SM_mSN_SP_bEUlT_E_NS1_11comp_targetILNS1_3genE9ELNS1_11target_archE1100ELNS1_3gpuE3ELNS1_3repE0EEENS1_30default_config_static_selectorELNS0_4arch9wavefront6targetE1EEEvT1_.num_named_barrier, 0
	.set _ZN7rocprim17ROCPRIM_400000_NS6detail17trampoline_kernelINS0_14default_configENS1_25transform_config_selectorIxLb0EEEZNS1_14transform_implILb0ES3_S5_NS0_18transform_iteratorINS0_17counting_iteratorImlEEZNS1_24adjacent_difference_implIS3_Lb1ELb0EPKxPxN6thrust23THRUST_200600_302600_NS4plusIxEEEE10hipError_tPvRmT2_T3_mT4_P12ihipStream_tbEUlmE_xEESD_NS0_8identityIvEEEESI_SL_SM_mSN_SP_bEUlT_E_NS1_11comp_targetILNS1_3genE9ELNS1_11target_archE1100ELNS1_3gpuE3ELNS1_3repE0EEENS1_30default_config_static_selectorELNS0_4arch9wavefront6targetE1EEEvT1_.private_seg_size, 0
	.set _ZN7rocprim17ROCPRIM_400000_NS6detail17trampoline_kernelINS0_14default_configENS1_25transform_config_selectorIxLb0EEEZNS1_14transform_implILb0ES3_S5_NS0_18transform_iteratorINS0_17counting_iteratorImlEEZNS1_24adjacent_difference_implIS3_Lb1ELb0EPKxPxN6thrust23THRUST_200600_302600_NS4plusIxEEEE10hipError_tPvRmT2_T3_mT4_P12ihipStream_tbEUlmE_xEESD_NS0_8identityIvEEEESI_SL_SM_mSN_SP_bEUlT_E_NS1_11comp_targetILNS1_3genE9ELNS1_11target_archE1100ELNS1_3gpuE3ELNS1_3repE0EEENS1_30default_config_static_selectorELNS0_4arch9wavefront6targetE1EEEvT1_.uses_vcc, 0
	.set _ZN7rocprim17ROCPRIM_400000_NS6detail17trampoline_kernelINS0_14default_configENS1_25transform_config_selectorIxLb0EEEZNS1_14transform_implILb0ES3_S5_NS0_18transform_iteratorINS0_17counting_iteratorImlEEZNS1_24adjacent_difference_implIS3_Lb1ELb0EPKxPxN6thrust23THRUST_200600_302600_NS4plusIxEEEE10hipError_tPvRmT2_T3_mT4_P12ihipStream_tbEUlmE_xEESD_NS0_8identityIvEEEESI_SL_SM_mSN_SP_bEUlT_E_NS1_11comp_targetILNS1_3genE9ELNS1_11target_archE1100ELNS1_3gpuE3ELNS1_3repE0EEENS1_30default_config_static_selectorELNS0_4arch9wavefront6targetE1EEEvT1_.uses_flat_scratch, 0
	.set _ZN7rocprim17ROCPRIM_400000_NS6detail17trampoline_kernelINS0_14default_configENS1_25transform_config_selectorIxLb0EEEZNS1_14transform_implILb0ES3_S5_NS0_18transform_iteratorINS0_17counting_iteratorImlEEZNS1_24adjacent_difference_implIS3_Lb1ELb0EPKxPxN6thrust23THRUST_200600_302600_NS4plusIxEEEE10hipError_tPvRmT2_T3_mT4_P12ihipStream_tbEUlmE_xEESD_NS0_8identityIvEEEESI_SL_SM_mSN_SP_bEUlT_E_NS1_11comp_targetILNS1_3genE9ELNS1_11target_archE1100ELNS1_3gpuE3ELNS1_3repE0EEENS1_30default_config_static_selectorELNS0_4arch9wavefront6targetE1EEEvT1_.has_dyn_sized_stack, 0
	.set _ZN7rocprim17ROCPRIM_400000_NS6detail17trampoline_kernelINS0_14default_configENS1_25transform_config_selectorIxLb0EEEZNS1_14transform_implILb0ES3_S5_NS0_18transform_iteratorINS0_17counting_iteratorImlEEZNS1_24adjacent_difference_implIS3_Lb1ELb0EPKxPxN6thrust23THRUST_200600_302600_NS4plusIxEEEE10hipError_tPvRmT2_T3_mT4_P12ihipStream_tbEUlmE_xEESD_NS0_8identityIvEEEESI_SL_SM_mSN_SP_bEUlT_E_NS1_11comp_targetILNS1_3genE9ELNS1_11target_archE1100ELNS1_3gpuE3ELNS1_3repE0EEENS1_30default_config_static_selectorELNS0_4arch9wavefront6targetE1EEEvT1_.has_recursion, 0
	.set _ZN7rocprim17ROCPRIM_400000_NS6detail17trampoline_kernelINS0_14default_configENS1_25transform_config_selectorIxLb0EEEZNS1_14transform_implILb0ES3_S5_NS0_18transform_iteratorINS0_17counting_iteratorImlEEZNS1_24adjacent_difference_implIS3_Lb1ELb0EPKxPxN6thrust23THRUST_200600_302600_NS4plusIxEEEE10hipError_tPvRmT2_T3_mT4_P12ihipStream_tbEUlmE_xEESD_NS0_8identityIvEEEESI_SL_SM_mSN_SP_bEUlT_E_NS1_11comp_targetILNS1_3genE9ELNS1_11target_archE1100ELNS1_3gpuE3ELNS1_3repE0EEENS1_30default_config_static_selectorELNS0_4arch9wavefront6targetE1EEEvT1_.has_indirect_call, 0
	.section	.AMDGPU.csdata,"",@progbits
; Kernel info:
; codeLenInByte = 0
; TotalNumSgprs: 4
; NumVgprs: 0
; ScratchSize: 0
; MemoryBound: 0
; FloatMode: 240
; IeeeMode: 1
; LDSByteSize: 0 bytes/workgroup (compile time only)
; SGPRBlocks: 0
; VGPRBlocks: 0
; NumSGPRsForWavesPerEU: 4
; NumVGPRsForWavesPerEU: 1
; Occupancy: 10
; WaveLimiterHint : 0
; COMPUTE_PGM_RSRC2:SCRATCH_EN: 0
; COMPUTE_PGM_RSRC2:USER_SGPR: 6
; COMPUTE_PGM_RSRC2:TRAP_HANDLER: 0
; COMPUTE_PGM_RSRC2:TGID_X_EN: 1
; COMPUTE_PGM_RSRC2:TGID_Y_EN: 0
; COMPUTE_PGM_RSRC2:TGID_Z_EN: 0
; COMPUTE_PGM_RSRC2:TIDIG_COMP_CNT: 0
	.section	.text._ZN7rocprim17ROCPRIM_400000_NS6detail17trampoline_kernelINS0_14default_configENS1_25transform_config_selectorIxLb0EEEZNS1_14transform_implILb0ES3_S5_NS0_18transform_iteratorINS0_17counting_iteratorImlEEZNS1_24adjacent_difference_implIS3_Lb1ELb0EPKxPxN6thrust23THRUST_200600_302600_NS4plusIxEEEE10hipError_tPvRmT2_T3_mT4_P12ihipStream_tbEUlmE_xEESD_NS0_8identityIvEEEESI_SL_SM_mSN_SP_bEUlT_E_NS1_11comp_targetILNS1_3genE8ELNS1_11target_archE1030ELNS1_3gpuE2ELNS1_3repE0EEENS1_30default_config_static_selectorELNS0_4arch9wavefront6targetE1EEEvT1_,"axG",@progbits,_ZN7rocprim17ROCPRIM_400000_NS6detail17trampoline_kernelINS0_14default_configENS1_25transform_config_selectorIxLb0EEEZNS1_14transform_implILb0ES3_S5_NS0_18transform_iteratorINS0_17counting_iteratorImlEEZNS1_24adjacent_difference_implIS3_Lb1ELb0EPKxPxN6thrust23THRUST_200600_302600_NS4plusIxEEEE10hipError_tPvRmT2_T3_mT4_P12ihipStream_tbEUlmE_xEESD_NS0_8identityIvEEEESI_SL_SM_mSN_SP_bEUlT_E_NS1_11comp_targetILNS1_3genE8ELNS1_11target_archE1030ELNS1_3gpuE2ELNS1_3repE0EEENS1_30default_config_static_selectorELNS0_4arch9wavefront6targetE1EEEvT1_,comdat
	.protected	_ZN7rocprim17ROCPRIM_400000_NS6detail17trampoline_kernelINS0_14default_configENS1_25transform_config_selectorIxLb0EEEZNS1_14transform_implILb0ES3_S5_NS0_18transform_iteratorINS0_17counting_iteratorImlEEZNS1_24adjacent_difference_implIS3_Lb1ELb0EPKxPxN6thrust23THRUST_200600_302600_NS4plusIxEEEE10hipError_tPvRmT2_T3_mT4_P12ihipStream_tbEUlmE_xEESD_NS0_8identityIvEEEESI_SL_SM_mSN_SP_bEUlT_E_NS1_11comp_targetILNS1_3genE8ELNS1_11target_archE1030ELNS1_3gpuE2ELNS1_3repE0EEENS1_30default_config_static_selectorELNS0_4arch9wavefront6targetE1EEEvT1_ ; -- Begin function _ZN7rocprim17ROCPRIM_400000_NS6detail17trampoline_kernelINS0_14default_configENS1_25transform_config_selectorIxLb0EEEZNS1_14transform_implILb0ES3_S5_NS0_18transform_iteratorINS0_17counting_iteratorImlEEZNS1_24adjacent_difference_implIS3_Lb1ELb0EPKxPxN6thrust23THRUST_200600_302600_NS4plusIxEEEE10hipError_tPvRmT2_T3_mT4_P12ihipStream_tbEUlmE_xEESD_NS0_8identityIvEEEESI_SL_SM_mSN_SP_bEUlT_E_NS1_11comp_targetILNS1_3genE8ELNS1_11target_archE1030ELNS1_3gpuE2ELNS1_3repE0EEENS1_30default_config_static_selectorELNS0_4arch9wavefront6targetE1EEEvT1_
	.globl	_ZN7rocprim17ROCPRIM_400000_NS6detail17trampoline_kernelINS0_14default_configENS1_25transform_config_selectorIxLb0EEEZNS1_14transform_implILb0ES3_S5_NS0_18transform_iteratorINS0_17counting_iteratorImlEEZNS1_24adjacent_difference_implIS3_Lb1ELb0EPKxPxN6thrust23THRUST_200600_302600_NS4plusIxEEEE10hipError_tPvRmT2_T3_mT4_P12ihipStream_tbEUlmE_xEESD_NS0_8identityIvEEEESI_SL_SM_mSN_SP_bEUlT_E_NS1_11comp_targetILNS1_3genE8ELNS1_11target_archE1030ELNS1_3gpuE2ELNS1_3repE0EEENS1_30default_config_static_selectorELNS0_4arch9wavefront6targetE1EEEvT1_
	.p2align	8
	.type	_ZN7rocprim17ROCPRIM_400000_NS6detail17trampoline_kernelINS0_14default_configENS1_25transform_config_selectorIxLb0EEEZNS1_14transform_implILb0ES3_S5_NS0_18transform_iteratorINS0_17counting_iteratorImlEEZNS1_24adjacent_difference_implIS3_Lb1ELb0EPKxPxN6thrust23THRUST_200600_302600_NS4plusIxEEEE10hipError_tPvRmT2_T3_mT4_P12ihipStream_tbEUlmE_xEESD_NS0_8identityIvEEEESI_SL_SM_mSN_SP_bEUlT_E_NS1_11comp_targetILNS1_3genE8ELNS1_11target_archE1030ELNS1_3gpuE2ELNS1_3repE0EEENS1_30default_config_static_selectorELNS0_4arch9wavefront6targetE1EEEvT1_,@function
_ZN7rocprim17ROCPRIM_400000_NS6detail17trampoline_kernelINS0_14default_configENS1_25transform_config_selectorIxLb0EEEZNS1_14transform_implILb0ES3_S5_NS0_18transform_iteratorINS0_17counting_iteratorImlEEZNS1_24adjacent_difference_implIS3_Lb1ELb0EPKxPxN6thrust23THRUST_200600_302600_NS4plusIxEEEE10hipError_tPvRmT2_T3_mT4_P12ihipStream_tbEUlmE_xEESD_NS0_8identityIvEEEESI_SL_SM_mSN_SP_bEUlT_E_NS1_11comp_targetILNS1_3genE8ELNS1_11target_archE1030ELNS1_3gpuE2ELNS1_3repE0EEENS1_30default_config_static_selectorELNS0_4arch9wavefront6targetE1EEEvT1_: ; @_ZN7rocprim17ROCPRIM_400000_NS6detail17trampoline_kernelINS0_14default_configENS1_25transform_config_selectorIxLb0EEEZNS1_14transform_implILb0ES3_S5_NS0_18transform_iteratorINS0_17counting_iteratorImlEEZNS1_24adjacent_difference_implIS3_Lb1ELb0EPKxPxN6thrust23THRUST_200600_302600_NS4plusIxEEEE10hipError_tPvRmT2_T3_mT4_P12ihipStream_tbEUlmE_xEESD_NS0_8identityIvEEEESI_SL_SM_mSN_SP_bEUlT_E_NS1_11comp_targetILNS1_3genE8ELNS1_11target_archE1030ELNS1_3gpuE2ELNS1_3repE0EEENS1_30default_config_static_selectorELNS0_4arch9wavefront6targetE1EEEvT1_
; %bb.0:
	.section	.rodata,"a",@progbits
	.p2align	6, 0x0
	.amdhsa_kernel _ZN7rocprim17ROCPRIM_400000_NS6detail17trampoline_kernelINS0_14default_configENS1_25transform_config_selectorIxLb0EEEZNS1_14transform_implILb0ES3_S5_NS0_18transform_iteratorINS0_17counting_iteratorImlEEZNS1_24adjacent_difference_implIS3_Lb1ELb0EPKxPxN6thrust23THRUST_200600_302600_NS4plusIxEEEE10hipError_tPvRmT2_T3_mT4_P12ihipStream_tbEUlmE_xEESD_NS0_8identityIvEEEESI_SL_SM_mSN_SP_bEUlT_E_NS1_11comp_targetILNS1_3genE8ELNS1_11target_archE1030ELNS1_3gpuE2ELNS1_3repE0EEENS1_30default_config_static_selectorELNS0_4arch9wavefront6targetE1EEEvT1_
		.amdhsa_group_segment_fixed_size 0
		.amdhsa_private_segment_fixed_size 0
		.amdhsa_kernarg_size 56
		.amdhsa_user_sgpr_count 6
		.amdhsa_user_sgpr_private_segment_buffer 1
		.amdhsa_user_sgpr_dispatch_ptr 0
		.amdhsa_user_sgpr_queue_ptr 0
		.amdhsa_user_sgpr_kernarg_segment_ptr 1
		.amdhsa_user_sgpr_dispatch_id 0
		.amdhsa_user_sgpr_flat_scratch_init 0
		.amdhsa_user_sgpr_private_segment_size 0
		.amdhsa_uses_dynamic_stack 0
		.amdhsa_system_sgpr_private_segment_wavefront_offset 0
		.amdhsa_system_sgpr_workgroup_id_x 1
		.amdhsa_system_sgpr_workgroup_id_y 0
		.amdhsa_system_sgpr_workgroup_id_z 0
		.amdhsa_system_sgpr_workgroup_info 0
		.amdhsa_system_vgpr_workitem_id 0
		.amdhsa_next_free_vgpr 1
		.amdhsa_next_free_sgpr 0
		.amdhsa_reserve_vcc 0
		.amdhsa_reserve_flat_scratch 0
		.amdhsa_float_round_mode_32 0
		.amdhsa_float_round_mode_16_64 0
		.amdhsa_float_denorm_mode_32 3
		.amdhsa_float_denorm_mode_16_64 3
		.amdhsa_dx10_clamp 1
		.amdhsa_ieee_mode 1
		.amdhsa_fp16_overflow 0
		.amdhsa_exception_fp_ieee_invalid_op 0
		.amdhsa_exception_fp_denorm_src 0
		.amdhsa_exception_fp_ieee_div_zero 0
		.amdhsa_exception_fp_ieee_overflow 0
		.amdhsa_exception_fp_ieee_underflow 0
		.amdhsa_exception_fp_ieee_inexact 0
		.amdhsa_exception_int_div_zero 0
	.end_amdhsa_kernel
	.section	.text._ZN7rocprim17ROCPRIM_400000_NS6detail17trampoline_kernelINS0_14default_configENS1_25transform_config_selectorIxLb0EEEZNS1_14transform_implILb0ES3_S5_NS0_18transform_iteratorINS0_17counting_iteratorImlEEZNS1_24adjacent_difference_implIS3_Lb1ELb0EPKxPxN6thrust23THRUST_200600_302600_NS4plusIxEEEE10hipError_tPvRmT2_T3_mT4_P12ihipStream_tbEUlmE_xEESD_NS0_8identityIvEEEESI_SL_SM_mSN_SP_bEUlT_E_NS1_11comp_targetILNS1_3genE8ELNS1_11target_archE1030ELNS1_3gpuE2ELNS1_3repE0EEENS1_30default_config_static_selectorELNS0_4arch9wavefront6targetE1EEEvT1_,"axG",@progbits,_ZN7rocprim17ROCPRIM_400000_NS6detail17trampoline_kernelINS0_14default_configENS1_25transform_config_selectorIxLb0EEEZNS1_14transform_implILb0ES3_S5_NS0_18transform_iteratorINS0_17counting_iteratorImlEEZNS1_24adjacent_difference_implIS3_Lb1ELb0EPKxPxN6thrust23THRUST_200600_302600_NS4plusIxEEEE10hipError_tPvRmT2_T3_mT4_P12ihipStream_tbEUlmE_xEESD_NS0_8identityIvEEEESI_SL_SM_mSN_SP_bEUlT_E_NS1_11comp_targetILNS1_3genE8ELNS1_11target_archE1030ELNS1_3gpuE2ELNS1_3repE0EEENS1_30default_config_static_selectorELNS0_4arch9wavefront6targetE1EEEvT1_,comdat
.Lfunc_end714:
	.size	_ZN7rocprim17ROCPRIM_400000_NS6detail17trampoline_kernelINS0_14default_configENS1_25transform_config_selectorIxLb0EEEZNS1_14transform_implILb0ES3_S5_NS0_18transform_iteratorINS0_17counting_iteratorImlEEZNS1_24adjacent_difference_implIS3_Lb1ELb0EPKxPxN6thrust23THRUST_200600_302600_NS4plusIxEEEE10hipError_tPvRmT2_T3_mT4_P12ihipStream_tbEUlmE_xEESD_NS0_8identityIvEEEESI_SL_SM_mSN_SP_bEUlT_E_NS1_11comp_targetILNS1_3genE8ELNS1_11target_archE1030ELNS1_3gpuE2ELNS1_3repE0EEENS1_30default_config_static_selectorELNS0_4arch9wavefront6targetE1EEEvT1_, .Lfunc_end714-_ZN7rocprim17ROCPRIM_400000_NS6detail17trampoline_kernelINS0_14default_configENS1_25transform_config_selectorIxLb0EEEZNS1_14transform_implILb0ES3_S5_NS0_18transform_iteratorINS0_17counting_iteratorImlEEZNS1_24adjacent_difference_implIS3_Lb1ELb0EPKxPxN6thrust23THRUST_200600_302600_NS4plusIxEEEE10hipError_tPvRmT2_T3_mT4_P12ihipStream_tbEUlmE_xEESD_NS0_8identityIvEEEESI_SL_SM_mSN_SP_bEUlT_E_NS1_11comp_targetILNS1_3genE8ELNS1_11target_archE1030ELNS1_3gpuE2ELNS1_3repE0EEENS1_30default_config_static_selectorELNS0_4arch9wavefront6targetE1EEEvT1_
                                        ; -- End function
	.set _ZN7rocprim17ROCPRIM_400000_NS6detail17trampoline_kernelINS0_14default_configENS1_25transform_config_selectorIxLb0EEEZNS1_14transform_implILb0ES3_S5_NS0_18transform_iteratorINS0_17counting_iteratorImlEEZNS1_24adjacent_difference_implIS3_Lb1ELb0EPKxPxN6thrust23THRUST_200600_302600_NS4plusIxEEEE10hipError_tPvRmT2_T3_mT4_P12ihipStream_tbEUlmE_xEESD_NS0_8identityIvEEEESI_SL_SM_mSN_SP_bEUlT_E_NS1_11comp_targetILNS1_3genE8ELNS1_11target_archE1030ELNS1_3gpuE2ELNS1_3repE0EEENS1_30default_config_static_selectorELNS0_4arch9wavefront6targetE1EEEvT1_.num_vgpr, 0
	.set _ZN7rocprim17ROCPRIM_400000_NS6detail17trampoline_kernelINS0_14default_configENS1_25transform_config_selectorIxLb0EEEZNS1_14transform_implILb0ES3_S5_NS0_18transform_iteratorINS0_17counting_iteratorImlEEZNS1_24adjacent_difference_implIS3_Lb1ELb0EPKxPxN6thrust23THRUST_200600_302600_NS4plusIxEEEE10hipError_tPvRmT2_T3_mT4_P12ihipStream_tbEUlmE_xEESD_NS0_8identityIvEEEESI_SL_SM_mSN_SP_bEUlT_E_NS1_11comp_targetILNS1_3genE8ELNS1_11target_archE1030ELNS1_3gpuE2ELNS1_3repE0EEENS1_30default_config_static_selectorELNS0_4arch9wavefront6targetE1EEEvT1_.num_agpr, 0
	.set _ZN7rocprim17ROCPRIM_400000_NS6detail17trampoline_kernelINS0_14default_configENS1_25transform_config_selectorIxLb0EEEZNS1_14transform_implILb0ES3_S5_NS0_18transform_iteratorINS0_17counting_iteratorImlEEZNS1_24adjacent_difference_implIS3_Lb1ELb0EPKxPxN6thrust23THRUST_200600_302600_NS4plusIxEEEE10hipError_tPvRmT2_T3_mT4_P12ihipStream_tbEUlmE_xEESD_NS0_8identityIvEEEESI_SL_SM_mSN_SP_bEUlT_E_NS1_11comp_targetILNS1_3genE8ELNS1_11target_archE1030ELNS1_3gpuE2ELNS1_3repE0EEENS1_30default_config_static_selectorELNS0_4arch9wavefront6targetE1EEEvT1_.numbered_sgpr, 0
	.set _ZN7rocprim17ROCPRIM_400000_NS6detail17trampoline_kernelINS0_14default_configENS1_25transform_config_selectorIxLb0EEEZNS1_14transform_implILb0ES3_S5_NS0_18transform_iteratorINS0_17counting_iteratorImlEEZNS1_24adjacent_difference_implIS3_Lb1ELb0EPKxPxN6thrust23THRUST_200600_302600_NS4plusIxEEEE10hipError_tPvRmT2_T3_mT4_P12ihipStream_tbEUlmE_xEESD_NS0_8identityIvEEEESI_SL_SM_mSN_SP_bEUlT_E_NS1_11comp_targetILNS1_3genE8ELNS1_11target_archE1030ELNS1_3gpuE2ELNS1_3repE0EEENS1_30default_config_static_selectorELNS0_4arch9wavefront6targetE1EEEvT1_.num_named_barrier, 0
	.set _ZN7rocprim17ROCPRIM_400000_NS6detail17trampoline_kernelINS0_14default_configENS1_25transform_config_selectorIxLb0EEEZNS1_14transform_implILb0ES3_S5_NS0_18transform_iteratorINS0_17counting_iteratorImlEEZNS1_24adjacent_difference_implIS3_Lb1ELb0EPKxPxN6thrust23THRUST_200600_302600_NS4plusIxEEEE10hipError_tPvRmT2_T3_mT4_P12ihipStream_tbEUlmE_xEESD_NS0_8identityIvEEEESI_SL_SM_mSN_SP_bEUlT_E_NS1_11comp_targetILNS1_3genE8ELNS1_11target_archE1030ELNS1_3gpuE2ELNS1_3repE0EEENS1_30default_config_static_selectorELNS0_4arch9wavefront6targetE1EEEvT1_.private_seg_size, 0
	.set _ZN7rocprim17ROCPRIM_400000_NS6detail17trampoline_kernelINS0_14default_configENS1_25transform_config_selectorIxLb0EEEZNS1_14transform_implILb0ES3_S5_NS0_18transform_iteratorINS0_17counting_iteratorImlEEZNS1_24adjacent_difference_implIS3_Lb1ELb0EPKxPxN6thrust23THRUST_200600_302600_NS4plusIxEEEE10hipError_tPvRmT2_T3_mT4_P12ihipStream_tbEUlmE_xEESD_NS0_8identityIvEEEESI_SL_SM_mSN_SP_bEUlT_E_NS1_11comp_targetILNS1_3genE8ELNS1_11target_archE1030ELNS1_3gpuE2ELNS1_3repE0EEENS1_30default_config_static_selectorELNS0_4arch9wavefront6targetE1EEEvT1_.uses_vcc, 0
	.set _ZN7rocprim17ROCPRIM_400000_NS6detail17trampoline_kernelINS0_14default_configENS1_25transform_config_selectorIxLb0EEEZNS1_14transform_implILb0ES3_S5_NS0_18transform_iteratorINS0_17counting_iteratorImlEEZNS1_24adjacent_difference_implIS3_Lb1ELb0EPKxPxN6thrust23THRUST_200600_302600_NS4plusIxEEEE10hipError_tPvRmT2_T3_mT4_P12ihipStream_tbEUlmE_xEESD_NS0_8identityIvEEEESI_SL_SM_mSN_SP_bEUlT_E_NS1_11comp_targetILNS1_3genE8ELNS1_11target_archE1030ELNS1_3gpuE2ELNS1_3repE0EEENS1_30default_config_static_selectorELNS0_4arch9wavefront6targetE1EEEvT1_.uses_flat_scratch, 0
	.set _ZN7rocprim17ROCPRIM_400000_NS6detail17trampoline_kernelINS0_14default_configENS1_25transform_config_selectorIxLb0EEEZNS1_14transform_implILb0ES3_S5_NS0_18transform_iteratorINS0_17counting_iteratorImlEEZNS1_24adjacent_difference_implIS3_Lb1ELb0EPKxPxN6thrust23THRUST_200600_302600_NS4plusIxEEEE10hipError_tPvRmT2_T3_mT4_P12ihipStream_tbEUlmE_xEESD_NS0_8identityIvEEEESI_SL_SM_mSN_SP_bEUlT_E_NS1_11comp_targetILNS1_3genE8ELNS1_11target_archE1030ELNS1_3gpuE2ELNS1_3repE0EEENS1_30default_config_static_selectorELNS0_4arch9wavefront6targetE1EEEvT1_.has_dyn_sized_stack, 0
	.set _ZN7rocprim17ROCPRIM_400000_NS6detail17trampoline_kernelINS0_14default_configENS1_25transform_config_selectorIxLb0EEEZNS1_14transform_implILb0ES3_S5_NS0_18transform_iteratorINS0_17counting_iteratorImlEEZNS1_24adjacent_difference_implIS3_Lb1ELb0EPKxPxN6thrust23THRUST_200600_302600_NS4plusIxEEEE10hipError_tPvRmT2_T3_mT4_P12ihipStream_tbEUlmE_xEESD_NS0_8identityIvEEEESI_SL_SM_mSN_SP_bEUlT_E_NS1_11comp_targetILNS1_3genE8ELNS1_11target_archE1030ELNS1_3gpuE2ELNS1_3repE0EEENS1_30default_config_static_selectorELNS0_4arch9wavefront6targetE1EEEvT1_.has_recursion, 0
	.set _ZN7rocprim17ROCPRIM_400000_NS6detail17trampoline_kernelINS0_14default_configENS1_25transform_config_selectorIxLb0EEEZNS1_14transform_implILb0ES3_S5_NS0_18transform_iteratorINS0_17counting_iteratorImlEEZNS1_24adjacent_difference_implIS3_Lb1ELb0EPKxPxN6thrust23THRUST_200600_302600_NS4plusIxEEEE10hipError_tPvRmT2_T3_mT4_P12ihipStream_tbEUlmE_xEESD_NS0_8identityIvEEEESI_SL_SM_mSN_SP_bEUlT_E_NS1_11comp_targetILNS1_3genE8ELNS1_11target_archE1030ELNS1_3gpuE2ELNS1_3repE0EEENS1_30default_config_static_selectorELNS0_4arch9wavefront6targetE1EEEvT1_.has_indirect_call, 0
	.section	.AMDGPU.csdata,"",@progbits
; Kernel info:
; codeLenInByte = 0
; TotalNumSgprs: 4
; NumVgprs: 0
; ScratchSize: 0
; MemoryBound: 0
; FloatMode: 240
; IeeeMode: 1
; LDSByteSize: 0 bytes/workgroup (compile time only)
; SGPRBlocks: 0
; VGPRBlocks: 0
; NumSGPRsForWavesPerEU: 4
; NumVGPRsForWavesPerEU: 1
; Occupancy: 10
; WaveLimiterHint : 0
; COMPUTE_PGM_RSRC2:SCRATCH_EN: 0
; COMPUTE_PGM_RSRC2:USER_SGPR: 6
; COMPUTE_PGM_RSRC2:TRAP_HANDLER: 0
; COMPUTE_PGM_RSRC2:TGID_X_EN: 1
; COMPUTE_PGM_RSRC2:TGID_Y_EN: 0
; COMPUTE_PGM_RSRC2:TGID_Z_EN: 0
; COMPUTE_PGM_RSRC2:TIDIG_COMP_CNT: 0
	.section	.text._ZN7rocprim17ROCPRIM_400000_NS6detail17trampoline_kernelINS0_14default_configENS1_35adjacent_difference_config_selectorILb1ExEEZNS1_24adjacent_difference_implIS3_Lb1ELb0EPKxPxN6thrust23THRUST_200600_302600_NS4plusIxEEEE10hipError_tPvRmT2_T3_mT4_P12ihipStream_tbEUlT_E_NS1_11comp_targetILNS1_3genE0ELNS1_11target_archE4294967295ELNS1_3gpuE0ELNS1_3repE0EEENS1_30default_config_static_selectorELNS0_4arch9wavefront6targetE1EEEvT1_,"axG",@progbits,_ZN7rocprim17ROCPRIM_400000_NS6detail17trampoline_kernelINS0_14default_configENS1_35adjacent_difference_config_selectorILb1ExEEZNS1_24adjacent_difference_implIS3_Lb1ELb0EPKxPxN6thrust23THRUST_200600_302600_NS4plusIxEEEE10hipError_tPvRmT2_T3_mT4_P12ihipStream_tbEUlT_E_NS1_11comp_targetILNS1_3genE0ELNS1_11target_archE4294967295ELNS1_3gpuE0ELNS1_3repE0EEENS1_30default_config_static_selectorELNS0_4arch9wavefront6targetE1EEEvT1_,comdat
	.protected	_ZN7rocprim17ROCPRIM_400000_NS6detail17trampoline_kernelINS0_14default_configENS1_35adjacent_difference_config_selectorILb1ExEEZNS1_24adjacent_difference_implIS3_Lb1ELb0EPKxPxN6thrust23THRUST_200600_302600_NS4plusIxEEEE10hipError_tPvRmT2_T3_mT4_P12ihipStream_tbEUlT_E_NS1_11comp_targetILNS1_3genE0ELNS1_11target_archE4294967295ELNS1_3gpuE0ELNS1_3repE0EEENS1_30default_config_static_selectorELNS0_4arch9wavefront6targetE1EEEvT1_ ; -- Begin function _ZN7rocprim17ROCPRIM_400000_NS6detail17trampoline_kernelINS0_14default_configENS1_35adjacent_difference_config_selectorILb1ExEEZNS1_24adjacent_difference_implIS3_Lb1ELb0EPKxPxN6thrust23THRUST_200600_302600_NS4plusIxEEEE10hipError_tPvRmT2_T3_mT4_P12ihipStream_tbEUlT_E_NS1_11comp_targetILNS1_3genE0ELNS1_11target_archE4294967295ELNS1_3gpuE0ELNS1_3repE0EEENS1_30default_config_static_selectorELNS0_4arch9wavefront6targetE1EEEvT1_
	.globl	_ZN7rocprim17ROCPRIM_400000_NS6detail17trampoline_kernelINS0_14default_configENS1_35adjacent_difference_config_selectorILb1ExEEZNS1_24adjacent_difference_implIS3_Lb1ELb0EPKxPxN6thrust23THRUST_200600_302600_NS4plusIxEEEE10hipError_tPvRmT2_T3_mT4_P12ihipStream_tbEUlT_E_NS1_11comp_targetILNS1_3genE0ELNS1_11target_archE4294967295ELNS1_3gpuE0ELNS1_3repE0EEENS1_30default_config_static_selectorELNS0_4arch9wavefront6targetE1EEEvT1_
	.p2align	8
	.type	_ZN7rocprim17ROCPRIM_400000_NS6detail17trampoline_kernelINS0_14default_configENS1_35adjacent_difference_config_selectorILb1ExEEZNS1_24adjacent_difference_implIS3_Lb1ELb0EPKxPxN6thrust23THRUST_200600_302600_NS4plusIxEEEE10hipError_tPvRmT2_T3_mT4_P12ihipStream_tbEUlT_E_NS1_11comp_targetILNS1_3genE0ELNS1_11target_archE4294967295ELNS1_3gpuE0ELNS1_3repE0EEENS1_30default_config_static_selectorELNS0_4arch9wavefront6targetE1EEEvT1_,@function
_ZN7rocprim17ROCPRIM_400000_NS6detail17trampoline_kernelINS0_14default_configENS1_35adjacent_difference_config_selectorILb1ExEEZNS1_24adjacent_difference_implIS3_Lb1ELb0EPKxPxN6thrust23THRUST_200600_302600_NS4plusIxEEEE10hipError_tPvRmT2_T3_mT4_P12ihipStream_tbEUlT_E_NS1_11comp_targetILNS1_3genE0ELNS1_11target_archE4294967295ELNS1_3gpuE0ELNS1_3repE0EEENS1_30default_config_static_selectorELNS0_4arch9wavefront6targetE1EEEvT1_: ; @_ZN7rocprim17ROCPRIM_400000_NS6detail17trampoline_kernelINS0_14default_configENS1_35adjacent_difference_config_selectorILb1ExEEZNS1_24adjacent_difference_implIS3_Lb1ELb0EPKxPxN6thrust23THRUST_200600_302600_NS4plusIxEEEE10hipError_tPvRmT2_T3_mT4_P12ihipStream_tbEUlT_E_NS1_11comp_targetILNS1_3genE0ELNS1_11target_archE4294967295ELNS1_3gpuE0ELNS1_3repE0EEENS1_30default_config_static_selectorELNS0_4arch9wavefront6targetE1EEEvT1_
; %bb.0:
	.section	.rodata,"a",@progbits
	.p2align	6, 0x0
	.amdhsa_kernel _ZN7rocprim17ROCPRIM_400000_NS6detail17trampoline_kernelINS0_14default_configENS1_35adjacent_difference_config_selectorILb1ExEEZNS1_24adjacent_difference_implIS3_Lb1ELb0EPKxPxN6thrust23THRUST_200600_302600_NS4plusIxEEEE10hipError_tPvRmT2_T3_mT4_P12ihipStream_tbEUlT_E_NS1_11comp_targetILNS1_3genE0ELNS1_11target_archE4294967295ELNS1_3gpuE0ELNS1_3repE0EEENS1_30default_config_static_selectorELNS0_4arch9wavefront6targetE1EEEvT1_
		.amdhsa_group_segment_fixed_size 0
		.amdhsa_private_segment_fixed_size 0
		.amdhsa_kernarg_size 56
		.amdhsa_user_sgpr_count 6
		.amdhsa_user_sgpr_private_segment_buffer 1
		.amdhsa_user_sgpr_dispatch_ptr 0
		.amdhsa_user_sgpr_queue_ptr 0
		.amdhsa_user_sgpr_kernarg_segment_ptr 1
		.amdhsa_user_sgpr_dispatch_id 0
		.amdhsa_user_sgpr_flat_scratch_init 0
		.amdhsa_user_sgpr_private_segment_size 0
		.amdhsa_uses_dynamic_stack 0
		.amdhsa_system_sgpr_private_segment_wavefront_offset 0
		.amdhsa_system_sgpr_workgroup_id_x 1
		.amdhsa_system_sgpr_workgroup_id_y 0
		.amdhsa_system_sgpr_workgroup_id_z 0
		.amdhsa_system_sgpr_workgroup_info 0
		.amdhsa_system_vgpr_workitem_id 0
		.amdhsa_next_free_vgpr 1
		.amdhsa_next_free_sgpr 0
		.amdhsa_reserve_vcc 0
		.amdhsa_reserve_flat_scratch 0
		.amdhsa_float_round_mode_32 0
		.amdhsa_float_round_mode_16_64 0
		.amdhsa_float_denorm_mode_32 3
		.amdhsa_float_denorm_mode_16_64 3
		.amdhsa_dx10_clamp 1
		.amdhsa_ieee_mode 1
		.amdhsa_fp16_overflow 0
		.amdhsa_exception_fp_ieee_invalid_op 0
		.amdhsa_exception_fp_denorm_src 0
		.amdhsa_exception_fp_ieee_div_zero 0
		.amdhsa_exception_fp_ieee_overflow 0
		.amdhsa_exception_fp_ieee_underflow 0
		.amdhsa_exception_fp_ieee_inexact 0
		.amdhsa_exception_int_div_zero 0
	.end_amdhsa_kernel
	.section	.text._ZN7rocprim17ROCPRIM_400000_NS6detail17trampoline_kernelINS0_14default_configENS1_35adjacent_difference_config_selectorILb1ExEEZNS1_24adjacent_difference_implIS3_Lb1ELb0EPKxPxN6thrust23THRUST_200600_302600_NS4plusIxEEEE10hipError_tPvRmT2_T3_mT4_P12ihipStream_tbEUlT_E_NS1_11comp_targetILNS1_3genE0ELNS1_11target_archE4294967295ELNS1_3gpuE0ELNS1_3repE0EEENS1_30default_config_static_selectorELNS0_4arch9wavefront6targetE1EEEvT1_,"axG",@progbits,_ZN7rocprim17ROCPRIM_400000_NS6detail17trampoline_kernelINS0_14default_configENS1_35adjacent_difference_config_selectorILb1ExEEZNS1_24adjacent_difference_implIS3_Lb1ELb0EPKxPxN6thrust23THRUST_200600_302600_NS4plusIxEEEE10hipError_tPvRmT2_T3_mT4_P12ihipStream_tbEUlT_E_NS1_11comp_targetILNS1_3genE0ELNS1_11target_archE4294967295ELNS1_3gpuE0ELNS1_3repE0EEENS1_30default_config_static_selectorELNS0_4arch9wavefront6targetE1EEEvT1_,comdat
.Lfunc_end715:
	.size	_ZN7rocprim17ROCPRIM_400000_NS6detail17trampoline_kernelINS0_14default_configENS1_35adjacent_difference_config_selectorILb1ExEEZNS1_24adjacent_difference_implIS3_Lb1ELb0EPKxPxN6thrust23THRUST_200600_302600_NS4plusIxEEEE10hipError_tPvRmT2_T3_mT4_P12ihipStream_tbEUlT_E_NS1_11comp_targetILNS1_3genE0ELNS1_11target_archE4294967295ELNS1_3gpuE0ELNS1_3repE0EEENS1_30default_config_static_selectorELNS0_4arch9wavefront6targetE1EEEvT1_, .Lfunc_end715-_ZN7rocprim17ROCPRIM_400000_NS6detail17trampoline_kernelINS0_14default_configENS1_35adjacent_difference_config_selectorILb1ExEEZNS1_24adjacent_difference_implIS3_Lb1ELb0EPKxPxN6thrust23THRUST_200600_302600_NS4plusIxEEEE10hipError_tPvRmT2_T3_mT4_P12ihipStream_tbEUlT_E_NS1_11comp_targetILNS1_3genE0ELNS1_11target_archE4294967295ELNS1_3gpuE0ELNS1_3repE0EEENS1_30default_config_static_selectorELNS0_4arch9wavefront6targetE1EEEvT1_
                                        ; -- End function
	.set _ZN7rocprim17ROCPRIM_400000_NS6detail17trampoline_kernelINS0_14default_configENS1_35adjacent_difference_config_selectorILb1ExEEZNS1_24adjacent_difference_implIS3_Lb1ELb0EPKxPxN6thrust23THRUST_200600_302600_NS4plusIxEEEE10hipError_tPvRmT2_T3_mT4_P12ihipStream_tbEUlT_E_NS1_11comp_targetILNS1_3genE0ELNS1_11target_archE4294967295ELNS1_3gpuE0ELNS1_3repE0EEENS1_30default_config_static_selectorELNS0_4arch9wavefront6targetE1EEEvT1_.num_vgpr, 0
	.set _ZN7rocprim17ROCPRIM_400000_NS6detail17trampoline_kernelINS0_14default_configENS1_35adjacent_difference_config_selectorILb1ExEEZNS1_24adjacent_difference_implIS3_Lb1ELb0EPKxPxN6thrust23THRUST_200600_302600_NS4plusIxEEEE10hipError_tPvRmT2_T3_mT4_P12ihipStream_tbEUlT_E_NS1_11comp_targetILNS1_3genE0ELNS1_11target_archE4294967295ELNS1_3gpuE0ELNS1_3repE0EEENS1_30default_config_static_selectorELNS0_4arch9wavefront6targetE1EEEvT1_.num_agpr, 0
	.set _ZN7rocprim17ROCPRIM_400000_NS6detail17trampoline_kernelINS0_14default_configENS1_35adjacent_difference_config_selectorILb1ExEEZNS1_24adjacent_difference_implIS3_Lb1ELb0EPKxPxN6thrust23THRUST_200600_302600_NS4plusIxEEEE10hipError_tPvRmT2_T3_mT4_P12ihipStream_tbEUlT_E_NS1_11comp_targetILNS1_3genE0ELNS1_11target_archE4294967295ELNS1_3gpuE0ELNS1_3repE0EEENS1_30default_config_static_selectorELNS0_4arch9wavefront6targetE1EEEvT1_.numbered_sgpr, 0
	.set _ZN7rocprim17ROCPRIM_400000_NS6detail17trampoline_kernelINS0_14default_configENS1_35adjacent_difference_config_selectorILb1ExEEZNS1_24adjacent_difference_implIS3_Lb1ELb0EPKxPxN6thrust23THRUST_200600_302600_NS4plusIxEEEE10hipError_tPvRmT2_T3_mT4_P12ihipStream_tbEUlT_E_NS1_11comp_targetILNS1_3genE0ELNS1_11target_archE4294967295ELNS1_3gpuE0ELNS1_3repE0EEENS1_30default_config_static_selectorELNS0_4arch9wavefront6targetE1EEEvT1_.num_named_barrier, 0
	.set _ZN7rocprim17ROCPRIM_400000_NS6detail17trampoline_kernelINS0_14default_configENS1_35adjacent_difference_config_selectorILb1ExEEZNS1_24adjacent_difference_implIS3_Lb1ELb0EPKxPxN6thrust23THRUST_200600_302600_NS4plusIxEEEE10hipError_tPvRmT2_T3_mT4_P12ihipStream_tbEUlT_E_NS1_11comp_targetILNS1_3genE0ELNS1_11target_archE4294967295ELNS1_3gpuE0ELNS1_3repE0EEENS1_30default_config_static_selectorELNS0_4arch9wavefront6targetE1EEEvT1_.private_seg_size, 0
	.set _ZN7rocprim17ROCPRIM_400000_NS6detail17trampoline_kernelINS0_14default_configENS1_35adjacent_difference_config_selectorILb1ExEEZNS1_24adjacent_difference_implIS3_Lb1ELb0EPKxPxN6thrust23THRUST_200600_302600_NS4plusIxEEEE10hipError_tPvRmT2_T3_mT4_P12ihipStream_tbEUlT_E_NS1_11comp_targetILNS1_3genE0ELNS1_11target_archE4294967295ELNS1_3gpuE0ELNS1_3repE0EEENS1_30default_config_static_selectorELNS0_4arch9wavefront6targetE1EEEvT1_.uses_vcc, 0
	.set _ZN7rocprim17ROCPRIM_400000_NS6detail17trampoline_kernelINS0_14default_configENS1_35adjacent_difference_config_selectorILb1ExEEZNS1_24adjacent_difference_implIS3_Lb1ELb0EPKxPxN6thrust23THRUST_200600_302600_NS4plusIxEEEE10hipError_tPvRmT2_T3_mT4_P12ihipStream_tbEUlT_E_NS1_11comp_targetILNS1_3genE0ELNS1_11target_archE4294967295ELNS1_3gpuE0ELNS1_3repE0EEENS1_30default_config_static_selectorELNS0_4arch9wavefront6targetE1EEEvT1_.uses_flat_scratch, 0
	.set _ZN7rocprim17ROCPRIM_400000_NS6detail17trampoline_kernelINS0_14default_configENS1_35adjacent_difference_config_selectorILb1ExEEZNS1_24adjacent_difference_implIS3_Lb1ELb0EPKxPxN6thrust23THRUST_200600_302600_NS4plusIxEEEE10hipError_tPvRmT2_T3_mT4_P12ihipStream_tbEUlT_E_NS1_11comp_targetILNS1_3genE0ELNS1_11target_archE4294967295ELNS1_3gpuE0ELNS1_3repE0EEENS1_30default_config_static_selectorELNS0_4arch9wavefront6targetE1EEEvT1_.has_dyn_sized_stack, 0
	.set _ZN7rocprim17ROCPRIM_400000_NS6detail17trampoline_kernelINS0_14default_configENS1_35adjacent_difference_config_selectorILb1ExEEZNS1_24adjacent_difference_implIS3_Lb1ELb0EPKxPxN6thrust23THRUST_200600_302600_NS4plusIxEEEE10hipError_tPvRmT2_T3_mT4_P12ihipStream_tbEUlT_E_NS1_11comp_targetILNS1_3genE0ELNS1_11target_archE4294967295ELNS1_3gpuE0ELNS1_3repE0EEENS1_30default_config_static_selectorELNS0_4arch9wavefront6targetE1EEEvT1_.has_recursion, 0
	.set _ZN7rocprim17ROCPRIM_400000_NS6detail17trampoline_kernelINS0_14default_configENS1_35adjacent_difference_config_selectorILb1ExEEZNS1_24adjacent_difference_implIS3_Lb1ELb0EPKxPxN6thrust23THRUST_200600_302600_NS4plusIxEEEE10hipError_tPvRmT2_T3_mT4_P12ihipStream_tbEUlT_E_NS1_11comp_targetILNS1_3genE0ELNS1_11target_archE4294967295ELNS1_3gpuE0ELNS1_3repE0EEENS1_30default_config_static_selectorELNS0_4arch9wavefront6targetE1EEEvT1_.has_indirect_call, 0
	.section	.AMDGPU.csdata,"",@progbits
; Kernel info:
; codeLenInByte = 0
; TotalNumSgprs: 4
; NumVgprs: 0
; ScratchSize: 0
; MemoryBound: 0
; FloatMode: 240
; IeeeMode: 1
; LDSByteSize: 0 bytes/workgroup (compile time only)
; SGPRBlocks: 0
; VGPRBlocks: 0
; NumSGPRsForWavesPerEU: 4
; NumVGPRsForWavesPerEU: 1
; Occupancy: 10
; WaveLimiterHint : 0
; COMPUTE_PGM_RSRC2:SCRATCH_EN: 0
; COMPUTE_PGM_RSRC2:USER_SGPR: 6
; COMPUTE_PGM_RSRC2:TRAP_HANDLER: 0
; COMPUTE_PGM_RSRC2:TGID_X_EN: 1
; COMPUTE_PGM_RSRC2:TGID_Y_EN: 0
; COMPUTE_PGM_RSRC2:TGID_Z_EN: 0
; COMPUTE_PGM_RSRC2:TIDIG_COMP_CNT: 0
	.section	.text._ZN7rocprim17ROCPRIM_400000_NS6detail17trampoline_kernelINS0_14default_configENS1_35adjacent_difference_config_selectorILb1ExEEZNS1_24adjacent_difference_implIS3_Lb1ELb0EPKxPxN6thrust23THRUST_200600_302600_NS4plusIxEEEE10hipError_tPvRmT2_T3_mT4_P12ihipStream_tbEUlT_E_NS1_11comp_targetILNS1_3genE10ELNS1_11target_archE1201ELNS1_3gpuE5ELNS1_3repE0EEENS1_30default_config_static_selectorELNS0_4arch9wavefront6targetE1EEEvT1_,"axG",@progbits,_ZN7rocprim17ROCPRIM_400000_NS6detail17trampoline_kernelINS0_14default_configENS1_35adjacent_difference_config_selectorILb1ExEEZNS1_24adjacent_difference_implIS3_Lb1ELb0EPKxPxN6thrust23THRUST_200600_302600_NS4plusIxEEEE10hipError_tPvRmT2_T3_mT4_P12ihipStream_tbEUlT_E_NS1_11comp_targetILNS1_3genE10ELNS1_11target_archE1201ELNS1_3gpuE5ELNS1_3repE0EEENS1_30default_config_static_selectorELNS0_4arch9wavefront6targetE1EEEvT1_,comdat
	.protected	_ZN7rocprim17ROCPRIM_400000_NS6detail17trampoline_kernelINS0_14default_configENS1_35adjacent_difference_config_selectorILb1ExEEZNS1_24adjacent_difference_implIS3_Lb1ELb0EPKxPxN6thrust23THRUST_200600_302600_NS4plusIxEEEE10hipError_tPvRmT2_T3_mT4_P12ihipStream_tbEUlT_E_NS1_11comp_targetILNS1_3genE10ELNS1_11target_archE1201ELNS1_3gpuE5ELNS1_3repE0EEENS1_30default_config_static_selectorELNS0_4arch9wavefront6targetE1EEEvT1_ ; -- Begin function _ZN7rocprim17ROCPRIM_400000_NS6detail17trampoline_kernelINS0_14default_configENS1_35adjacent_difference_config_selectorILb1ExEEZNS1_24adjacent_difference_implIS3_Lb1ELb0EPKxPxN6thrust23THRUST_200600_302600_NS4plusIxEEEE10hipError_tPvRmT2_T3_mT4_P12ihipStream_tbEUlT_E_NS1_11comp_targetILNS1_3genE10ELNS1_11target_archE1201ELNS1_3gpuE5ELNS1_3repE0EEENS1_30default_config_static_selectorELNS0_4arch9wavefront6targetE1EEEvT1_
	.globl	_ZN7rocprim17ROCPRIM_400000_NS6detail17trampoline_kernelINS0_14default_configENS1_35adjacent_difference_config_selectorILb1ExEEZNS1_24adjacent_difference_implIS3_Lb1ELb0EPKxPxN6thrust23THRUST_200600_302600_NS4plusIxEEEE10hipError_tPvRmT2_T3_mT4_P12ihipStream_tbEUlT_E_NS1_11comp_targetILNS1_3genE10ELNS1_11target_archE1201ELNS1_3gpuE5ELNS1_3repE0EEENS1_30default_config_static_selectorELNS0_4arch9wavefront6targetE1EEEvT1_
	.p2align	8
	.type	_ZN7rocprim17ROCPRIM_400000_NS6detail17trampoline_kernelINS0_14default_configENS1_35adjacent_difference_config_selectorILb1ExEEZNS1_24adjacent_difference_implIS3_Lb1ELb0EPKxPxN6thrust23THRUST_200600_302600_NS4plusIxEEEE10hipError_tPvRmT2_T3_mT4_P12ihipStream_tbEUlT_E_NS1_11comp_targetILNS1_3genE10ELNS1_11target_archE1201ELNS1_3gpuE5ELNS1_3repE0EEENS1_30default_config_static_selectorELNS0_4arch9wavefront6targetE1EEEvT1_,@function
_ZN7rocprim17ROCPRIM_400000_NS6detail17trampoline_kernelINS0_14default_configENS1_35adjacent_difference_config_selectorILb1ExEEZNS1_24adjacent_difference_implIS3_Lb1ELb0EPKxPxN6thrust23THRUST_200600_302600_NS4plusIxEEEE10hipError_tPvRmT2_T3_mT4_P12ihipStream_tbEUlT_E_NS1_11comp_targetILNS1_3genE10ELNS1_11target_archE1201ELNS1_3gpuE5ELNS1_3repE0EEENS1_30default_config_static_selectorELNS0_4arch9wavefront6targetE1EEEvT1_: ; @_ZN7rocprim17ROCPRIM_400000_NS6detail17trampoline_kernelINS0_14default_configENS1_35adjacent_difference_config_selectorILb1ExEEZNS1_24adjacent_difference_implIS3_Lb1ELb0EPKxPxN6thrust23THRUST_200600_302600_NS4plusIxEEEE10hipError_tPvRmT2_T3_mT4_P12ihipStream_tbEUlT_E_NS1_11comp_targetILNS1_3genE10ELNS1_11target_archE1201ELNS1_3gpuE5ELNS1_3repE0EEENS1_30default_config_static_selectorELNS0_4arch9wavefront6targetE1EEEvT1_
; %bb.0:
	.section	.rodata,"a",@progbits
	.p2align	6, 0x0
	.amdhsa_kernel _ZN7rocprim17ROCPRIM_400000_NS6detail17trampoline_kernelINS0_14default_configENS1_35adjacent_difference_config_selectorILb1ExEEZNS1_24adjacent_difference_implIS3_Lb1ELb0EPKxPxN6thrust23THRUST_200600_302600_NS4plusIxEEEE10hipError_tPvRmT2_T3_mT4_P12ihipStream_tbEUlT_E_NS1_11comp_targetILNS1_3genE10ELNS1_11target_archE1201ELNS1_3gpuE5ELNS1_3repE0EEENS1_30default_config_static_selectorELNS0_4arch9wavefront6targetE1EEEvT1_
		.amdhsa_group_segment_fixed_size 0
		.amdhsa_private_segment_fixed_size 0
		.amdhsa_kernarg_size 56
		.amdhsa_user_sgpr_count 6
		.amdhsa_user_sgpr_private_segment_buffer 1
		.amdhsa_user_sgpr_dispatch_ptr 0
		.amdhsa_user_sgpr_queue_ptr 0
		.amdhsa_user_sgpr_kernarg_segment_ptr 1
		.amdhsa_user_sgpr_dispatch_id 0
		.amdhsa_user_sgpr_flat_scratch_init 0
		.amdhsa_user_sgpr_private_segment_size 0
		.amdhsa_uses_dynamic_stack 0
		.amdhsa_system_sgpr_private_segment_wavefront_offset 0
		.amdhsa_system_sgpr_workgroup_id_x 1
		.amdhsa_system_sgpr_workgroup_id_y 0
		.amdhsa_system_sgpr_workgroup_id_z 0
		.amdhsa_system_sgpr_workgroup_info 0
		.amdhsa_system_vgpr_workitem_id 0
		.amdhsa_next_free_vgpr 1
		.amdhsa_next_free_sgpr 0
		.amdhsa_reserve_vcc 0
		.amdhsa_reserve_flat_scratch 0
		.amdhsa_float_round_mode_32 0
		.amdhsa_float_round_mode_16_64 0
		.amdhsa_float_denorm_mode_32 3
		.amdhsa_float_denorm_mode_16_64 3
		.amdhsa_dx10_clamp 1
		.amdhsa_ieee_mode 1
		.amdhsa_fp16_overflow 0
		.amdhsa_exception_fp_ieee_invalid_op 0
		.amdhsa_exception_fp_denorm_src 0
		.amdhsa_exception_fp_ieee_div_zero 0
		.amdhsa_exception_fp_ieee_overflow 0
		.amdhsa_exception_fp_ieee_underflow 0
		.amdhsa_exception_fp_ieee_inexact 0
		.amdhsa_exception_int_div_zero 0
	.end_amdhsa_kernel
	.section	.text._ZN7rocprim17ROCPRIM_400000_NS6detail17trampoline_kernelINS0_14default_configENS1_35adjacent_difference_config_selectorILb1ExEEZNS1_24adjacent_difference_implIS3_Lb1ELb0EPKxPxN6thrust23THRUST_200600_302600_NS4plusIxEEEE10hipError_tPvRmT2_T3_mT4_P12ihipStream_tbEUlT_E_NS1_11comp_targetILNS1_3genE10ELNS1_11target_archE1201ELNS1_3gpuE5ELNS1_3repE0EEENS1_30default_config_static_selectorELNS0_4arch9wavefront6targetE1EEEvT1_,"axG",@progbits,_ZN7rocprim17ROCPRIM_400000_NS6detail17trampoline_kernelINS0_14default_configENS1_35adjacent_difference_config_selectorILb1ExEEZNS1_24adjacent_difference_implIS3_Lb1ELb0EPKxPxN6thrust23THRUST_200600_302600_NS4plusIxEEEE10hipError_tPvRmT2_T3_mT4_P12ihipStream_tbEUlT_E_NS1_11comp_targetILNS1_3genE10ELNS1_11target_archE1201ELNS1_3gpuE5ELNS1_3repE0EEENS1_30default_config_static_selectorELNS0_4arch9wavefront6targetE1EEEvT1_,comdat
.Lfunc_end716:
	.size	_ZN7rocprim17ROCPRIM_400000_NS6detail17trampoline_kernelINS0_14default_configENS1_35adjacent_difference_config_selectorILb1ExEEZNS1_24adjacent_difference_implIS3_Lb1ELb0EPKxPxN6thrust23THRUST_200600_302600_NS4plusIxEEEE10hipError_tPvRmT2_T3_mT4_P12ihipStream_tbEUlT_E_NS1_11comp_targetILNS1_3genE10ELNS1_11target_archE1201ELNS1_3gpuE5ELNS1_3repE0EEENS1_30default_config_static_selectorELNS0_4arch9wavefront6targetE1EEEvT1_, .Lfunc_end716-_ZN7rocprim17ROCPRIM_400000_NS6detail17trampoline_kernelINS0_14default_configENS1_35adjacent_difference_config_selectorILb1ExEEZNS1_24adjacent_difference_implIS3_Lb1ELb0EPKxPxN6thrust23THRUST_200600_302600_NS4plusIxEEEE10hipError_tPvRmT2_T3_mT4_P12ihipStream_tbEUlT_E_NS1_11comp_targetILNS1_3genE10ELNS1_11target_archE1201ELNS1_3gpuE5ELNS1_3repE0EEENS1_30default_config_static_selectorELNS0_4arch9wavefront6targetE1EEEvT1_
                                        ; -- End function
	.set _ZN7rocprim17ROCPRIM_400000_NS6detail17trampoline_kernelINS0_14default_configENS1_35adjacent_difference_config_selectorILb1ExEEZNS1_24adjacent_difference_implIS3_Lb1ELb0EPKxPxN6thrust23THRUST_200600_302600_NS4plusIxEEEE10hipError_tPvRmT2_T3_mT4_P12ihipStream_tbEUlT_E_NS1_11comp_targetILNS1_3genE10ELNS1_11target_archE1201ELNS1_3gpuE5ELNS1_3repE0EEENS1_30default_config_static_selectorELNS0_4arch9wavefront6targetE1EEEvT1_.num_vgpr, 0
	.set _ZN7rocprim17ROCPRIM_400000_NS6detail17trampoline_kernelINS0_14default_configENS1_35adjacent_difference_config_selectorILb1ExEEZNS1_24adjacent_difference_implIS3_Lb1ELb0EPKxPxN6thrust23THRUST_200600_302600_NS4plusIxEEEE10hipError_tPvRmT2_T3_mT4_P12ihipStream_tbEUlT_E_NS1_11comp_targetILNS1_3genE10ELNS1_11target_archE1201ELNS1_3gpuE5ELNS1_3repE0EEENS1_30default_config_static_selectorELNS0_4arch9wavefront6targetE1EEEvT1_.num_agpr, 0
	.set _ZN7rocprim17ROCPRIM_400000_NS6detail17trampoline_kernelINS0_14default_configENS1_35adjacent_difference_config_selectorILb1ExEEZNS1_24adjacent_difference_implIS3_Lb1ELb0EPKxPxN6thrust23THRUST_200600_302600_NS4plusIxEEEE10hipError_tPvRmT2_T3_mT4_P12ihipStream_tbEUlT_E_NS1_11comp_targetILNS1_3genE10ELNS1_11target_archE1201ELNS1_3gpuE5ELNS1_3repE0EEENS1_30default_config_static_selectorELNS0_4arch9wavefront6targetE1EEEvT1_.numbered_sgpr, 0
	.set _ZN7rocprim17ROCPRIM_400000_NS6detail17trampoline_kernelINS0_14default_configENS1_35adjacent_difference_config_selectorILb1ExEEZNS1_24adjacent_difference_implIS3_Lb1ELb0EPKxPxN6thrust23THRUST_200600_302600_NS4plusIxEEEE10hipError_tPvRmT2_T3_mT4_P12ihipStream_tbEUlT_E_NS1_11comp_targetILNS1_3genE10ELNS1_11target_archE1201ELNS1_3gpuE5ELNS1_3repE0EEENS1_30default_config_static_selectorELNS0_4arch9wavefront6targetE1EEEvT1_.num_named_barrier, 0
	.set _ZN7rocprim17ROCPRIM_400000_NS6detail17trampoline_kernelINS0_14default_configENS1_35adjacent_difference_config_selectorILb1ExEEZNS1_24adjacent_difference_implIS3_Lb1ELb0EPKxPxN6thrust23THRUST_200600_302600_NS4plusIxEEEE10hipError_tPvRmT2_T3_mT4_P12ihipStream_tbEUlT_E_NS1_11comp_targetILNS1_3genE10ELNS1_11target_archE1201ELNS1_3gpuE5ELNS1_3repE0EEENS1_30default_config_static_selectorELNS0_4arch9wavefront6targetE1EEEvT1_.private_seg_size, 0
	.set _ZN7rocprim17ROCPRIM_400000_NS6detail17trampoline_kernelINS0_14default_configENS1_35adjacent_difference_config_selectorILb1ExEEZNS1_24adjacent_difference_implIS3_Lb1ELb0EPKxPxN6thrust23THRUST_200600_302600_NS4plusIxEEEE10hipError_tPvRmT2_T3_mT4_P12ihipStream_tbEUlT_E_NS1_11comp_targetILNS1_3genE10ELNS1_11target_archE1201ELNS1_3gpuE5ELNS1_3repE0EEENS1_30default_config_static_selectorELNS0_4arch9wavefront6targetE1EEEvT1_.uses_vcc, 0
	.set _ZN7rocprim17ROCPRIM_400000_NS6detail17trampoline_kernelINS0_14default_configENS1_35adjacent_difference_config_selectorILb1ExEEZNS1_24adjacent_difference_implIS3_Lb1ELb0EPKxPxN6thrust23THRUST_200600_302600_NS4plusIxEEEE10hipError_tPvRmT2_T3_mT4_P12ihipStream_tbEUlT_E_NS1_11comp_targetILNS1_3genE10ELNS1_11target_archE1201ELNS1_3gpuE5ELNS1_3repE0EEENS1_30default_config_static_selectorELNS0_4arch9wavefront6targetE1EEEvT1_.uses_flat_scratch, 0
	.set _ZN7rocprim17ROCPRIM_400000_NS6detail17trampoline_kernelINS0_14default_configENS1_35adjacent_difference_config_selectorILb1ExEEZNS1_24adjacent_difference_implIS3_Lb1ELb0EPKxPxN6thrust23THRUST_200600_302600_NS4plusIxEEEE10hipError_tPvRmT2_T3_mT4_P12ihipStream_tbEUlT_E_NS1_11comp_targetILNS1_3genE10ELNS1_11target_archE1201ELNS1_3gpuE5ELNS1_3repE0EEENS1_30default_config_static_selectorELNS0_4arch9wavefront6targetE1EEEvT1_.has_dyn_sized_stack, 0
	.set _ZN7rocprim17ROCPRIM_400000_NS6detail17trampoline_kernelINS0_14default_configENS1_35adjacent_difference_config_selectorILb1ExEEZNS1_24adjacent_difference_implIS3_Lb1ELb0EPKxPxN6thrust23THRUST_200600_302600_NS4plusIxEEEE10hipError_tPvRmT2_T3_mT4_P12ihipStream_tbEUlT_E_NS1_11comp_targetILNS1_3genE10ELNS1_11target_archE1201ELNS1_3gpuE5ELNS1_3repE0EEENS1_30default_config_static_selectorELNS0_4arch9wavefront6targetE1EEEvT1_.has_recursion, 0
	.set _ZN7rocprim17ROCPRIM_400000_NS6detail17trampoline_kernelINS0_14default_configENS1_35adjacent_difference_config_selectorILb1ExEEZNS1_24adjacent_difference_implIS3_Lb1ELb0EPKxPxN6thrust23THRUST_200600_302600_NS4plusIxEEEE10hipError_tPvRmT2_T3_mT4_P12ihipStream_tbEUlT_E_NS1_11comp_targetILNS1_3genE10ELNS1_11target_archE1201ELNS1_3gpuE5ELNS1_3repE0EEENS1_30default_config_static_selectorELNS0_4arch9wavefront6targetE1EEEvT1_.has_indirect_call, 0
	.section	.AMDGPU.csdata,"",@progbits
; Kernel info:
; codeLenInByte = 0
; TotalNumSgprs: 4
; NumVgprs: 0
; ScratchSize: 0
; MemoryBound: 0
; FloatMode: 240
; IeeeMode: 1
; LDSByteSize: 0 bytes/workgroup (compile time only)
; SGPRBlocks: 0
; VGPRBlocks: 0
; NumSGPRsForWavesPerEU: 4
; NumVGPRsForWavesPerEU: 1
; Occupancy: 10
; WaveLimiterHint : 0
; COMPUTE_PGM_RSRC2:SCRATCH_EN: 0
; COMPUTE_PGM_RSRC2:USER_SGPR: 6
; COMPUTE_PGM_RSRC2:TRAP_HANDLER: 0
; COMPUTE_PGM_RSRC2:TGID_X_EN: 1
; COMPUTE_PGM_RSRC2:TGID_Y_EN: 0
; COMPUTE_PGM_RSRC2:TGID_Z_EN: 0
; COMPUTE_PGM_RSRC2:TIDIG_COMP_CNT: 0
	.section	.text._ZN7rocprim17ROCPRIM_400000_NS6detail17trampoline_kernelINS0_14default_configENS1_35adjacent_difference_config_selectorILb1ExEEZNS1_24adjacent_difference_implIS3_Lb1ELb0EPKxPxN6thrust23THRUST_200600_302600_NS4plusIxEEEE10hipError_tPvRmT2_T3_mT4_P12ihipStream_tbEUlT_E_NS1_11comp_targetILNS1_3genE5ELNS1_11target_archE942ELNS1_3gpuE9ELNS1_3repE0EEENS1_30default_config_static_selectorELNS0_4arch9wavefront6targetE1EEEvT1_,"axG",@progbits,_ZN7rocprim17ROCPRIM_400000_NS6detail17trampoline_kernelINS0_14default_configENS1_35adjacent_difference_config_selectorILb1ExEEZNS1_24adjacent_difference_implIS3_Lb1ELb0EPKxPxN6thrust23THRUST_200600_302600_NS4plusIxEEEE10hipError_tPvRmT2_T3_mT4_P12ihipStream_tbEUlT_E_NS1_11comp_targetILNS1_3genE5ELNS1_11target_archE942ELNS1_3gpuE9ELNS1_3repE0EEENS1_30default_config_static_selectorELNS0_4arch9wavefront6targetE1EEEvT1_,comdat
	.protected	_ZN7rocprim17ROCPRIM_400000_NS6detail17trampoline_kernelINS0_14default_configENS1_35adjacent_difference_config_selectorILb1ExEEZNS1_24adjacent_difference_implIS3_Lb1ELb0EPKxPxN6thrust23THRUST_200600_302600_NS4plusIxEEEE10hipError_tPvRmT2_T3_mT4_P12ihipStream_tbEUlT_E_NS1_11comp_targetILNS1_3genE5ELNS1_11target_archE942ELNS1_3gpuE9ELNS1_3repE0EEENS1_30default_config_static_selectorELNS0_4arch9wavefront6targetE1EEEvT1_ ; -- Begin function _ZN7rocprim17ROCPRIM_400000_NS6detail17trampoline_kernelINS0_14default_configENS1_35adjacent_difference_config_selectorILb1ExEEZNS1_24adjacent_difference_implIS3_Lb1ELb0EPKxPxN6thrust23THRUST_200600_302600_NS4plusIxEEEE10hipError_tPvRmT2_T3_mT4_P12ihipStream_tbEUlT_E_NS1_11comp_targetILNS1_3genE5ELNS1_11target_archE942ELNS1_3gpuE9ELNS1_3repE0EEENS1_30default_config_static_selectorELNS0_4arch9wavefront6targetE1EEEvT1_
	.globl	_ZN7rocprim17ROCPRIM_400000_NS6detail17trampoline_kernelINS0_14default_configENS1_35adjacent_difference_config_selectorILb1ExEEZNS1_24adjacent_difference_implIS3_Lb1ELb0EPKxPxN6thrust23THRUST_200600_302600_NS4plusIxEEEE10hipError_tPvRmT2_T3_mT4_P12ihipStream_tbEUlT_E_NS1_11comp_targetILNS1_3genE5ELNS1_11target_archE942ELNS1_3gpuE9ELNS1_3repE0EEENS1_30default_config_static_selectorELNS0_4arch9wavefront6targetE1EEEvT1_
	.p2align	8
	.type	_ZN7rocprim17ROCPRIM_400000_NS6detail17trampoline_kernelINS0_14default_configENS1_35adjacent_difference_config_selectorILb1ExEEZNS1_24adjacent_difference_implIS3_Lb1ELb0EPKxPxN6thrust23THRUST_200600_302600_NS4plusIxEEEE10hipError_tPvRmT2_T3_mT4_P12ihipStream_tbEUlT_E_NS1_11comp_targetILNS1_3genE5ELNS1_11target_archE942ELNS1_3gpuE9ELNS1_3repE0EEENS1_30default_config_static_selectorELNS0_4arch9wavefront6targetE1EEEvT1_,@function
_ZN7rocprim17ROCPRIM_400000_NS6detail17trampoline_kernelINS0_14default_configENS1_35adjacent_difference_config_selectorILb1ExEEZNS1_24adjacent_difference_implIS3_Lb1ELb0EPKxPxN6thrust23THRUST_200600_302600_NS4plusIxEEEE10hipError_tPvRmT2_T3_mT4_P12ihipStream_tbEUlT_E_NS1_11comp_targetILNS1_3genE5ELNS1_11target_archE942ELNS1_3gpuE9ELNS1_3repE0EEENS1_30default_config_static_selectorELNS0_4arch9wavefront6targetE1EEEvT1_: ; @_ZN7rocprim17ROCPRIM_400000_NS6detail17trampoline_kernelINS0_14default_configENS1_35adjacent_difference_config_selectorILb1ExEEZNS1_24adjacent_difference_implIS3_Lb1ELb0EPKxPxN6thrust23THRUST_200600_302600_NS4plusIxEEEE10hipError_tPvRmT2_T3_mT4_P12ihipStream_tbEUlT_E_NS1_11comp_targetILNS1_3genE5ELNS1_11target_archE942ELNS1_3gpuE9ELNS1_3repE0EEENS1_30default_config_static_selectorELNS0_4arch9wavefront6targetE1EEEvT1_
; %bb.0:
	.section	.rodata,"a",@progbits
	.p2align	6, 0x0
	.amdhsa_kernel _ZN7rocprim17ROCPRIM_400000_NS6detail17trampoline_kernelINS0_14default_configENS1_35adjacent_difference_config_selectorILb1ExEEZNS1_24adjacent_difference_implIS3_Lb1ELb0EPKxPxN6thrust23THRUST_200600_302600_NS4plusIxEEEE10hipError_tPvRmT2_T3_mT4_P12ihipStream_tbEUlT_E_NS1_11comp_targetILNS1_3genE5ELNS1_11target_archE942ELNS1_3gpuE9ELNS1_3repE0EEENS1_30default_config_static_selectorELNS0_4arch9wavefront6targetE1EEEvT1_
		.amdhsa_group_segment_fixed_size 0
		.amdhsa_private_segment_fixed_size 0
		.amdhsa_kernarg_size 56
		.amdhsa_user_sgpr_count 6
		.amdhsa_user_sgpr_private_segment_buffer 1
		.amdhsa_user_sgpr_dispatch_ptr 0
		.amdhsa_user_sgpr_queue_ptr 0
		.amdhsa_user_sgpr_kernarg_segment_ptr 1
		.amdhsa_user_sgpr_dispatch_id 0
		.amdhsa_user_sgpr_flat_scratch_init 0
		.amdhsa_user_sgpr_private_segment_size 0
		.amdhsa_uses_dynamic_stack 0
		.amdhsa_system_sgpr_private_segment_wavefront_offset 0
		.amdhsa_system_sgpr_workgroup_id_x 1
		.amdhsa_system_sgpr_workgroup_id_y 0
		.amdhsa_system_sgpr_workgroup_id_z 0
		.amdhsa_system_sgpr_workgroup_info 0
		.amdhsa_system_vgpr_workitem_id 0
		.amdhsa_next_free_vgpr 1
		.amdhsa_next_free_sgpr 0
		.amdhsa_reserve_vcc 0
		.amdhsa_reserve_flat_scratch 0
		.amdhsa_float_round_mode_32 0
		.amdhsa_float_round_mode_16_64 0
		.amdhsa_float_denorm_mode_32 3
		.amdhsa_float_denorm_mode_16_64 3
		.amdhsa_dx10_clamp 1
		.amdhsa_ieee_mode 1
		.amdhsa_fp16_overflow 0
		.amdhsa_exception_fp_ieee_invalid_op 0
		.amdhsa_exception_fp_denorm_src 0
		.amdhsa_exception_fp_ieee_div_zero 0
		.amdhsa_exception_fp_ieee_overflow 0
		.amdhsa_exception_fp_ieee_underflow 0
		.amdhsa_exception_fp_ieee_inexact 0
		.amdhsa_exception_int_div_zero 0
	.end_amdhsa_kernel
	.section	.text._ZN7rocprim17ROCPRIM_400000_NS6detail17trampoline_kernelINS0_14default_configENS1_35adjacent_difference_config_selectorILb1ExEEZNS1_24adjacent_difference_implIS3_Lb1ELb0EPKxPxN6thrust23THRUST_200600_302600_NS4plusIxEEEE10hipError_tPvRmT2_T3_mT4_P12ihipStream_tbEUlT_E_NS1_11comp_targetILNS1_3genE5ELNS1_11target_archE942ELNS1_3gpuE9ELNS1_3repE0EEENS1_30default_config_static_selectorELNS0_4arch9wavefront6targetE1EEEvT1_,"axG",@progbits,_ZN7rocprim17ROCPRIM_400000_NS6detail17trampoline_kernelINS0_14default_configENS1_35adjacent_difference_config_selectorILb1ExEEZNS1_24adjacent_difference_implIS3_Lb1ELb0EPKxPxN6thrust23THRUST_200600_302600_NS4plusIxEEEE10hipError_tPvRmT2_T3_mT4_P12ihipStream_tbEUlT_E_NS1_11comp_targetILNS1_3genE5ELNS1_11target_archE942ELNS1_3gpuE9ELNS1_3repE0EEENS1_30default_config_static_selectorELNS0_4arch9wavefront6targetE1EEEvT1_,comdat
.Lfunc_end717:
	.size	_ZN7rocprim17ROCPRIM_400000_NS6detail17trampoline_kernelINS0_14default_configENS1_35adjacent_difference_config_selectorILb1ExEEZNS1_24adjacent_difference_implIS3_Lb1ELb0EPKxPxN6thrust23THRUST_200600_302600_NS4plusIxEEEE10hipError_tPvRmT2_T3_mT4_P12ihipStream_tbEUlT_E_NS1_11comp_targetILNS1_3genE5ELNS1_11target_archE942ELNS1_3gpuE9ELNS1_3repE0EEENS1_30default_config_static_selectorELNS0_4arch9wavefront6targetE1EEEvT1_, .Lfunc_end717-_ZN7rocprim17ROCPRIM_400000_NS6detail17trampoline_kernelINS0_14default_configENS1_35adjacent_difference_config_selectorILb1ExEEZNS1_24adjacent_difference_implIS3_Lb1ELb0EPKxPxN6thrust23THRUST_200600_302600_NS4plusIxEEEE10hipError_tPvRmT2_T3_mT4_P12ihipStream_tbEUlT_E_NS1_11comp_targetILNS1_3genE5ELNS1_11target_archE942ELNS1_3gpuE9ELNS1_3repE0EEENS1_30default_config_static_selectorELNS0_4arch9wavefront6targetE1EEEvT1_
                                        ; -- End function
	.set _ZN7rocprim17ROCPRIM_400000_NS6detail17trampoline_kernelINS0_14default_configENS1_35adjacent_difference_config_selectorILb1ExEEZNS1_24adjacent_difference_implIS3_Lb1ELb0EPKxPxN6thrust23THRUST_200600_302600_NS4plusIxEEEE10hipError_tPvRmT2_T3_mT4_P12ihipStream_tbEUlT_E_NS1_11comp_targetILNS1_3genE5ELNS1_11target_archE942ELNS1_3gpuE9ELNS1_3repE0EEENS1_30default_config_static_selectorELNS0_4arch9wavefront6targetE1EEEvT1_.num_vgpr, 0
	.set _ZN7rocprim17ROCPRIM_400000_NS6detail17trampoline_kernelINS0_14default_configENS1_35adjacent_difference_config_selectorILb1ExEEZNS1_24adjacent_difference_implIS3_Lb1ELb0EPKxPxN6thrust23THRUST_200600_302600_NS4plusIxEEEE10hipError_tPvRmT2_T3_mT4_P12ihipStream_tbEUlT_E_NS1_11comp_targetILNS1_3genE5ELNS1_11target_archE942ELNS1_3gpuE9ELNS1_3repE0EEENS1_30default_config_static_selectorELNS0_4arch9wavefront6targetE1EEEvT1_.num_agpr, 0
	.set _ZN7rocprim17ROCPRIM_400000_NS6detail17trampoline_kernelINS0_14default_configENS1_35adjacent_difference_config_selectorILb1ExEEZNS1_24adjacent_difference_implIS3_Lb1ELb0EPKxPxN6thrust23THRUST_200600_302600_NS4plusIxEEEE10hipError_tPvRmT2_T3_mT4_P12ihipStream_tbEUlT_E_NS1_11comp_targetILNS1_3genE5ELNS1_11target_archE942ELNS1_3gpuE9ELNS1_3repE0EEENS1_30default_config_static_selectorELNS0_4arch9wavefront6targetE1EEEvT1_.numbered_sgpr, 0
	.set _ZN7rocprim17ROCPRIM_400000_NS6detail17trampoline_kernelINS0_14default_configENS1_35adjacent_difference_config_selectorILb1ExEEZNS1_24adjacent_difference_implIS3_Lb1ELb0EPKxPxN6thrust23THRUST_200600_302600_NS4plusIxEEEE10hipError_tPvRmT2_T3_mT4_P12ihipStream_tbEUlT_E_NS1_11comp_targetILNS1_3genE5ELNS1_11target_archE942ELNS1_3gpuE9ELNS1_3repE0EEENS1_30default_config_static_selectorELNS0_4arch9wavefront6targetE1EEEvT1_.num_named_barrier, 0
	.set _ZN7rocprim17ROCPRIM_400000_NS6detail17trampoline_kernelINS0_14default_configENS1_35adjacent_difference_config_selectorILb1ExEEZNS1_24adjacent_difference_implIS3_Lb1ELb0EPKxPxN6thrust23THRUST_200600_302600_NS4plusIxEEEE10hipError_tPvRmT2_T3_mT4_P12ihipStream_tbEUlT_E_NS1_11comp_targetILNS1_3genE5ELNS1_11target_archE942ELNS1_3gpuE9ELNS1_3repE0EEENS1_30default_config_static_selectorELNS0_4arch9wavefront6targetE1EEEvT1_.private_seg_size, 0
	.set _ZN7rocprim17ROCPRIM_400000_NS6detail17trampoline_kernelINS0_14default_configENS1_35adjacent_difference_config_selectorILb1ExEEZNS1_24adjacent_difference_implIS3_Lb1ELb0EPKxPxN6thrust23THRUST_200600_302600_NS4plusIxEEEE10hipError_tPvRmT2_T3_mT4_P12ihipStream_tbEUlT_E_NS1_11comp_targetILNS1_3genE5ELNS1_11target_archE942ELNS1_3gpuE9ELNS1_3repE0EEENS1_30default_config_static_selectorELNS0_4arch9wavefront6targetE1EEEvT1_.uses_vcc, 0
	.set _ZN7rocprim17ROCPRIM_400000_NS6detail17trampoline_kernelINS0_14default_configENS1_35adjacent_difference_config_selectorILb1ExEEZNS1_24adjacent_difference_implIS3_Lb1ELb0EPKxPxN6thrust23THRUST_200600_302600_NS4plusIxEEEE10hipError_tPvRmT2_T3_mT4_P12ihipStream_tbEUlT_E_NS1_11comp_targetILNS1_3genE5ELNS1_11target_archE942ELNS1_3gpuE9ELNS1_3repE0EEENS1_30default_config_static_selectorELNS0_4arch9wavefront6targetE1EEEvT1_.uses_flat_scratch, 0
	.set _ZN7rocprim17ROCPRIM_400000_NS6detail17trampoline_kernelINS0_14default_configENS1_35adjacent_difference_config_selectorILb1ExEEZNS1_24adjacent_difference_implIS3_Lb1ELb0EPKxPxN6thrust23THRUST_200600_302600_NS4plusIxEEEE10hipError_tPvRmT2_T3_mT4_P12ihipStream_tbEUlT_E_NS1_11comp_targetILNS1_3genE5ELNS1_11target_archE942ELNS1_3gpuE9ELNS1_3repE0EEENS1_30default_config_static_selectorELNS0_4arch9wavefront6targetE1EEEvT1_.has_dyn_sized_stack, 0
	.set _ZN7rocprim17ROCPRIM_400000_NS6detail17trampoline_kernelINS0_14default_configENS1_35adjacent_difference_config_selectorILb1ExEEZNS1_24adjacent_difference_implIS3_Lb1ELb0EPKxPxN6thrust23THRUST_200600_302600_NS4plusIxEEEE10hipError_tPvRmT2_T3_mT4_P12ihipStream_tbEUlT_E_NS1_11comp_targetILNS1_3genE5ELNS1_11target_archE942ELNS1_3gpuE9ELNS1_3repE0EEENS1_30default_config_static_selectorELNS0_4arch9wavefront6targetE1EEEvT1_.has_recursion, 0
	.set _ZN7rocprim17ROCPRIM_400000_NS6detail17trampoline_kernelINS0_14default_configENS1_35adjacent_difference_config_selectorILb1ExEEZNS1_24adjacent_difference_implIS3_Lb1ELb0EPKxPxN6thrust23THRUST_200600_302600_NS4plusIxEEEE10hipError_tPvRmT2_T3_mT4_P12ihipStream_tbEUlT_E_NS1_11comp_targetILNS1_3genE5ELNS1_11target_archE942ELNS1_3gpuE9ELNS1_3repE0EEENS1_30default_config_static_selectorELNS0_4arch9wavefront6targetE1EEEvT1_.has_indirect_call, 0
	.section	.AMDGPU.csdata,"",@progbits
; Kernel info:
; codeLenInByte = 0
; TotalNumSgprs: 4
; NumVgprs: 0
; ScratchSize: 0
; MemoryBound: 0
; FloatMode: 240
; IeeeMode: 1
; LDSByteSize: 0 bytes/workgroup (compile time only)
; SGPRBlocks: 0
; VGPRBlocks: 0
; NumSGPRsForWavesPerEU: 4
; NumVGPRsForWavesPerEU: 1
; Occupancy: 10
; WaveLimiterHint : 0
; COMPUTE_PGM_RSRC2:SCRATCH_EN: 0
; COMPUTE_PGM_RSRC2:USER_SGPR: 6
; COMPUTE_PGM_RSRC2:TRAP_HANDLER: 0
; COMPUTE_PGM_RSRC2:TGID_X_EN: 1
; COMPUTE_PGM_RSRC2:TGID_Y_EN: 0
; COMPUTE_PGM_RSRC2:TGID_Z_EN: 0
; COMPUTE_PGM_RSRC2:TIDIG_COMP_CNT: 0
	.section	.text._ZN7rocprim17ROCPRIM_400000_NS6detail17trampoline_kernelINS0_14default_configENS1_35adjacent_difference_config_selectorILb1ExEEZNS1_24adjacent_difference_implIS3_Lb1ELb0EPKxPxN6thrust23THRUST_200600_302600_NS4plusIxEEEE10hipError_tPvRmT2_T3_mT4_P12ihipStream_tbEUlT_E_NS1_11comp_targetILNS1_3genE4ELNS1_11target_archE910ELNS1_3gpuE8ELNS1_3repE0EEENS1_30default_config_static_selectorELNS0_4arch9wavefront6targetE1EEEvT1_,"axG",@progbits,_ZN7rocprim17ROCPRIM_400000_NS6detail17trampoline_kernelINS0_14default_configENS1_35adjacent_difference_config_selectorILb1ExEEZNS1_24adjacent_difference_implIS3_Lb1ELb0EPKxPxN6thrust23THRUST_200600_302600_NS4plusIxEEEE10hipError_tPvRmT2_T3_mT4_P12ihipStream_tbEUlT_E_NS1_11comp_targetILNS1_3genE4ELNS1_11target_archE910ELNS1_3gpuE8ELNS1_3repE0EEENS1_30default_config_static_selectorELNS0_4arch9wavefront6targetE1EEEvT1_,comdat
	.protected	_ZN7rocprim17ROCPRIM_400000_NS6detail17trampoline_kernelINS0_14default_configENS1_35adjacent_difference_config_selectorILb1ExEEZNS1_24adjacent_difference_implIS3_Lb1ELb0EPKxPxN6thrust23THRUST_200600_302600_NS4plusIxEEEE10hipError_tPvRmT2_T3_mT4_P12ihipStream_tbEUlT_E_NS1_11comp_targetILNS1_3genE4ELNS1_11target_archE910ELNS1_3gpuE8ELNS1_3repE0EEENS1_30default_config_static_selectorELNS0_4arch9wavefront6targetE1EEEvT1_ ; -- Begin function _ZN7rocprim17ROCPRIM_400000_NS6detail17trampoline_kernelINS0_14default_configENS1_35adjacent_difference_config_selectorILb1ExEEZNS1_24adjacent_difference_implIS3_Lb1ELb0EPKxPxN6thrust23THRUST_200600_302600_NS4plusIxEEEE10hipError_tPvRmT2_T3_mT4_P12ihipStream_tbEUlT_E_NS1_11comp_targetILNS1_3genE4ELNS1_11target_archE910ELNS1_3gpuE8ELNS1_3repE0EEENS1_30default_config_static_selectorELNS0_4arch9wavefront6targetE1EEEvT1_
	.globl	_ZN7rocprim17ROCPRIM_400000_NS6detail17trampoline_kernelINS0_14default_configENS1_35adjacent_difference_config_selectorILb1ExEEZNS1_24adjacent_difference_implIS3_Lb1ELb0EPKxPxN6thrust23THRUST_200600_302600_NS4plusIxEEEE10hipError_tPvRmT2_T3_mT4_P12ihipStream_tbEUlT_E_NS1_11comp_targetILNS1_3genE4ELNS1_11target_archE910ELNS1_3gpuE8ELNS1_3repE0EEENS1_30default_config_static_selectorELNS0_4arch9wavefront6targetE1EEEvT1_
	.p2align	8
	.type	_ZN7rocprim17ROCPRIM_400000_NS6detail17trampoline_kernelINS0_14default_configENS1_35adjacent_difference_config_selectorILb1ExEEZNS1_24adjacent_difference_implIS3_Lb1ELb0EPKxPxN6thrust23THRUST_200600_302600_NS4plusIxEEEE10hipError_tPvRmT2_T3_mT4_P12ihipStream_tbEUlT_E_NS1_11comp_targetILNS1_3genE4ELNS1_11target_archE910ELNS1_3gpuE8ELNS1_3repE0EEENS1_30default_config_static_selectorELNS0_4arch9wavefront6targetE1EEEvT1_,@function
_ZN7rocprim17ROCPRIM_400000_NS6detail17trampoline_kernelINS0_14default_configENS1_35adjacent_difference_config_selectorILb1ExEEZNS1_24adjacent_difference_implIS3_Lb1ELb0EPKxPxN6thrust23THRUST_200600_302600_NS4plusIxEEEE10hipError_tPvRmT2_T3_mT4_P12ihipStream_tbEUlT_E_NS1_11comp_targetILNS1_3genE4ELNS1_11target_archE910ELNS1_3gpuE8ELNS1_3repE0EEENS1_30default_config_static_selectorELNS0_4arch9wavefront6targetE1EEEvT1_: ; @_ZN7rocprim17ROCPRIM_400000_NS6detail17trampoline_kernelINS0_14default_configENS1_35adjacent_difference_config_selectorILb1ExEEZNS1_24adjacent_difference_implIS3_Lb1ELb0EPKxPxN6thrust23THRUST_200600_302600_NS4plusIxEEEE10hipError_tPvRmT2_T3_mT4_P12ihipStream_tbEUlT_E_NS1_11comp_targetILNS1_3genE4ELNS1_11target_archE910ELNS1_3gpuE8ELNS1_3repE0EEENS1_30default_config_static_selectorELNS0_4arch9wavefront6targetE1EEEvT1_
; %bb.0:
	.section	.rodata,"a",@progbits
	.p2align	6, 0x0
	.amdhsa_kernel _ZN7rocprim17ROCPRIM_400000_NS6detail17trampoline_kernelINS0_14default_configENS1_35adjacent_difference_config_selectorILb1ExEEZNS1_24adjacent_difference_implIS3_Lb1ELb0EPKxPxN6thrust23THRUST_200600_302600_NS4plusIxEEEE10hipError_tPvRmT2_T3_mT4_P12ihipStream_tbEUlT_E_NS1_11comp_targetILNS1_3genE4ELNS1_11target_archE910ELNS1_3gpuE8ELNS1_3repE0EEENS1_30default_config_static_selectorELNS0_4arch9wavefront6targetE1EEEvT1_
		.amdhsa_group_segment_fixed_size 0
		.amdhsa_private_segment_fixed_size 0
		.amdhsa_kernarg_size 56
		.amdhsa_user_sgpr_count 6
		.amdhsa_user_sgpr_private_segment_buffer 1
		.amdhsa_user_sgpr_dispatch_ptr 0
		.amdhsa_user_sgpr_queue_ptr 0
		.amdhsa_user_sgpr_kernarg_segment_ptr 1
		.amdhsa_user_sgpr_dispatch_id 0
		.amdhsa_user_sgpr_flat_scratch_init 0
		.amdhsa_user_sgpr_private_segment_size 0
		.amdhsa_uses_dynamic_stack 0
		.amdhsa_system_sgpr_private_segment_wavefront_offset 0
		.amdhsa_system_sgpr_workgroup_id_x 1
		.amdhsa_system_sgpr_workgroup_id_y 0
		.amdhsa_system_sgpr_workgroup_id_z 0
		.amdhsa_system_sgpr_workgroup_info 0
		.amdhsa_system_vgpr_workitem_id 0
		.amdhsa_next_free_vgpr 1
		.amdhsa_next_free_sgpr 0
		.amdhsa_reserve_vcc 0
		.amdhsa_reserve_flat_scratch 0
		.amdhsa_float_round_mode_32 0
		.amdhsa_float_round_mode_16_64 0
		.amdhsa_float_denorm_mode_32 3
		.amdhsa_float_denorm_mode_16_64 3
		.amdhsa_dx10_clamp 1
		.amdhsa_ieee_mode 1
		.amdhsa_fp16_overflow 0
		.amdhsa_exception_fp_ieee_invalid_op 0
		.amdhsa_exception_fp_denorm_src 0
		.amdhsa_exception_fp_ieee_div_zero 0
		.amdhsa_exception_fp_ieee_overflow 0
		.amdhsa_exception_fp_ieee_underflow 0
		.amdhsa_exception_fp_ieee_inexact 0
		.amdhsa_exception_int_div_zero 0
	.end_amdhsa_kernel
	.section	.text._ZN7rocprim17ROCPRIM_400000_NS6detail17trampoline_kernelINS0_14default_configENS1_35adjacent_difference_config_selectorILb1ExEEZNS1_24adjacent_difference_implIS3_Lb1ELb0EPKxPxN6thrust23THRUST_200600_302600_NS4plusIxEEEE10hipError_tPvRmT2_T3_mT4_P12ihipStream_tbEUlT_E_NS1_11comp_targetILNS1_3genE4ELNS1_11target_archE910ELNS1_3gpuE8ELNS1_3repE0EEENS1_30default_config_static_selectorELNS0_4arch9wavefront6targetE1EEEvT1_,"axG",@progbits,_ZN7rocprim17ROCPRIM_400000_NS6detail17trampoline_kernelINS0_14default_configENS1_35adjacent_difference_config_selectorILb1ExEEZNS1_24adjacent_difference_implIS3_Lb1ELb0EPKxPxN6thrust23THRUST_200600_302600_NS4plusIxEEEE10hipError_tPvRmT2_T3_mT4_P12ihipStream_tbEUlT_E_NS1_11comp_targetILNS1_3genE4ELNS1_11target_archE910ELNS1_3gpuE8ELNS1_3repE0EEENS1_30default_config_static_selectorELNS0_4arch9wavefront6targetE1EEEvT1_,comdat
.Lfunc_end718:
	.size	_ZN7rocprim17ROCPRIM_400000_NS6detail17trampoline_kernelINS0_14default_configENS1_35adjacent_difference_config_selectorILb1ExEEZNS1_24adjacent_difference_implIS3_Lb1ELb0EPKxPxN6thrust23THRUST_200600_302600_NS4plusIxEEEE10hipError_tPvRmT2_T3_mT4_P12ihipStream_tbEUlT_E_NS1_11comp_targetILNS1_3genE4ELNS1_11target_archE910ELNS1_3gpuE8ELNS1_3repE0EEENS1_30default_config_static_selectorELNS0_4arch9wavefront6targetE1EEEvT1_, .Lfunc_end718-_ZN7rocprim17ROCPRIM_400000_NS6detail17trampoline_kernelINS0_14default_configENS1_35adjacent_difference_config_selectorILb1ExEEZNS1_24adjacent_difference_implIS3_Lb1ELb0EPKxPxN6thrust23THRUST_200600_302600_NS4plusIxEEEE10hipError_tPvRmT2_T3_mT4_P12ihipStream_tbEUlT_E_NS1_11comp_targetILNS1_3genE4ELNS1_11target_archE910ELNS1_3gpuE8ELNS1_3repE0EEENS1_30default_config_static_selectorELNS0_4arch9wavefront6targetE1EEEvT1_
                                        ; -- End function
	.set _ZN7rocprim17ROCPRIM_400000_NS6detail17trampoline_kernelINS0_14default_configENS1_35adjacent_difference_config_selectorILb1ExEEZNS1_24adjacent_difference_implIS3_Lb1ELb0EPKxPxN6thrust23THRUST_200600_302600_NS4plusIxEEEE10hipError_tPvRmT2_T3_mT4_P12ihipStream_tbEUlT_E_NS1_11comp_targetILNS1_3genE4ELNS1_11target_archE910ELNS1_3gpuE8ELNS1_3repE0EEENS1_30default_config_static_selectorELNS0_4arch9wavefront6targetE1EEEvT1_.num_vgpr, 0
	.set _ZN7rocprim17ROCPRIM_400000_NS6detail17trampoline_kernelINS0_14default_configENS1_35adjacent_difference_config_selectorILb1ExEEZNS1_24adjacent_difference_implIS3_Lb1ELb0EPKxPxN6thrust23THRUST_200600_302600_NS4plusIxEEEE10hipError_tPvRmT2_T3_mT4_P12ihipStream_tbEUlT_E_NS1_11comp_targetILNS1_3genE4ELNS1_11target_archE910ELNS1_3gpuE8ELNS1_3repE0EEENS1_30default_config_static_selectorELNS0_4arch9wavefront6targetE1EEEvT1_.num_agpr, 0
	.set _ZN7rocprim17ROCPRIM_400000_NS6detail17trampoline_kernelINS0_14default_configENS1_35adjacent_difference_config_selectorILb1ExEEZNS1_24adjacent_difference_implIS3_Lb1ELb0EPKxPxN6thrust23THRUST_200600_302600_NS4plusIxEEEE10hipError_tPvRmT2_T3_mT4_P12ihipStream_tbEUlT_E_NS1_11comp_targetILNS1_3genE4ELNS1_11target_archE910ELNS1_3gpuE8ELNS1_3repE0EEENS1_30default_config_static_selectorELNS0_4arch9wavefront6targetE1EEEvT1_.numbered_sgpr, 0
	.set _ZN7rocprim17ROCPRIM_400000_NS6detail17trampoline_kernelINS0_14default_configENS1_35adjacent_difference_config_selectorILb1ExEEZNS1_24adjacent_difference_implIS3_Lb1ELb0EPKxPxN6thrust23THRUST_200600_302600_NS4plusIxEEEE10hipError_tPvRmT2_T3_mT4_P12ihipStream_tbEUlT_E_NS1_11comp_targetILNS1_3genE4ELNS1_11target_archE910ELNS1_3gpuE8ELNS1_3repE0EEENS1_30default_config_static_selectorELNS0_4arch9wavefront6targetE1EEEvT1_.num_named_barrier, 0
	.set _ZN7rocprim17ROCPRIM_400000_NS6detail17trampoline_kernelINS0_14default_configENS1_35adjacent_difference_config_selectorILb1ExEEZNS1_24adjacent_difference_implIS3_Lb1ELb0EPKxPxN6thrust23THRUST_200600_302600_NS4plusIxEEEE10hipError_tPvRmT2_T3_mT4_P12ihipStream_tbEUlT_E_NS1_11comp_targetILNS1_3genE4ELNS1_11target_archE910ELNS1_3gpuE8ELNS1_3repE0EEENS1_30default_config_static_selectorELNS0_4arch9wavefront6targetE1EEEvT1_.private_seg_size, 0
	.set _ZN7rocprim17ROCPRIM_400000_NS6detail17trampoline_kernelINS0_14default_configENS1_35adjacent_difference_config_selectorILb1ExEEZNS1_24adjacent_difference_implIS3_Lb1ELb0EPKxPxN6thrust23THRUST_200600_302600_NS4plusIxEEEE10hipError_tPvRmT2_T3_mT4_P12ihipStream_tbEUlT_E_NS1_11comp_targetILNS1_3genE4ELNS1_11target_archE910ELNS1_3gpuE8ELNS1_3repE0EEENS1_30default_config_static_selectorELNS0_4arch9wavefront6targetE1EEEvT1_.uses_vcc, 0
	.set _ZN7rocprim17ROCPRIM_400000_NS6detail17trampoline_kernelINS0_14default_configENS1_35adjacent_difference_config_selectorILb1ExEEZNS1_24adjacent_difference_implIS3_Lb1ELb0EPKxPxN6thrust23THRUST_200600_302600_NS4plusIxEEEE10hipError_tPvRmT2_T3_mT4_P12ihipStream_tbEUlT_E_NS1_11comp_targetILNS1_3genE4ELNS1_11target_archE910ELNS1_3gpuE8ELNS1_3repE0EEENS1_30default_config_static_selectorELNS0_4arch9wavefront6targetE1EEEvT1_.uses_flat_scratch, 0
	.set _ZN7rocprim17ROCPRIM_400000_NS6detail17trampoline_kernelINS0_14default_configENS1_35adjacent_difference_config_selectorILb1ExEEZNS1_24adjacent_difference_implIS3_Lb1ELb0EPKxPxN6thrust23THRUST_200600_302600_NS4plusIxEEEE10hipError_tPvRmT2_T3_mT4_P12ihipStream_tbEUlT_E_NS1_11comp_targetILNS1_3genE4ELNS1_11target_archE910ELNS1_3gpuE8ELNS1_3repE0EEENS1_30default_config_static_selectorELNS0_4arch9wavefront6targetE1EEEvT1_.has_dyn_sized_stack, 0
	.set _ZN7rocprim17ROCPRIM_400000_NS6detail17trampoline_kernelINS0_14default_configENS1_35adjacent_difference_config_selectorILb1ExEEZNS1_24adjacent_difference_implIS3_Lb1ELb0EPKxPxN6thrust23THRUST_200600_302600_NS4plusIxEEEE10hipError_tPvRmT2_T3_mT4_P12ihipStream_tbEUlT_E_NS1_11comp_targetILNS1_3genE4ELNS1_11target_archE910ELNS1_3gpuE8ELNS1_3repE0EEENS1_30default_config_static_selectorELNS0_4arch9wavefront6targetE1EEEvT1_.has_recursion, 0
	.set _ZN7rocprim17ROCPRIM_400000_NS6detail17trampoline_kernelINS0_14default_configENS1_35adjacent_difference_config_selectorILb1ExEEZNS1_24adjacent_difference_implIS3_Lb1ELb0EPKxPxN6thrust23THRUST_200600_302600_NS4plusIxEEEE10hipError_tPvRmT2_T3_mT4_P12ihipStream_tbEUlT_E_NS1_11comp_targetILNS1_3genE4ELNS1_11target_archE910ELNS1_3gpuE8ELNS1_3repE0EEENS1_30default_config_static_selectorELNS0_4arch9wavefront6targetE1EEEvT1_.has_indirect_call, 0
	.section	.AMDGPU.csdata,"",@progbits
; Kernel info:
; codeLenInByte = 0
; TotalNumSgprs: 4
; NumVgprs: 0
; ScratchSize: 0
; MemoryBound: 0
; FloatMode: 240
; IeeeMode: 1
; LDSByteSize: 0 bytes/workgroup (compile time only)
; SGPRBlocks: 0
; VGPRBlocks: 0
; NumSGPRsForWavesPerEU: 4
; NumVGPRsForWavesPerEU: 1
; Occupancy: 10
; WaveLimiterHint : 0
; COMPUTE_PGM_RSRC2:SCRATCH_EN: 0
; COMPUTE_PGM_RSRC2:USER_SGPR: 6
; COMPUTE_PGM_RSRC2:TRAP_HANDLER: 0
; COMPUTE_PGM_RSRC2:TGID_X_EN: 1
; COMPUTE_PGM_RSRC2:TGID_Y_EN: 0
; COMPUTE_PGM_RSRC2:TGID_Z_EN: 0
; COMPUTE_PGM_RSRC2:TIDIG_COMP_CNT: 0
	.section	.text._ZN7rocprim17ROCPRIM_400000_NS6detail17trampoline_kernelINS0_14default_configENS1_35adjacent_difference_config_selectorILb1ExEEZNS1_24adjacent_difference_implIS3_Lb1ELb0EPKxPxN6thrust23THRUST_200600_302600_NS4plusIxEEEE10hipError_tPvRmT2_T3_mT4_P12ihipStream_tbEUlT_E_NS1_11comp_targetILNS1_3genE3ELNS1_11target_archE908ELNS1_3gpuE7ELNS1_3repE0EEENS1_30default_config_static_selectorELNS0_4arch9wavefront6targetE1EEEvT1_,"axG",@progbits,_ZN7rocprim17ROCPRIM_400000_NS6detail17trampoline_kernelINS0_14default_configENS1_35adjacent_difference_config_selectorILb1ExEEZNS1_24adjacent_difference_implIS3_Lb1ELb0EPKxPxN6thrust23THRUST_200600_302600_NS4plusIxEEEE10hipError_tPvRmT2_T3_mT4_P12ihipStream_tbEUlT_E_NS1_11comp_targetILNS1_3genE3ELNS1_11target_archE908ELNS1_3gpuE7ELNS1_3repE0EEENS1_30default_config_static_selectorELNS0_4arch9wavefront6targetE1EEEvT1_,comdat
	.protected	_ZN7rocprim17ROCPRIM_400000_NS6detail17trampoline_kernelINS0_14default_configENS1_35adjacent_difference_config_selectorILb1ExEEZNS1_24adjacent_difference_implIS3_Lb1ELb0EPKxPxN6thrust23THRUST_200600_302600_NS4plusIxEEEE10hipError_tPvRmT2_T3_mT4_P12ihipStream_tbEUlT_E_NS1_11comp_targetILNS1_3genE3ELNS1_11target_archE908ELNS1_3gpuE7ELNS1_3repE0EEENS1_30default_config_static_selectorELNS0_4arch9wavefront6targetE1EEEvT1_ ; -- Begin function _ZN7rocprim17ROCPRIM_400000_NS6detail17trampoline_kernelINS0_14default_configENS1_35adjacent_difference_config_selectorILb1ExEEZNS1_24adjacent_difference_implIS3_Lb1ELb0EPKxPxN6thrust23THRUST_200600_302600_NS4plusIxEEEE10hipError_tPvRmT2_T3_mT4_P12ihipStream_tbEUlT_E_NS1_11comp_targetILNS1_3genE3ELNS1_11target_archE908ELNS1_3gpuE7ELNS1_3repE0EEENS1_30default_config_static_selectorELNS0_4arch9wavefront6targetE1EEEvT1_
	.globl	_ZN7rocprim17ROCPRIM_400000_NS6detail17trampoline_kernelINS0_14default_configENS1_35adjacent_difference_config_selectorILb1ExEEZNS1_24adjacent_difference_implIS3_Lb1ELb0EPKxPxN6thrust23THRUST_200600_302600_NS4plusIxEEEE10hipError_tPvRmT2_T3_mT4_P12ihipStream_tbEUlT_E_NS1_11comp_targetILNS1_3genE3ELNS1_11target_archE908ELNS1_3gpuE7ELNS1_3repE0EEENS1_30default_config_static_selectorELNS0_4arch9wavefront6targetE1EEEvT1_
	.p2align	8
	.type	_ZN7rocprim17ROCPRIM_400000_NS6detail17trampoline_kernelINS0_14default_configENS1_35adjacent_difference_config_selectorILb1ExEEZNS1_24adjacent_difference_implIS3_Lb1ELb0EPKxPxN6thrust23THRUST_200600_302600_NS4plusIxEEEE10hipError_tPvRmT2_T3_mT4_P12ihipStream_tbEUlT_E_NS1_11comp_targetILNS1_3genE3ELNS1_11target_archE908ELNS1_3gpuE7ELNS1_3repE0EEENS1_30default_config_static_selectorELNS0_4arch9wavefront6targetE1EEEvT1_,@function
_ZN7rocprim17ROCPRIM_400000_NS6detail17trampoline_kernelINS0_14default_configENS1_35adjacent_difference_config_selectorILb1ExEEZNS1_24adjacent_difference_implIS3_Lb1ELb0EPKxPxN6thrust23THRUST_200600_302600_NS4plusIxEEEE10hipError_tPvRmT2_T3_mT4_P12ihipStream_tbEUlT_E_NS1_11comp_targetILNS1_3genE3ELNS1_11target_archE908ELNS1_3gpuE7ELNS1_3repE0EEENS1_30default_config_static_selectorELNS0_4arch9wavefront6targetE1EEEvT1_: ; @_ZN7rocprim17ROCPRIM_400000_NS6detail17trampoline_kernelINS0_14default_configENS1_35adjacent_difference_config_selectorILb1ExEEZNS1_24adjacent_difference_implIS3_Lb1ELb0EPKxPxN6thrust23THRUST_200600_302600_NS4plusIxEEEE10hipError_tPvRmT2_T3_mT4_P12ihipStream_tbEUlT_E_NS1_11comp_targetILNS1_3genE3ELNS1_11target_archE908ELNS1_3gpuE7ELNS1_3repE0EEENS1_30default_config_static_selectorELNS0_4arch9wavefront6targetE1EEEvT1_
; %bb.0:
	.section	.rodata,"a",@progbits
	.p2align	6, 0x0
	.amdhsa_kernel _ZN7rocprim17ROCPRIM_400000_NS6detail17trampoline_kernelINS0_14default_configENS1_35adjacent_difference_config_selectorILb1ExEEZNS1_24adjacent_difference_implIS3_Lb1ELb0EPKxPxN6thrust23THRUST_200600_302600_NS4plusIxEEEE10hipError_tPvRmT2_T3_mT4_P12ihipStream_tbEUlT_E_NS1_11comp_targetILNS1_3genE3ELNS1_11target_archE908ELNS1_3gpuE7ELNS1_3repE0EEENS1_30default_config_static_selectorELNS0_4arch9wavefront6targetE1EEEvT1_
		.amdhsa_group_segment_fixed_size 0
		.amdhsa_private_segment_fixed_size 0
		.amdhsa_kernarg_size 56
		.amdhsa_user_sgpr_count 6
		.amdhsa_user_sgpr_private_segment_buffer 1
		.amdhsa_user_sgpr_dispatch_ptr 0
		.amdhsa_user_sgpr_queue_ptr 0
		.amdhsa_user_sgpr_kernarg_segment_ptr 1
		.amdhsa_user_sgpr_dispatch_id 0
		.amdhsa_user_sgpr_flat_scratch_init 0
		.amdhsa_user_sgpr_private_segment_size 0
		.amdhsa_uses_dynamic_stack 0
		.amdhsa_system_sgpr_private_segment_wavefront_offset 0
		.amdhsa_system_sgpr_workgroup_id_x 1
		.amdhsa_system_sgpr_workgroup_id_y 0
		.amdhsa_system_sgpr_workgroup_id_z 0
		.amdhsa_system_sgpr_workgroup_info 0
		.amdhsa_system_vgpr_workitem_id 0
		.amdhsa_next_free_vgpr 1
		.amdhsa_next_free_sgpr 0
		.amdhsa_reserve_vcc 0
		.amdhsa_reserve_flat_scratch 0
		.amdhsa_float_round_mode_32 0
		.amdhsa_float_round_mode_16_64 0
		.amdhsa_float_denorm_mode_32 3
		.amdhsa_float_denorm_mode_16_64 3
		.amdhsa_dx10_clamp 1
		.amdhsa_ieee_mode 1
		.amdhsa_fp16_overflow 0
		.amdhsa_exception_fp_ieee_invalid_op 0
		.amdhsa_exception_fp_denorm_src 0
		.amdhsa_exception_fp_ieee_div_zero 0
		.amdhsa_exception_fp_ieee_overflow 0
		.amdhsa_exception_fp_ieee_underflow 0
		.amdhsa_exception_fp_ieee_inexact 0
		.amdhsa_exception_int_div_zero 0
	.end_amdhsa_kernel
	.section	.text._ZN7rocprim17ROCPRIM_400000_NS6detail17trampoline_kernelINS0_14default_configENS1_35adjacent_difference_config_selectorILb1ExEEZNS1_24adjacent_difference_implIS3_Lb1ELb0EPKxPxN6thrust23THRUST_200600_302600_NS4plusIxEEEE10hipError_tPvRmT2_T3_mT4_P12ihipStream_tbEUlT_E_NS1_11comp_targetILNS1_3genE3ELNS1_11target_archE908ELNS1_3gpuE7ELNS1_3repE0EEENS1_30default_config_static_selectorELNS0_4arch9wavefront6targetE1EEEvT1_,"axG",@progbits,_ZN7rocprim17ROCPRIM_400000_NS6detail17trampoline_kernelINS0_14default_configENS1_35adjacent_difference_config_selectorILb1ExEEZNS1_24adjacent_difference_implIS3_Lb1ELb0EPKxPxN6thrust23THRUST_200600_302600_NS4plusIxEEEE10hipError_tPvRmT2_T3_mT4_P12ihipStream_tbEUlT_E_NS1_11comp_targetILNS1_3genE3ELNS1_11target_archE908ELNS1_3gpuE7ELNS1_3repE0EEENS1_30default_config_static_selectorELNS0_4arch9wavefront6targetE1EEEvT1_,comdat
.Lfunc_end719:
	.size	_ZN7rocprim17ROCPRIM_400000_NS6detail17trampoline_kernelINS0_14default_configENS1_35adjacent_difference_config_selectorILb1ExEEZNS1_24adjacent_difference_implIS3_Lb1ELb0EPKxPxN6thrust23THRUST_200600_302600_NS4plusIxEEEE10hipError_tPvRmT2_T3_mT4_P12ihipStream_tbEUlT_E_NS1_11comp_targetILNS1_3genE3ELNS1_11target_archE908ELNS1_3gpuE7ELNS1_3repE0EEENS1_30default_config_static_selectorELNS0_4arch9wavefront6targetE1EEEvT1_, .Lfunc_end719-_ZN7rocprim17ROCPRIM_400000_NS6detail17trampoline_kernelINS0_14default_configENS1_35adjacent_difference_config_selectorILb1ExEEZNS1_24adjacent_difference_implIS3_Lb1ELb0EPKxPxN6thrust23THRUST_200600_302600_NS4plusIxEEEE10hipError_tPvRmT2_T3_mT4_P12ihipStream_tbEUlT_E_NS1_11comp_targetILNS1_3genE3ELNS1_11target_archE908ELNS1_3gpuE7ELNS1_3repE0EEENS1_30default_config_static_selectorELNS0_4arch9wavefront6targetE1EEEvT1_
                                        ; -- End function
	.set _ZN7rocprim17ROCPRIM_400000_NS6detail17trampoline_kernelINS0_14default_configENS1_35adjacent_difference_config_selectorILb1ExEEZNS1_24adjacent_difference_implIS3_Lb1ELb0EPKxPxN6thrust23THRUST_200600_302600_NS4plusIxEEEE10hipError_tPvRmT2_T3_mT4_P12ihipStream_tbEUlT_E_NS1_11comp_targetILNS1_3genE3ELNS1_11target_archE908ELNS1_3gpuE7ELNS1_3repE0EEENS1_30default_config_static_selectorELNS0_4arch9wavefront6targetE1EEEvT1_.num_vgpr, 0
	.set _ZN7rocprim17ROCPRIM_400000_NS6detail17trampoline_kernelINS0_14default_configENS1_35adjacent_difference_config_selectorILb1ExEEZNS1_24adjacent_difference_implIS3_Lb1ELb0EPKxPxN6thrust23THRUST_200600_302600_NS4plusIxEEEE10hipError_tPvRmT2_T3_mT4_P12ihipStream_tbEUlT_E_NS1_11comp_targetILNS1_3genE3ELNS1_11target_archE908ELNS1_3gpuE7ELNS1_3repE0EEENS1_30default_config_static_selectorELNS0_4arch9wavefront6targetE1EEEvT1_.num_agpr, 0
	.set _ZN7rocprim17ROCPRIM_400000_NS6detail17trampoline_kernelINS0_14default_configENS1_35adjacent_difference_config_selectorILb1ExEEZNS1_24adjacent_difference_implIS3_Lb1ELb0EPKxPxN6thrust23THRUST_200600_302600_NS4plusIxEEEE10hipError_tPvRmT2_T3_mT4_P12ihipStream_tbEUlT_E_NS1_11comp_targetILNS1_3genE3ELNS1_11target_archE908ELNS1_3gpuE7ELNS1_3repE0EEENS1_30default_config_static_selectorELNS0_4arch9wavefront6targetE1EEEvT1_.numbered_sgpr, 0
	.set _ZN7rocprim17ROCPRIM_400000_NS6detail17trampoline_kernelINS0_14default_configENS1_35adjacent_difference_config_selectorILb1ExEEZNS1_24adjacent_difference_implIS3_Lb1ELb0EPKxPxN6thrust23THRUST_200600_302600_NS4plusIxEEEE10hipError_tPvRmT2_T3_mT4_P12ihipStream_tbEUlT_E_NS1_11comp_targetILNS1_3genE3ELNS1_11target_archE908ELNS1_3gpuE7ELNS1_3repE0EEENS1_30default_config_static_selectorELNS0_4arch9wavefront6targetE1EEEvT1_.num_named_barrier, 0
	.set _ZN7rocprim17ROCPRIM_400000_NS6detail17trampoline_kernelINS0_14default_configENS1_35adjacent_difference_config_selectorILb1ExEEZNS1_24adjacent_difference_implIS3_Lb1ELb0EPKxPxN6thrust23THRUST_200600_302600_NS4plusIxEEEE10hipError_tPvRmT2_T3_mT4_P12ihipStream_tbEUlT_E_NS1_11comp_targetILNS1_3genE3ELNS1_11target_archE908ELNS1_3gpuE7ELNS1_3repE0EEENS1_30default_config_static_selectorELNS0_4arch9wavefront6targetE1EEEvT1_.private_seg_size, 0
	.set _ZN7rocprim17ROCPRIM_400000_NS6detail17trampoline_kernelINS0_14default_configENS1_35adjacent_difference_config_selectorILb1ExEEZNS1_24adjacent_difference_implIS3_Lb1ELb0EPKxPxN6thrust23THRUST_200600_302600_NS4plusIxEEEE10hipError_tPvRmT2_T3_mT4_P12ihipStream_tbEUlT_E_NS1_11comp_targetILNS1_3genE3ELNS1_11target_archE908ELNS1_3gpuE7ELNS1_3repE0EEENS1_30default_config_static_selectorELNS0_4arch9wavefront6targetE1EEEvT1_.uses_vcc, 0
	.set _ZN7rocprim17ROCPRIM_400000_NS6detail17trampoline_kernelINS0_14default_configENS1_35adjacent_difference_config_selectorILb1ExEEZNS1_24adjacent_difference_implIS3_Lb1ELb0EPKxPxN6thrust23THRUST_200600_302600_NS4plusIxEEEE10hipError_tPvRmT2_T3_mT4_P12ihipStream_tbEUlT_E_NS1_11comp_targetILNS1_3genE3ELNS1_11target_archE908ELNS1_3gpuE7ELNS1_3repE0EEENS1_30default_config_static_selectorELNS0_4arch9wavefront6targetE1EEEvT1_.uses_flat_scratch, 0
	.set _ZN7rocprim17ROCPRIM_400000_NS6detail17trampoline_kernelINS0_14default_configENS1_35adjacent_difference_config_selectorILb1ExEEZNS1_24adjacent_difference_implIS3_Lb1ELb0EPKxPxN6thrust23THRUST_200600_302600_NS4plusIxEEEE10hipError_tPvRmT2_T3_mT4_P12ihipStream_tbEUlT_E_NS1_11comp_targetILNS1_3genE3ELNS1_11target_archE908ELNS1_3gpuE7ELNS1_3repE0EEENS1_30default_config_static_selectorELNS0_4arch9wavefront6targetE1EEEvT1_.has_dyn_sized_stack, 0
	.set _ZN7rocprim17ROCPRIM_400000_NS6detail17trampoline_kernelINS0_14default_configENS1_35adjacent_difference_config_selectorILb1ExEEZNS1_24adjacent_difference_implIS3_Lb1ELb0EPKxPxN6thrust23THRUST_200600_302600_NS4plusIxEEEE10hipError_tPvRmT2_T3_mT4_P12ihipStream_tbEUlT_E_NS1_11comp_targetILNS1_3genE3ELNS1_11target_archE908ELNS1_3gpuE7ELNS1_3repE0EEENS1_30default_config_static_selectorELNS0_4arch9wavefront6targetE1EEEvT1_.has_recursion, 0
	.set _ZN7rocprim17ROCPRIM_400000_NS6detail17trampoline_kernelINS0_14default_configENS1_35adjacent_difference_config_selectorILb1ExEEZNS1_24adjacent_difference_implIS3_Lb1ELb0EPKxPxN6thrust23THRUST_200600_302600_NS4plusIxEEEE10hipError_tPvRmT2_T3_mT4_P12ihipStream_tbEUlT_E_NS1_11comp_targetILNS1_3genE3ELNS1_11target_archE908ELNS1_3gpuE7ELNS1_3repE0EEENS1_30default_config_static_selectorELNS0_4arch9wavefront6targetE1EEEvT1_.has_indirect_call, 0
	.section	.AMDGPU.csdata,"",@progbits
; Kernel info:
; codeLenInByte = 0
; TotalNumSgprs: 4
; NumVgprs: 0
; ScratchSize: 0
; MemoryBound: 0
; FloatMode: 240
; IeeeMode: 1
; LDSByteSize: 0 bytes/workgroup (compile time only)
; SGPRBlocks: 0
; VGPRBlocks: 0
; NumSGPRsForWavesPerEU: 4
; NumVGPRsForWavesPerEU: 1
; Occupancy: 10
; WaveLimiterHint : 0
; COMPUTE_PGM_RSRC2:SCRATCH_EN: 0
; COMPUTE_PGM_RSRC2:USER_SGPR: 6
; COMPUTE_PGM_RSRC2:TRAP_HANDLER: 0
; COMPUTE_PGM_RSRC2:TGID_X_EN: 1
; COMPUTE_PGM_RSRC2:TGID_Y_EN: 0
; COMPUTE_PGM_RSRC2:TGID_Z_EN: 0
; COMPUTE_PGM_RSRC2:TIDIG_COMP_CNT: 0
	.section	.text._ZN7rocprim17ROCPRIM_400000_NS6detail17trampoline_kernelINS0_14default_configENS1_35adjacent_difference_config_selectorILb1ExEEZNS1_24adjacent_difference_implIS3_Lb1ELb0EPKxPxN6thrust23THRUST_200600_302600_NS4plusIxEEEE10hipError_tPvRmT2_T3_mT4_P12ihipStream_tbEUlT_E_NS1_11comp_targetILNS1_3genE2ELNS1_11target_archE906ELNS1_3gpuE6ELNS1_3repE0EEENS1_30default_config_static_selectorELNS0_4arch9wavefront6targetE1EEEvT1_,"axG",@progbits,_ZN7rocprim17ROCPRIM_400000_NS6detail17trampoline_kernelINS0_14default_configENS1_35adjacent_difference_config_selectorILb1ExEEZNS1_24adjacent_difference_implIS3_Lb1ELb0EPKxPxN6thrust23THRUST_200600_302600_NS4plusIxEEEE10hipError_tPvRmT2_T3_mT4_P12ihipStream_tbEUlT_E_NS1_11comp_targetILNS1_3genE2ELNS1_11target_archE906ELNS1_3gpuE6ELNS1_3repE0EEENS1_30default_config_static_selectorELNS0_4arch9wavefront6targetE1EEEvT1_,comdat
	.protected	_ZN7rocprim17ROCPRIM_400000_NS6detail17trampoline_kernelINS0_14default_configENS1_35adjacent_difference_config_selectorILb1ExEEZNS1_24adjacent_difference_implIS3_Lb1ELb0EPKxPxN6thrust23THRUST_200600_302600_NS4plusIxEEEE10hipError_tPvRmT2_T3_mT4_P12ihipStream_tbEUlT_E_NS1_11comp_targetILNS1_3genE2ELNS1_11target_archE906ELNS1_3gpuE6ELNS1_3repE0EEENS1_30default_config_static_selectorELNS0_4arch9wavefront6targetE1EEEvT1_ ; -- Begin function _ZN7rocprim17ROCPRIM_400000_NS6detail17trampoline_kernelINS0_14default_configENS1_35adjacent_difference_config_selectorILb1ExEEZNS1_24adjacent_difference_implIS3_Lb1ELb0EPKxPxN6thrust23THRUST_200600_302600_NS4plusIxEEEE10hipError_tPvRmT2_T3_mT4_P12ihipStream_tbEUlT_E_NS1_11comp_targetILNS1_3genE2ELNS1_11target_archE906ELNS1_3gpuE6ELNS1_3repE0EEENS1_30default_config_static_selectorELNS0_4arch9wavefront6targetE1EEEvT1_
	.globl	_ZN7rocprim17ROCPRIM_400000_NS6detail17trampoline_kernelINS0_14default_configENS1_35adjacent_difference_config_selectorILb1ExEEZNS1_24adjacent_difference_implIS3_Lb1ELb0EPKxPxN6thrust23THRUST_200600_302600_NS4plusIxEEEE10hipError_tPvRmT2_T3_mT4_P12ihipStream_tbEUlT_E_NS1_11comp_targetILNS1_3genE2ELNS1_11target_archE906ELNS1_3gpuE6ELNS1_3repE0EEENS1_30default_config_static_selectorELNS0_4arch9wavefront6targetE1EEEvT1_
	.p2align	8
	.type	_ZN7rocprim17ROCPRIM_400000_NS6detail17trampoline_kernelINS0_14default_configENS1_35adjacent_difference_config_selectorILb1ExEEZNS1_24adjacent_difference_implIS3_Lb1ELb0EPKxPxN6thrust23THRUST_200600_302600_NS4plusIxEEEE10hipError_tPvRmT2_T3_mT4_P12ihipStream_tbEUlT_E_NS1_11comp_targetILNS1_3genE2ELNS1_11target_archE906ELNS1_3gpuE6ELNS1_3repE0EEENS1_30default_config_static_selectorELNS0_4arch9wavefront6targetE1EEEvT1_,@function
_ZN7rocprim17ROCPRIM_400000_NS6detail17trampoline_kernelINS0_14default_configENS1_35adjacent_difference_config_selectorILb1ExEEZNS1_24adjacent_difference_implIS3_Lb1ELb0EPKxPxN6thrust23THRUST_200600_302600_NS4plusIxEEEE10hipError_tPvRmT2_T3_mT4_P12ihipStream_tbEUlT_E_NS1_11comp_targetILNS1_3genE2ELNS1_11target_archE906ELNS1_3gpuE6ELNS1_3repE0EEENS1_30default_config_static_selectorELNS0_4arch9wavefront6targetE1EEEvT1_: ; @_ZN7rocprim17ROCPRIM_400000_NS6detail17trampoline_kernelINS0_14default_configENS1_35adjacent_difference_config_selectorILb1ExEEZNS1_24adjacent_difference_implIS3_Lb1ELb0EPKxPxN6thrust23THRUST_200600_302600_NS4plusIxEEEE10hipError_tPvRmT2_T3_mT4_P12ihipStream_tbEUlT_E_NS1_11comp_targetILNS1_3genE2ELNS1_11target_archE906ELNS1_3gpuE6ELNS1_3repE0EEENS1_30default_config_static_selectorELNS0_4arch9wavefront6targetE1EEEvT1_
; %bb.0:
	s_load_dwordx8 s[8:15], s[4:5], 0x0
	s_load_dwordx4 s[16:19], s[4:5], 0x28
	s_mul_i32 s4, s6, 0x580
	s_mov_b32 s7, 0
	s_mov_b64 s[22:23], -1
	s_waitcnt lgkmcnt(0)
	s_lshl_b64 s[10:11], s[10:11], 3
	s_add_u32 s26, s8, s10
	s_addc_u32 s27, s9, s11
	s_mul_i32 s3, s15, 0xba2e8ba3
	s_mul_hi_u32 s5, s14, 0xba2e8ba3
	s_mul_hi_u32 s2, s15, 0xba2e8ba3
	s_add_u32 s3, s3, s5
	s_mul_i32 s1, s14, 0x2e8ba2e8
	s_addc_u32 s2, s2, 0
	s_mul_hi_u32 s0, s14, 0x2e8ba2e8
	s_add_u32 s1, s1, s3
	s_addc_u32 s0, s0, 0
	s_add_u32 s0, s2, s0
	s_addc_u32 s1, 0, 0
	s_mul_i32 s3, s15, 0x2e8ba2e8
	s_mul_hi_u32 s2, s15, 0x2e8ba2e8
	s_add_u32 s0, s3, s0
	s_addc_u32 s1, s2, s1
	s_lshr_b64 s[2:3], s[0:1], 8
	s_lshr_b32 s0, s1, 8
	s_mulk_i32 s0, 0x580
	s_mul_hi_u32 s1, s2, 0x580
	s_add_i32 s1, s1, s0
	s_mul_i32 s0, s2, 0x580
	s_sub_u32 s0, s14, s0
	s_subb_u32 s1, s15, s1
	s_cmp_lg_u64 s[0:1], 0
	s_cselect_b64 s[0:1], -1, 0
	v_cndmask_b32_e64 v1, 0, 1, s[0:1]
	v_readfirstlane_b32 s0, v1
	s_add_u32 s2, s2, s0
	s_addc_u32 s3, s3, 0
	s_add_u32 s8, s18, s6
	s_addc_u32 s9, s19, 0
	s_add_u32 s20, s2, -1
	s_addc_u32 s21, s3, -1
	v_mov_b32_e32 v1, s20
	v_mov_b32_e32 v2, s21
	v_cmp_ge_u64_e64 s[0:1], s[8:9], v[1:2]
	s_mul_i32 s15, s20, 0xfffffa80
	s_and_b64 vcc, exec, s[0:1]
	s_cbranch_vccz .LBB720_24
; %bb.1:
	s_mov_b32 s5, s7
	s_add_i32 s28, s15, s14
	s_lshl_b64 s[22:23], s[4:5], 3
	s_add_u32 s22, s26, s22
	s_addc_u32 s23, s27, s23
	v_cmp_gt_u32_e32 vcc, s28, v0
                                        ; implicit-def: $vgpr1_vgpr2
	s_and_saveexec_b64 s[24:25], vcc
	s_cbranch_execz .LBB720_3
; %bb.2:
	v_lshlrev_b32_e32 v1, 3, v0
	global_load_dwordx2 v[1:2], v1, s[22:23]
.LBB720_3:
	s_or_b64 exec, exec, s[24:25]
	v_or_b32_e32 v3, 0x80, v0
	v_cmp_gt_u32_e32 vcc, s28, v3
                                        ; implicit-def: $vgpr3_vgpr4
	s_and_saveexec_b64 s[24:25], vcc
	s_cbranch_execz .LBB720_5
; %bb.4:
	v_lshlrev_b32_e32 v3, 3, v0
	global_load_dwordx2 v[3:4], v3, s[22:23] offset:1024
.LBB720_5:
	s_or_b64 exec, exec, s[24:25]
	v_or_b32_e32 v5, 0x100, v0
	v_cmp_gt_u32_e32 vcc, s28, v5
                                        ; implicit-def: $vgpr5_vgpr6
	s_and_saveexec_b64 s[24:25], vcc
	s_cbranch_execz .LBB720_7
; %bb.6:
	v_lshlrev_b32_e32 v5, 3, v0
	global_load_dwordx2 v[5:6], v5, s[22:23] offset:2048
.LBB720_7:
	s_or_b64 exec, exec, s[24:25]
	v_or_b32_e32 v7, 0x180, v0
	v_cmp_gt_u32_e32 vcc, s28, v7
                                        ; implicit-def: $vgpr7_vgpr8
	s_and_saveexec_b64 s[24:25], vcc
	s_cbranch_execz .LBB720_9
; %bb.8:
	v_lshlrev_b32_e32 v7, 3, v0
	global_load_dwordx2 v[7:8], v7, s[22:23] offset:3072
.LBB720_9:
	s_or_b64 exec, exec, s[24:25]
	v_or_b32_e32 v11, 0x200, v0
	v_cmp_gt_u32_e32 vcc, s28, v11
                                        ; implicit-def: $vgpr9_vgpr10
	s_and_saveexec_b64 s[24:25], vcc
	s_cbranch_execz .LBB720_11
; %bb.10:
	v_lshlrev_b32_e32 v9, 3, v11
	global_load_dwordx2 v[9:10], v9, s[22:23]
.LBB720_11:
	s_or_b64 exec, exec, s[24:25]
	v_or_b32_e32 v13, 0x280, v0
	v_cmp_gt_u32_e32 vcc, s28, v13
                                        ; implicit-def: $vgpr11_vgpr12
	s_and_saveexec_b64 s[24:25], vcc
	s_cbranch_execz .LBB720_13
; %bb.12:
	v_lshlrev_b32_e32 v11, 3, v13
	global_load_dwordx2 v[11:12], v11, s[22:23]
.LBB720_13:
	s_or_b64 exec, exec, s[24:25]
	v_or_b32_e32 v15, 0x300, v0
	v_cmp_gt_u32_e32 vcc, s28, v15
                                        ; implicit-def: $vgpr13_vgpr14
	s_and_saveexec_b64 s[24:25], vcc
	s_cbranch_execz .LBB720_15
; %bb.14:
	v_lshlrev_b32_e32 v13, 3, v15
	global_load_dwordx2 v[13:14], v13, s[22:23]
.LBB720_15:
	s_or_b64 exec, exec, s[24:25]
	v_or_b32_e32 v17, 0x380, v0
	v_cmp_gt_u32_e32 vcc, s28, v17
                                        ; implicit-def: $vgpr15_vgpr16
	s_and_saveexec_b64 s[24:25], vcc
	s_cbranch_execz .LBB720_17
; %bb.16:
	v_lshlrev_b32_e32 v15, 3, v17
	global_load_dwordx2 v[15:16], v15, s[22:23]
.LBB720_17:
	s_or_b64 exec, exec, s[24:25]
	v_or_b32_e32 v19, 0x400, v0
	v_cmp_gt_u32_e32 vcc, s28, v19
                                        ; implicit-def: $vgpr17_vgpr18
	s_and_saveexec_b64 s[24:25], vcc
	s_cbranch_execz .LBB720_19
; %bb.18:
	v_lshlrev_b32_e32 v17, 3, v19
	global_load_dwordx2 v[17:18], v17, s[22:23]
.LBB720_19:
	s_or_b64 exec, exec, s[24:25]
	v_or_b32_e32 v21, 0x480, v0
	v_cmp_gt_u32_e32 vcc, s28, v21
                                        ; implicit-def: $vgpr19_vgpr20
	s_and_saveexec_b64 s[24:25], vcc
	s_cbranch_execz .LBB720_21
; %bb.20:
	v_lshlrev_b32_e32 v19, 3, v21
	global_load_dwordx2 v[19:20], v19, s[22:23]
.LBB720_21:
	s_or_b64 exec, exec, s[24:25]
	v_or_b32_e32 v23, 0x500, v0
	v_cmp_gt_u32_e32 vcc, s28, v23
                                        ; implicit-def: $vgpr21_vgpr22
	s_and_saveexec_b64 s[24:25], vcc
	s_cbranch_execz .LBB720_23
; %bb.22:
	v_lshlrev_b32_e32 v21, 3, v23
	global_load_dwordx2 v[21:22], v21, s[22:23]
.LBB720_23:
	s_or_b64 exec, exec, s[24:25]
	v_lshlrev_b32_e32 v23, 3, v0
	s_mov_b64 s[22:23], 0
	s_waitcnt vmcnt(0)
	ds_write2st64_b64 v23, v[1:2], v[3:4] offset1:2
	ds_write2st64_b64 v23, v[5:6], v[7:8] offset0:4 offset1:6
	ds_write2st64_b64 v23, v[9:10], v[11:12] offset0:8 offset1:10
	;; [unrolled: 1-line block ×4, first 2 shown]
	ds_write_b64 v23, v[21:22] offset:10240
	s_waitcnt lgkmcnt(0)
	s_barrier
.LBB720_24:
	s_and_b64 vcc, exec, s[22:23]
	v_lshlrev_b32_e32 v45, 3, v0
	s_cbranch_vccz .LBB720_26
; %bb.25:
	s_mov_b32 s5, 0
	s_lshl_b64 s[22:23], s[4:5], 3
	s_add_u32 s22, s26, s22
	s_addc_u32 s23, s27, s23
	v_mov_b32_e32 v1, s23
	v_add_co_u32_e32 v19, vcc, s22, v45
	v_addc_co_u32_e32 v20, vcc, 0, v1, vcc
	v_add_co_u32_e32 v9, vcc, 0x1000, v19
	v_addc_co_u32_e32 v10, vcc, 0, v20, vcc
	global_load_dwordx2 v[1:2], v45, s[22:23]
	global_load_dwordx2 v[3:4], v45, s[22:23] offset:1024
	global_load_dwordx2 v[5:6], v45, s[22:23] offset:2048
	;; [unrolled: 1-line block ×3, first 2 shown]
	global_load_dwordx2 v[11:12], v[9:10], off
	global_load_dwordx2 v[13:14], v[9:10], off offset:1024
	global_load_dwordx2 v[15:16], v[9:10], off offset:2048
	;; [unrolled: 1-line block ×3, first 2 shown]
	v_add_co_u32_e32 v9, vcc, 0x2000, v19
	v_addc_co_u32_e32 v10, vcc, 0, v20, vcc
	global_load_dwordx2 v[19:20], v[9:10], off
	global_load_dwordx2 v[21:22], v[9:10], off offset:1024
	global_load_dwordx2 v[23:24], v[9:10], off offset:2048
	s_waitcnt vmcnt(9)
	ds_write2st64_b64 v45, v[1:2], v[3:4] offset1:2
	s_waitcnt vmcnt(7)
	ds_write2st64_b64 v45, v[5:6], v[7:8] offset0:4 offset1:6
	s_waitcnt vmcnt(5)
	ds_write2st64_b64 v45, v[11:12], v[13:14] offset0:8 offset1:10
	;; [unrolled: 2-line block ×4, first 2 shown]
	s_waitcnt vmcnt(0)
	ds_write_b64 v45, v[23:24] offset:10240
	s_waitcnt lgkmcnt(0)
	s_barrier
.LBB720_26:
	v_mul_u32_u24_e32 v17, 0x58, v0
	ds_read_b64 v[21:22], v17 offset:80
	ds_read2_b64 v[1:4], v17 offset0:8 offset1:9
	ds_read2_b64 v[9:12], v17 offset1:1
	ds_read2_b64 v[13:16], v17 offset0:2 offset1:3
	ds_read2_b64 v[5:8], v17 offset0:6 offset1:7
	;; [unrolled: 1-line block ×3, first 2 shown]
	s_cmp_eq_u64 s[8:9], 0
	s_waitcnt lgkmcnt(0)
	s_barrier
	s_cbranch_scc1 .LBB720_31
; %bb.27:
	s_lshl_b64 s[18:19], s[18:19], 3
	s_add_u32 s5, s16, s18
	s_addc_u32 s16, s17, s19
	s_lshl_b64 s[6:7], s[6:7], 3
	s_add_u32 s5, s5, s6
	s_addc_u32 s7, s16, s7
	s_add_u32 s6, s5, -8
	s_addc_u32 s7, s7, -1
	s_load_dwordx2 s[6:7], s[6:7], 0x0
	s_cmp_eq_u64 s[8:9], s[20:21]
	s_cbranch_scc1 .LBB720_32
; %bb.28:
	s_waitcnt lgkmcnt(0)
	v_mov_b32_e32 v24, s7
	v_cmp_ne_u32_e32 vcc, 0, v0
	v_mov_b32_e32 v23, s6
	ds_write_b64 v45, v[21:22]
	s_waitcnt lgkmcnt(0)
	s_barrier
	s_and_saveexec_b64 s[16:17], vcc
; %bb.29:
	v_add_u32_e32 v23, -8, v45
	ds_read_b64 v[23:24], v23
; %bb.30:
	s_or_b64 exec, exec, s[16:17]
	s_waitcnt lgkmcnt(0)
	v_add_co_u32_e32 v23, vcc, v23, v9
	v_addc_co_u32_e32 v24, vcc, v24, v10, vcc
	s_mov_b64 s[16:17], 0
	s_branch .LBB720_33
.LBB720_31:
                                        ; implicit-def: $vgpr23_vgpr24
                                        ; implicit-def: $vgpr41_vgpr42
                                        ; implicit-def: $vgpr35_vgpr36
                                        ; implicit-def: $vgpr39_vgpr40
                                        ; implicit-def: $vgpr33_vgpr34
                                        ; implicit-def: $vgpr37_vgpr38
                                        ; implicit-def: $vgpr43_vgpr44
                                        ; implicit-def: $vgpr31_vgpr32
                                        ; implicit-def: $vgpr27_vgpr28
                                        ; implicit-def: $vgpr25_vgpr26
                                        ; implicit-def: $vgpr29_vgpr30
	s_branch .LBB720_38
.LBB720_32:
	s_mov_b64 s[16:17], -1
                                        ; implicit-def: $vgpr23_vgpr24
.LBB720_33:
	v_mov_b32_e32 v42, v10
	v_mov_b32_e32 v36, v12
	v_mov_b32_e32 v40, v14
	v_mov_b32_e32 v34, v16
	v_mov_b32_e32 v38, v18
	v_mov_b32_e32 v44, v20
	v_mov_b32_e32 v32, v6
	v_mov_b32_e32 v28, v8
	v_mov_b32_e32 v26, v2
	v_mov_b32_e32 v30, v4
	s_and_b64 vcc, exec, s[16:17]
	v_mov_b32_e32 v41, v9
	v_mov_b32_e32 v35, v11
	v_mov_b32_e32 v39, v13
	v_mov_b32_e32 v33, v15
	v_mov_b32_e32 v37, v17
	v_mov_b32_e32 v43, v19
	v_mov_b32_e32 v31, v5
	v_mov_b32_e32 v27, v7
	v_mov_b32_e32 v25, v1
	v_mov_b32_e32 v29, v3
	s_cbranch_vccz .LBB720_37
; %bb.34:
	s_waitcnt lgkmcnt(0)
	v_mov_b32_e32 v24, s7
	v_mul_u32_u24_e32 v46, 11, v0
	v_cmp_ne_u32_e32 vcc, 0, v0
	v_mov_b32_e32 v23, s6
	ds_write_b64 v45, v[21:22]
	s_waitcnt lgkmcnt(0)
	s_barrier
	s_and_saveexec_b64 s[6:7], vcc
; %bb.35:
	v_add_u32_e32 v23, -8, v45
	ds_read_b64 v[23:24], v23
; %bb.36:
	s_or_b64 exec, exec, s[6:7]
	s_mul_i32 s5, s8, 0xfffffa80
	s_add_i32 s5, s5, s14
	v_add_u32_e32 v25, 10, v46
	v_cmp_gt_u32_e32 vcc, s5, v25
	v_add_u32_e32 v25, 9, v46
	v_cndmask_b32_e32 v30, 0, v4, vcc
	v_cndmask_b32_e32 v29, 0, v3, vcc
	v_cmp_gt_u32_e32 vcc, s5, v25
	v_add_u32_e32 v27, 8, v46
	v_cndmask_b32_e32 v26, 0, v2, vcc
	v_cndmask_b32_e32 v25, 0, v1, vcc
	;; [unrolled: 4-line block ×9, first 2 shown]
	v_cmp_gt_u32_e32 vcc, s5, v41
	v_cndmask_b32_e32 v42, 0, v10, vcc
	v_cndmask_b32_e32 v41, 0, v9, vcc
	v_cmp_gt_u32_e32 vcc, s5, v46
	s_waitcnt lgkmcnt(0)
	v_cndmask_b32_e32 v23, 0, v23, vcc
	v_cndmask_b32_e32 v24, 0, v24, vcc
	v_add_co_u32_e32 v23, vcc, v23, v9
	v_addc_co_u32_e32 v24, vcc, v24, v10, vcc
.LBB720_37:
	s_waitcnt lgkmcnt(0)
	s_cbranch_execnz .LBB720_48
.LBB720_38:
	s_cmp_eq_u64 s[2:3], 1
	v_cmp_ne_u32_e32 vcc, 0, v0
	s_cbranch_scc1 .LBB720_43
; %bb.39:
	v_mov_b32_e32 v24, v10
	v_mov_b32_e32 v23, v9
	ds_write_b64 v45, v[21:22]
	s_waitcnt lgkmcnt(0)
	s_barrier
	s_and_saveexec_b64 s[2:3], vcc
	s_cbranch_execz .LBB720_41
; %bb.40:
	v_add_u32_e32 v23, -8, v45
	ds_read_b64 v[23:24], v23
	s_waitcnt lgkmcnt(0)
	v_add_co_u32_e32 v23, vcc, v23, v9
	v_addc_co_u32_e32 v24, vcc, v24, v10, vcc
.LBB720_41:
	s_or_b64 exec, exec, s[2:3]
	s_cbranch_execz .LBB720_44
; %bb.42:
	v_mov_b32_e32 v36, v12
	v_mov_b32_e32 v40, v14
	;; [unrolled: 1-line block ×18, first 2 shown]
	s_branch .LBB720_47
.LBB720_43:
                                        ; implicit-def: $vgpr23_vgpr24
.LBB720_44:
	v_mul_u32_u24_e32 v23, 11, v0
	v_add_u32_e32 v24, 10, v23
	v_cmp_gt_u32_e32 vcc, s14, v24
	v_add_u32_e32 v24, 9, v23
	v_cndmask_b32_e32 v30, 0, v4, vcc
	v_cndmask_b32_e32 v29, 0, v3, vcc
	v_cmp_gt_u32_e32 vcc, s14, v24
	v_add_u32_e32 v24, 8, v23
	v_cndmask_b32_e32 v26, 0, v2, vcc
	v_cndmask_b32_e32 v25, 0, v1, vcc
	;; [unrolled: 4-line block ×9, first 2 shown]
	v_cmp_gt_u32_e32 vcc, s14, v24
	v_cndmask_b32_e32 v42, 0, v10, vcc
	v_cndmask_b32_e32 v41, 0, v9, vcc
	v_cmp_ne_u32_e32 vcc, 0, v0
	v_cmp_gt_u32_e64 s[2:3], s14, v23
	s_and_b64 s[6:7], vcc, s[2:3]
	ds_write_b64 v45, v[21:22]
	s_waitcnt lgkmcnt(0)
	s_barrier
	s_and_saveexec_b64 s[2:3], s[6:7]
	s_cbranch_execz .LBB720_46
; %bb.45:
	v_add_u32_e32 v23, -8, v45
	ds_read_b64 v[23:24], v23
	s_waitcnt lgkmcnt(0)
	v_add_co_u32_e32 v9, vcc, v23, v9
	v_addc_co_u32_e32 v10, vcc, v24, v10, vcc
.LBB720_46:
	s_or_b64 exec, exec, s[2:3]
	v_mov_b32_e32 v24, v10
	v_mov_b32_e32 v23, v9
	;; [unrolled: 1-line block ×4, first 2 shown]
.LBB720_47:
	v_mov_b32_e32 v42, v10
	v_mov_b32_e32 v41, v9
.LBB720_48:
	v_add_co_u32_e32 v21, vcc, v29, v21
	v_addc_co_u32_e32 v22, vcc, v30, v22, vcc
	v_add_co_u32_e32 v41, vcc, v41, v11
	v_addc_co_u32_e32 v42, vcc, v42, v12, vcc
	;; [unrolled: 2-line block ×9, first 2 shown]
	v_add_co_u32_e32 v25, vcc, v25, v3
	s_add_u32 s6, s12, s10
	v_addc_co_u32_e32 v26, vcc, v26, v4, vcc
	s_addc_u32 s7, s13, s11
	s_and_b64 vcc, exec, s[0:1]
	s_barrier
	s_cbranch_vccz .LBB720_70
; %bb.49:
	s_movk_i32 s2, 0x58
	v_mul_i32_i24_e32 v47, 0xffffffb0, v0
	v_mul_u32_u24_e32 v46, 0x58, v0
	v_mad_u32_u24 v1, v0, s2, v47
	ds_write2_b64 v46, v[23:24], v[41:42] offset1:1
	ds_write2_b64 v46, v[35:36], v[39:40] offset0:2 offset1:3
	ds_write2_b64 v46, v[33:34], v[37:38] offset0:4 offset1:5
	;; [unrolled: 1-line block ×4, first 2 shown]
	ds_write_b64 v46, v[21:22] offset:80
	s_waitcnt lgkmcnt(0)
	s_barrier
	ds_read2st64_b64 v[17:20], v1 offset0:2 offset1:4
	ds_read2st64_b64 v[13:16], v1 offset0:6 offset1:8
	;; [unrolled: 1-line block ×5, first 2 shown]
	s_mov_b32 s5, 0
	s_add_i32 s15, s15, s14
	s_lshl_b64 s[0:1], s[4:5], 3
	s_add_u32 s0, s6, s0
	s_addc_u32 s1, s7, s1
	v_mov_b32_e32 v44, s1
	v_add_co_u32_e32 v43, vcc, s0, v45
	v_addc_co_u32_e32 v44, vcc, 0, v44, vcc
	v_cmp_gt_u32_e32 vcc, s15, v0
	s_and_saveexec_b64 s[0:1], vcc
	s_cbranch_execz .LBB720_51
; %bb.50:
	v_add_u32_e32 v46, v46, v47
	ds_read_b64 v[46:47], v46
	s_waitcnt lgkmcnt(0)
	global_store_dwordx2 v[43:44], v[46:47], off
.LBB720_51:
	s_or_b64 exec, exec, s[0:1]
	v_or_b32_e32 v46, 0x80, v0
	v_cmp_gt_u32_e32 vcc, s15, v46
	s_and_saveexec_b64 s[0:1], vcc
	s_cbranch_execz .LBB720_53
; %bb.52:
	s_waitcnt lgkmcnt(4)
	global_store_dwordx2 v[43:44], v[17:18], off offset:1024
.LBB720_53:
	s_or_b64 exec, exec, s[0:1]
	s_waitcnt lgkmcnt(4)
	v_or_b32_e32 v17, 0x100, v0
	v_cmp_gt_u32_e32 vcc, s15, v17
	s_and_saveexec_b64 s[0:1], vcc
	s_cbranch_execz .LBB720_55
; %bb.54:
	global_store_dwordx2 v[43:44], v[19:20], off offset:2048
.LBB720_55:
	s_or_b64 exec, exec, s[0:1]
	v_or_b32_e32 v17, 0x180, v0
	v_cmp_gt_u32_e32 vcc, s15, v17
	s_and_saveexec_b64 s[0:1], vcc
	s_cbranch_execz .LBB720_57
; %bb.56:
	s_waitcnt lgkmcnt(3)
	global_store_dwordx2 v[43:44], v[13:14], off offset:3072
.LBB720_57:
	s_or_b64 exec, exec, s[0:1]
	s_waitcnt lgkmcnt(3)
	v_or_b32_e32 v13, 0x200, v0
	v_cmp_gt_u32_e32 vcc, s15, v13
	s_and_saveexec_b64 s[0:1], vcc
	s_cbranch_execz .LBB720_59
; %bb.58:
	v_add_co_u32_e32 v13, vcc, 0x1000, v43
	v_addc_co_u32_e32 v14, vcc, 0, v44, vcc
	global_store_dwordx2 v[13:14], v[15:16], off
.LBB720_59:
	s_or_b64 exec, exec, s[0:1]
	v_or_b32_e32 v13, 0x280, v0
	v_cmp_gt_u32_e32 vcc, s15, v13
	s_and_saveexec_b64 s[0:1], vcc
	s_cbranch_execz .LBB720_61
; %bb.60:
	v_add_co_u32_e32 v13, vcc, 0x1000, v43
	v_addc_co_u32_e32 v14, vcc, 0, v44, vcc
	s_waitcnt lgkmcnt(2)
	global_store_dwordx2 v[13:14], v[9:10], off offset:1024
.LBB720_61:
	s_or_b64 exec, exec, s[0:1]
	s_waitcnt lgkmcnt(2)
	v_or_b32_e32 v9, 0x300, v0
	v_cmp_gt_u32_e32 vcc, s15, v9
	s_and_saveexec_b64 s[0:1], vcc
	s_cbranch_execz .LBB720_63
; %bb.62:
	v_add_co_u32_e32 v9, vcc, 0x1000, v43
	v_addc_co_u32_e32 v10, vcc, 0, v44, vcc
	global_store_dwordx2 v[9:10], v[11:12], off offset:2048
.LBB720_63:
	s_or_b64 exec, exec, s[0:1]
	v_or_b32_e32 v9, 0x380, v0
	v_cmp_gt_u32_e32 vcc, s15, v9
	s_and_saveexec_b64 s[0:1], vcc
	s_cbranch_execz .LBB720_65
; %bb.64:
	v_add_co_u32_e32 v9, vcc, 0x1000, v43
	v_addc_co_u32_e32 v10, vcc, 0, v44, vcc
	s_waitcnt lgkmcnt(1)
	global_store_dwordx2 v[9:10], v[5:6], off offset:3072
.LBB720_65:
	s_or_b64 exec, exec, s[0:1]
	s_waitcnt lgkmcnt(1)
	v_or_b32_e32 v5, 0x400, v0
	v_cmp_gt_u32_e32 vcc, s15, v5
	s_and_saveexec_b64 s[0:1], vcc
	s_cbranch_execz .LBB720_67
; %bb.66:
	v_add_co_u32_e32 v5, vcc, 0x2000, v43
	v_addc_co_u32_e32 v6, vcc, 0, v44, vcc
	global_store_dwordx2 v[5:6], v[7:8], off
.LBB720_67:
	s_or_b64 exec, exec, s[0:1]
	v_or_b32_e32 v5, 0x480, v0
	v_cmp_gt_u32_e32 vcc, s15, v5
	s_and_saveexec_b64 s[0:1], vcc
	s_cbranch_execz .LBB720_69
; %bb.68:
	v_add_co_u32_e32 v5, vcc, 0x2000, v43
	v_addc_co_u32_e32 v6, vcc, 0, v44, vcc
	s_waitcnt lgkmcnt(0)
	global_store_dwordx2 v[5:6], v[1:2], off offset:1024
.LBB720_69:
	s_or_b64 exec, exec, s[0:1]
	s_waitcnt lgkmcnt(0)
	v_or_b32_e32 v1, 0x500, v0
	v_cmp_gt_u32_e64 s[0:1], s15, v1
	s_branch .LBB720_72
.LBB720_70:
	s_mov_b64 s[0:1], 0
                                        ; implicit-def: $vgpr3_vgpr4
                                        ; implicit-def: $vgpr43_vgpr44
	s_cbranch_execz .LBB720_72
; %bb.71:
	s_mov_b32 s5, 0
	s_lshl_b64 s[2:3], s[4:5], 3
	v_mul_u32_u24_e32 v1, 0x58, v0
	s_add_u32 s2, s6, s2
	s_movk_i32 s4, 0x58
	ds_write2_b64 v1, v[23:24], v[41:42] offset1:1
	ds_write2_b64 v1, v[35:36], v[39:40] offset0:2 offset1:3
	ds_write2_b64 v1, v[33:34], v[37:38] offset0:4 offset1:5
	;; [unrolled: 1-line block ×4, first 2 shown]
	ds_write_b64 v1, v[21:22] offset:80
	v_mul_i32_i24_e32 v1, 0xffffffb0, v0
	s_addc_u32 s3, s7, s3
	v_mad_u32_u24 v0, v0, s4, v1
	s_waitcnt vmcnt(0) lgkmcnt(0)
	s_barrier
	ds_read2st64_b64 v[5:8], v0 offset1:2
	ds_read2st64_b64 v[9:12], v0 offset0:4 offset1:6
	ds_read2st64_b64 v[13:16], v0 offset0:8 offset1:10
	;; [unrolled: 1-line block ×4, first 2 shown]
	ds_read_b64 v[3:4], v0 offset:10240
	v_mov_b32_e32 v0, s3
	v_add_co_u32_e32 v43, vcc, s2, v45
	v_addc_co_u32_e32 v44, vcc, 0, v0, vcc
	s_waitcnt lgkmcnt(5)
	global_store_dwordx2 v45, v[5:6], s[2:3]
	global_store_dwordx2 v45, v[7:8], s[2:3] offset:1024
	s_waitcnt lgkmcnt(4)
	global_store_dwordx2 v45, v[9:10], s[2:3] offset:2048
	global_store_dwordx2 v45, v[11:12], s[2:3] offset:3072
	s_movk_i32 s2, 0x1000
	v_add_co_u32_e32 v0, vcc, s2, v43
	v_addc_co_u32_e32 v1, vcc, 0, v44, vcc
	s_waitcnt lgkmcnt(3)
	global_store_dwordx2 v[0:1], v[13:14], off
	global_store_dwordx2 v[0:1], v[15:16], off offset:1024
	s_waitcnt lgkmcnt(2)
	global_store_dwordx2 v[0:1], v[17:18], off offset:2048
	global_store_dwordx2 v[0:1], v[19:20], off offset:3072
	v_add_co_u32_e32 v0, vcc, 0x2000, v43
	v_addc_co_u32_e32 v1, vcc, 0, v44, vcc
	s_or_b64 s[0:1], s[0:1], exec
	s_waitcnt lgkmcnt(1)
	global_store_dwordx2 v[0:1], v[21:22], off
	global_store_dwordx2 v[0:1], v[23:24], off offset:1024
.LBB720_72:
	s_and_saveexec_b64 s[2:3], s[0:1]
	s_cbranch_execnz .LBB720_74
; %bb.73:
	s_endpgm
.LBB720_74:
	v_add_co_u32_e32 v0, vcc, 0x2000, v43
	v_addc_co_u32_e32 v1, vcc, 0, v44, vcc
	s_waitcnt lgkmcnt(0)
	global_store_dwordx2 v[0:1], v[3:4], off offset:2048
	s_endpgm
	.section	.rodata,"a",@progbits
	.p2align	6, 0x0
	.amdhsa_kernel _ZN7rocprim17ROCPRIM_400000_NS6detail17trampoline_kernelINS0_14default_configENS1_35adjacent_difference_config_selectorILb1ExEEZNS1_24adjacent_difference_implIS3_Lb1ELb0EPKxPxN6thrust23THRUST_200600_302600_NS4plusIxEEEE10hipError_tPvRmT2_T3_mT4_P12ihipStream_tbEUlT_E_NS1_11comp_targetILNS1_3genE2ELNS1_11target_archE906ELNS1_3gpuE6ELNS1_3repE0EEENS1_30default_config_static_selectorELNS0_4arch9wavefront6targetE1EEEvT1_
		.amdhsa_group_segment_fixed_size 11264
		.amdhsa_private_segment_fixed_size 0
		.amdhsa_kernarg_size 56
		.amdhsa_user_sgpr_count 6
		.amdhsa_user_sgpr_private_segment_buffer 1
		.amdhsa_user_sgpr_dispatch_ptr 0
		.amdhsa_user_sgpr_queue_ptr 0
		.amdhsa_user_sgpr_kernarg_segment_ptr 1
		.amdhsa_user_sgpr_dispatch_id 0
		.amdhsa_user_sgpr_flat_scratch_init 0
		.amdhsa_user_sgpr_private_segment_size 0
		.amdhsa_uses_dynamic_stack 0
		.amdhsa_system_sgpr_private_segment_wavefront_offset 0
		.amdhsa_system_sgpr_workgroup_id_x 1
		.amdhsa_system_sgpr_workgroup_id_y 0
		.amdhsa_system_sgpr_workgroup_id_z 0
		.amdhsa_system_sgpr_workgroup_info 0
		.amdhsa_system_vgpr_workitem_id 0
		.amdhsa_next_free_vgpr 65
		.amdhsa_next_free_sgpr 98
		.amdhsa_reserve_vcc 1
		.amdhsa_reserve_flat_scratch 0
		.amdhsa_float_round_mode_32 0
		.amdhsa_float_round_mode_16_64 0
		.amdhsa_float_denorm_mode_32 3
		.amdhsa_float_denorm_mode_16_64 3
		.amdhsa_dx10_clamp 1
		.amdhsa_ieee_mode 1
		.amdhsa_fp16_overflow 0
		.amdhsa_exception_fp_ieee_invalid_op 0
		.amdhsa_exception_fp_denorm_src 0
		.amdhsa_exception_fp_ieee_div_zero 0
		.amdhsa_exception_fp_ieee_overflow 0
		.amdhsa_exception_fp_ieee_underflow 0
		.amdhsa_exception_fp_ieee_inexact 0
		.amdhsa_exception_int_div_zero 0
	.end_amdhsa_kernel
	.section	.text._ZN7rocprim17ROCPRIM_400000_NS6detail17trampoline_kernelINS0_14default_configENS1_35adjacent_difference_config_selectorILb1ExEEZNS1_24adjacent_difference_implIS3_Lb1ELb0EPKxPxN6thrust23THRUST_200600_302600_NS4plusIxEEEE10hipError_tPvRmT2_T3_mT4_P12ihipStream_tbEUlT_E_NS1_11comp_targetILNS1_3genE2ELNS1_11target_archE906ELNS1_3gpuE6ELNS1_3repE0EEENS1_30default_config_static_selectorELNS0_4arch9wavefront6targetE1EEEvT1_,"axG",@progbits,_ZN7rocprim17ROCPRIM_400000_NS6detail17trampoline_kernelINS0_14default_configENS1_35adjacent_difference_config_selectorILb1ExEEZNS1_24adjacent_difference_implIS3_Lb1ELb0EPKxPxN6thrust23THRUST_200600_302600_NS4plusIxEEEE10hipError_tPvRmT2_T3_mT4_P12ihipStream_tbEUlT_E_NS1_11comp_targetILNS1_3genE2ELNS1_11target_archE906ELNS1_3gpuE6ELNS1_3repE0EEENS1_30default_config_static_selectorELNS0_4arch9wavefront6targetE1EEEvT1_,comdat
.Lfunc_end720:
	.size	_ZN7rocprim17ROCPRIM_400000_NS6detail17trampoline_kernelINS0_14default_configENS1_35adjacent_difference_config_selectorILb1ExEEZNS1_24adjacent_difference_implIS3_Lb1ELb0EPKxPxN6thrust23THRUST_200600_302600_NS4plusIxEEEE10hipError_tPvRmT2_T3_mT4_P12ihipStream_tbEUlT_E_NS1_11comp_targetILNS1_3genE2ELNS1_11target_archE906ELNS1_3gpuE6ELNS1_3repE0EEENS1_30default_config_static_selectorELNS0_4arch9wavefront6targetE1EEEvT1_, .Lfunc_end720-_ZN7rocprim17ROCPRIM_400000_NS6detail17trampoline_kernelINS0_14default_configENS1_35adjacent_difference_config_selectorILb1ExEEZNS1_24adjacent_difference_implIS3_Lb1ELb0EPKxPxN6thrust23THRUST_200600_302600_NS4plusIxEEEE10hipError_tPvRmT2_T3_mT4_P12ihipStream_tbEUlT_E_NS1_11comp_targetILNS1_3genE2ELNS1_11target_archE906ELNS1_3gpuE6ELNS1_3repE0EEENS1_30default_config_static_selectorELNS0_4arch9wavefront6targetE1EEEvT1_
                                        ; -- End function
	.set _ZN7rocprim17ROCPRIM_400000_NS6detail17trampoline_kernelINS0_14default_configENS1_35adjacent_difference_config_selectorILb1ExEEZNS1_24adjacent_difference_implIS3_Lb1ELb0EPKxPxN6thrust23THRUST_200600_302600_NS4plusIxEEEE10hipError_tPvRmT2_T3_mT4_P12ihipStream_tbEUlT_E_NS1_11comp_targetILNS1_3genE2ELNS1_11target_archE906ELNS1_3gpuE6ELNS1_3repE0EEENS1_30default_config_static_selectorELNS0_4arch9wavefront6targetE1EEEvT1_.num_vgpr, 48
	.set _ZN7rocprim17ROCPRIM_400000_NS6detail17trampoline_kernelINS0_14default_configENS1_35adjacent_difference_config_selectorILb1ExEEZNS1_24adjacent_difference_implIS3_Lb1ELb0EPKxPxN6thrust23THRUST_200600_302600_NS4plusIxEEEE10hipError_tPvRmT2_T3_mT4_P12ihipStream_tbEUlT_E_NS1_11comp_targetILNS1_3genE2ELNS1_11target_archE906ELNS1_3gpuE6ELNS1_3repE0EEENS1_30default_config_static_selectorELNS0_4arch9wavefront6targetE1EEEvT1_.num_agpr, 0
	.set _ZN7rocprim17ROCPRIM_400000_NS6detail17trampoline_kernelINS0_14default_configENS1_35adjacent_difference_config_selectorILb1ExEEZNS1_24adjacent_difference_implIS3_Lb1ELb0EPKxPxN6thrust23THRUST_200600_302600_NS4plusIxEEEE10hipError_tPvRmT2_T3_mT4_P12ihipStream_tbEUlT_E_NS1_11comp_targetILNS1_3genE2ELNS1_11target_archE906ELNS1_3gpuE6ELNS1_3repE0EEENS1_30default_config_static_selectorELNS0_4arch9wavefront6targetE1EEEvT1_.numbered_sgpr, 29
	.set _ZN7rocprim17ROCPRIM_400000_NS6detail17trampoline_kernelINS0_14default_configENS1_35adjacent_difference_config_selectorILb1ExEEZNS1_24adjacent_difference_implIS3_Lb1ELb0EPKxPxN6thrust23THRUST_200600_302600_NS4plusIxEEEE10hipError_tPvRmT2_T3_mT4_P12ihipStream_tbEUlT_E_NS1_11comp_targetILNS1_3genE2ELNS1_11target_archE906ELNS1_3gpuE6ELNS1_3repE0EEENS1_30default_config_static_selectorELNS0_4arch9wavefront6targetE1EEEvT1_.num_named_barrier, 0
	.set _ZN7rocprim17ROCPRIM_400000_NS6detail17trampoline_kernelINS0_14default_configENS1_35adjacent_difference_config_selectorILb1ExEEZNS1_24adjacent_difference_implIS3_Lb1ELb0EPKxPxN6thrust23THRUST_200600_302600_NS4plusIxEEEE10hipError_tPvRmT2_T3_mT4_P12ihipStream_tbEUlT_E_NS1_11comp_targetILNS1_3genE2ELNS1_11target_archE906ELNS1_3gpuE6ELNS1_3repE0EEENS1_30default_config_static_selectorELNS0_4arch9wavefront6targetE1EEEvT1_.private_seg_size, 0
	.set _ZN7rocprim17ROCPRIM_400000_NS6detail17trampoline_kernelINS0_14default_configENS1_35adjacent_difference_config_selectorILb1ExEEZNS1_24adjacent_difference_implIS3_Lb1ELb0EPKxPxN6thrust23THRUST_200600_302600_NS4plusIxEEEE10hipError_tPvRmT2_T3_mT4_P12ihipStream_tbEUlT_E_NS1_11comp_targetILNS1_3genE2ELNS1_11target_archE906ELNS1_3gpuE6ELNS1_3repE0EEENS1_30default_config_static_selectorELNS0_4arch9wavefront6targetE1EEEvT1_.uses_vcc, 1
	.set _ZN7rocprim17ROCPRIM_400000_NS6detail17trampoline_kernelINS0_14default_configENS1_35adjacent_difference_config_selectorILb1ExEEZNS1_24adjacent_difference_implIS3_Lb1ELb0EPKxPxN6thrust23THRUST_200600_302600_NS4plusIxEEEE10hipError_tPvRmT2_T3_mT4_P12ihipStream_tbEUlT_E_NS1_11comp_targetILNS1_3genE2ELNS1_11target_archE906ELNS1_3gpuE6ELNS1_3repE0EEENS1_30default_config_static_selectorELNS0_4arch9wavefront6targetE1EEEvT1_.uses_flat_scratch, 0
	.set _ZN7rocprim17ROCPRIM_400000_NS6detail17trampoline_kernelINS0_14default_configENS1_35adjacent_difference_config_selectorILb1ExEEZNS1_24adjacent_difference_implIS3_Lb1ELb0EPKxPxN6thrust23THRUST_200600_302600_NS4plusIxEEEE10hipError_tPvRmT2_T3_mT4_P12ihipStream_tbEUlT_E_NS1_11comp_targetILNS1_3genE2ELNS1_11target_archE906ELNS1_3gpuE6ELNS1_3repE0EEENS1_30default_config_static_selectorELNS0_4arch9wavefront6targetE1EEEvT1_.has_dyn_sized_stack, 0
	.set _ZN7rocprim17ROCPRIM_400000_NS6detail17trampoline_kernelINS0_14default_configENS1_35adjacent_difference_config_selectorILb1ExEEZNS1_24adjacent_difference_implIS3_Lb1ELb0EPKxPxN6thrust23THRUST_200600_302600_NS4plusIxEEEE10hipError_tPvRmT2_T3_mT4_P12ihipStream_tbEUlT_E_NS1_11comp_targetILNS1_3genE2ELNS1_11target_archE906ELNS1_3gpuE6ELNS1_3repE0EEENS1_30default_config_static_selectorELNS0_4arch9wavefront6targetE1EEEvT1_.has_recursion, 0
	.set _ZN7rocprim17ROCPRIM_400000_NS6detail17trampoline_kernelINS0_14default_configENS1_35adjacent_difference_config_selectorILb1ExEEZNS1_24adjacent_difference_implIS3_Lb1ELb0EPKxPxN6thrust23THRUST_200600_302600_NS4plusIxEEEE10hipError_tPvRmT2_T3_mT4_P12ihipStream_tbEUlT_E_NS1_11comp_targetILNS1_3genE2ELNS1_11target_archE906ELNS1_3gpuE6ELNS1_3repE0EEENS1_30default_config_static_selectorELNS0_4arch9wavefront6targetE1EEEvT1_.has_indirect_call, 0
	.section	.AMDGPU.csdata,"",@progbits
; Kernel info:
; codeLenInByte = 2968
; TotalNumSgprs: 33
; NumVgprs: 48
; ScratchSize: 0
; MemoryBound: 0
; FloatMode: 240
; IeeeMode: 1
; LDSByteSize: 11264 bytes/workgroup (compile time only)
; SGPRBlocks: 12
; VGPRBlocks: 16
; NumSGPRsForWavesPerEU: 102
; NumVGPRsForWavesPerEU: 65
; Occupancy: 3
; WaveLimiterHint : 1
; COMPUTE_PGM_RSRC2:SCRATCH_EN: 0
; COMPUTE_PGM_RSRC2:USER_SGPR: 6
; COMPUTE_PGM_RSRC2:TRAP_HANDLER: 0
; COMPUTE_PGM_RSRC2:TGID_X_EN: 1
; COMPUTE_PGM_RSRC2:TGID_Y_EN: 0
; COMPUTE_PGM_RSRC2:TGID_Z_EN: 0
; COMPUTE_PGM_RSRC2:TIDIG_COMP_CNT: 0
	.section	.text._ZN7rocprim17ROCPRIM_400000_NS6detail17trampoline_kernelINS0_14default_configENS1_35adjacent_difference_config_selectorILb1ExEEZNS1_24adjacent_difference_implIS3_Lb1ELb0EPKxPxN6thrust23THRUST_200600_302600_NS4plusIxEEEE10hipError_tPvRmT2_T3_mT4_P12ihipStream_tbEUlT_E_NS1_11comp_targetILNS1_3genE9ELNS1_11target_archE1100ELNS1_3gpuE3ELNS1_3repE0EEENS1_30default_config_static_selectorELNS0_4arch9wavefront6targetE1EEEvT1_,"axG",@progbits,_ZN7rocprim17ROCPRIM_400000_NS6detail17trampoline_kernelINS0_14default_configENS1_35adjacent_difference_config_selectorILb1ExEEZNS1_24adjacent_difference_implIS3_Lb1ELb0EPKxPxN6thrust23THRUST_200600_302600_NS4plusIxEEEE10hipError_tPvRmT2_T3_mT4_P12ihipStream_tbEUlT_E_NS1_11comp_targetILNS1_3genE9ELNS1_11target_archE1100ELNS1_3gpuE3ELNS1_3repE0EEENS1_30default_config_static_selectorELNS0_4arch9wavefront6targetE1EEEvT1_,comdat
	.protected	_ZN7rocprim17ROCPRIM_400000_NS6detail17trampoline_kernelINS0_14default_configENS1_35adjacent_difference_config_selectorILb1ExEEZNS1_24adjacent_difference_implIS3_Lb1ELb0EPKxPxN6thrust23THRUST_200600_302600_NS4plusIxEEEE10hipError_tPvRmT2_T3_mT4_P12ihipStream_tbEUlT_E_NS1_11comp_targetILNS1_3genE9ELNS1_11target_archE1100ELNS1_3gpuE3ELNS1_3repE0EEENS1_30default_config_static_selectorELNS0_4arch9wavefront6targetE1EEEvT1_ ; -- Begin function _ZN7rocprim17ROCPRIM_400000_NS6detail17trampoline_kernelINS0_14default_configENS1_35adjacent_difference_config_selectorILb1ExEEZNS1_24adjacent_difference_implIS3_Lb1ELb0EPKxPxN6thrust23THRUST_200600_302600_NS4plusIxEEEE10hipError_tPvRmT2_T3_mT4_P12ihipStream_tbEUlT_E_NS1_11comp_targetILNS1_3genE9ELNS1_11target_archE1100ELNS1_3gpuE3ELNS1_3repE0EEENS1_30default_config_static_selectorELNS0_4arch9wavefront6targetE1EEEvT1_
	.globl	_ZN7rocprim17ROCPRIM_400000_NS6detail17trampoline_kernelINS0_14default_configENS1_35adjacent_difference_config_selectorILb1ExEEZNS1_24adjacent_difference_implIS3_Lb1ELb0EPKxPxN6thrust23THRUST_200600_302600_NS4plusIxEEEE10hipError_tPvRmT2_T3_mT4_P12ihipStream_tbEUlT_E_NS1_11comp_targetILNS1_3genE9ELNS1_11target_archE1100ELNS1_3gpuE3ELNS1_3repE0EEENS1_30default_config_static_selectorELNS0_4arch9wavefront6targetE1EEEvT1_
	.p2align	8
	.type	_ZN7rocprim17ROCPRIM_400000_NS6detail17trampoline_kernelINS0_14default_configENS1_35adjacent_difference_config_selectorILb1ExEEZNS1_24adjacent_difference_implIS3_Lb1ELb0EPKxPxN6thrust23THRUST_200600_302600_NS4plusIxEEEE10hipError_tPvRmT2_T3_mT4_P12ihipStream_tbEUlT_E_NS1_11comp_targetILNS1_3genE9ELNS1_11target_archE1100ELNS1_3gpuE3ELNS1_3repE0EEENS1_30default_config_static_selectorELNS0_4arch9wavefront6targetE1EEEvT1_,@function
_ZN7rocprim17ROCPRIM_400000_NS6detail17trampoline_kernelINS0_14default_configENS1_35adjacent_difference_config_selectorILb1ExEEZNS1_24adjacent_difference_implIS3_Lb1ELb0EPKxPxN6thrust23THRUST_200600_302600_NS4plusIxEEEE10hipError_tPvRmT2_T3_mT4_P12ihipStream_tbEUlT_E_NS1_11comp_targetILNS1_3genE9ELNS1_11target_archE1100ELNS1_3gpuE3ELNS1_3repE0EEENS1_30default_config_static_selectorELNS0_4arch9wavefront6targetE1EEEvT1_: ; @_ZN7rocprim17ROCPRIM_400000_NS6detail17trampoline_kernelINS0_14default_configENS1_35adjacent_difference_config_selectorILb1ExEEZNS1_24adjacent_difference_implIS3_Lb1ELb0EPKxPxN6thrust23THRUST_200600_302600_NS4plusIxEEEE10hipError_tPvRmT2_T3_mT4_P12ihipStream_tbEUlT_E_NS1_11comp_targetILNS1_3genE9ELNS1_11target_archE1100ELNS1_3gpuE3ELNS1_3repE0EEENS1_30default_config_static_selectorELNS0_4arch9wavefront6targetE1EEEvT1_
; %bb.0:
	.section	.rodata,"a",@progbits
	.p2align	6, 0x0
	.amdhsa_kernel _ZN7rocprim17ROCPRIM_400000_NS6detail17trampoline_kernelINS0_14default_configENS1_35adjacent_difference_config_selectorILb1ExEEZNS1_24adjacent_difference_implIS3_Lb1ELb0EPKxPxN6thrust23THRUST_200600_302600_NS4plusIxEEEE10hipError_tPvRmT2_T3_mT4_P12ihipStream_tbEUlT_E_NS1_11comp_targetILNS1_3genE9ELNS1_11target_archE1100ELNS1_3gpuE3ELNS1_3repE0EEENS1_30default_config_static_selectorELNS0_4arch9wavefront6targetE1EEEvT1_
		.amdhsa_group_segment_fixed_size 0
		.amdhsa_private_segment_fixed_size 0
		.amdhsa_kernarg_size 56
		.amdhsa_user_sgpr_count 6
		.amdhsa_user_sgpr_private_segment_buffer 1
		.amdhsa_user_sgpr_dispatch_ptr 0
		.amdhsa_user_sgpr_queue_ptr 0
		.amdhsa_user_sgpr_kernarg_segment_ptr 1
		.amdhsa_user_sgpr_dispatch_id 0
		.amdhsa_user_sgpr_flat_scratch_init 0
		.amdhsa_user_sgpr_private_segment_size 0
		.amdhsa_uses_dynamic_stack 0
		.amdhsa_system_sgpr_private_segment_wavefront_offset 0
		.amdhsa_system_sgpr_workgroup_id_x 1
		.amdhsa_system_sgpr_workgroup_id_y 0
		.amdhsa_system_sgpr_workgroup_id_z 0
		.amdhsa_system_sgpr_workgroup_info 0
		.amdhsa_system_vgpr_workitem_id 0
		.amdhsa_next_free_vgpr 1
		.amdhsa_next_free_sgpr 0
		.amdhsa_reserve_vcc 0
		.amdhsa_reserve_flat_scratch 0
		.amdhsa_float_round_mode_32 0
		.amdhsa_float_round_mode_16_64 0
		.amdhsa_float_denorm_mode_32 3
		.amdhsa_float_denorm_mode_16_64 3
		.amdhsa_dx10_clamp 1
		.amdhsa_ieee_mode 1
		.amdhsa_fp16_overflow 0
		.amdhsa_exception_fp_ieee_invalid_op 0
		.amdhsa_exception_fp_denorm_src 0
		.amdhsa_exception_fp_ieee_div_zero 0
		.amdhsa_exception_fp_ieee_overflow 0
		.amdhsa_exception_fp_ieee_underflow 0
		.amdhsa_exception_fp_ieee_inexact 0
		.amdhsa_exception_int_div_zero 0
	.end_amdhsa_kernel
	.section	.text._ZN7rocprim17ROCPRIM_400000_NS6detail17trampoline_kernelINS0_14default_configENS1_35adjacent_difference_config_selectorILb1ExEEZNS1_24adjacent_difference_implIS3_Lb1ELb0EPKxPxN6thrust23THRUST_200600_302600_NS4plusIxEEEE10hipError_tPvRmT2_T3_mT4_P12ihipStream_tbEUlT_E_NS1_11comp_targetILNS1_3genE9ELNS1_11target_archE1100ELNS1_3gpuE3ELNS1_3repE0EEENS1_30default_config_static_selectorELNS0_4arch9wavefront6targetE1EEEvT1_,"axG",@progbits,_ZN7rocprim17ROCPRIM_400000_NS6detail17trampoline_kernelINS0_14default_configENS1_35adjacent_difference_config_selectorILb1ExEEZNS1_24adjacent_difference_implIS3_Lb1ELb0EPKxPxN6thrust23THRUST_200600_302600_NS4plusIxEEEE10hipError_tPvRmT2_T3_mT4_P12ihipStream_tbEUlT_E_NS1_11comp_targetILNS1_3genE9ELNS1_11target_archE1100ELNS1_3gpuE3ELNS1_3repE0EEENS1_30default_config_static_selectorELNS0_4arch9wavefront6targetE1EEEvT1_,comdat
.Lfunc_end721:
	.size	_ZN7rocprim17ROCPRIM_400000_NS6detail17trampoline_kernelINS0_14default_configENS1_35adjacent_difference_config_selectorILb1ExEEZNS1_24adjacent_difference_implIS3_Lb1ELb0EPKxPxN6thrust23THRUST_200600_302600_NS4plusIxEEEE10hipError_tPvRmT2_T3_mT4_P12ihipStream_tbEUlT_E_NS1_11comp_targetILNS1_3genE9ELNS1_11target_archE1100ELNS1_3gpuE3ELNS1_3repE0EEENS1_30default_config_static_selectorELNS0_4arch9wavefront6targetE1EEEvT1_, .Lfunc_end721-_ZN7rocprim17ROCPRIM_400000_NS6detail17trampoline_kernelINS0_14default_configENS1_35adjacent_difference_config_selectorILb1ExEEZNS1_24adjacent_difference_implIS3_Lb1ELb0EPKxPxN6thrust23THRUST_200600_302600_NS4plusIxEEEE10hipError_tPvRmT2_T3_mT4_P12ihipStream_tbEUlT_E_NS1_11comp_targetILNS1_3genE9ELNS1_11target_archE1100ELNS1_3gpuE3ELNS1_3repE0EEENS1_30default_config_static_selectorELNS0_4arch9wavefront6targetE1EEEvT1_
                                        ; -- End function
	.set _ZN7rocprim17ROCPRIM_400000_NS6detail17trampoline_kernelINS0_14default_configENS1_35adjacent_difference_config_selectorILb1ExEEZNS1_24adjacent_difference_implIS3_Lb1ELb0EPKxPxN6thrust23THRUST_200600_302600_NS4plusIxEEEE10hipError_tPvRmT2_T3_mT4_P12ihipStream_tbEUlT_E_NS1_11comp_targetILNS1_3genE9ELNS1_11target_archE1100ELNS1_3gpuE3ELNS1_3repE0EEENS1_30default_config_static_selectorELNS0_4arch9wavefront6targetE1EEEvT1_.num_vgpr, 0
	.set _ZN7rocprim17ROCPRIM_400000_NS6detail17trampoline_kernelINS0_14default_configENS1_35adjacent_difference_config_selectorILb1ExEEZNS1_24adjacent_difference_implIS3_Lb1ELb0EPKxPxN6thrust23THRUST_200600_302600_NS4plusIxEEEE10hipError_tPvRmT2_T3_mT4_P12ihipStream_tbEUlT_E_NS1_11comp_targetILNS1_3genE9ELNS1_11target_archE1100ELNS1_3gpuE3ELNS1_3repE0EEENS1_30default_config_static_selectorELNS0_4arch9wavefront6targetE1EEEvT1_.num_agpr, 0
	.set _ZN7rocprim17ROCPRIM_400000_NS6detail17trampoline_kernelINS0_14default_configENS1_35adjacent_difference_config_selectorILb1ExEEZNS1_24adjacent_difference_implIS3_Lb1ELb0EPKxPxN6thrust23THRUST_200600_302600_NS4plusIxEEEE10hipError_tPvRmT2_T3_mT4_P12ihipStream_tbEUlT_E_NS1_11comp_targetILNS1_3genE9ELNS1_11target_archE1100ELNS1_3gpuE3ELNS1_3repE0EEENS1_30default_config_static_selectorELNS0_4arch9wavefront6targetE1EEEvT1_.numbered_sgpr, 0
	.set _ZN7rocprim17ROCPRIM_400000_NS6detail17trampoline_kernelINS0_14default_configENS1_35adjacent_difference_config_selectorILb1ExEEZNS1_24adjacent_difference_implIS3_Lb1ELb0EPKxPxN6thrust23THRUST_200600_302600_NS4plusIxEEEE10hipError_tPvRmT2_T3_mT4_P12ihipStream_tbEUlT_E_NS1_11comp_targetILNS1_3genE9ELNS1_11target_archE1100ELNS1_3gpuE3ELNS1_3repE0EEENS1_30default_config_static_selectorELNS0_4arch9wavefront6targetE1EEEvT1_.num_named_barrier, 0
	.set _ZN7rocprim17ROCPRIM_400000_NS6detail17trampoline_kernelINS0_14default_configENS1_35adjacent_difference_config_selectorILb1ExEEZNS1_24adjacent_difference_implIS3_Lb1ELb0EPKxPxN6thrust23THRUST_200600_302600_NS4plusIxEEEE10hipError_tPvRmT2_T3_mT4_P12ihipStream_tbEUlT_E_NS1_11comp_targetILNS1_3genE9ELNS1_11target_archE1100ELNS1_3gpuE3ELNS1_3repE0EEENS1_30default_config_static_selectorELNS0_4arch9wavefront6targetE1EEEvT1_.private_seg_size, 0
	.set _ZN7rocprim17ROCPRIM_400000_NS6detail17trampoline_kernelINS0_14default_configENS1_35adjacent_difference_config_selectorILb1ExEEZNS1_24adjacent_difference_implIS3_Lb1ELb0EPKxPxN6thrust23THRUST_200600_302600_NS4plusIxEEEE10hipError_tPvRmT2_T3_mT4_P12ihipStream_tbEUlT_E_NS1_11comp_targetILNS1_3genE9ELNS1_11target_archE1100ELNS1_3gpuE3ELNS1_3repE0EEENS1_30default_config_static_selectorELNS0_4arch9wavefront6targetE1EEEvT1_.uses_vcc, 0
	.set _ZN7rocprim17ROCPRIM_400000_NS6detail17trampoline_kernelINS0_14default_configENS1_35adjacent_difference_config_selectorILb1ExEEZNS1_24adjacent_difference_implIS3_Lb1ELb0EPKxPxN6thrust23THRUST_200600_302600_NS4plusIxEEEE10hipError_tPvRmT2_T3_mT4_P12ihipStream_tbEUlT_E_NS1_11comp_targetILNS1_3genE9ELNS1_11target_archE1100ELNS1_3gpuE3ELNS1_3repE0EEENS1_30default_config_static_selectorELNS0_4arch9wavefront6targetE1EEEvT1_.uses_flat_scratch, 0
	.set _ZN7rocprim17ROCPRIM_400000_NS6detail17trampoline_kernelINS0_14default_configENS1_35adjacent_difference_config_selectorILb1ExEEZNS1_24adjacent_difference_implIS3_Lb1ELb0EPKxPxN6thrust23THRUST_200600_302600_NS4plusIxEEEE10hipError_tPvRmT2_T3_mT4_P12ihipStream_tbEUlT_E_NS1_11comp_targetILNS1_3genE9ELNS1_11target_archE1100ELNS1_3gpuE3ELNS1_3repE0EEENS1_30default_config_static_selectorELNS0_4arch9wavefront6targetE1EEEvT1_.has_dyn_sized_stack, 0
	.set _ZN7rocprim17ROCPRIM_400000_NS6detail17trampoline_kernelINS0_14default_configENS1_35adjacent_difference_config_selectorILb1ExEEZNS1_24adjacent_difference_implIS3_Lb1ELb0EPKxPxN6thrust23THRUST_200600_302600_NS4plusIxEEEE10hipError_tPvRmT2_T3_mT4_P12ihipStream_tbEUlT_E_NS1_11comp_targetILNS1_3genE9ELNS1_11target_archE1100ELNS1_3gpuE3ELNS1_3repE0EEENS1_30default_config_static_selectorELNS0_4arch9wavefront6targetE1EEEvT1_.has_recursion, 0
	.set _ZN7rocprim17ROCPRIM_400000_NS6detail17trampoline_kernelINS0_14default_configENS1_35adjacent_difference_config_selectorILb1ExEEZNS1_24adjacent_difference_implIS3_Lb1ELb0EPKxPxN6thrust23THRUST_200600_302600_NS4plusIxEEEE10hipError_tPvRmT2_T3_mT4_P12ihipStream_tbEUlT_E_NS1_11comp_targetILNS1_3genE9ELNS1_11target_archE1100ELNS1_3gpuE3ELNS1_3repE0EEENS1_30default_config_static_selectorELNS0_4arch9wavefront6targetE1EEEvT1_.has_indirect_call, 0
	.section	.AMDGPU.csdata,"",@progbits
; Kernel info:
; codeLenInByte = 0
; TotalNumSgprs: 4
; NumVgprs: 0
; ScratchSize: 0
; MemoryBound: 0
; FloatMode: 240
; IeeeMode: 1
; LDSByteSize: 0 bytes/workgroup (compile time only)
; SGPRBlocks: 0
; VGPRBlocks: 0
; NumSGPRsForWavesPerEU: 4
; NumVGPRsForWavesPerEU: 1
; Occupancy: 10
; WaveLimiterHint : 0
; COMPUTE_PGM_RSRC2:SCRATCH_EN: 0
; COMPUTE_PGM_RSRC2:USER_SGPR: 6
; COMPUTE_PGM_RSRC2:TRAP_HANDLER: 0
; COMPUTE_PGM_RSRC2:TGID_X_EN: 1
; COMPUTE_PGM_RSRC2:TGID_Y_EN: 0
; COMPUTE_PGM_RSRC2:TGID_Z_EN: 0
; COMPUTE_PGM_RSRC2:TIDIG_COMP_CNT: 0
	.section	.text._ZN7rocprim17ROCPRIM_400000_NS6detail17trampoline_kernelINS0_14default_configENS1_35adjacent_difference_config_selectorILb1ExEEZNS1_24adjacent_difference_implIS3_Lb1ELb0EPKxPxN6thrust23THRUST_200600_302600_NS4plusIxEEEE10hipError_tPvRmT2_T3_mT4_P12ihipStream_tbEUlT_E_NS1_11comp_targetILNS1_3genE8ELNS1_11target_archE1030ELNS1_3gpuE2ELNS1_3repE0EEENS1_30default_config_static_selectorELNS0_4arch9wavefront6targetE1EEEvT1_,"axG",@progbits,_ZN7rocprim17ROCPRIM_400000_NS6detail17trampoline_kernelINS0_14default_configENS1_35adjacent_difference_config_selectorILb1ExEEZNS1_24adjacent_difference_implIS3_Lb1ELb0EPKxPxN6thrust23THRUST_200600_302600_NS4plusIxEEEE10hipError_tPvRmT2_T3_mT4_P12ihipStream_tbEUlT_E_NS1_11comp_targetILNS1_3genE8ELNS1_11target_archE1030ELNS1_3gpuE2ELNS1_3repE0EEENS1_30default_config_static_selectorELNS0_4arch9wavefront6targetE1EEEvT1_,comdat
	.protected	_ZN7rocprim17ROCPRIM_400000_NS6detail17trampoline_kernelINS0_14default_configENS1_35adjacent_difference_config_selectorILb1ExEEZNS1_24adjacent_difference_implIS3_Lb1ELb0EPKxPxN6thrust23THRUST_200600_302600_NS4plusIxEEEE10hipError_tPvRmT2_T3_mT4_P12ihipStream_tbEUlT_E_NS1_11comp_targetILNS1_3genE8ELNS1_11target_archE1030ELNS1_3gpuE2ELNS1_3repE0EEENS1_30default_config_static_selectorELNS0_4arch9wavefront6targetE1EEEvT1_ ; -- Begin function _ZN7rocprim17ROCPRIM_400000_NS6detail17trampoline_kernelINS0_14default_configENS1_35adjacent_difference_config_selectorILb1ExEEZNS1_24adjacent_difference_implIS3_Lb1ELb0EPKxPxN6thrust23THRUST_200600_302600_NS4plusIxEEEE10hipError_tPvRmT2_T3_mT4_P12ihipStream_tbEUlT_E_NS1_11comp_targetILNS1_3genE8ELNS1_11target_archE1030ELNS1_3gpuE2ELNS1_3repE0EEENS1_30default_config_static_selectorELNS0_4arch9wavefront6targetE1EEEvT1_
	.globl	_ZN7rocprim17ROCPRIM_400000_NS6detail17trampoline_kernelINS0_14default_configENS1_35adjacent_difference_config_selectorILb1ExEEZNS1_24adjacent_difference_implIS3_Lb1ELb0EPKxPxN6thrust23THRUST_200600_302600_NS4plusIxEEEE10hipError_tPvRmT2_T3_mT4_P12ihipStream_tbEUlT_E_NS1_11comp_targetILNS1_3genE8ELNS1_11target_archE1030ELNS1_3gpuE2ELNS1_3repE0EEENS1_30default_config_static_selectorELNS0_4arch9wavefront6targetE1EEEvT1_
	.p2align	8
	.type	_ZN7rocprim17ROCPRIM_400000_NS6detail17trampoline_kernelINS0_14default_configENS1_35adjacent_difference_config_selectorILb1ExEEZNS1_24adjacent_difference_implIS3_Lb1ELb0EPKxPxN6thrust23THRUST_200600_302600_NS4plusIxEEEE10hipError_tPvRmT2_T3_mT4_P12ihipStream_tbEUlT_E_NS1_11comp_targetILNS1_3genE8ELNS1_11target_archE1030ELNS1_3gpuE2ELNS1_3repE0EEENS1_30default_config_static_selectorELNS0_4arch9wavefront6targetE1EEEvT1_,@function
_ZN7rocprim17ROCPRIM_400000_NS6detail17trampoline_kernelINS0_14default_configENS1_35adjacent_difference_config_selectorILb1ExEEZNS1_24adjacent_difference_implIS3_Lb1ELb0EPKxPxN6thrust23THRUST_200600_302600_NS4plusIxEEEE10hipError_tPvRmT2_T3_mT4_P12ihipStream_tbEUlT_E_NS1_11comp_targetILNS1_3genE8ELNS1_11target_archE1030ELNS1_3gpuE2ELNS1_3repE0EEENS1_30default_config_static_selectorELNS0_4arch9wavefront6targetE1EEEvT1_: ; @_ZN7rocprim17ROCPRIM_400000_NS6detail17trampoline_kernelINS0_14default_configENS1_35adjacent_difference_config_selectorILb1ExEEZNS1_24adjacent_difference_implIS3_Lb1ELb0EPKxPxN6thrust23THRUST_200600_302600_NS4plusIxEEEE10hipError_tPvRmT2_T3_mT4_P12ihipStream_tbEUlT_E_NS1_11comp_targetILNS1_3genE8ELNS1_11target_archE1030ELNS1_3gpuE2ELNS1_3repE0EEENS1_30default_config_static_selectorELNS0_4arch9wavefront6targetE1EEEvT1_
; %bb.0:
	.section	.rodata,"a",@progbits
	.p2align	6, 0x0
	.amdhsa_kernel _ZN7rocprim17ROCPRIM_400000_NS6detail17trampoline_kernelINS0_14default_configENS1_35adjacent_difference_config_selectorILb1ExEEZNS1_24adjacent_difference_implIS3_Lb1ELb0EPKxPxN6thrust23THRUST_200600_302600_NS4plusIxEEEE10hipError_tPvRmT2_T3_mT4_P12ihipStream_tbEUlT_E_NS1_11comp_targetILNS1_3genE8ELNS1_11target_archE1030ELNS1_3gpuE2ELNS1_3repE0EEENS1_30default_config_static_selectorELNS0_4arch9wavefront6targetE1EEEvT1_
		.amdhsa_group_segment_fixed_size 0
		.amdhsa_private_segment_fixed_size 0
		.amdhsa_kernarg_size 56
		.amdhsa_user_sgpr_count 6
		.amdhsa_user_sgpr_private_segment_buffer 1
		.amdhsa_user_sgpr_dispatch_ptr 0
		.amdhsa_user_sgpr_queue_ptr 0
		.amdhsa_user_sgpr_kernarg_segment_ptr 1
		.amdhsa_user_sgpr_dispatch_id 0
		.amdhsa_user_sgpr_flat_scratch_init 0
		.amdhsa_user_sgpr_private_segment_size 0
		.amdhsa_uses_dynamic_stack 0
		.amdhsa_system_sgpr_private_segment_wavefront_offset 0
		.amdhsa_system_sgpr_workgroup_id_x 1
		.amdhsa_system_sgpr_workgroup_id_y 0
		.amdhsa_system_sgpr_workgroup_id_z 0
		.amdhsa_system_sgpr_workgroup_info 0
		.amdhsa_system_vgpr_workitem_id 0
		.amdhsa_next_free_vgpr 1
		.amdhsa_next_free_sgpr 0
		.amdhsa_reserve_vcc 0
		.amdhsa_reserve_flat_scratch 0
		.amdhsa_float_round_mode_32 0
		.amdhsa_float_round_mode_16_64 0
		.amdhsa_float_denorm_mode_32 3
		.amdhsa_float_denorm_mode_16_64 3
		.amdhsa_dx10_clamp 1
		.amdhsa_ieee_mode 1
		.amdhsa_fp16_overflow 0
		.amdhsa_exception_fp_ieee_invalid_op 0
		.amdhsa_exception_fp_denorm_src 0
		.amdhsa_exception_fp_ieee_div_zero 0
		.amdhsa_exception_fp_ieee_overflow 0
		.amdhsa_exception_fp_ieee_underflow 0
		.amdhsa_exception_fp_ieee_inexact 0
		.amdhsa_exception_int_div_zero 0
	.end_amdhsa_kernel
	.section	.text._ZN7rocprim17ROCPRIM_400000_NS6detail17trampoline_kernelINS0_14default_configENS1_35adjacent_difference_config_selectorILb1ExEEZNS1_24adjacent_difference_implIS3_Lb1ELb0EPKxPxN6thrust23THRUST_200600_302600_NS4plusIxEEEE10hipError_tPvRmT2_T3_mT4_P12ihipStream_tbEUlT_E_NS1_11comp_targetILNS1_3genE8ELNS1_11target_archE1030ELNS1_3gpuE2ELNS1_3repE0EEENS1_30default_config_static_selectorELNS0_4arch9wavefront6targetE1EEEvT1_,"axG",@progbits,_ZN7rocprim17ROCPRIM_400000_NS6detail17trampoline_kernelINS0_14default_configENS1_35adjacent_difference_config_selectorILb1ExEEZNS1_24adjacent_difference_implIS3_Lb1ELb0EPKxPxN6thrust23THRUST_200600_302600_NS4plusIxEEEE10hipError_tPvRmT2_T3_mT4_P12ihipStream_tbEUlT_E_NS1_11comp_targetILNS1_3genE8ELNS1_11target_archE1030ELNS1_3gpuE2ELNS1_3repE0EEENS1_30default_config_static_selectorELNS0_4arch9wavefront6targetE1EEEvT1_,comdat
.Lfunc_end722:
	.size	_ZN7rocprim17ROCPRIM_400000_NS6detail17trampoline_kernelINS0_14default_configENS1_35adjacent_difference_config_selectorILb1ExEEZNS1_24adjacent_difference_implIS3_Lb1ELb0EPKxPxN6thrust23THRUST_200600_302600_NS4plusIxEEEE10hipError_tPvRmT2_T3_mT4_P12ihipStream_tbEUlT_E_NS1_11comp_targetILNS1_3genE8ELNS1_11target_archE1030ELNS1_3gpuE2ELNS1_3repE0EEENS1_30default_config_static_selectorELNS0_4arch9wavefront6targetE1EEEvT1_, .Lfunc_end722-_ZN7rocprim17ROCPRIM_400000_NS6detail17trampoline_kernelINS0_14default_configENS1_35adjacent_difference_config_selectorILb1ExEEZNS1_24adjacent_difference_implIS3_Lb1ELb0EPKxPxN6thrust23THRUST_200600_302600_NS4plusIxEEEE10hipError_tPvRmT2_T3_mT4_P12ihipStream_tbEUlT_E_NS1_11comp_targetILNS1_3genE8ELNS1_11target_archE1030ELNS1_3gpuE2ELNS1_3repE0EEENS1_30default_config_static_selectorELNS0_4arch9wavefront6targetE1EEEvT1_
                                        ; -- End function
	.set _ZN7rocprim17ROCPRIM_400000_NS6detail17trampoline_kernelINS0_14default_configENS1_35adjacent_difference_config_selectorILb1ExEEZNS1_24adjacent_difference_implIS3_Lb1ELb0EPKxPxN6thrust23THRUST_200600_302600_NS4plusIxEEEE10hipError_tPvRmT2_T3_mT4_P12ihipStream_tbEUlT_E_NS1_11comp_targetILNS1_3genE8ELNS1_11target_archE1030ELNS1_3gpuE2ELNS1_3repE0EEENS1_30default_config_static_selectorELNS0_4arch9wavefront6targetE1EEEvT1_.num_vgpr, 0
	.set _ZN7rocprim17ROCPRIM_400000_NS6detail17trampoline_kernelINS0_14default_configENS1_35adjacent_difference_config_selectorILb1ExEEZNS1_24adjacent_difference_implIS3_Lb1ELb0EPKxPxN6thrust23THRUST_200600_302600_NS4plusIxEEEE10hipError_tPvRmT2_T3_mT4_P12ihipStream_tbEUlT_E_NS1_11comp_targetILNS1_3genE8ELNS1_11target_archE1030ELNS1_3gpuE2ELNS1_3repE0EEENS1_30default_config_static_selectorELNS0_4arch9wavefront6targetE1EEEvT1_.num_agpr, 0
	.set _ZN7rocprim17ROCPRIM_400000_NS6detail17trampoline_kernelINS0_14default_configENS1_35adjacent_difference_config_selectorILb1ExEEZNS1_24adjacent_difference_implIS3_Lb1ELb0EPKxPxN6thrust23THRUST_200600_302600_NS4plusIxEEEE10hipError_tPvRmT2_T3_mT4_P12ihipStream_tbEUlT_E_NS1_11comp_targetILNS1_3genE8ELNS1_11target_archE1030ELNS1_3gpuE2ELNS1_3repE0EEENS1_30default_config_static_selectorELNS0_4arch9wavefront6targetE1EEEvT1_.numbered_sgpr, 0
	.set _ZN7rocprim17ROCPRIM_400000_NS6detail17trampoline_kernelINS0_14default_configENS1_35adjacent_difference_config_selectorILb1ExEEZNS1_24adjacent_difference_implIS3_Lb1ELb0EPKxPxN6thrust23THRUST_200600_302600_NS4plusIxEEEE10hipError_tPvRmT2_T3_mT4_P12ihipStream_tbEUlT_E_NS1_11comp_targetILNS1_3genE8ELNS1_11target_archE1030ELNS1_3gpuE2ELNS1_3repE0EEENS1_30default_config_static_selectorELNS0_4arch9wavefront6targetE1EEEvT1_.num_named_barrier, 0
	.set _ZN7rocprim17ROCPRIM_400000_NS6detail17trampoline_kernelINS0_14default_configENS1_35adjacent_difference_config_selectorILb1ExEEZNS1_24adjacent_difference_implIS3_Lb1ELb0EPKxPxN6thrust23THRUST_200600_302600_NS4plusIxEEEE10hipError_tPvRmT2_T3_mT4_P12ihipStream_tbEUlT_E_NS1_11comp_targetILNS1_3genE8ELNS1_11target_archE1030ELNS1_3gpuE2ELNS1_3repE0EEENS1_30default_config_static_selectorELNS0_4arch9wavefront6targetE1EEEvT1_.private_seg_size, 0
	.set _ZN7rocprim17ROCPRIM_400000_NS6detail17trampoline_kernelINS0_14default_configENS1_35adjacent_difference_config_selectorILb1ExEEZNS1_24adjacent_difference_implIS3_Lb1ELb0EPKxPxN6thrust23THRUST_200600_302600_NS4plusIxEEEE10hipError_tPvRmT2_T3_mT4_P12ihipStream_tbEUlT_E_NS1_11comp_targetILNS1_3genE8ELNS1_11target_archE1030ELNS1_3gpuE2ELNS1_3repE0EEENS1_30default_config_static_selectorELNS0_4arch9wavefront6targetE1EEEvT1_.uses_vcc, 0
	.set _ZN7rocprim17ROCPRIM_400000_NS6detail17trampoline_kernelINS0_14default_configENS1_35adjacent_difference_config_selectorILb1ExEEZNS1_24adjacent_difference_implIS3_Lb1ELb0EPKxPxN6thrust23THRUST_200600_302600_NS4plusIxEEEE10hipError_tPvRmT2_T3_mT4_P12ihipStream_tbEUlT_E_NS1_11comp_targetILNS1_3genE8ELNS1_11target_archE1030ELNS1_3gpuE2ELNS1_3repE0EEENS1_30default_config_static_selectorELNS0_4arch9wavefront6targetE1EEEvT1_.uses_flat_scratch, 0
	.set _ZN7rocprim17ROCPRIM_400000_NS6detail17trampoline_kernelINS0_14default_configENS1_35adjacent_difference_config_selectorILb1ExEEZNS1_24adjacent_difference_implIS3_Lb1ELb0EPKxPxN6thrust23THRUST_200600_302600_NS4plusIxEEEE10hipError_tPvRmT2_T3_mT4_P12ihipStream_tbEUlT_E_NS1_11comp_targetILNS1_3genE8ELNS1_11target_archE1030ELNS1_3gpuE2ELNS1_3repE0EEENS1_30default_config_static_selectorELNS0_4arch9wavefront6targetE1EEEvT1_.has_dyn_sized_stack, 0
	.set _ZN7rocprim17ROCPRIM_400000_NS6detail17trampoline_kernelINS0_14default_configENS1_35adjacent_difference_config_selectorILb1ExEEZNS1_24adjacent_difference_implIS3_Lb1ELb0EPKxPxN6thrust23THRUST_200600_302600_NS4plusIxEEEE10hipError_tPvRmT2_T3_mT4_P12ihipStream_tbEUlT_E_NS1_11comp_targetILNS1_3genE8ELNS1_11target_archE1030ELNS1_3gpuE2ELNS1_3repE0EEENS1_30default_config_static_selectorELNS0_4arch9wavefront6targetE1EEEvT1_.has_recursion, 0
	.set _ZN7rocprim17ROCPRIM_400000_NS6detail17trampoline_kernelINS0_14default_configENS1_35adjacent_difference_config_selectorILb1ExEEZNS1_24adjacent_difference_implIS3_Lb1ELb0EPKxPxN6thrust23THRUST_200600_302600_NS4plusIxEEEE10hipError_tPvRmT2_T3_mT4_P12ihipStream_tbEUlT_E_NS1_11comp_targetILNS1_3genE8ELNS1_11target_archE1030ELNS1_3gpuE2ELNS1_3repE0EEENS1_30default_config_static_selectorELNS0_4arch9wavefront6targetE1EEEvT1_.has_indirect_call, 0
	.section	.AMDGPU.csdata,"",@progbits
; Kernel info:
; codeLenInByte = 0
; TotalNumSgprs: 4
; NumVgprs: 0
; ScratchSize: 0
; MemoryBound: 0
; FloatMode: 240
; IeeeMode: 1
; LDSByteSize: 0 bytes/workgroup (compile time only)
; SGPRBlocks: 0
; VGPRBlocks: 0
; NumSGPRsForWavesPerEU: 4
; NumVGPRsForWavesPerEU: 1
; Occupancy: 10
; WaveLimiterHint : 0
; COMPUTE_PGM_RSRC2:SCRATCH_EN: 0
; COMPUTE_PGM_RSRC2:USER_SGPR: 6
; COMPUTE_PGM_RSRC2:TRAP_HANDLER: 0
; COMPUTE_PGM_RSRC2:TGID_X_EN: 1
; COMPUTE_PGM_RSRC2:TGID_Y_EN: 0
; COMPUTE_PGM_RSRC2:TGID_Z_EN: 0
; COMPUTE_PGM_RSRC2:TIDIG_COMP_CNT: 0
	.section	.text._ZN7rocprim17ROCPRIM_400000_NS6detail17trampoline_kernelINS0_14default_configENS1_35adjacent_difference_config_selectorILb0EiEEZNS1_24adjacent_difference_implIS3_Lb0ELb0EPKiPiN6thrust23THRUST_200600_302600_NS4plusIiEEEE10hipError_tPvRmT2_T3_mT4_P12ihipStream_tbEUlT_E_NS1_11comp_targetILNS1_3genE0ELNS1_11target_archE4294967295ELNS1_3gpuE0ELNS1_3repE0EEENS1_30default_config_static_selectorELNS0_4arch9wavefront6targetE1EEEvT1_,"axG",@progbits,_ZN7rocprim17ROCPRIM_400000_NS6detail17trampoline_kernelINS0_14default_configENS1_35adjacent_difference_config_selectorILb0EiEEZNS1_24adjacent_difference_implIS3_Lb0ELb0EPKiPiN6thrust23THRUST_200600_302600_NS4plusIiEEEE10hipError_tPvRmT2_T3_mT4_P12ihipStream_tbEUlT_E_NS1_11comp_targetILNS1_3genE0ELNS1_11target_archE4294967295ELNS1_3gpuE0ELNS1_3repE0EEENS1_30default_config_static_selectorELNS0_4arch9wavefront6targetE1EEEvT1_,comdat
	.protected	_ZN7rocprim17ROCPRIM_400000_NS6detail17trampoline_kernelINS0_14default_configENS1_35adjacent_difference_config_selectorILb0EiEEZNS1_24adjacent_difference_implIS3_Lb0ELb0EPKiPiN6thrust23THRUST_200600_302600_NS4plusIiEEEE10hipError_tPvRmT2_T3_mT4_P12ihipStream_tbEUlT_E_NS1_11comp_targetILNS1_3genE0ELNS1_11target_archE4294967295ELNS1_3gpuE0ELNS1_3repE0EEENS1_30default_config_static_selectorELNS0_4arch9wavefront6targetE1EEEvT1_ ; -- Begin function _ZN7rocprim17ROCPRIM_400000_NS6detail17trampoline_kernelINS0_14default_configENS1_35adjacent_difference_config_selectorILb0EiEEZNS1_24adjacent_difference_implIS3_Lb0ELb0EPKiPiN6thrust23THRUST_200600_302600_NS4plusIiEEEE10hipError_tPvRmT2_T3_mT4_P12ihipStream_tbEUlT_E_NS1_11comp_targetILNS1_3genE0ELNS1_11target_archE4294967295ELNS1_3gpuE0ELNS1_3repE0EEENS1_30default_config_static_selectorELNS0_4arch9wavefront6targetE1EEEvT1_
	.globl	_ZN7rocprim17ROCPRIM_400000_NS6detail17trampoline_kernelINS0_14default_configENS1_35adjacent_difference_config_selectorILb0EiEEZNS1_24adjacent_difference_implIS3_Lb0ELb0EPKiPiN6thrust23THRUST_200600_302600_NS4plusIiEEEE10hipError_tPvRmT2_T3_mT4_P12ihipStream_tbEUlT_E_NS1_11comp_targetILNS1_3genE0ELNS1_11target_archE4294967295ELNS1_3gpuE0ELNS1_3repE0EEENS1_30default_config_static_selectorELNS0_4arch9wavefront6targetE1EEEvT1_
	.p2align	8
	.type	_ZN7rocprim17ROCPRIM_400000_NS6detail17trampoline_kernelINS0_14default_configENS1_35adjacent_difference_config_selectorILb0EiEEZNS1_24adjacent_difference_implIS3_Lb0ELb0EPKiPiN6thrust23THRUST_200600_302600_NS4plusIiEEEE10hipError_tPvRmT2_T3_mT4_P12ihipStream_tbEUlT_E_NS1_11comp_targetILNS1_3genE0ELNS1_11target_archE4294967295ELNS1_3gpuE0ELNS1_3repE0EEENS1_30default_config_static_selectorELNS0_4arch9wavefront6targetE1EEEvT1_,@function
_ZN7rocprim17ROCPRIM_400000_NS6detail17trampoline_kernelINS0_14default_configENS1_35adjacent_difference_config_selectorILb0EiEEZNS1_24adjacent_difference_implIS3_Lb0ELb0EPKiPiN6thrust23THRUST_200600_302600_NS4plusIiEEEE10hipError_tPvRmT2_T3_mT4_P12ihipStream_tbEUlT_E_NS1_11comp_targetILNS1_3genE0ELNS1_11target_archE4294967295ELNS1_3gpuE0ELNS1_3repE0EEENS1_30default_config_static_selectorELNS0_4arch9wavefront6targetE1EEEvT1_: ; @_ZN7rocprim17ROCPRIM_400000_NS6detail17trampoline_kernelINS0_14default_configENS1_35adjacent_difference_config_selectorILb0EiEEZNS1_24adjacent_difference_implIS3_Lb0ELb0EPKiPiN6thrust23THRUST_200600_302600_NS4plusIiEEEE10hipError_tPvRmT2_T3_mT4_P12ihipStream_tbEUlT_E_NS1_11comp_targetILNS1_3genE0ELNS1_11target_archE4294967295ELNS1_3gpuE0ELNS1_3repE0EEENS1_30default_config_static_selectorELNS0_4arch9wavefront6targetE1EEEvT1_
; %bb.0:
	.section	.rodata,"a",@progbits
	.p2align	6, 0x0
	.amdhsa_kernel _ZN7rocprim17ROCPRIM_400000_NS6detail17trampoline_kernelINS0_14default_configENS1_35adjacent_difference_config_selectorILb0EiEEZNS1_24adjacent_difference_implIS3_Lb0ELb0EPKiPiN6thrust23THRUST_200600_302600_NS4plusIiEEEE10hipError_tPvRmT2_T3_mT4_P12ihipStream_tbEUlT_E_NS1_11comp_targetILNS1_3genE0ELNS1_11target_archE4294967295ELNS1_3gpuE0ELNS1_3repE0EEENS1_30default_config_static_selectorELNS0_4arch9wavefront6targetE1EEEvT1_
		.amdhsa_group_segment_fixed_size 0
		.amdhsa_private_segment_fixed_size 0
		.amdhsa_kernarg_size 56
		.amdhsa_user_sgpr_count 6
		.amdhsa_user_sgpr_private_segment_buffer 1
		.amdhsa_user_sgpr_dispatch_ptr 0
		.amdhsa_user_sgpr_queue_ptr 0
		.amdhsa_user_sgpr_kernarg_segment_ptr 1
		.amdhsa_user_sgpr_dispatch_id 0
		.amdhsa_user_sgpr_flat_scratch_init 0
		.amdhsa_user_sgpr_private_segment_size 0
		.amdhsa_uses_dynamic_stack 0
		.amdhsa_system_sgpr_private_segment_wavefront_offset 0
		.amdhsa_system_sgpr_workgroup_id_x 1
		.amdhsa_system_sgpr_workgroup_id_y 0
		.amdhsa_system_sgpr_workgroup_id_z 0
		.amdhsa_system_sgpr_workgroup_info 0
		.amdhsa_system_vgpr_workitem_id 0
		.amdhsa_next_free_vgpr 1
		.amdhsa_next_free_sgpr 0
		.amdhsa_reserve_vcc 0
		.amdhsa_reserve_flat_scratch 0
		.amdhsa_float_round_mode_32 0
		.amdhsa_float_round_mode_16_64 0
		.amdhsa_float_denorm_mode_32 3
		.amdhsa_float_denorm_mode_16_64 3
		.amdhsa_dx10_clamp 1
		.amdhsa_ieee_mode 1
		.amdhsa_fp16_overflow 0
		.amdhsa_exception_fp_ieee_invalid_op 0
		.amdhsa_exception_fp_denorm_src 0
		.amdhsa_exception_fp_ieee_div_zero 0
		.amdhsa_exception_fp_ieee_overflow 0
		.amdhsa_exception_fp_ieee_underflow 0
		.amdhsa_exception_fp_ieee_inexact 0
		.amdhsa_exception_int_div_zero 0
	.end_amdhsa_kernel
	.section	.text._ZN7rocprim17ROCPRIM_400000_NS6detail17trampoline_kernelINS0_14default_configENS1_35adjacent_difference_config_selectorILb0EiEEZNS1_24adjacent_difference_implIS3_Lb0ELb0EPKiPiN6thrust23THRUST_200600_302600_NS4plusIiEEEE10hipError_tPvRmT2_T3_mT4_P12ihipStream_tbEUlT_E_NS1_11comp_targetILNS1_3genE0ELNS1_11target_archE4294967295ELNS1_3gpuE0ELNS1_3repE0EEENS1_30default_config_static_selectorELNS0_4arch9wavefront6targetE1EEEvT1_,"axG",@progbits,_ZN7rocprim17ROCPRIM_400000_NS6detail17trampoline_kernelINS0_14default_configENS1_35adjacent_difference_config_selectorILb0EiEEZNS1_24adjacent_difference_implIS3_Lb0ELb0EPKiPiN6thrust23THRUST_200600_302600_NS4plusIiEEEE10hipError_tPvRmT2_T3_mT4_P12ihipStream_tbEUlT_E_NS1_11comp_targetILNS1_3genE0ELNS1_11target_archE4294967295ELNS1_3gpuE0ELNS1_3repE0EEENS1_30default_config_static_selectorELNS0_4arch9wavefront6targetE1EEEvT1_,comdat
.Lfunc_end723:
	.size	_ZN7rocprim17ROCPRIM_400000_NS6detail17trampoline_kernelINS0_14default_configENS1_35adjacent_difference_config_selectorILb0EiEEZNS1_24adjacent_difference_implIS3_Lb0ELb0EPKiPiN6thrust23THRUST_200600_302600_NS4plusIiEEEE10hipError_tPvRmT2_T3_mT4_P12ihipStream_tbEUlT_E_NS1_11comp_targetILNS1_3genE0ELNS1_11target_archE4294967295ELNS1_3gpuE0ELNS1_3repE0EEENS1_30default_config_static_selectorELNS0_4arch9wavefront6targetE1EEEvT1_, .Lfunc_end723-_ZN7rocprim17ROCPRIM_400000_NS6detail17trampoline_kernelINS0_14default_configENS1_35adjacent_difference_config_selectorILb0EiEEZNS1_24adjacent_difference_implIS3_Lb0ELb0EPKiPiN6thrust23THRUST_200600_302600_NS4plusIiEEEE10hipError_tPvRmT2_T3_mT4_P12ihipStream_tbEUlT_E_NS1_11comp_targetILNS1_3genE0ELNS1_11target_archE4294967295ELNS1_3gpuE0ELNS1_3repE0EEENS1_30default_config_static_selectorELNS0_4arch9wavefront6targetE1EEEvT1_
                                        ; -- End function
	.set _ZN7rocprim17ROCPRIM_400000_NS6detail17trampoline_kernelINS0_14default_configENS1_35adjacent_difference_config_selectorILb0EiEEZNS1_24adjacent_difference_implIS3_Lb0ELb0EPKiPiN6thrust23THRUST_200600_302600_NS4plusIiEEEE10hipError_tPvRmT2_T3_mT4_P12ihipStream_tbEUlT_E_NS1_11comp_targetILNS1_3genE0ELNS1_11target_archE4294967295ELNS1_3gpuE0ELNS1_3repE0EEENS1_30default_config_static_selectorELNS0_4arch9wavefront6targetE1EEEvT1_.num_vgpr, 0
	.set _ZN7rocprim17ROCPRIM_400000_NS6detail17trampoline_kernelINS0_14default_configENS1_35adjacent_difference_config_selectorILb0EiEEZNS1_24adjacent_difference_implIS3_Lb0ELb0EPKiPiN6thrust23THRUST_200600_302600_NS4plusIiEEEE10hipError_tPvRmT2_T3_mT4_P12ihipStream_tbEUlT_E_NS1_11comp_targetILNS1_3genE0ELNS1_11target_archE4294967295ELNS1_3gpuE0ELNS1_3repE0EEENS1_30default_config_static_selectorELNS0_4arch9wavefront6targetE1EEEvT1_.num_agpr, 0
	.set _ZN7rocprim17ROCPRIM_400000_NS6detail17trampoline_kernelINS0_14default_configENS1_35adjacent_difference_config_selectorILb0EiEEZNS1_24adjacent_difference_implIS3_Lb0ELb0EPKiPiN6thrust23THRUST_200600_302600_NS4plusIiEEEE10hipError_tPvRmT2_T3_mT4_P12ihipStream_tbEUlT_E_NS1_11comp_targetILNS1_3genE0ELNS1_11target_archE4294967295ELNS1_3gpuE0ELNS1_3repE0EEENS1_30default_config_static_selectorELNS0_4arch9wavefront6targetE1EEEvT1_.numbered_sgpr, 0
	.set _ZN7rocprim17ROCPRIM_400000_NS6detail17trampoline_kernelINS0_14default_configENS1_35adjacent_difference_config_selectorILb0EiEEZNS1_24adjacent_difference_implIS3_Lb0ELb0EPKiPiN6thrust23THRUST_200600_302600_NS4plusIiEEEE10hipError_tPvRmT2_T3_mT4_P12ihipStream_tbEUlT_E_NS1_11comp_targetILNS1_3genE0ELNS1_11target_archE4294967295ELNS1_3gpuE0ELNS1_3repE0EEENS1_30default_config_static_selectorELNS0_4arch9wavefront6targetE1EEEvT1_.num_named_barrier, 0
	.set _ZN7rocprim17ROCPRIM_400000_NS6detail17trampoline_kernelINS0_14default_configENS1_35adjacent_difference_config_selectorILb0EiEEZNS1_24adjacent_difference_implIS3_Lb0ELb0EPKiPiN6thrust23THRUST_200600_302600_NS4plusIiEEEE10hipError_tPvRmT2_T3_mT4_P12ihipStream_tbEUlT_E_NS1_11comp_targetILNS1_3genE0ELNS1_11target_archE4294967295ELNS1_3gpuE0ELNS1_3repE0EEENS1_30default_config_static_selectorELNS0_4arch9wavefront6targetE1EEEvT1_.private_seg_size, 0
	.set _ZN7rocprim17ROCPRIM_400000_NS6detail17trampoline_kernelINS0_14default_configENS1_35adjacent_difference_config_selectorILb0EiEEZNS1_24adjacent_difference_implIS3_Lb0ELb0EPKiPiN6thrust23THRUST_200600_302600_NS4plusIiEEEE10hipError_tPvRmT2_T3_mT4_P12ihipStream_tbEUlT_E_NS1_11comp_targetILNS1_3genE0ELNS1_11target_archE4294967295ELNS1_3gpuE0ELNS1_3repE0EEENS1_30default_config_static_selectorELNS0_4arch9wavefront6targetE1EEEvT1_.uses_vcc, 0
	.set _ZN7rocprim17ROCPRIM_400000_NS6detail17trampoline_kernelINS0_14default_configENS1_35adjacent_difference_config_selectorILb0EiEEZNS1_24adjacent_difference_implIS3_Lb0ELb0EPKiPiN6thrust23THRUST_200600_302600_NS4plusIiEEEE10hipError_tPvRmT2_T3_mT4_P12ihipStream_tbEUlT_E_NS1_11comp_targetILNS1_3genE0ELNS1_11target_archE4294967295ELNS1_3gpuE0ELNS1_3repE0EEENS1_30default_config_static_selectorELNS0_4arch9wavefront6targetE1EEEvT1_.uses_flat_scratch, 0
	.set _ZN7rocprim17ROCPRIM_400000_NS6detail17trampoline_kernelINS0_14default_configENS1_35adjacent_difference_config_selectorILb0EiEEZNS1_24adjacent_difference_implIS3_Lb0ELb0EPKiPiN6thrust23THRUST_200600_302600_NS4plusIiEEEE10hipError_tPvRmT2_T3_mT4_P12ihipStream_tbEUlT_E_NS1_11comp_targetILNS1_3genE0ELNS1_11target_archE4294967295ELNS1_3gpuE0ELNS1_3repE0EEENS1_30default_config_static_selectorELNS0_4arch9wavefront6targetE1EEEvT1_.has_dyn_sized_stack, 0
	.set _ZN7rocprim17ROCPRIM_400000_NS6detail17trampoline_kernelINS0_14default_configENS1_35adjacent_difference_config_selectorILb0EiEEZNS1_24adjacent_difference_implIS3_Lb0ELb0EPKiPiN6thrust23THRUST_200600_302600_NS4plusIiEEEE10hipError_tPvRmT2_T3_mT4_P12ihipStream_tbEUlT_E_NS1_11comp_targetILNS1_3genE0ELNS1_11target_archE4294967295ELNS1_3gpuE0ELNS1_3repE0EEENS1_30default_config_static_selectorELNS0_4arch9wavefront6targetE1EEEvT1_.has_recursion, 0
	.set _ZN7rocprim17ROCPRIM_400000_NS6detail17trampoline_kernelINS0_14default_configENS1_35adjacent_difference_config_selectorILb0EiEEZNS1_24adjacent_difference_implIS3_Lb0ELb0EPKiPiN6thrust23THRUST_200600_302600_NS4plusIiEEEE10hipError_tPvRmT2_T3_mT4_P12ihipStream_tbEUlT_E_NS1_11comp_targetILNS1_3genE0ELNS1_11target_archE4294967295ELNS1_3gpuE0ELNS1_3repE0EEENS1_30default_config_static_selectorELNS0_4arch9wavefront6targetE1EEEvT1_.has_indirect_call, 0
	.section	.AMDGPU.csdata,"",@progbits
; Kernel info:
; codeLenInByte = 0
; TotalNumSgprs: 4
; NumVgprs: 0
; ScratchSize: 0
; MemoryBound: 0
; FloatMode: 240
; IeeeMode: 1
; LDSByteSize: 0 bytes/workgroup (compile time only)
; SGPRBlocks: 0
; VGPRBlocks: 0
; NumSGPRsForWavesPerEU: 4
; NumVGPRsForWavesPerEU: 1
; Occupancy: 10
; WaveLimiterHint : 0
; COMPUTE_PGM_RSRC2:SCRATCH_EN: 0
; COMPUTE_PGM_RSRC2:USER_SGPR: 6
; COMPUTE_PGM_RSRC2:TRAP_HANDLER: 0
; COMPUTE_PGM_RSRC2:TGID_X_EN: 1
; COMPUTE_PGM_RSRC2:TGID_Y_EN: 0
; COMPUTE_PGM_RSRC2:TGID_Z_EN: 0
; COMPUTE_PGM_RSRC2:TIDIG_COMP_CNT: 0
	.section	.text._ZN7rocprim17ROCPRIM_400000_NS6detail17trampoline_kernelINS0_14default_configENS1_35adjacent_difference_config_selectorILb0EiEEZNS1_24adjacent_difference_implIS3_Lb0ELb0EPKiPiN6thrust23THRUST_200600_302600_NS4plusIiEEEE10hipError_tPvRmT2_T3_mT4_P12ihipStream_tbEUlT_E_NS1_11comp_targetILNS1_3genE10ELNS1_11target_archE1201ELNS1_3gpuE5ELNS1_3repE0EEENS1_30default_config_static_selectorELNS0_4arch9wavefront6targetE1EEEvT1_,"axG",@progbits,_ZN7rocprim17ROCPRIM_400000_NS6detail17trampoline_kernelINS0_14default_configENS1_35adjacent_difference_config_selectorILb0EiEEZNS1_24adjacent_difference_implIS3_Lb0ELb0EPKiPiN6thrust23THRUST_200600_302600_NS4plusIiEEEE10hipError_tPvRmT2_T3_mT4_P12ihipStream_tbEUlT_E_NS1_11comp_targetILNS1_3genE10ELNS1_11target_archE1201ELNS1_3gpuE5ELNS1_3repE0EEENS1_30default_config_static_selectorELNS0_4arch9wavefront6targetE1EEEvT1_,comdat
	.protected	_ZN7rocprim17ROCPRIM_400000_NS6detail17trampoline_kernelINS0_14default_configENS1_35adjacent_difference_config_selectorILb0EiEEZNS1_24adjacent_difference_implIS3_Lb0ELb0EPKiPiN6thrust23THRUST_200600_302600_NS4plusIiEEEE10hipError_tPvRmT2_T3_mT4_P12ihipStream_tbEUlT_E_NS1_11comp_targetILNS1_3genE10ELNS1_11target_archE1201ELNS1_3gpuE5ELNS1_3repE0EEENS1_30default_config_static_selectorELNS0_4arch9wavefront6targetE1EEEvT1_ ; -- Begin function _ZN7rocprim17ROCPRIM_400000_NS6detail17trampoline_kernelINS0_14default_configENS1_35adjacent_difference_config_selectorILb0EiEEZNS1_24adjacent_difference_implIS3_Lb0ELb0EPKiPiN6thrust23THRUST_200600_302600_NS4plusIiEEEE10hipError_tPvRmT2_T3_mT4_P12ihipStream_tbEUlT_E_NS1_11comp_targetILNS1_3genE10ELNS1_11target_archE1201ELNS1_3gpuE5ELNS1_3repE0EEENS1_30default_config_static_selectorELNS0_4arch9wavefront6targetE1EEEvT1_
	.globl	_ZN7rocprim17ROCPRIM_400000_NS6detail17trampoline_kernelINS0_14default_configENS1_35adjacent_difference_config_selectorILb0EiEEZNS1_24adjacent_difference_implIS3_Lb0ELb0EPKiPiN6thrust23THRUST_200600_302600_NS4plusIiEEEE10hipError_tPvRmT2_T3_mT4_P12ihipStream_tbEUlT_E_NS1_11comp_targetILNS1_3genE10ELNS1_11target_archE1201ELNS1_3gpuE5ELNS1_3repE0EEENS1_30default_config_static_selectorELNS0_4arch9wavefront6targetE1EEEvT1_
	.p2align	8
	.type	_ZN7rocprim17ROCPRIM_400000_NS6detail17trampoline_kernelINS0_14default_configENS1_35adjacent_difference_config_selectorILb0EiEEZNS1_24adjacent_difference_implIS3_Lb0ELb0EPKiPiN6thrust23THRUST_200600_302600_NS4plusIiEEEE10hipError_tPvRmT2_T3_mT4_P12ihipStream_tbEUlT_E_NS1_11comp_targetILNS1_3genE10ELNS1_11target_archE1201ELNS1_3gpuE5ELNS1_3repE0EEENS1_30default_config_static_selectorELNS0_4arch9wavefront6targetE1EEEvT1_,@function
_ZN7rocprim17ROCPRIM_400000_NS6detail17trampoline_kernelINS0_14default_configENS1_35adjacent_difference_config_selectorILb0EiEEZNS1_24adjacent_difference_implIS3_Lb0ELb0EPKiPiN6thrust23THRUST_200600_302600_NS4plusIiEEEE10hipError_tPvRmT2_T3_mT4_P12ihipStream_tbEUlT_E_NS1_11comp_targetILNS1_3genE10ELNS1_11target_archE1201ELNS1_3gpuE5ELNS1_3repE0EEENS1_30default_config_static_selectorELNS0_4arch9wavefront6targetE1EEEvT1_: ; @_ZN7rocprim17ROCPRIM_400000_NS6detail17trampoline_kernelINS0_14default_configENS1_35adjacent_difference_config_selectorILb0EiEEZNS1_24adjacent_difference_implIS3_Lb0ELb0EPKiPiN6thrust23THRUST_200600_302600_NS4plusIiEEEE10hipError_tPvRmT2_T3_mT4_P12ihipStream_tbEUlT_E_NS1_11comp_targetILNS1_3genE10ELNS1_11target_archE1201ELNS1_3gpuE5ELNS1_3repE0EEENS1_30default_config_static_selectorELNS0_4arch9wavefront6targetE1EEEvT1_
; %bb.0:
	.section	.rodata,"a",@progbits
	.p2align	6, 0x0
	.amdhsa_kernel _ZN7rocprim17ROCPRIM_400000_NS6detail17trampoline_kernelINS0_14default_configENS1_35adjacent_difference_config_selectorILb0EiEEZNS1_24adjacent_difference_implIS3_Lb0ELb0EPKiPiN6thrust23THRUST_200600_302600_NS4plusIiEEEE10hipError_tPvRmT2_T3_mT4_P12ihipStream_tbEUlT_E_NS1_11comp_targetILNS1_3genE10ELNS1_11target_archE1201ELNS1_3gpuE5ELNS1_3repE0EEENS1_30default_config_static_selectorELNS0_4arch9wavefront6targetE1EEEvT1_
		.amdhsa_group_segment_fixed_size 0
		.amdhsa_private_segment_fixed_size 0
		.amdhsa_kernarg_size 56
		.amdhsa_user_sgpr_count 6
		.amdhsa_user_sgpr_private_segment_buffer 1
		.amdhsa_user_sgpr_dispatch_ptr 0
		.amdhsa_user_sgpr_queue_ptr 0
		.amdhsa_user_sgpr_kernarg_segment_ptr 1
		.amdhsa_user_sgpr_dispatch_id 0
		.amdhsa_user_sgpr_flat_scratch_init 0
		.amdhsa_user_sgpr_private_segment_size 0
		.amdhsa_uses_dynamic_stack 0
		.amdhsa_system_sgpr_private_segment_wavefront_offset 0
		.amdhsa_system_sgpr_workgroup_id_x 1
		.amdhsa_system_sgpr_workgroup_id_y 0
		.amdhsa_system_sgpr_workgroup_id_z 0
		.amdhsa_system_sgpr_workgroup_info 0
		.amdhsa_system_vgpr_workitem_id 0
		.amdhsa_next_free_vgpr 1
		.amdhsa_next_free_sgpr 0
		.amdhsa_reserve_vcc 0
		.amdhsa_reserve_flat_scratch 0
		.amdhsa_float_round_mode_32 0
		.amdhsa_float_round_mode_16_64 0
		.amdhsa_float_denorm_mode_32 3
		.amdhsa_float_denorm_mode_16_64 3
		.amdhsa_dx10_clamp 1
		.amdhsa_ieee_mode 1
		.amdhsa_fp16_overflow 0
		.amdhsa_exception_fp_ieee_invalid_op 0
		.amdhsa_exception_fp_denorm_src 0
		.amdhsa_exception_fp_ieee_div_zero 0
		.amdhsa_exception_fp_ieee_overflow 0
		.amdhsa_exception_fp_ieee_underflow 0
		.amdhsa_exception_fp_ieee_inexact 0
		.amdhsa_exception_int_div_zero 0
	.end_amdhsa_kernel
	.section	.text._ZN7rocprim17ROCPRIM_400000_NS6detail17trampoline_kernelINS0_14default_configENS1_35adjacent_difference_config_selectorILb0EiEEZNS1_24adjacent_difference_implIS3_Lb0ELb0EPKiPiN6thrust23THRUST_200600_302600_NS4plusIiEEEE10hipError_tPvRmT2_T3_mT4_P12ihipStream_tbEUlT_E_NS1_11comp_targetILNS1_3genE10ELNS1_11target_archE1201ELNS1_3gpuE5ELNS1_3repE0EEENS1_30default_config_static_selectorELNS0_4arch9wavefront6targetE1EEEvT1_,"axG",@progbits,_ZN7rocprim17ROCPRIM_400000_NS6detail17trampoline_kernelINS0_14default_configENS1_35adjacent_difference_config_selectorILb0EiEEZNS1_24adjacent_difference_implIS3_Lb0ELb0EPKiPiN6thrust23THRUST_200600_302600_NS4plusIiEEEE10hipError_tPvRmT2_T3_mT4_P12ihipStream_tbEUlT_E_NS1_11comp_targetILNS1_3genE10ELNS1_11target_archE1201ELNS1_3gpuE5ELNS1_3repE0EEENS1_30default_config_static_selectorELNS0_4arch9wavefront6targetE1EEEvT1_,comdat
.Lfunc_end724:
	.size	_ZN7rocprim17ROCPRIM_400000_NS6detail17trampoline_kernelINS0_14default_configENS1_35adjacent_difference_config_selectorILb0EiEEZNS1_24adjacent_difference_implIS3_Lb0ELb0EPKiPiN6thrust23THRUST_200600_302600_NS4plusIiEEEE10hipError_tPvRmT2_T3_mT4_P12ihipStream_tbEUlT_E_NS1_11comp_targetILNS1_3genE10ELNS1_11target_archE1201ELNS1_3gpuE5ELNS1_3repE0EEENS1_30default_config_static_selectorELNS0_4arch9wavefront6targetE1EEEvT1_, .Lfunc_end724-_ZN7rocprim17ROCPRIM_400000_NS6detail17trampoline_kernelINS0_14default_configENS1_35adjacent_difference_config_selectorILb0EiEEZNS1_24adjacent_difference_implIS3_Lb0ELb0EPKiPiN6thrust23THRUST_200600_302600_NS4plusIiEEEE10hipError_tPvRmT2_T3_mT4_P12ihipStream_tbEUlT_E_NS1_11comp_targetILNS1_3genE10ELNS1_11target_archE1201ELNS1_3gpuE5ELNS1_3repE0EEENS1_30default_config_static_selectorELNS0_4arch9wavefront6targetE1EEEvT1_
                                        ; -- End function
	.set _ZN7rocprim17ROCPRIM_400000_NS6detail17trampoline_kernelINS0_14default_configENS1_35adjacent_difference_config_selectorILb0EiEEZNS1_24adjacent_difference_implIS3_Lb0ELb0EPKiPiN6thrust23THRUST_200600_302600_NS4plusIiEEEE10hipError_tPvRmT2_T3_mT4_P12ihipStream_tbEUlT_E_NS1_11comp_targetILNS1_3genE10ELNS1_11target_archE1201ELNS1_3gpuE5ELNS1_3repE0EEENS1_30default_config_static_selectorELNS0_4arch9wavefront6targetE1EEEvT1_.num_vgpr, 0
	.set _ZN7rocprim17ROCPRIM_400000_NS6detail17trampoline_kernelINS0_14default_configENS1_35adjacent_difference_config_selectorILb0EiEEZNS1_24adjacent_difference_implIS3_Lb0ELb0EPKiPiN6thrust23THRUST_200600_302600_NS4plusIiEEEE10hipError_tPvRmT2_T3_mT4_P12ihipStream_tbEUlT_E_NS1_11comp_targetILNS1_3genE10ELNS1_11target_archE1201ELNS1_3gpuE5ELNS1_3repE0EEENS1_30default_config_static_selectorELNS0_4arch9wavefront6targetE1EEEvT1_.num_agpr, 0
	.set _ZN7rocprim17ROCPRIM_400000_NS6detail17trampoline_kernelINS0_14default_configENS1_35adjacent_difference_config_selectorILb0EiEEZNS1_24adjacent_difference_implIS3_Lb0ELb0EPKiPiN6thrust23THRUST_200600_302600_NS4plusIiEEEE10hipError_tPvRmT2_T3_mT4_P12ihipStream_tbEUlT_E_NS1_11comp_targetILNS1_3genE10ELNS1_11target_archE1201ELNS1_3gpuE5ELNS1_3repE0EEENS1_30default_config_static_selectorELNS0_4arch9wavefront6targetE1EEEvT1_.numbered_sgpr, 0
	.set _ZN7rocprim17ROCPRIM_400000_NS6detail17trampoline_kernelINS0_14default_configENS1_35adjacent_difference_config_selectorILb0EiEEZNS1_24adjacent_difference_implIS3_Lb0ELb0EPKiPiN6thrust23THRUST_200600_302600_NS4plusIiEEEE10hipError_tPvRmT2_T3_mT4_P12ihipStream_tbEUlT_E_NS1_11comp_targetILNS1_3genE10ELNS1_11target_archE1201ELNS1_3gpuE5ELNS1_3repE0EEENS1_30default_config_static_selectorELNS0_4arch9wavefront6targetE1EEEvT1_.num_named_barrier, 0
	.set _ZN7rocprim17ROCPRIM_400000_NS6detail17trampoline_kernelINS0_14default_configENS1_35adjacent_difference_config_selectorILb0EiEEZNS1_24adjacent_difference_implIS3_Lb0ELb0EPKiPiN6thrust23THRUST_200600_302600_NS4plusIiEEEE10hipError_tPvRmT2_T3_mT4_P12ihipStream_tbEUlT_E_NS1_11comp_targetILNS1_3genE10ELNS1_11target_archE1201ELNS1_3gpuE5ELNS1_3repE0EEENS1_30default_config_static_selectorELNS0_4arch9wavefront6targetE1EEEvT1_.private_seg_size, 0
	.set _ZN7rocprim17ROCPRIM_400000_NS6detail17trampoline_kernelINS0_14default_configENS1_35adjacent_difference_config_selectorILb0EiEEZNS1_24adjacent_difference_implIS3_Lb0ELb0EPKiPiN6thrust23THRUST_200600_302600_NS4plusIiEEEE10hipError_tPvRmT2_T3_mT4_P12ihipStream_tbEUlT_E_NS1_11comp_targetILNS1_3genE10ELNS1_11target_archE1201ELNS1_3gpuE5ELNS1_3repE0EEENS1_30default_config_static_selectorELNS0_4arch9wavefront6targetE1EEEvT1_.uses_vcc, 0
	.set _ZN7rocprim17ROCPRIM_400000_NS6detail17trampoline_kernelINS0_14default_configENS1_35adjacent_difference_config_selectorILb0EiEEZNS1_24adjacent_difference_implIS3_Lb0ELb0EPKiPiN6thrust23THRUST_200600_302600_NS4plusIiEEEE10hipError_tPvRmT2_T3_mT4_P12ihipStream_tbEUlT_E_NS1_11comp_targetILNS1_3genE10ELNS1_11target_archE1201ELNS1_3gpuE5ELNS1_3repE0EEENS1_30default_config_static_selectorELNS0_4arch9wavefront6targetE1EEEvT1_.uses_flat_scratch, 0
	.set _ZN7rocprim17ROCPRIM_400000_NS6detail17trampoline_kernelINS0_14default_configENS1_35adjacent_difference_config_selectorILb0EiEEZNS1_24adjacent_difference_implIS3_Lb0ELb0EPKiPiN6thrust23THRUST_200600_302600_NS4plusIiEEEE10hipError_tPvRmT2_T3_mT4_P12ihipStream_tbEUlT_E_NS1_11comp_targetILNS1_3genE10ELNS1_11target_archE1201ELNS1_3gpuE5ELNS1_3repE0EEENS1_30default_config_static_selectorELNS0_4arch9wavefront6targetE1EEEvT1_.has_dyn_sized_stack, 0
	.set _ZN7rocprim17ROCPRIM_400000_NS6detail17trampoline_kernelINS0_14default_configENS1_35adjacent_difference_config_selectorILb0EiEEZNS1_24adjacent_difference_implIS3_Lb0ELb0EPKiPiN6thrust23THRUST_200600_302600_NS4plusIiEEEE10hipError_tPvRmT2_T3_mT4_P12ihipStream_tbEUlT_E_NS1_11comp_targetILNS1_3genE10ELNS1_11target_archE1201ELNS1_3gpuE5ELNS1_3repE0EEENS1_30default_config_static_selectorELNS0_4arch9wavefront6targetE1EEEvT1_.has_recursion, 0
	.set _ZN7rocprim17ROCPRIM_400000_NS6detail17trampoline_kernelINS0_14default_configENS1_35adjacent_difference_config_selectorILb0EiEEZNS1_24adjacent_difference_implIS3_Lb0ELb0EPKiPiN6thrust23THRUST_200600_302600_NS4plusIiEEEE10hipError_tPvRmT2_T3_mT4_P12ihipStream_tbEUlT_E_NS1_11comp_targetILNS1_3genE10ELNS1_11target_archE1201ELNS1_3gpuE5ELNS1_3repE0EEENS1_30default_config_static_selectorELNS0_4arch9wavefront6targetE1EEEvT1_.has_indirect_call, 0
	.section	.AMDGPU.csdata,"",@progbits
; Kernel info:
; codeLenInByte = 0
; TotalNumSgprs: 4
; NumVgprs: 0
; ScratchSize: 0
; MemoryBound: 0
; FloatMode: 240
; IeeeMode: 1
; LDSByteSize: 0 bytes/workgroup (compile time only)
; SGPRBlocks: 0
; VGPRBlocks: 0
; NumSGPRsForWavesPerEU: 4
; NumVGPRsForWavesPerEU: 1
; Occupancy: 10
; WaveLimiterHint : 0
; COMPUTE_PGM_RSRC2:SCRATCH_EN: 0
; COMPUTE_PGM_RSRC2:USER_SGPR: 6
; COMPUTE_PGM_RSRC2:TRAP_HANDLER: 0
; COMPUTE_PGM_RSRC2:TGID_X_EN: 1
; COMPUTE_PGM_RSRC2:TGID_Y_EN: 0
; COMPUTE_PGM_RSRC2:TGID_Z_EN: 0
; COMPUTE_PGM_RSRC2:TIDIG_COMP_CNT: 0
	.section	.text._ZN7rocprim17ROCPRIM_400000_NS6detail17trampoline_kernelINS0_14default_configENS1_35adjacent_difference_config_selectorILb0EiEEZNS1_24adjacent_difference_implIS3_Lb0ELb0EPKiPiN6thrust23THRUST_200600_302600_NS4plusIiEEEE10hipError_tPvRmT2_T3_mT4_P12ihipStream_tbEUlT_E_NS1_11comp_targetILNS1_3genE5ELNS1_11target_archE942ELNS1_3gpuE9ELNS1_3repE0EEENS1_30default_config_static_selectorELNS0_4arch9wavefront6targetE1EEEvT1_,"axG",@progbits,_ZN7rocprim17ROCPRIM_400000_NS6detail17trampoline_kernelINS0_14default_configENS1_35adjacent_difference_config_selectorILb0EiEEZNS1_24adjacent_difference_implIS3_Lb0ELb0EPKiPiN6thrust23THRUST_200600_302600_NS4plusIiEEEE10hipError_tPvRmT2_T3_mT4_P12ihipStream_tbEUlT_E_NS1_11comp_targetILNS1_3genE5ELNS1_11target_archE942ELNS1_3gpuE9ELNS1_3repE0EEENS1_30default_config_static_selectorELNS0_4arch9wavefront6targetE1EEEvT1_,comdat
	.protected	_ZN7rocprim17ROCPRIM_400000_NS6detail17trampoline_kernelINS0_14default_configENS1_35adjacent_difference_config_selectorILb0EiEEZNS1_24adjacent_difference_implIS3_Lb0ELb0EPKiPiN6thrust23THRUST_200600_302600_NS4plusIiEEEE10hipError_tPvRmT2_T3_mT4_P12ihipStream_tbEUlT_E_NS1_11comp_targetILNS1_3genE5ELNS1_11target_archE942ELNS1_3gpuE9ELNS1_3repE0EEENS1_30default_config_static_selectorELNS0_4arch9wavefront6targetE1EEEvT1_ ; -- Begin function _ZN7rocprim17ROCPRIM_400000_NS6detail17trampoline_kernelINS0_14default_configENS1_35adjacent_difference_config_selectorILb0EiEEZNS1_24adjacent_difference_implIS3_Lb0ELb0EPKiPiN6thrust23THRUST_200600_302600_NS4plusIiEEEE10hipError_tPvRmT2_T3_mT4_P12ihipStream_tbEUlT_E_NS1_11comp_targetILNS1_3genE5ELNS1_11target_archE942ELNS1_3gpuE9ELNS1_3repE0EEENS1_30default_config_static_selectorELNS0_4arch9wavefront6targetE1EEEvT1_
	.globl	_ZN7rocprim17ROCPRIM_400000_NS6detail17trampoline_kernelINS0_14default_configENS1_35adjacent_difference_config_selectorILb0EiEEZNS1_24adjacent_difference_implIS3_Lb0ELb0EPKiPiN6thrust23THRUST_200600_302600_NS4plusIiEEEE10hipError_tPvRmT2_T3_mT4_P12ihipStream_tbEUlT_E_NS1_11comp_targetILNS1_3genE5ELNS1_11target_archE942ELNS1_3gpuE9ELNS1_3repE0EEENS1_30default_config_static_selectorELNS0_4arch9wavefront6targetE1EEEvT1_
	.p2align	8
	.type	_ZN7rocprim17ROCPRIM_400000_NS6detail17trampoline_kernelINS0_14default_configENS1_35adjacent_difference_config_selectorILb0EiEEZNS1_24adjacent_difference_implIS3_Lb0ELb0EPKiPiN6thrust23THRUST_200600_302600_NS4plusIiEEEE10hipError_tPvRmT2_T3_mT4_P12ihipStream_tbEUlT_E_NS1_11comp_targetILNS1_3genE5ELNS1_11target_archE942ELNS1_3gpuE9ELNS1_3repE0EEENS1_30default_config_static_selectorELNS0_4arch9wavefront6targetE1EEEvT1_,@function
_ZN7rocprim17ROCPRIM_400000_NS6detail17trampoline_kernelINS0_14default_configENS1_35adjacent_difference_config_selectorILb0EiEEZNS1_24adjacent_difference_implIS3_Lb0ELb0EPKiPiN6thrust23THRUST_200600_302600_NS4plusIiEEEE10hipError_tPvRmT2_T3_mT4_P12ihipStream_tbEUlT_E_NS1_11comp_targetILNS1_3genE5ELNS1_11target_archE942ELNS1_3gpuE9ELNS1_3repE0EEENS1_30default_config_static_selectorELNS0_4arch9wavefront6targetE1EEEvT1_: ; @_ZN7rocprim17ROCPRIM_400000_NS6detail17trampoline_kernelINS0_14default_configENS1_35adjacent_difference_config_selectorILb0EiEEZNS1_24adjacent_difference_implIS3_Lb0ELb0EPKiPiN6thrust23THRUST_200600_302600_NS4plusIiEEEE10hipError_tPvRmT2_T3_mT4_P12ihipStream_tbEUlT_E_NS1_11comp_targetILNS1_3genE5ELNS1_11target_archE942ELNS1_3gpuE9ELNS1_3repE0EEENS1_30default_config_static_selectorELNS0_4arch9wavefront6targetE1EEEvT1_
; %bb.0:
	.section	.rodata,"a",@progbits
	.p2align	6, 0x0
	.amdhsa_kernel _ZN7rocprim17ROCPRIM_400000_NS6detail17trampoline_kernelINS0_14default_configENS1_35adjacent_difference_config_selectorILb0EiEEZNS1_24adjacent_difference_implIS3_Lb0ELb0EPKiPiN6thrust23THRUST_200600_302600_NS4plusIiEEEE10hipError_tPvRmT2_T3_mT4_P12ihipStream_tbEUlT_E_NS1_11comp_targetILNS1_3genE5ELNS1_11target_archE942ELNS1_3gpuE9ELNS1_3repE0EEENS1_30default_config_static_selectorELNS0_4arch9wavefront6targetE1EEEvT1_
		.amdhsa_group_segment_fixed_size 0
		.amdhsa_private_segment_fixed_size 0
		.amdhsa_kernarg_size 56
		.amdhsa_user_sgpr_count 6
		.amdhsa_user_sgpr_private_segment_buffer 1
		.amdhsa_user_sgpr_dispatch_ptr 0
		.amdhsa_user_sgpr_queue_ptr 0
		.amdhsa_user_sgpr_kernarg_segment_ptr 1
		.amdhsa_user_sgpr_dispatch_id 0
		.amdhsa_user_sgpr_flat_scratch_init 0
		.amdhsa_user_sgpr_private_segment_size 0
		.amdhsa_uses_dynamic_stack 0
		.amdhsa_system_sgpr_private_segment_wavefront_offset 0
		.amdhsa_system_sgpr_workgroup_id_x 1
		.amdhsa_system_sgpr_workgroup_id_y 0
		.amdhsa_system_sgpr_workgroup_id_z 0
		.amdhsa_system_sgpr_workgroup_info 0
		.amdhsa_system_vgpr_workitem_id 0
		.amdhsa_next_free_vgpr 1
		.amdhsa_next_free_sgpr 0
		.amdhsa_reserve_vcc 0
		.amdhsa_reserve_flat_scratch 0
		.amdhsa_float_round_mode_32 0
		.amdhsa_float_round_mode_16_64 0
		.amdhsa_float_denorm_mode_32 3
		.amdhsa_float_denorm_mode_16_64 3
		.amdhsa_dx10_clamp 1
		.amdhsa_ieee_mode 1
		.amdhsa_fp16_overflow 0
		.amdhsa_exception_fp_ieee_invalid_op 0
		.amdhsa_exception_fp_denorm_src 0
		.amdhsa_exception_fp_ieee_div_zero 0
		.amdhsa_exception_fp_ieee_overflow 0
		.amdhsa_exception_fp_ieee_underflow 0
		.amdhsa_exception_fp_ieee_inexact 0
		.amdhsa_exception_int_div_zero 0
	.end_amdhsa_kernel
	.section	.text._ZN7rocprim17ROCPRIM_400000_NS6detail17trampoline_kernelINS0_14default_configENS1_35adjacent_difference_config_selectorILb0EiEEZNS1_24adjacent_difference_implIS3_Lb0ELb0EPKiPiN6thrust23THRUST_200600_302600_NS4plusIiEEEE10hipError_tPvRmT2_T3_mT4_P12ihipStream_tbEUlT_E_NS1_11comp_targetILNS1_3genE5ELNS1_11target_archE942ELNS1_3gpuE9ELNS1_3repE0EEENS1_30default_config_static_selectorELNS0_4arch9wavefront6targetE1EEEvT1_,"axG",@progbits,_ZN7rocprim17ROCPRIM_400000_NS6detail17trampoline_kernelINS0_14default_configENS1_35adjacent_difference_config_selectorILb0EiEEZNS1_24adjacent_difference_implIS3_Lb0ELb0EPKiPiN6thrust23THRUST_200600_302600_NS4plusIiEEEE10hipError_tPvRmT2_T3_mT4_P12ihipStream_tbEUlT_E_NS1_11comp_targetILNS1_3genE5ELNS1_11target_archE942ELNS1_3gpuE9ELNS1_3repE0EEENS1_30default_config_static_selectorELNS0_4arch9wavefront6targetE1EEEvT1_,comdat
.Lfunc_end725:
	.size	_ZN7rocprim17ROCPRIM_400000_NS6detail17trampoline_kernelINS0_14default_configENS1_35adjacent_difference_config_selectorILb0EiEEZNS1_24adjacent_difference_implIS3_Lb0ELb0EPKiPiN6thrust23THRUST_200600_302600_NS4plusIiEEEE10hipError_tPvRmT2_T3_mT4_P12ihipStream_tbEUlT_E_NS1_11comp_targetILNS1_3genE5ELNS1_11target_archE942ELNS1_3gpuE9ELNS1_3repE0EEENS1_30default_config_static_selectorELNS0_4arch9wavefront6targetE1EEEvT1_, .Lfunc_end725-_ZN7rocprim17ROCPRIM_400000_NS6detail17trampoline_kernelINS0_14default_configENS1_35adjacent_difference_config_selectorILb0EiEEZNS1_24adjacent_difference_implIS3_Lb0ELb0EPKiPiN6thrust23THRUST_200600_302600_NS4plusIiEEEE10hipError_tPvRmT2_T3_mT4_P12ihipStream_tbEUlT_E_NS1_11comp_targetILNS1_3genE5ELNS1_11target_archE942ELNS1_3gpuE9ELNS1_3repE0EEENS1_30default_config_static_selectorELNS0_4arch9wavefront6targetE1EEEvT1_
                                        ; -- End function
	.set _ZN7rocprim17ROCPRIM_400000_NS6detail17trampoline_kernelINS0_14default_configENS1_35adjacent_difference_config_selectorILb0EiEEZNS1_24adjacent_difference_implIS3_Lb0ELb0EPKiPiN6thrust23THRUST_200600_302600_NS4plusIiEEEE10hipError_tPvRmT2_T3_mT4_P12ihipStream_tbEUlT_E_NS1_11comp_targetILNS1_3genE5ELNS1_11target_archE942ELNS1_3gpuE9ELNS1_3repE0EEENS1_30default_config_static_selectorELNS0_4arch9wavefront6targetE1EEEvT1_.num_vgpr, 0
	.set _ZN7rocprim17ROCPRIM_400000_NS6detail17trampoline_kernelINS0_14default_configENS1_35adjacent_difference_config_selectorILb0EiEEZNS1_24adjacent_difference_implIS3_Lb0ELb0EPKiPiN6thrust23THRUST_200600_302600_NS4plusIiEEEE10hipError_tPvRmT2_T3_mT4_P12ihipStream_tbEUlT_E_NS1_11comp_targetILNS1_3genE5ELNS1_11target_archE942ELNS1_3gpuE9ELNS1_3repE0EEENS1_30default_config_static_selectorELNS0_4arch9wavefront6targetE1EEEvT1_.num_agpr, 0
	.set _ZN7rocprim17ROCPRIM_400000_NS6detail17trampoline_kernelINS0_14default_configENS1_35adjacent_difference_config_selectorILb0EiEEZNS1_24adjacent_difference_implIS3_Lb0ELb0EPKiPiN6thrust23THRUST_200600_302600_NS4plusIiEEEE10hipError_tPvRmT2_T3_mT4_P12ihipStream_tbEUlT_E_NS1_11comp_targetILNS1_3genE5ELNS1_11target_archE942ELNS1_3gpuE9ELNS1_3repE0EEENS1_30default_config_static_selectorELNS0_4arch9wavefront6targetE1EEEvT1_.numbered_sgpr, 0
	.set _ZN7rocprim17ROCPRIM_400000_NS6detail17trampoline_kernelINS0_14default_configENS1_35adjacent_difference_config_selectorILb0EiEEZNS1_24adjacent_difference_implIS3_Lb0ELb0EPKiPiN6thrust23THRUST_200600_302600_NS4plusIiEEEE10hipError_tPvRmT2_T3_mT4_P12ihipStream_tbEUlT_E_NS1_11comp_targetILNS1_3genE5ELNS1_11target_archE942ELNS1_3gpuE9ELNS1_3repE0EEENS1_30default_config_static_selectorELNS0_4arch9wavefront6targetE1EEEvT1_.num_named_barrier, 0
	.set _ZN7rocprim17ROCPRIM_400000_NS6detail17trampoline_kernelINS0_14default_configENS1_35adjacent_difference_config_selectorILb0EiEEZNS1_24adjacent_difference_implIS3_Lb0ELb0EPKiPiN6thrust23THRUST_200600_302600_NS4plusIiEEEE10hipError_tPvRmT2_T3_mT4_P12ihipStream_tbEUlT_E_NS1_11comp_targetILNS1_3genE5ELNS1_11target_archE942ELNS1_3gpuE9ELNS1_3repE0EEENS1_30default_config_static_selectorELNS0_4arch9wavefront6targetE1EEEvT1_.private_seg_size, 0
	.set _ZN7rocprim17ROCPRIM_400000_NS6detail17trampoline_kernelINS0_14default_configENS1_35adjacent_difference_config_selectorILb0EiEEZNS1_24adjacent_difference_implIS3_Lb0ELb0EPKiPiN6thrust23THRUST_200600_302600_NS4plusIiEEEE10hipError_tPvRmT2_T3_mT4_P12ihipStream_tbEUlT_E_NS1_11comp_targetILNS1_3genE5ELNS1_11target_archE942ELNS1_3gpuE9ELNS1_3repE0EEENS1_30default_config_static_selectorELNS0_4arch9wavefront6targetE1EEEvT1_.uses_vcc, 0
	.set _ZN7rocprim17ROCPRIM_400000_NS6detail17trampoline_kernelINS0_14default_configENS1_35adjacent_difference_config_selectorILb0EiEEZNS1_24adjacent_difference_implIS3_Lb0ELb0EPKiPiN6thrust23THRUST_200600_302600_NS4plusIiEEEE10hipError_tPvRmT2_T3_mT4_P12ihipStream_tbEUlT_E_NS1_11comp_targetILNS1_3genE5ELNS1_11target_archE942ELNS1_3gpuE9ELNS1_3repE0EEENS1_30default_config_static_selectorELNS0_4arch9wavefront6targetE1EEEvT1_.uses_flat_scratch, 0
	.set _ZN7rocprim17ROCPRIM_400000_NS6detail17trampoline_kernelINS0_14default_configENS1_35adjacent_difference_config_selectorILb0EiEEZNS1_24adjacent_difference_implIS3_Lb0ELb0EPKiPiN6thrust23THRUST_200600_302600_NS4plusIiEEEE10hipError_tPvRmT2_T3_mT4_P12ihipStream_tbEUlT_E_NS1_11comp_targetILNS1_3genE5ELNS1_11target_archE942ELNS1_3gpuE9ELNS1_3repE0EEENS1_30default_config_static_selectorELNS0_4arch9wavefront6targetE1EEEvT1_.has_dyn_sized_stack, 0
	.set _ZN7rocprim17ROCPRIM_400000_NS6detail17trampoline_kernelINS0_14default_configENS1_35adjacent_difference_config_selectorILb0EiEEZNS1_24adjacent_difference_implIS3_Lb0ELb0EPKiPiN6thrust23THRUST_200600_302600_NS4plusIiEEEE10hipError_tPvRmT2_T3_mT4_P12ihipStream_tbEUlT_E_NS1_11comp_targetILNS1_3genE5ELNS1_11target_archE942ELNS1_3gpuE9ELNS1_3repE0EEENS1_30default_config_static_selectorELNS0_4arch9wavefront6targetE1EEEvT1_.has_recursion, 0
	.set _ZN7rocprim17ROCPRIM_400000_NS6detail17trampoline_kernelINS0_14default_configENS1_35adjacent_difference_config_selectorILb0EiEEZNS1_24adjacent_difference_implIS3_Lb0ELb0EPKiPiN6thrust23THRUST_200600_302600_NS4plusIiEEEE10hipError_tPvRmT2_T3_mT4_P12ihipStream_tbEUlT_E_NS1_11comp_targetILNS1_3genE5ELNS1_11target_archE942ELNS1_3gpuE9ELNS1_3repE0EEENS1_30default_config_static_selectorELNS0_4arch9wavefront6targetE1EEEvT1_.has_indirect_call, 0
	.section	.AMDGPU.csdata,"",@progbits
; Kernel info:
; codeLenInByte = 0
; TotalNumSgprs: 4
; NumVgprs: 0
; ScratchSize: 0
; MemoryBound: 0
; FloatMode: 240
; IeeeMode: 1
; LDSByteSize: 0 bytes/workgroup (compile time only)
; SGPRBlocks: 0
; VGPRBlocks: 0
; NumSGPRsForWavesPerEU: 4
; NumVGPRsForWavesPerEU: 1
; Occupancy: 10
; WaveLimiterHint : 0
; COMPUTE_PGM_RSRC2:SCRATCH_EN: 0
; COMPUTE_PGM_RSRC2:USER_SGPR: 6
; COMPUTE_PGM_RSRC2:TRAP_HANDLER: 0
; COMPUTE_PGM_RSRC2:TGID_X_EN: 1
; COMPUTE_PGM_RSRC2:TGID_Y_EN: 0
; COMPUTE_PGM_RSRC2:TGID_Z_EN: 0
; COMPUTE_PGM_RSRC2:TIDIG_COMP_CNT: 0
	.section	.text._ZN7rocprim17ROCPRIM_400000_NS6detail17trampoline_kernelINS0_14default_configENS1_35adjacent_difference_config_selectorILb0EiEEZNS1_24adjacent_difference_implIS3_Lb0ELb0EPKiPiN6thrust23THRUST_200600_302600_NS4plusIiEEEE10hipError_tPvRmT2_T3_mT4_P12ihipStream_tbEUlT_E_NS1_11comp_targetILNS1_3genE4ELNS1_11target_archE910ELNS1_3gpuE8ELNS1_3repE0EEENS1_30default_config_static_selectorELNS0_4arch9wavefront6targetE1EEEvT1_,"axG",@progbits,_ZN7rocprim17ROCPRIM_400000_NS6detail17trampoline_kernelINS0_14default_configENS1_35adjacent_difference_config_selectorILb0EiEEZNS1_24adjacent_difference_implIS3_Lb0ELb0EPKiPiN6thrust23THRUST_200600_302600_NS4plusIiEEEE10hipError_tPvRmT2_T3_mT4_P12ihipStream_tbEUlT_E_NS1_11comp_targetILNS1_3genE4ELNS1_11target_archE910ELNS1_3gpuE8ELNS1_3repE0EEENS1_30default_config_static_selectorELNS0_4arch9wavefront6targetE1EEEvT1_,comdat
	.protected	_ZN7rocprim17ROCPRIM_400000_NS6detail17trampoline_kernelINS0_14default_configENS1_35adjacent_difference_config_selectorILb0EiEEZNS1_24adjacent_difference_implIS3_Lb0ELb0EPKiPiN6thrust23THRUST_200600_302600_NS4plusIiEEEE10hipError_tPvRmT2_T3_mT4_P12ihipStream_tbEUlT_E_NS1_11comp_targetILNS1_3genE4ELNS1_11target_archE910ELNS1_3gpuE8ELNS1_3repE0EEENS1_30default_config_static_selectorELNS0_4arch9wavefront6targetE1EEEvT1_ ; -- Begin function _ZN7rocprim17ROCPRIM_400000_NS6detail17trampoline_kernelINS0_14default_configENS1_35adjacent_difference_config_selectorILb0EiEEZNS1_24adjacent_difference_implIS3_Lb0ELb0EPKiPiN6thrust23THRUST_200600_302600_NS4plusIiEEEE10hipError_tPvRmT2_T3_mT4_P12ihipStream_tbEUlT_E_NS1_11comp_targetILNS1_3genE4ELNS1_11target_archE910ELNS1_3gpuE8ELNS1_3repE0EEENS1_30default_config_static_selectorELNS0_4arch9wavefront6targetE1EEEvT1_
	.globl	_ZN7rocprim17ROCPRIM_400000_NS6detail17trampoline_kernelINS0_14default_configENS1_35adjacent_difference_config_selectorILb0EiEEZNS1_24adjacent_difference_implIS3_Lb0ELb0EPKiPiN6thrust23THRUST_200600_302600_NS4plusIiEEEE10hipError_tPvRmT2_T3_mT4_P12ihipStream_tbEUlT_E_NS1_11comp_targetILNS1_3genE4ELNS1_11target_archE910ELNS1_3gpuE8ELNS1_3repE0EEENS1_30default_config_static_selectorELNS0_4arch9wavefront6targetE1EEEvT1_
	.p2align	8
	.type	_ZN7rocprim17ROCPRIM_400000_NS6detail17trampoline_kernelINS0_14default_configENS1_35adjacent_difference_config_selectorILb0EiEEZNS1_24adjacent_difference_implIS3_Lb0ELb0EPKiPiN6thrust23THRUST_200600_302600_NS4plusIiEEEE10hipError_tPvRmT2_T3_mT4_P12ihipStream_tbEUlT_E_NS1_11comp_targetILNS1_3genE4ELNS1_11target_archE910ELNS1_3gpuE8ELNS1_3repE0EEENS1_30default_config_static_selectorELNS0_4arch9wavefront6targetE1EEEvT1_,@function
_ZN7rocprim17ROCPRIM_400000_NS6detail17trampoline_kernelINS0_14default_configENS1_35adjacent_difference_config_selectorILb0EiEEZNS1_24adjacent_difference_implIS3_Lb0ELb0EPKiPiN6thrust23THRUST_200600_302600_NS4plusIiEEEE10hipError_tPvRmT2_T3_mT4_P12ihipStream_tbEUlT_E_NS1_11comp_targetILNS1_3genE4ELNS1_11target_archE910ELNS1_3gpuE8ELNS1_3repE0EEENS1_30default_config_static_selectorELNS0_4arch9wavefront6targetE1EEEvT1_: ; @_ZN7rocprim17ROCPRIM_400000_NS6detail17trampoline_kernelINS0_14default_configENS1_35adjacent_difference_config_selectorILb0EiEEZNS1_24adjacent_difference_implIS3_Lb0ELb0EPKiPiN6thrust23THRUST_200600_302600_NS4plusIiEEEE10hipError_tPvRmT2_T3_mT4_P12ihipStream_tbEUlT_E_NS1_11comp_targetILNS1_3genE4ELNS1_11target_archE910ELNS1_3gpuE8ELNS1_3repE0EEENS1_30default_config_static_selectorELNS0_4arch9wavefront6targetE1EEEvT1_
; %bb.0:
	.section	.rodata,"a",@progbits
	.p2align	6, 0x0
	.amdhsa_kernel _ZN7rocprim17ROCPRIM_400000_NS6detail17trampoline_kernelINS0_14default_configENS1_35adjacent_difference_config_selectorILb0EiEEZNS1_24adjacent_difference_implIS3_Lb0ELb0EPKiPiN6thrust23THRUST_200600_302600_NS4plusIiEEEE10hipError_tPvRmT2_T3_mT4_P12ihipStream_tbEUlT_E_NS1_11comp_targetILNS1_3genE4ELNS1_11target_archE910ELNS1_3gpuE8ELNS1_3repE0EEENS1_30default_config_static_selectorELNS0_4arch9wavefront6targetE1EEEvT1_
		.amdhsa_group_segment_fixed_size 0
		.amdhsa_private_segment_fixed_size 0
		.amdhsa_kernarg_size 56
		.amdhsa_user_sgpr_count 6
		.amdhsa_user_sgpr_private_segment_buffer 1
		.amdhsa_user_sgpr_dispatch_ptr 0
		.amdhsa_user_sgpr_queue_ptr 0
		.amdhsa_user_sgpr_kernarg_segment_ptr 1
		.amdhsa_user_sgpr_dispatch_id 0
		.amdhsa_user_sgpr_flat_scratch_init 0
		.amdhsa_user_sgpr_private_segment_size 0
		.amdhsa_uses_dynamic_stack 0
		.amdhsa_system_sgpr_private_segment_wavefront_offset 0
		.amdhsa_system_sgpr_workgroup_id_x 1
		.amdhsa_system_sgpr_workgroup_id_y 0
		.amdhsa_system_sgpr_workgroup_id_z 0
		.amdhsa_system_sgpr_workgroup_info 0
		.amdhsa_system_vgpr_workitem_id 0
		.amdhsa_next_free_vgpr 1
		.amdhsa_next_free_sgpr 0
		.amdhsa_reserve_vcc 0
		.amdhsa_reserve_flat_scratch 0
		.amdhsa_float_round_mode_32 0
		.amdhsa_float_round_mode_16_64 0
		.amdhsa_float_denorm_mode_32 3
		.amdhsa_float_denorm_mode_16_64 3
		.amdhsa_dx10_clamp 1
		.amdhsa_ieee_mode 1
		.amdhsa_fp16_overflow 0
		.amdhsa_exception_fp_ieee_invalid_op 0
		.amdhsa_exception_fp_denorm_src 0
		.amdhsa_exception_fp_ieee_div_zero 0
		.amdhsa_exception_fp_ieee_overflow 0
		.amdhsa_exception_fp_ieee_underflow 0
		.amdhsa_exception_fp_ieee_inexact 0
		.amdhsa_exception_int_div_zero 0
	.end_amdhsa_kernel
	.section	.text._ZN7rocprim17ROCPRIM_400000_NS6detail17trampoline_kernelINS0_14default_configENS1_35adjacent_difference_config_selectorILb0EiEEZNS1_24adjacent_difference_implIS3_Lb0ELb0EPKiPiN6thrust23THRUST_200600_302600_NS4plusIiEEEE10hipError_tPvRmT2_T3_mT4_P12ihipStream_tbEUlT_E_NS1_11comp_targetILNS1_3genE4ELNS1_11target_archE910ELNS1_3gpuE8ELNS1_3repE0EEENS1_30default_config_static_selectorELNS0_4arch9wavefront6targetE1EEEvT1_,"axG",@progbits,_ZN7rocprim17ROCPRIM_400000_NS6detail17trampoline_kernelINS0_14default_configENS1_35adjacent_difference_config_selectorILb0EiEEZNS1_24adjacent_difference_implIS3_Lb0ELb0EPKiPiN6thrust23THRUST_200600_302600_NS4plusIiEEEE10hipError_tPvRmT2_T3_mT4_P12ihipStream_tbEUlT_E_NS1_11comp_targetILNS1_3genE4ELNS1_11target_archE910ELNS1_3gpuE8ELNS1_3repE0EEENS1_30default_config_static_selectorELNS0_4arch9wavefront6targetE1EEEvT1_,comdat
.Lfunc_end726:
	.size	_ZN7rocprim17ROCPRIM_400000_NS6detail17trampoline_kernelINS0_14default_configENS1_35adjacent_difference_config_selectorILb0EiEEZNS1_24adjacent_difference_implIS3_Lb0ELb0EPKiPiN6thrust23THRUST_200600_302600_NS4plusIiEEEE10hipError_tPvRmT2_T3_mT4_P12ihipStream_tbEUlT_E_NS1_11comp_targetILNS1_3genE4ELNS1_11target_archE910ELNS1_3gpuE8ELNS1_3repE0EEENS1_30default_config_static_selectorELNS0_4arch9wavefront6targetE1EEEvT1_, .Lfunc_end726-_ZN7rocprim17ROCPRIM_400000_NS6detail17trampoline_kernelINS0_14default_configENS1_35adjacent_difference_config_selectorILb0EiEEZNS1_24adjacent_difference_implIS3_Lb0ELb0EPKiPiN6thrust23THRUST_200600_302600_NS4plusIiEEEE10hipError_tPvRmT2_T3_mT4_P12ihipStream_tbEUlT_E_NS1_11comp_targetILNS1_3genE4ELNS1_11target_archE910ELNS1_3gpuE8ELNS1_3repE0EEENS1_30default_config_static_selectorELNS0_4arch9wavefront6targetE1EEEvT1_
                                        ; -- End function
	.set _ZN7rocprim17ROCPRIM_400000_NS6detail17trampoline_kernelINS0_14default_configENS1_35adjacent_difference_config_selectorILb0EiEEZNS1_24adjacent_difference_implIS3_Lb0ELb0EPKiPiN6thrust23THRUST_200600_302600_NS4plusIiEEEE10hipError_tPvRmT2_T3_mT4_P12ihipStream_tbEUlT_E_NS1_11comp_targetILNS1_3genE4ELNS1_11target_archE910ELNS1_3gpuE8ELNS1_3repE0EEENS1_30default_config_static_selectorELNS0_4arch9wavefront6targetE1EEEvT1_.num_vgpr, 0
	.set _ZN7rocprim17ROCPRIM_400000_NS6detail17trampoline_kernelINS0_14default_configENS1_35adjacent_difference_config_selectorILb0EiEEZNS1_24adjacent_difference_implIS3_Lb0ELb0EPKiPiN6thrust23THRUST_200600_302600_NS4plusIiEEEE10hipError_tPvRmT2_T3_mT4_P12ihipStream_tbEUlT_E_NS1_11comp_targetILNS1_3genE4ELNS1_11target_archE910ELNS1_3gpuE8ELNS1_3repE0EEENS1_30default_config_static_selectorELNS0_4arch9wavefront6targetE1EEEvT1_.num_agpr, 0
	.set _ZN7rocprim17ROCPRIM_400000_NS6detail17trampoline_kernelINS0_14default_configENS1_35adjacent_difference_config_selectorILb0EiEEZNS1_24adjacent_difference_implIS3_Lb0ELb0EPKiPiN6thrust23THRUST_200600_302600_NS4plusIiEEEE10hipError_tPvRmT2_T3_mT4_P12ihipStream_tbEUlT_E_NS1_11comp_targetILNS1_3genE4ELNS1_11target_archE910ELNS1_3gpuE8ELNS1_3repE0EEENS1_30default_config_static_selectorELNS0_4arch9wavefront6targetE1EEEvT1_.numbered_sgpr, 0
	.set _ZN7rocprim17ROCPRIM_400000_NS6detail17trampoline_kernelINS0_14default_configENS1_35adjacent_difference_config_selectorILb0EiEEZNS1_24adjacent_difference_implIS3_Lb0ELb0EPKiPiN6thrust23THRUST_200600_302600_NS4plusIiEEEE10hipError_tPvRmT2_T3_mT4_P12ihipStream_tbEUlT_E_NS1_11comp_targetILNS1_3genE4ELNS1_11target_archE910ELNS1_3gpuE8ELNS1_3repE0EEENS1_30default_config_static_selectorELNS0_4arch9wavefront6targetE1EEEvT1_.num_named_barrier, 0
	.set _ZN7rocprim17ROCPRIM_400000_NS6detail17trampoline_kernelINS0_14default_configENS1_35adjacent_difference_config_selectorILb0EiEEZNS1_24adjacent_difference_implIS3_Lb0ELb0EPKiPiN6thrust23THRUST_200600_302600_NS4plusIiEEEE10hipError_tPvRmT2_T3_mT4_P12ihipStream_tbEUlT_E_NS1_11comp_targetILNS1_3genE4ELNS1_11target_archE910ELNS1_3gpuE8ELNS1_3repE0EEENS1_30default_config_static_selectorELNS0_4arch9wavefront6targetE1EEEvT1_.private_seg_size, 0
	.set _ZN7rocprim17ROCPRIM_400000_NS6detail17trampoline_kernelINS0_14default_configENS1_35adjacent_difference_config_selectorILb0EiEEZNS1_24adjacent_difference_implIS3_Lb0ELb0EPKiPiN6thrust23THRUST_200600_302600_NS4plusIiEEEE10hipError_tPvRmT2_T3_mT4_P12ihipStream_tbEUlT_E_NS1_11comp_targetILNS1_3genE4ELNS1_11target_archE910ELNS1_3gpuE8ELNS1_3repE0EEENS1_30default_config_static_selectorELNS0_4arch9wavefront6targetE1EEEvT1_.uses_vcc, 0
	.set _ZN7rocprim17ROCPRIM_400000_NS6detail17trampoline_kernelINS0_14default_configENS1_35adjacent_difference_config_selectorILb0EiEEZNS1_24adjacent_difference_implIS3_Lb0ELb0EPKiPiN6thrust23THRUST_200600_302600_NS4plusIiEEEE10hipError_tPvRmT2_T3_mT4_P12ihipStream_tbEUlT_E_NS1_11comp_targetILNS1_3genE4ELNS1_11target_archE910ELNS1_3gpuE8ELNS1_3repE0EEENS1_30default_config_static_selectorELNS0_4arch9wavefront6targetE1EEEvT1_.uses_flat_scratch, 0
	.set _ZN7rocprim17ROCPRIM_400000_NS6detail17trampoline_kernelINS0_14default_configENS1_35adjacent_difference_config_selectorILb0EiEEZNS1_24adjacent_difference_implIS3_Lb0ELb0EPKiPiN6thrust23THRUST_200600_302600_NS4plusIiEEEE10hipError_tPvRmT2_T3_mT4_P12ihipStream_tbEUlT_E_NS1_11comp_targetILNS1_3genE4ELNS1_11target_archE910ELNS1_3gpuE8ELNS1_3repE0EEENS1_30default_config_static_selectorELNS0_4arch9wavefront6targetE1EEEvT1_.has_dyn_sized_stack, 0
	.set _ZN7rocprim17ROCPRIM_400000_NS6detail17trampoline_kernelINS0_14default_configENS1_35adjacent_difference_config_selectorILb0EiEEZNS1_24adjacent_difference_implIS3_Lb0ELb0EPKiPiN6thrust23THRUST_200600_302600_NS4plusIiEEEE10hipError_tPvRmT2_T3_mT4_P12ihipStream_tbEUlT_E_NS1_11comp_targetILNS1_3genE4ELNS1_11target_archE910ELNS1_3gpuE8ELNS1_3repE0EEENS1_30default_config_static_selectorELNS0_4arch9wavefront6targetE1EEEvT1_.has_recursion, 0
	.set _ZN7rocprim17ROCPRIM_400000_NS6detail17trampoline_kernelINS0_14default_configENS1_35adjacent_difference_config_selectorILb0EiEEZNS1_24adjacent_difference_implIS3_Lb0ELb0EPKiPiN6thrust23THRUST_200600_302600_NS4plusIiEEEE10hipError_tPvRmT2_T3_mT4_P12ihipStream_tbEUlT_E_NS1_11comp_targetILNS1_3genE4ELNS1_11target_archE910ELNS1_3gpuE8ELNS1_3repE0EEENS1_30default_config_static_selectorELNS0_4arch9wavefront6targetE1EEEvT1_.has_indirect_call, 0
	.section	.AMDGPU.csdata,"",@progbits
; Kernel info:
; codeLenInByte = 0
; TotalNumSgprs: 4
; NumVgprs: 0
; ScratchSize: 0
; MemoryBound: 0
; FloatMode: 240
; IeeeMode: 1
; LDSByteSize: 0 bytes/workgroup (compile time only)
; SGPRBlocks: 0
; VGPRBlocks: 0
; NumSGPRsForWavesPerEU: 4
; NumVGPRsForWavesPerEU: 1
; Occupancy: 10
; WaveLimiterHint : 0
; COMPUTE_PGM_RSRC2:SCRATCH_EN: 0
; COMPUTE_PGM_RSRC2:USER_SGPR: 6
; COMPUTE_PGM_RSRC2:TRAP_HANDLER: 0
; COMPUTE_PGM_RSRC2:TGID_X_EN: 1
; COMPUTE_PGM_RSRC2:TGID_Y_EN: 0
; COMPUTE_PGM_RSRC2:TGID_Z_EN: 0
; COMPUTE_PGM_RSRC2:TIDIG_COMP_CNT: 0
	.section	.text._ZN7rocprim17ROCPRIM_400000_NS6detail17trampoline_kernelINS0_14default_configENS1_35adjacent_difference_config_selectorILb0EiEEZNS1_24adjacent_difference_implIS3_Lb0ELb0EPKiPiN6thrust23THRUST_200600_302600_NS4plusIiEEEE10hipError_tPvRmT2_T3_mT4_P12ihipStream_tbEUlT_E_NS1_11comp_targetILNS1_3genE3ELNS1_11target_archE908ELNS1_3gpuE7ELNS1_3repE0EEENS1_30default_config_static_selectorELNS0_4arch9wavefront6targetE1EEEvT1_,"axG",@progbits,_ZN7rocprim17ROCPRIM_400000_NS6detail17trampoline_kernelINS0_14default_configENS1_35adjacent_difference_config_selectorILb0EiEEZNS1_24adjacent_difference_implIS3_Lb0ELb0EPKiPiN6thrust23THRUST_200600_302600_NS4plusIiEEEE10hipError_tPvRmT2_T3_mT4_P12ihipStream_tbEUlT_E_NS1_11comp_targetILNS1_3genE3ELNS1_11target_archE908ELNS1_3gpuE7ELNS1_3repE0EEENS1_30default_config_static_selectorELNS0_4arch9wavefront6targetE1EEEvT1_,comdat
	.protected	_ZN7rocprim17ROCPRIM_400000_NS6detail17trampoline_kernelINS0_14default_configENS1_35adjacent_difference_config_selectorILb0EiEEZNS1_24adjacent_difference_implIS3_Lb0ELb0EPKiPiN6thrust23THRUST_200600_302600_NS4plusIiEEEE10hipError_tPvRmT2_T3_mT4_P12ihipStream_tbEUlT_E_NS1_11comp_targetILNS1_3genE3ELNS1_11target_archE908ELNS1_3gpuE7ELNS1_3repE0EEENS1_30default_config_static_selectorELNS0_4arch9wavefront6targetE1EEEvT1_ ; -- Begin function _ZN7rocprim17ROCPRIM_400000_NS6detail17trampoline_kernelINS0_14default_configENS1_35adjacent_difference_config_selectorILb0EiEEZNS1_24adjacent_difference_implIS3_Lb0ELb0EPKiPiN6thrust23THRUST_200600_302600_NS4plusIiEEEE10hipError_tPvRmT2_T3_mT4_P12ihipStream_tbEUlT_E_NS1_11comp_targetILNS1_3genE3ELNS1_11target_archE908ELNS1_3gpuE7ELNS1_3repE0EEENS1_30default_config_static_selectorELNS0_4arch9wavefront6targetE1EEEvT1_
	.globl	_ZN7rocprim17ROCPRIM_400000_NS6detail17trampoline_kernelINS0_14default_configENS1_35adjacent_difference_config_selectorILb0EiEEZNS1_24adjacent_difference_implIS3_Lb0ELb0EPKiPiN6thrust23THRUST_200600_302600_NS4plusIiEEEE10hipError_tPvRmT2_T3_mT4_P12ihipStream_tbEUlT_E_NS1_11comp_targetILNS1_3genE3ELNS1_11target_archE908ELNS1_3gpuE7ELNS1_3repE0EEENS1_30default_config_static_selectorELNS0_4arch9wavefront6targetE1EEEvT1_
	.p2align	8
	.type	_ZN7rocprim17ROCPRIM_400000_NS6detail17trampoline_kernelINS0_14default_configENS1_35adjacent_difference_config_selectorILb0EiEEZNS1_24adjacent_difference_implIS3_Lb0ELb0EPKiPiN6thrust23THRUST_200600_302600_NS4plusIiEEEE10hipError_tPvRmT2_T3_mT4_P12ihipStream_tbEUlT_E_NS1_11comp_targetILNS1_3genE3ELNS1_11target_archE908ELNS1_3gpuE7ELNS1_3repE0EEENS1_30default_config_static_selectorELNS0_4arch9wavefront6targetE1EEEvT1_,@function
_ZN7rocprim17ROCPRIM_400000_NS6detail17trampoline_kernelINS0_14default_configENS1_35adjacent_difference_config_selectorILb0EiEEZNS1_24adjacent_difference_implIS3_Lb0ELb0EPKiPiN6thrust23THRUST_200600_302600_NS4plusIiEEEE10hipError_tPvRmT2_T3_mT4_P12ihipStream_tbEUlT_E_NS1_11comp_targetILNS1_3genE3ELNS1_11target_archE908ELNS1_3gpuE7ELNS1_3repE0EEENS1_30default_config_static_selectorELNS0_4arch9wavefront6targetE1EEEvT1_: ; @_ZN7rocprim17ROCPRIM_400000_NS6detail17trampoline_kernelINS0_14default_configENS1_35adjacent_difference_config_selectorILb0EiEEZNS1_24adjacent_difference_implIS3_Lb0ELb0EPKiPiN6thrust23THRUST_200600_302600_NS4plusIiEEEE10hipError_tPvRmT2_T3_mT4_P12ihipStream_tbEUlT_E_NS1_11comp_targetILNS1_3genE3ELNS1_11target_archE908ELNS1_3gpuE7ELNS1_3repE0EEENS1_30default_config_static_selectorELNS0_4arch9wavefront6targetE1EEEvT1_
; %bb.0:
	.section	.rodata,"a",@progbits
	.p2align	6, 0x0
	.amdhsa_kernel _ZN7rocprim17ROCPRIM_400000_NS6detail17trampoline_kernelINS0_14default_configENS1_35adjacent_difference_config_selectorILb0EiEEZNS1_24adjacent_difference_implIS3_Lb0ELb0EPKiPiN6thrust23THRUST_200600_302600_NS4plusIiEEEE10hipError_tPvRmT2_T3_mT4_P12ihipStream_tbEUlT_E_NS1_11comp_targetILNS1_3genE3ELNS1_11target_archE908ELNS1_3gpuE7ELNS1_3repE0EEENS1_30default_config_static_selectorELNS0_4arch9wavefront6targetE1EEEvT1_
		.amdhsa_group_segment_fixed_size 0
		.amdhsa_private_segment_fixed_size 0
		.amdhsa_kernarg_size 56
		.amdhsa_user_sgpr_count 6
		.amdhsa_user_sgpr_private_segment_buffer 1
		.amdhsa_user_sgpr_dispatch_ptr 0
		.amdhsa_user_sgpr_queue_ptr 0
		.amdhsa_user_sgpr_kernarg_segment_ptr 1
		.amdhsa_user_sgpr_dispatch_id 0
		.amdhsa_user_sgpr_flat_scratch_init 0
		.amdhsa_user_sgpr_private_segment_size 0
		.amdhsa_uses_dynamic_stack 0
		.amdhsa_system_sgpr_private_segment_wavefront_offset 0
		.amdhsa_system_sgpr_workgroup_id_x 1
		.amdhsa_system_sgpr_workgroup_id_y 0
		.amdhsa_system_sgpr_workgroup_id_z 0
		.amdhsa_system_sgpr_workgroup_info 0
		.amdhsa_system_vgpr_workitem_id 0
		.amdhsa_next_free_vgpr 1
		.amdhsa_next_free_sgpr 0
		.amdhsa_reserve_vcc 0
		.amdhsa_reserve_flat_scratch 0
		.amdhsa_float_round_mode_32 0
		.amdhsa_float_round_mode_16_64 0
		.amdhsa_float_denorm_mode_32 3
		.amdhsa_float_denorm_mode_16_64 3
		.amdhsa_dx10_clamp 1
		.amdhsa_ieee_mode 1
		.amdhsa_fp16_overflow 0
		.amdhsa_exception_fp_ieee_invalid_op 0
		.amdhsa_exception_fp_denorm_src 0
		.amdhsa_exception_fp_ieee_div_zero 0
		.amdhsa_exception_fp_ieee_overflow 0
		.amdhsa_exception_fp_ieee_underflow 0
		.amdhsa_exception_fp_ieee_inexact 0
		.amdhsa_exception_int_div_zero 0
	.end_amdhsa_kernel
	.section	.text._ZN7rocprim17ROCPRIM_400000_NS6detail17trampoline_kernelINS0_14default_configENS1_35adjacent_difference_config_selectorILb0EiEEZNS1_24adjacent_difference_implIS3_Lb0ELb0EPKiPiN6thrust23THRUST_200600_302600_NS4plusIiEEEE10hipError_tPvRmT2_T3_mT4_P12ihipStream_tbEUlT_E_NS1_11comp_targetILNS1_3genE3ELNS1_11target_archE908ELNS1_3gpuE7ELNS1_3repE0EEENS1_30default_config_static_selectorELNS0_4arch9wavefront6targetE1EEEvT1_,"axG",@progbits,_ZN7rocprim17ROCPRIM_400000_NS6detail17trampoline_kernelINS0_14default_configENS1_35adjacent_difference_config_selectorILb0EiEEZNS1_24adjacent_difference_implIS3_Lb0ELb0EPKiPiN6thrust23THRUST_200600_302600_NS4plusIiEEEE10hipError_tPvRmT2_T3_mT4_P12ihipStream_tbEUlT_E_NS1_11comp_targetILNS1_3genE3ELNS1_11target_archE908ELNS1_3gpuE7ELNS1_3repE0EEENS1_30default_config_static_selectorELNS0_4arch9wavefront6targetE1EEEvT1_,comdat
.Lfunc_end727:
	.size	_ZN7rocprim17ROCPRIM_400000_NS6detail17trampoline_kernelINS0_14default_configENS1_35adjacent_difference_config_selectorILb0EiEEZNS1_24adjacent_difference_implIS3_Lb0ELb0EPKiPiN6thrust23THRUST_200600_302600_NS4plusIiEEEE10hipError_tPvRmT2_T3_mT4_P12ihipStream_tbEUlT_E_NS1_11comp_targetILNS1_3genE3ELNS1_11target_archE908ELNS1_3gpuE7ELNS1_3repE0EEENS1_30default_config_static_selectorELNS0_4arch9wavefront6targetE1EEEvT1_, .Lfunc_end727-_ZN7rocprim17ROCPRIM_400000_NS6detail17trampoline_kernelINS0_14default_configENS1_35adjacent_difference_config_selectorILb0EiEEZNS1_24adjacent_difference_implIS3_Lb0ELb0EPKiPiN6thrust23THRUST_200600_302600_NS4plusIiEEEE10hipError_tPvRmT2_T3_mT4_P12ihipStream_tbEUlT_E_NS1_11comp_targetILNS1_3genE3ELNS1_11target_archE908ELNS1_3gpuE7ELNS1_3repE0EEENS1_30default_config_static_selectorELNS0_4arch9wavefront6targetE1EEEvT1_
                                        ; -- End function
	.set _ZN7rocprim17ROCPRIM_400000_NS6detail17trampoline_kernelINS0_14default_configENS1_35adjacent_difference_config_selectorILb0EiEEZNS1_24adjacent_difference_implIS3_Lb0ELb0EPKiPiN6thrust23THRUST_200600_302600_NS4plusIiEEEE10hipError_tPvRmT2_T3_mT4_P12ihipStream_tbEUlT_E_NS1_11comp_targetILNS1_3genE3ELNS1_11target_archE908ELNS1_3gpuE7ELNS1_3repE0EEENS1_30default_config_static_selectorELNS0_4arch9wavefront6targetE1EEEvT1_.num_vgpr, 0
	.set _ZN7rocprim17ROCPRIM_400000_NS6detail17trampoline_kernelINS0_14default_configENS1_35adjacent_difference_config_selectorILb0EiEEZNS1_24adjacent_difference_implIS3_Lb0ELb0EPKiPiN6thrust23THRUST_200600_302600_NS4plusIiEEEE10hipError_tPvRmT2_T3_mT4_P12ihipStream_tbEUlT_E_NS1_11comp_targetILNS1_3genE3ELNS1_11target_archE908ELNS1_3gpuE7ELNS1_3repE0EEENS1_30default_config_static_selectorELNS0_4arch9wavefront6targetE1EEEvT1_.num_agpr, 0
	.set _ZN7rocprim17ROCPRIM_400000_NS6detail17trampoline_kernelINS0_14default_configENS1_35adjacent_difference_config_selectorILb0EiEEZNS1_24adjacent_difference_implIS3_Lb0ELb0EPKiPiN6thrust23THRUST_200600_302600_NS4plusIiEEEE10hipError_tPvRmT2_T3_mT4_P12ihipStream_tbEUlT_E_NS1_11comp_targetILNS1_3genE3ELNS1_11target_archE908ELNS1_3gpuE7ELNS1_3repE0EEENS1_30default_config_static_selectorELNS0_4arch9wavefront6targetE1EEEvT1_.numbered_sgpr, 0
	.set _ZN7rocprim17ROCPRIM_400000_NS6detail17trampoline_kernelINS0_14default_configENS1_35adjacent_difference_config_selectorILb0EiEEZNS1_24adjacent_difference_implIS3_Lb0ELb0EPKiPiN6thrust23THRUST_200600_302600_NS4plusIiEEEE10hipError_tPvRmT2_T3_mT4_P12ihipStream_tbEUlT_E_NS1_11comp_targetILNS1_3genE3ELNS1_11target_archE908ELNS1_3gpuE7ELNS1_3repE0EEENS1_30default_config_static_selectorELNS0_4arch9wavefront6targetE1EEEvT1_.num_named_barrier, 0
	.set _ZN7rocprim17ROCPRIM_400000_NS6detail17trampoline_kernelINS0_14default_configENS1_35adjacent_difference_config_selectorILb0EiEEZNS1_24adjacent_difference_implIS3_Lb0ELb0EPKiPiN6thrust23THRUST_200600_302600_NS4plusIiEEEE10hipError_tPvRmT2_T3_mT4_P12ihipStream_tbEUlT_E_NS1_11comp_targetILNS1_3genE3ELNS1_11target_archE908ELNS1_3gpuE7ELNS1_3repE0EEENS1_30default_config_static_selectorELNS0_4arch9wavefront6targetE1EEEvT1_.private_seg_size, 0
	.set _ZN7rocprim17ROCPRIM_400000_NS6detail17trampoline_kernelINS0_14default_configENS1_35adjacent_difference_config_selectorILb0EiEEZNS1_24adjacent_difference_implIS3_Lb0ELb0EPKiPiN6thrust23THRUST_200600_302600_NS4plusIiEEEE10hipError_tPvRmT2_T3_mT4_P12ihipStream_tbEUlT_E_NS1_11comp_targetILNS1_3genE3ELNS1_11target_archE908ELNS1_3gpuE7ELNS1_3repE0EEENS1_30default_config_static_selectorELNS0_4arch9wavefront6targetE1EEEvT1_.uses_vcc, 0
	.set _ZN7rocprim17ROCPRIM_400000_NS6detail17trampoline_kernelINS0_14default_configENS1_35adjacent_difference_config_selectorILb0EiEEZNS1_24adjacent_difference_implIS3_Lb0ELb0EPKiPiN6thrust23THRUST_200600_302600_NS4plusIiEEEE10hipError_tPvRmT2_T3_mT4_P12ihipStream_tbEUlT_E_NS1_11comp_targetILNS1_3genE3ELNS1_11target_archE908ELNS1_3gpuE7ELNS1_3repE0EEENS1_30default_config_static_selectorELNS0_4arch9wavefront6targetE1EEEvT1_.uses_flat_scratch, 0
	.set _ZN7rocprim17ROCPRIM_400000_NS6detail17trampoline_kernelINS0_14default_configENS1_35adjacent_difference_config_selectorILb0EiEEZNS1_24adjacent_difference_implIS3_Lb0ELb0EPKiPiN6thrust23THRUST_200600_302600_NS4plusIiEEEE10hipError_tPvRmT2_T3_mT4_P12ihipStream_tbEUlT_E_NS1_11comp_targetILNS1_3genE3ELNS1_11target_archE908ELNS1_3gpuE7ELNS1_3repE0EEENS1_30default_config_static_selectorELNS0_4arch9wavefront6targetE1EEEvT1_.has_dyn_sized_stack, 0
	.set _ZN7rocprim17ROCPRIM_400000_NS6detail17trampoline_kernelINS0_14default_configENS1_35adjacent_difference_config_selectorILb0EiEEZNS1_24adjacent_difference_implIS3_Lb0ELb0EPKiPiN6thrust23THRUST_200600_302600_NS4plusIiEEEE10hipError_tPvRmT2_T3_mT4_P12ihipStream_tbEUlT_E_NS1_11comp_targetILNS1_3genE3ELNS1_11target_archE908ELNS1_3gpuE7ELNS1_3repE0EEENS1_30default_config_static_selectorELNS0_4arch9wavefront6targetE1EEEvT1_.has_recursion, 0
	.set _ZN7rocprim17ROCPRIM_400000_NS6detail17trampoline_kernelINS0_14default_configENS1_35adjacent_difference_config_selectorILb0EiEEZNS1_24adjacent_difference_implIS3_Lb0ELb0EPKiPiN6thrust23THRUST_200600_302600_NS4plusIiEEEE10hipError_tPvRmT2_T3_mT4_P12ihipStream_tbEUlT_E_NS1_11comp_targetILNS1_3genE3ELNS1_11target_archE908ELNS1_3gpuE7ELNS1_3repE0EEENS1_30default_config_static_selectorELNS0_4arch9wavefront6targetE1EEEvT1_.has_indirect_call, 0
	.section	.AMDGPU.csdata,"",@progbits
; Kernel info:
; codeLenInByte = 0
; TotalNumSgprs: 4
; NumVgprs: 0
; ScratchSize: 0
; MemoryBound: 0
; FloatMode: 240
; IeeeMode: 1
; LDSByteSize: 0 bytes/workgroup (compile time only)
; SGPRBlocks: 0
; VGPRBlocks: 0
; NumSGPRsForWavesPerEU: 4
; NumVGPRsForWavesPerEU: 1
; Occupancy: 10
; WaveLimiterHint : 0
; COMPUTE_PGM_RSRC2:SCRATCH_EN: 0
; COMPUTE_PGM_RSRC2:USER_SGPR: 6
; COMPUTE_PGM_RSRC2:TRAP_HANDLER: 0
; COMPUTE_PGM_RSRC2:TGID_X_EN: 1
; COMPUTE_PGM_RSRC2:TGID_Y_EN: 0
; COMPUTE_PGM_RSRC2:TGID_Z_EN: 0
; COMPUTE_PGM_RSRC2:TIDIG_COMP_CNT: 0
	.section	.text._ZN7rocprim17ROCPRIM_400000_NS6detail17trampoline_kernelINS0_14default_configENS1_35adjacent_difference_config_selectorILb0EiEEZNS1_24adjacent_difference_implIS3_Lb0ELb0EPKiPiN6thrust23THRUST_200600_302600_NS4plusIiEEEE10hipError_tPvRmT2_T3_mT4_P12ihipStream_tbEUlT_E_NS1_11comp_targetILNS1_3genE2ELNS1_11target_archE906ELNS1_3gpuE6ELNS1_3repE0EEENS1_30default_config_static_selectorELNS0_4arch9wavefront6targetE1EEEvT1_,"axG",@progbits,_ZN7rocprim17ROCPRIM_400000_NS6detail17trampoline_kernelINS0_14default_configENS1_35adjacent_difference_config_selectorILb0EiEEZNS1_24adjacent_difference_implIS3_Lb0ELb0EPKiPiN6thrust23THRUST_200600_302600_NS4plusIiEEEE10hipError_tPvRmT2_T3_mT4_P12ihipStream_tbEUlT_E_NS1_11comp_targetILNS1_3genE2ELNS1_11target_archE906ELNS1_3gpuE6ELNS1_3repE0EEENS1_30default_config_static_selectorELNS0_4arch9wavefront6targetE1EEEvT1_,comdat
	.protected	_ZN7rocprim17ROCPRIM_400000_NS6detail17trampoline_kernelINS0_14default_configENS1_35adjacent_difference_config_selectorILb0EiEEZNS1_24adjacent_difference_implIS3_Lb0ELb0EPKiPiN6thrust23THRUST_200600_302600_NS4plusIiEEEE10hipError_tPvRmT2_T3_mT4_P12ihipStream_tbEUlT_E_NS1_11comp_targetILNS1_3genE2ELNS1_11target_archE906ELNS1_3gpuE6ELNS1_3repE0EEENS1_30default_config_static_selectorELNS0_4arch9wavefront6targetE1EEEvT1_ ; -- Begin function _ZN7rocprim17ROCPRIM_400000_NS6detail17trampoline_kernelINS0_14default_configENS1_35adjacent_difference_config_selectorILb0EiEEZNS1_24adjacent_difference_implIS3_Lb0ELb0EPKiPiN6thrust23THRUST_200600_302600_NS4plusIiEEEE10hipError_tPvRmT2_T3_mT4_P12ihipStream_tbEUlT_E_NS1_11comp_targetILNS1_3genE2ELNS1_11target_archE906ELNS1_3gpuE6ELNS1_3repE0EEENS1_30default_config_static_selectorELNS0_4arch9wavefront6targetE1EEEvT1_
	.globl	_ZN7rocprim17ROCPRIM_400000_NS6detail17trampoline_kernelINS0_14default_configENS1_35adjacent_difference_config_selectorILb0EiEEZNS1_24adjacent_difference_implIS3_Lb0ELb0EPKiPiN6thrust23THRUST_200600_302600_NS4plusIiEEEE10hipError_tPvRmT2_T3_mT4_P12ihipStream_tbEUlT_E_NS1_11comp_targetILNS1_3genE2ELNS1_11target_archE906ELNS1_3gpuE6ELNS1_3repE0EEENS1_30default_config_static_selectorELNS0_4arch9wavefront6targetE1EEEvT1_
	.p2align	8
	.type	_ZN7rocprim17ROCPRIM_400000_NS6detail17trampoline_kernelINS0_14default_configENS1_35adjacent_difference_config_selectorILb0EiEEZNS1_24adjacent_difference_implIS3_Lb0ELb0EPKiPiN6thrust23THRUST_200600_302600_NS4plusIiEEEE10hipError_tPvRmT2_T3_mT4_P12ihipStream_tbEUlT_E_NS1_11comp_targetILNS1_3genE2ELNS1_11target_archE906ELNS1_3gpuE6ELNS1_3repE0EEENS1_30default_config_static_selectorELNS0_4arch9wavefront6targetE1EEEvT1_,@function
_ZN7rocprim17ROCPRIM_400000_NS6detail17trampoline_kernelINS0_14default_configENS1_35adjacent_difference_config_selectorILb0EiEEZNS1_24adjacent_difference_implIS3_Lb0ELb0EPKiPiN6thrust23THRUST_200600_302600_NS4plusIiEEEE10hipError_tPvRmT2_T3_mT4_P12ihipStream_tbEUlT_E_NS1_11comp_targetILNS1_3genE2ELNS1_11target_archE906ELNS1_3gpuE6ELNS1_3repE0EEENS1_30default_config_static_selectorELNS0_4arch9wavefront6targetE1EEEvT1_: ; @_ZN7rocprim17ROCPRIM_400000_NS6detail17trampoline_kernelINS0_14default_configENS1_35adjacent_difference_config_selectorILb0EiEEZNS1_24adjacent_difference_implIS3_Lb0ELb0EPKiPiN6thrust23THRUST_200600_302600_NS4plusIiEEEE10hipError_tPvRmT2_T3_mT4_P12ihipStream_tbEUlT_E_NS1_11comp_targetILNS1_3genE2ELNS1_11target_archE906ELNS1_3gpuE6ELNS1_3repE0EEENS1_30default_config_static_selectorELNS0_4arch9wavefront6targetE1EEEvT1_
; %bb.0:
	s_load_dwordx8 s[8:15], s[4:5], 0x0
	s_load_dwordx2 s[0:1], s[4:5], 0x30
	s_mul_i32 s16, s6, 0x1400
	s_mov_b32 s17, 0
	s_waitcnt lgkmcnt(0)
	s_lshl_b64 s[18:19], s[10:11], 2
	s_add_u32 s20, s8, s18
	s_addc_u32 s21, s9, s19
	s_mul_i32 s5, s15, 0xcccccccd
	s_mul_hi_u32 s7, s14, 0xcccccccd
	s_mul_hi_u32 s4, s15, 0xcccccccd
	s_add_u32 s5, s5, s7
	s_mul_i32 s3, s14, 0xcccccccc
	s_addc_u32 s4, s4, 0
	s_mul_hi_u32 s2, s14, 0xcccccccc
	s_add_u32 s3, s3, s5
	s_addc_u32 s2, s2, 0
	s_add_u32 s2, s4, s2
	s_addc_u32 s3, 0, 0
	s_mul_i32 s5, s15, 0xcccccccc
	s_mul_hi_u32 s4, s15, 0xcccccccc
	s_add_u32 s2, s5, s2
	s_addc_u32 s3, s4, s3
	s_lshr_b64 s[4:5], s[2:3], 12
	s_lshr_b32 s2, s3, 12
	s_mulk_i32 s2, 0x1400
	s_mul_hi_u32 s3, s4, 0x1400
	s_add_i32 s3, s3, s2
	s_mul_i32 s2, s4, 0x1400
	s_sub_u32 s2, s14, s2
	s_subb_u32 s3, s15, s3
	s_cmp_lg_u64 s[2:3], 0
	s_cselect_b64 s[2:3], -1, 0
	v_cndmask_b32_e64 v1, 0, 1, s[2:3]
	v_readfirstlane_b32 s2, v1
	s_add_u32 s2, s4, s2
	s_addc_u32 s3, s5, 0
	s_add_u32 s4, s0, s6
	s_addc_u32 s5, s1, 0
	s_add_u32 s6, s2, -1
	s_addc_u32 s7, s3, -1
	v_mov_b32_e32 v1, s6
	v_mov_b32_e32 v2, s7
	v_cmp_ge_u64_e64 s[0:1], s[4:5], v[1:2]
	s_mov_b64 s[8:9], -1
	s_and_b64 vcc, exec, s[0:1]
	s_mul_i32 s15, s6, 0xffffec00
	s_cbranch_vccz .LBB728_12
; %bb.1:
	s_add_i32 s22, s15, s14
	s_lshl_b64 s[8:9], s[16:17], 2
	s_add_u32 s8, s20, s8
	v_mov_b32_e32 v1, 0
	s_addc_u32 s9, s21, s9
	v_cmp_gt_u32_e32 vcc, s22, v0
	v_mov_b32_e32 v2, v1
	v_mov_b32_e32 v3, v1
	v_mov_b32_e32 v4, v1
	v_mov_b32_e32 v5, v1
	s_and_saveexec_b64 s[10:11], vcc
	s_cbranch_execz .LBB728_3
; %bb.2:
	v_lshlrev_b32_e32 v2, 2, v0
	global_load_dword v2, v2, s[8:9]
	v_mov_b32_e32 v3, v1
	v_mov_b32_e32 v4, v1
	v_mov_b32_e32 v5, v1
	v_mov_b32_e32 v6, v1
	s_waitcnt vmcnt(0)
	v_mov_b32_e32 v1, v2
	v_mov_b32_e32 v2, v3
	;; [unrolled: 1-line block ×5, first 2 shown]
.LBB728_3:
	s_or_b64 exec, exec, s[10:11]
	v_or_b32_e32 v6, 0x400, v0
	v_cmp_gt_u32_e32 vcc, s22, v6
	s_and_saveexec_b64 s[10:11], vcc
	s_cbranch_execz .LBB728_5
; %bb.4:
	v_lshlrev_b32_e32 v2, 2, v6
	global_load_dword v2, v2, s[8:9]
.LBB728_5:
	s_or_b64 exec, exec, s[10:11]
	v_or_b32_e32 v6, 0x800, v0
	v_cmp_gt_u32_e32 vcc, s22, v6
	s_and_saveexec_b64 s[10:11], vcc
	s_cbranch_execz .LBB728_7
; %bb.6:
	v_lshlrev_b32_e32 v3, 2, v6
	global_load_dword v3, v3, s[8:9]
.LBB728_7:
	s_or_b64 exec, exec, s[10:11]
	v_or_b32_e32 v6, 0xc00, v0
	v_cmp_gt_u32_e32 vcc, s22, v6
	s_and_saveexec_b64 s[10:11], vcc
	s_cbranch_execz .LBB728_9
; %bb.8:
	v_lshlrev_b32_e32 v4, 2, v6
	global_load_dword v4, v4, s[8:9]
.LBB728_9:
	s_or_b64 exec, exec, s[10:11]
	v_or_b32_e32 v6, 0x1000, v0
	v_cmp_gt_u32_e32 vcc, s22, v6
	s_and_saveexec_b64 s[10:11], vcc
	s_cbranch_execz .LBB728_11
; %bb.10:
	v_lshlrev_b32_e32 v5, 2, v6
	global_load_dword v5, v5, s[8:9]
.LBB728_11:
	s_or_b64 exec, exec, s[10:11]
	v_lshlrev_b32_e32 v6, 2, v0
	s_mov_b64 s[8:9], 0
	s_waitcnt vmcnt(0)
	ds_write2st64_b32 v6, v1, v2 offset1:16
	ds_write2st64_b32 v6, v3, v4 offset0:32 offset1:48
	ds_write_b32 v6, v5 offset:16384
	s_waitcnt lgkmcnt(0)
	s_barrier
.LBB728_12:
	s_and_b64 vcc, exec, s[8:9]
	v_lshlrev_b32_e32 v8, 2, v0
	s_cbranch_vccz .LBB728_14
; %bb.13:
	s_lshl_b64 s[8:9], s[16:17], 2
	s_add_u32 s8, s20, s8
	s_addc_u32 s9, s21, s9
	v_mov_b32_e32 v1, s9
	v_add_co_u32_e32 v7, vcc, s8, v8
	v_addc_co_u32_e32 v10, vcc, 0, v1, vcc
	v_add_co_u32_e32 v1, vcc, 0x1000, v7
	v_addc_co_u32_e32 v2, vcc, 0, v10, vcc
	v_add_co_u32_e32 v3, vcc, 0x2000, v7
	v_addc_co_u32_e32 v4, vcc, 0, v10, vcc
	v_add_co_u32_e32 v5, vcc, 0x3000, v7
	v_addc_co_u32_e32 v6, vcc, 0, v10, vcc
	v_add_co_u32_e32 v9, vcc, 0x4000, v7
	v_addc_co_u32_e32 v10, vcc, 0, v10, vcc
	global_load_dword v7, v8, s[8:9]
	global_load_dword v11, v[1:2], off
	global_load_dword v12, v[3:4], off
	;; [unrolled: 1-line block ×4, first 2 shown]
	s_waitcnt vmcnt(3)
	ds_write2st64_b32 v8, v7, v11 offset1:16
	s_waitcnt vmcnt(1)
	ds_write2st64_b32 v8, v12, v13 offset0:32 offset1:48
	s_waitcnt vmcnt(0)
	ds_write_b32 v8, v14 offset:16384
	s_waitcnt lgkmcnt(0)
	s_barrier
.LBB728_14:
	v_mul_u32_u24_e32 v9, 20, v0
	ds_read2_b32 v[1:2], v9 offset1:1
	ds_read2_b32 v[3:4], v9 offset0:2 offset1:3
	ds_read_b32 v5, v9 offset:16
	s_cmp_eq_u64 s[4:5], 0
	s_waitcnt lgkmcnt(0)
	s_barrier
	s_cbranch_scc1 .LBB728_19
; %bb.15:
	s_lshl_b64 s[8:9], s[16:17], 2
	s_add_u32 s8, s20, s8
	s_addc_u32 s9, s21, s9
	s_add_u32 s8, s8, -4
	s_addc_u32 s9, s9, -1
	s_load_dword s8, s[8:9], 0x0
	s_cmp_eq_u64 s[4:5], s[6:7]
	s_cbranch_scc1 .LBB728_20
; %bb.16:
	v_cmp_ne_u32_e32 vcc, 0, v0
	s_waitcnt lgkmcnt(0)
	v_mov_b32_e32 v6, s8
	ds_write_b32 v8, v5
	s_waitcnt lgkmcnt(0)
	s_barrier
	s_and_saveexec_b64 s[6:7], vcc
; %bb.17:
	v_add_u32_e32 v6, -4, v8
	ds_read_b32 v6, v6
; %bb.18:
	s_or_b64 exec, exec, s[6:7]
	v_add_u32_e32 v10, v5, v4
	v_add_u32_e32 v11, v4, v3
	;; [unrolled: 1-line block ×4, first 2 shown]
	s_cbranch_execz .LBB728_21
	s_branch .LBB728_24
.LBB728_19:
	s_mov_b64 s[20:21], 0
                                        ; implicit-def: $vgpr6
                                        ; implicit-def: $vgpr10
                                        ; implicit-def: $vgpr11
                                        ; implicit-def: $vgpr12
                                        ; implicit-def: $vgpr13
	s_branch .LBB728_25
.LBB728_20:
                                        ; implicit-def: $vgpr10
                                        ; implicit-def: $vgpr11
                                        ; implicit-def: $vgpr12
                                        ; implicit-def: $vgpr13
                                        ; implicit-def: $vgpr6
.LBB728_21:
	s_waitcnt lgkmcnt(0)
	v_mul_u32_u24_e32 v6, 5, v0
	v_cmp_ne_u32_e32 vcc, 0, v0
	v_mov_b32_e32 v7, s8
	ds_write_b32 v8, v5
	s_waitcnt lgkmcnt(0)
	s_barrier
	s_and_saveexec_b64 s[6:7], vcc
; %bb.22:
	v_add_u32_e32 v7, -4, v8
	ds_read_b32 v7, v7
; %bb.23:
	s_or_b64 exec, exec, s[6:7]
	s_mulk_i32 s4, 0xec00
	s_add_i32 s4, s4, s14
	v_add_u32_e32 v10, 4, v6
	v_add_u32_e32 v11, v5, v4
	v_cmp_gt_u32_e32 vcc, s4, v10
	v_cndmask_b32_e32 v10, v5, v11, vcc
	v_add_u32_e32 v11, 3, v6
	v_add_u32_e32 v12, v4, v3
	v_cmp_gt_u32_e32 vcc, s4, v11
	v_cndmask_b32_e32 v11, v4, v12, vcc
	;; [unrolled: 4-line block ×4, first 2 shown]
	v_cmp_gt_u32_e32 vcc, s4, v6
	s_waitcnt lgkmcnt(0)
	v_cndmask_b32_e32 v6, 0, v7, vcc
.LBB728_24:
	s_mov_b64 s[20:21], -1
	s_cbranch_execnz .LBB728_33
.LBB728_25:
	s_cmp_lg_u64 s[2:3], 1
	v_add_u32_e32 v10, v5, v4
	v_add_u32_e32 v11, v4, v3
	;; [unrolled: 1-line block ×4, first 2 shown]
	v_cmp_ne_u32_e32 vcc, 0, v0
	s_cbranch_scc0 .LBB728_29
; %bb.26:
	ds_write_b32 v8, v5
	s_waitcnt lgkmcnt(0)
	s_barrier
                                        ; implicit-def: $vgpr6
	s_and_saveexec_b64 s[2:3], vcc
; %bb.27:
	v_add_u32_e32 v6, -4, v8
	ds_read_b32 v6, v6
	s_or_b64 s[20:21], s[20:21], exec
; %bb.28:
	s_or_b64 exec, exec, s[2:3]
	s_branch .LBB728_33
.LBB728_29:
                                        ; implicit-def: $vgpr6
	s_cbranch_execz .LBB728_33
; %bb.30:
	v_mad_u32_u24 v7, v0, 5, 4
	v_cmp_gt_u32_e32 vcc, s14, v7
	v_mad_u32_u24 v7, v0, 5, 3
	s_waitcnt lgkmcnt(0)
	v_mul_u32_u24_e32 v6, 5, v0
	v_cmp_gt_u32_e64 s[2:3], s14, v7
	v_mad_u32_u24 v7, v0, 5, 2
	v_cmp_gt_u32_e64 s[4:5], s14, v7
	v_mad_u32_u24 v7, v0, 5, 1
	v_cmp_ne_u32_e64 s[8:9], 0, v0
	v_cmp_gt_u32_e64 s[10:11], s14, v6
	v_cmp_gt_u32_e64 s[6:7], s14, v7
	s_and_b64 s[10:11], s[8:9], s[10:11]
	ds_write_b32 v8, v5
	s_waitcnt lgkmcnt(0)
	s_barrier
                                        ; implicit-def: $vgpr6
	s_and_saveexec_b64 s[8:9], s[10:11]
; %bb.31:
	v_add_u32_e32 v6, -4, v8
	ds_read_b32 v6, v6
	s_or_b64 s[20:21], s[20:21], exec
; %bb.32:
	s_or_b64 exec, exec, s[8:9]
	v_cndmask_b32_e32 v10, v5, v10, vcc
	v_cndmask_b32_e64 v11, v4, v11, s[2:3]
	v_cndmask_b32_e64 v12, v3, v12, s[4:5]
	;; [unrolled: 1-line block ×3, first 2 shown]
.LBB728_33:
	s_and_saveexec_b64 s[2:3], s[20:21]
	s_cbranch_execz .LBB728_35
; %bb.34:
	s_waitcnt lgkmcnt(0)
	v_add_u32_e32 v1, v6, v1
.LBB728_35:
	s_or_b64 exec, exec, s[2:3]
	s_add_u32 s4, s12, s18
	s_addc_u32 s5, s13, s19
	s_and_b64 vcc, exec, s[0:1]
	v_lshlrev_b32_e32 v14, 4, v0
	s_waitcnt lgkmcnt(0)
	s_barrier
	s_cbranch_vccz .LBB728_45
; %bb.36:
	s_add_i32 s15, s15, s14
	s_lshl_b64 s[0:1], s[16:17], 2
	v_sub_u32_e32 v2, v9, v14
	s_add_u32 s0, s4, s0
	ds_write2_b32 v9, v1, v13 offset1:1
	ds_write2_b32 v9, v12, v11 offset0:2 offset1:3
	ds_write_b32 v9, v10 offset:16
	s_waitcnt lgkmcnt(0)
	s_barrier
	ds_read2st64_b32 v[6:7], v2 offset0:16 offset1:32
	ds_read2st64_b32 v[2:3], v2 offset0:48 offset1:64
	s_addc_u32 s1, s5, s1
	v_mov_b32_e32 v5, s1
	v_add_co_u32_e32 v4, vcc, s0, v8
	v_addc_co_u32_e32 v5, vcc, 0, v5, vcc
	v_cmp_gt_u32_e32 vcc, s15, v0
	s_and_saveexec_b64 s[0:1], vcc
	s_cbranch_execz .LBB728_38
; %bb.37:
	v_sub_u32_e32 v15, 0, v14
	v_add_u32_e32 v15, v9, v15
	ds_read_b32 v15, v15
	s_waitcnt lgkmcnt(0)
	global_store_dword v[4:5], v15, off
.LBB728_38:
	s_or_b64 exec, exec, s[0:1]
	v_or_b32_e32 v15, 0x400, v0
	v_cmp_gt_u32_e32 vcc, s15, v15
	s_and_saveexec_b64 s[0:1], vcc
	s_cbranch_execz .LBB728_40
; %bb.39:
	v_add_co_u32_e32 v15, vcc, 0x1000, v4
	v_addc_co_u32_e32 v16, vcc, 0, v5, vcc
	s_waitcnt lgkmcnt(1)
	global_store_dword v[15:16], v6, off
.LBB728_40:
	s_or_b64 exec, exec, s[0:1]
	s_waitcnt lgkmcnt(1)
	v_or_b32_e32 v6, 0x800, v0
	v_cmp_gt_u32_e32 vcc, s15, v6
	s_and_saveexec_b64 s[0:1], vcc
	s_cbranch_execz .LBB728_42
; %bb.41:
	v_add_co_u32_e32 v15, vcc, 0x2000, v4
	v_addc_co_u32_e32 v16, vcc, 0, v5, vcc
	global_store_dword v[15:16], v7, off
.LBB728_42:
	s_or_b64 exec, exec, s[0:1]
	v_or_b32_e32 v6, 0xc00, v0
	v_cmp_gt_u32_e32 vcc, s15, v6
	s_and_saveexec_b64 s[0:1], vcc
	s_cbranch_execz .LBB728_44
; %bb.43:
	v_add_co_u32_e32 v6, vcc, 0x3000, v4
	v_addc_co_u32_e32 v7, vcc, 0, v5, vcc
	s_waitcnt lgkmcnt(0)
	global_store_dword v[6:7], v2, off
.LBB728_44:
	s_or_b64 exec, exec, s[0:1]
	v_or_b32_e32 v0, 0x1000, v0
	v_cmp_gt_u32_e64 s[0:1], s15, v0
	s_branch .LBB728_47
.LBB728_45:
	s_mov_b64 s[0:1], 0
                                        ; implicit-def: $vgpr3
                                        ; implicit-def: $vgpr4_vgpr5
	s_cbranch_execz .LBB728_47
; %bb.46:
	s_lshl_b64 s[2:3], s[16:17], 2
	s_waitcnt lgkmcnt(0)
	v_sub_u32_e32 v2, v9, v14
	s_add_u32 s2, s4, s2
	ds_write2_b32 v9, v1, v13 offset1:1
	ds_write2_b32 v9, v12, v11 offset0:2 offset1:3
	ds_write_b32 v9, v10 offset:16
	s_waitcnt vmcnt(0) lgkmcnt(0)
	s_barrier
	ds_read2st64_b32 v[0:1], v2 offset1:16
	ds_read2st64_b32 v[6:7], v2 offset0:32 offset1:48
	ds_read_b32 v3, v2 offset:16384
	s_addc_u32 s3, s5, s3
	v_mov_b32_e32 v2, s3
	v_add_co_u32_e32 v4, vcc, s2, v8
	v_addc_co_u32_e32 v5, vcc, 0, v2, vcc
	s_waitcnt lgkmcnt(2)
	global_store_dword v8, v0, s[2:3]
	s_movk_i32 s2, 0x1000
	v_add_co_u32_e32 v8, vcc, s2, v4
	v_addc_co_u32_e32 v9, vcc, 0, v5, vcc
	v_add_co_u32_e32 v0, vcc, 0x2000, v4
	global_store_dword v[8:9], v1, off
	v_addc_co_u32_e32 v1, vcc, 0, v5, vcc
	s_waitcnt lgkmcnt(1)
	global_store_dword v[0:1], v6, off
	v_add_co_u32_e32 v0, vcc, 0x3000, v4
	v_addc_co_u32_e32 v1, vcc, 0, v5, vcc
	s_or_b64 s[0:1], s[0:1], exec
	global_store_dword v[0:1], v7, off
.LBB728_47:
	s_and_saveexec_b64 s[2:3], s[0:1]
	s_cbranch_execnz .LBB728_49
; %bb.48:
	s_endpgm
.LBB728_49:
	v_add_co_u32_e32 v0, vcc, 0x4000, v4
	v_addc_co_u32_e32 v1, vcc, 0, v5, vcc
	s_waitcnt lgkmcnt(0)
	global_store_dword v[0:1], v3, off
	s_endpgm
	.section	.rodata,"a",@progbits
	.p2align	6, 0x0
	.amdhsa_kernel _ZN7rocprim17ROCPRIM_400000_NS6detail17trampoline_kernelINS0_14default_configENS1_35adjacent_difference_config_selectorILb0EiEEZNS1_24adjacent_difference_implIS3_Lb0ELb0EPKiPiN6thrust23THRUST_200600_302600_NS4plusIiEEEE10hipError_tPvRmT2_T3_mT4_P12ihipStream_tbEUlT_E_NS1_11comp_targetILNS1_3genE2ELNS1_11target_archE906ELNS1_3gpuE6ELNS1_3repE0EEENS1_30default_config_static_selectorELNS0_4arch9wavefront6targetE1EEEvT1_
		.amdhsa_group_segment_fixed_size 20480
		.amdhsa_private_segment_fixed_size 0
		.amdhsa_kernarg_size 56
		.amdhsa_user_sgpr_count 6
		.amdhsa_user_sgpr_private_segment_buffer 1
		.amdhsa_user_sgpr_dispatch_ptr 0
		.amdhsa_user_sgpr_queue_ptr 0
		.amdhsa_user_sgpr_kernarg_segment_ptr 1
		.amdhsa_user_sgpr_dispatch_id 0
		.amdhsa_user_sgpr_flat_scratch_init 0
		.amdhsa_user_sgpr_private_segment_size 0
		.amdhsa_uses_dynamic_stack 0
		.amdhsa_system_sgpr_private_segment_wavefront_offset 0
		.amdhsa_system_sgpr_workgroup_id_x 1
		.amdhsa_system_sgpr_workgroup_id_y 0
		.amdhsa_system_sgpr_workgroup_id_z 0
		.amdhsa_system_sgpr_workgroup_info 0
		.amdhsa_system_vgpr_workitem_id 0
		.amdhsa_next_free_vgpr 29
		.amdhsa_next_free_sgpr 61
		.amdhsa_reserve_vcc 1
		.amdhsa_reserve_flat_scratch 0
		.amdhsa_float_round_mode_32 0
		.amdhsa_float_round_mode_16_64 0
		.amdhsa_float_denorm_mode_32 3
		.amdhsa_float_denorm_mode_16_64 3
		.amdhsa_dx10_clamp 1
		.amdhsa_ieee_mode 1
		.amdhsa_fp16_overflow 0
		.amdhsa_exception_fp_ieee_invalid_op 0
		.amdhsa_exception_fp_denorm_src 0
		.amdhsa_exception_fp_ieee_div_zero 0
		.amdhsa_exception_fp_ieee_overflow 0
		.amdhsa_exception_fp_ieee_underflow 0
		.amdhsa_exception_fp_ieee_inexact 0
		.amdhsa_exception_int_div_zero 0
	.end_amdhsa_kernel
	.section	.text._ZN7rocprim17ROCPRIM_400000_NS6detail17trampoline_kernelINS0_14default_configENS1_35adjacent_difference_config_selectorILb0EiEEZNS1_24adjacent_difference_implIS3_Lb0ELb0EPKiPiN6thrust23THRUST_200600_302600_NS4plusIiEEEE10hipError_tPvRmT2_T3_mT4_P12ihipStream_tbEUlT_E_NS1_11comp_targetILNS1_3genE2ELNS1_11target_archE906ELNS1_3gpuE6ELNS1_3repE0EEENS1_30default_config_static_selectorELNS0_4arch9wavefront6targetE1EEEvT1_,"axG",@progbits,_ZN7rocprim17ROCPRIM_400000_NS6detail17trampoline_kernelINS0_14default_configENS1_35adjacent_difference_config_selectorILb0EiEEZNS1_24adjacent_difference_implIS3_Lb0ELb0EPKiPiN6thrust23THRUST_200600_302600_NS4plusIiEEEE10hipError_tPvRmT2_T3_mT4_P12ihipStream_tbEUlT_E_NS1_11comp_targetILNS1_3genE2ELNS1_11target_archE906ELNS1_3gpuE6ELNS1_3repE0EEENS1_30default_config_static_selectorELNS0_4arch9wavefront6targetE1EEEvT1_,comdat
.Lfunc_end728:
	.size	_ZN7rocprim17ROCPRIM_400000_NS6detail17trampoline_kernelINS0_14default_configENS1_35adjacent_difference_config_selectorILb0EiEEZNS1_24adjacent_difference_implIS3_Lb0ELb0EPKiPiN6thrust23THRUST_200600_302600_NS4plusIiEEEE10hipError_tPvRmT2_T3_mT4_P12ihipStream_tbEUlT_E_NS1_11comp_targetILNS1_3genE2ELNS1_11target_archE906ELNS1_3gpuE6ELNS1_3repE0EEENS1_30default_config_static_selectorELNS0_4arch9wavefront6targetE1EEEvT1_, .Lfunc_end728-_ZN7rocprim17ROCPRIM_400000_NS6detail17trampoline_kernelINS0_14default_configENS1_35adjacent_difference_config_selectorILb0EiEEZNS1_24adjacent_difference_implIS3_Lb0ELb0EPKiPiN6thrust23THRUST_200600_302600_NS4plusIiEEEE10hipError_tPvRmT2_T3_mT4_P12ihipStream_tbEUlT_E_NS1_11comp_targetILNS1_3genE2ELNS1_11target_archE906ELNS1_3gpuE6ELNS1_3repE0EEENS1_30default_config_static_selectorELNS0_4arch9wavefront6targetE1EEEvT1_
                                        ; -- End function
	.set _ZN7rocprim17ROCPRIM_400000_NS6detail17trampoline_kernelINS0_14default_configENS1_35adjacent_difference_config_selectorILb0EiEEZNS1_24adjacent_difference_implIS3_Lb0ELb0EPKiPiN6thrust23THRUST_200600_302600_NS4plusIiEEEE10hipError_tPvRmT2_T3_mT4_P12ihipStream_tbEUlT_E_NS1_11comp_targetILNS1_3genE2ELNS1_11target_archE906ELNS1_3gpuE6ELNS1_3repE0EEENS1_30default_config_static_selectorELNS0_4arch9wavefront6targetE1EEEvT1_.num_vgpr, 17
	.set _ZN7rocprim17ROCPRIM_400000_NS6detail17trampoline_kernelINS0_14default_configENS1_35adjacent_difference_config_selectorILb0EiEEZNS1_24adjacent_difference_implIS3_Lb0ELb0EPKiPiN6thrust23THRUST_200600_302600_NS4plusIiEEEE10hipError_tPvRmT2_T3_mT4_P12ihipStream_tbEUlT_E_NS1_11comp_targetILNS1_3genE2ELNS1_11target_archE906ELNS1_3gpuE6ELNS1_3repE0EEENS1_30default_config_static_selectorELNS0_4arch9wavefront6targetE1EEEvT1_.num_agpr, 0
	.set _ZN7rocprim17ROCPRIM_400000_NS6detail17trampoline_kernelINS0_14default_configENS1_35adjacent_difference_config_selectorILb0EiEEZNS1_24adjacent_difference_implIS3_Lb0ELb0EPKiPiN6thrust23THRUST_200600_302600_NS4plusIiEEEE10hipError_tPvRmT2_T3_mT4_P12ihipStream_tbEUlT_E_NS1_11comp_targetILNS1_3genE2ELNS1_11target_archE906ELNS1_3gpuE6ELNS1_3repE0EEENS1_30default_config_static_selectorELNS0_4arch9wavefront6targetE1EEEvT1_.numbered_sgpr, 23
	.set _ZN7rocprim17ROCPRIM_400000_NS6detail17trampoline_kernelINS0_14default_configENS1_35adjacent_difference_config_selectorILb0EiEEZNS1_24adjacent_difference_implIS3_Lb0ELb0EPKiPiN6thrust23THRUST_200600_302600_NS4plusIiEEEE10hipError_tPvRmT2_T3_mT4_P12ihipStream_tbEUlT_E_NS1_11comp_targetILNS1_3genE2ELNS1_11target_archE906ELNS1_3gpuE6ELNS1_3repE0EEENS1_30default_config_static_selectorELNS0_4arch9wavefront6targetE1EEEvT1_.num_named_barrier, 0
	.set _ZN7rocprim17ROCPRIM_400000_NS6detail17trampoline_kernelINS0_14default_configENS1_35adjacent_difference_config_selectorILb0EiEEZNS1_24adjacent_difference_implIS3_Lb0ELb0EPKiPiN6thrust23THRUST_200600_302600_NS4plusIiEEEE10hipError_tPvRmT2_T3_mT4_P12ihipStream_tbEUlT_E_NS1_11comp_targetILNS1_3genE2ELNS1_11target_archE906ELNS1_3gpuE6ELNS1_3repE0EEENS1_30default_config_static_selectorELNS0_4arch9wavefront6targetE1EEEvT1_.private_seg_size, 0
	.set _ZN7rocprim17ROCPRIM_400000_NS6detail17trampoline_kernelINS0_14default_configENS1_35adjacent_difference_config_selectorILb0EiEEZNS1_24adjacent_difference_implIS3_Lb0ELb0EPKiPiN6thrust23THRUST_200600_302600_NS4plusIiEEEE10hipError_tPvRmT2_T3_mT4_P12ihipStream_tbEUlT_E_NS1_11comp_targetILNS1_3genE2ELNS1_11target_archE906ELNS1_3gpuE6ELNS1_3repE0EEENS1_30default_config_static_selectorELNS0_4arch9wavefront6targetE1EEEvT1_.uses_vcc, 1
	.set _ZN7rocprim17ROCPRIM_400000_NS6detail17trampoline_kernelINS0_14default_configENS1_35adjacent_difference_config_selectorILb0EiEEZNS1_24adjacent_difference_implIS3_Lb0ELb0EPKiPiN6thrust23THRUST_200600_302600_NS4plusIiEEEE10hipError_tPvRmT2_T3_mT4_P12ihipStream_tbEUlT_E_NS1_11comp_targetILNS1_3genE2ELNS1_11target_archE906ELNS1_3gpuE6ELNS1_3repE0EEENS1_30default_config_static_selectorELNS0_4arch9wavefront6targetE1EEEvT1_.uses_flat_scratch, 0
	.set _ZN7rocprim17ROCPRIM_400000_NS6detail17trampoline_kernelINS0_14default_configENS1_35adjacent_difference_config_selectorILb0EiEEZNS1_24adjacent_difference_implIS3_Lb0ELb0EPKiPiN6thrust23THRUST_200600_302600_NS4plusIiEEEE10hipError_tPvRmT2_T3_mT4_P12ihipStream_tbEUlT_E_NS1_11comp_targetILNS1_3genE2ELNS1_11target_archE906ELNS1_3gpuE6ELNS1_3repE0EEENS1_30default_config_static_selectorELNS0_4arch9wavefront6targetE1EEEvT1_.has_dyn_sized_stack, 0
	.set _ZN7rocprim17ROCPRIM_400000_NS6detail17trampoline_kernelINS0_14default_configENS1_35adjacent_difference_config_selectorILb0EiEEZNS1_24adjacent_difference_implIS3_Lb0ELb0EPKiPiN6thrust23THRUST_200600_302600_NS4plusIiEEEE10hipError_tPvRmT2_T3_mT4_P12ihipStream_tbEUlT_E_NS1_11comp_targetILNS1_3genE2ELNS1_11target_archE906ELNS1_3gpuE6ELNS1_3repE0EEENS1_30default_config_static_selectorELNS0_4arch9wavefront6targetE1EEEvT1_.has_recursion, 0
	.set _ZN7rocprim17ROCPRIM_400000_NS6detail17trampoline_kernelINS0_14default_configENS1_35adjacent_difference_config_selectorILb0EiEEZNS1_24adjacent_difference_implIS3_Lb0ELb0EPKiPiN6thrust23THRUST_200600_302600_NS4plusIiEEEE10hipError_tPvRmT2_T3_mT4_P12ihipStream_tbEUlT_E_NS1_11comp_targetILNS1_3genE2ELNS1_11target_archE906ELNS1_3gpuE6ELNS1_3repE0EEENS1_30default_config_static_selectorELNS0_4arch9wavefront6targetE1EEEvT1_.has_indirect_call, 0
	.section	.AMDGPU.csdata,"",@progbits
; Kernel info:
; codeLenInByte = 1800
; TotalNumSgprs: 27
; NumVgprs: 17
; ScratchSize: 0
; MemoryBound: 0
; FloatMode: 240
; IeeeMode: 1
; LDSByteSize: 20480 bytes/workgroup (compile time only)
; SGPRBlocks: 8
; VGPRBlocks: 7
; NumSGPRsForWavesPerEU: 65
; NumVGPRsForWavesPerEU: 29
; Occupancy: 8
; WaveLimiterHint : 1
; COMPUTE_PGM_RSRC2:SCRATCH_EN: 0
; COMPUTE_PGM_RSRC2:USER_SGPR: 6
; COMPUTE_PGM_RSRC2:TRAP_HANDLER: 0
; COMPUTE_PGM_RSRC2:TGID_X_EN: 1
; COMPUTE_PGM_RSRC2:TGID_Y_EN: 0
; COMPUTE_PGM_RSRC2:TGID_Z_EN: 0
; COMPUTE_PGM_RSRC2:TIDIG_COMP_CNT: 0
	.section	.text._ZN7rocprim17ROCPRIM_400000_NS6detail17trampoline_kernelINS0_14default_configENS1_35adjacent_difference_config_selectorILb0EiEEZNS1_24adjacent_difference_implIS3_Lb0ELb0EPKiPiN6thrust23THRUST_200600_302600_NS4plusIiEEEE10hipError_tPvRmT2_T3_mT4_P12ihipStream_tbEUlT_E_NS1_11comp_targetILNS1_3genE9ELNS1_11target_archE1100ELNS1_3gpuE3ELNS1_3repE0EEENS1_30default_config_static_selectorELNS0_4arch9wavefront6targetE1EEEvT1_,"axG",@progbits,_ZN7rocprim17ROCPRIM_400000_NS6detail17trampoline_kernelINS0_14default_configENS1_35adjacent_difference_config_selectorILb0EiEEZNS1_24adjacent_difference_implIS3_Lb0ELb0EPKiPiN6thrust23THRUST_200600_302600_NS4plusIiEEEE10hipError_tPvRmT2_T3_mT4_P12ihipStream_tbEUlT_E_NS1_11comp_targetILNS1_3genE9ELNS1_11target_archE1100ELNS1_3gpuE3ELNS1_3repE0EEENS1_30default_config_static_selectorELNS0_4arch9wavefront6targetE1EEEvT1_,comdat
	.protected	_ZN7rocprim17ROCPRIM_400000_NS6detail17trampoline_kernelINS0_14default_configENS1_35adjacent_difference_config_selectorILb0EiEEZNS1_24adjacent_difference_implIS3_Lb0ELb0EPKiPiN6thrust23THRUST_200600_302600_NS4plusIiEEEE10hipError_tPvRmT2_T3_mT4_P12ihipStream_tbEUlT_E_NS1_11comp_targetILNS1_3genE9ELNS1_11target_archE1100ELNS1_3gpuE3ELNS1_3repE0EEENS1_30default_config_static_selectorELNS0_4arch9wavefront6targetE1EEEvT1_ ; -- Begin function _ZN7rocprim17ROCPRIM_400000_NS6detail17trampoline_kernelINS0_14default_configENS1_35adjacent_difference_config_selectorILb0EiEEZNS1_24adjacent_difference_implIS3_Lb0ELb0EPKiPiN6thrust23THRUST_200600_302600_NS4plusIiEEEE10hipError_tPvRmT2_T3_mT4_P12ihipStream_tbEUlT_E_NS1_11comp_targetILNS1_3genE9ELNS1_11target_archE1100ELNS1_3gpuE3ELNS1_3repE0EEENS1_30default_config_static_selectorELNS0_4arch9wavefront6targetE1EEEvT1_
	.globl	_ZN7rocprim17ROCPRIM_400000_NS6detail17trampoline_kernelINS0_14default_configENS1_35adjacent_difference_config_selectorILb0EiEEZNS1_24adjacent_difference_implIS3_Lb0ELb0EPKiPiN6thrust23THRUST_200600_302600_NS4plusIiEEEE10hipError_tPvRmT2_T3_mT4_P12ihipStream_tbEUlT_E_NS1_11comp_targetILNS1_3genE9ELNS1_11target_archE1100ELNS1_3gpuE3ELNS1_3repE0EEENS1_30default_config_static_selectorELNS0_4arch9wavefront6targetE1EEEvT1_
	.p2align	8
	.type	_ZN7rocprim17ROCPRIM_400000_NS6detail17trampoline_kernelINS0_14default_configENS1_35adjacent_difference_config_selectorILb0EiEEZNS1_24adjacent_difference_implIS3_Lb0ELb0EPKiPiN6thrust23THRUST_200600_302600_NS4plusIiEEEE10hipError_tPvRmT2_T3_mT4_P12ihipStream_tbEUlT_E_NS1_11comp_targetILNS1_3genE9ELNS1_11target_archE1100ELNS1_3gpuE3ELNS1_3repE0EEENS1_30default_config_static_selectorELNS0_4arch9wavefront6targetE1EEEvT1_,@function
_ZN7rocprim17ROCPRIM_400000_NS6detail17trampoline_kernelINS0_14default_configENS1_35adjacent_difference_config_selectorILb0EiEEZNS1_24adjacent_difference_implIS3_Lb0ELb0EPKiPiN6thrust23THRUST_200600_302600_NS4plusIiEEEE10hipError_tPvRmT2_T3_mT4_P12ihipStream_tbEUlT_E_NS1_11comp_targetILNS1_3genE9ELNS1_11target_archE1100ELNS1_3gpuE3ELNS1_3repE0EEENS1_30default_config_static_selectorELNS0_4arch9wavefront6targetE1EEEvT1_: ; @_ZN7rocprim17ROCPRIM_400000_NS6detail17trampoline_kernelINS0_14default_configENS1_35adjacent_difference_config_selectorILb0EiEEZNS1_24adjacent_difference_implIS3_Lb0ELb0EPKiPiN6thrust23THRUST_200600_302600_NS4plusIiEEEE10hipError_tPvRmT2_T3_mT4_P12ihipStream_tbEUlT_E_NS1_11comp_targetILNS1_3genE9ELNS1_11target_archE1100ELNS1_3gpuE3ELNS1_3repE0EEENS1_30default_config_static_selectorELNS0_4arch9wavefront6targetE1EEEvT1_
; %bb.0:
	.section	.rodata,"a",@progbits
	.p2align	6, 0x0
	.amdhsa_kernel _ZN7rocprim17ROCPRIM_400000_NS6detail17trampoline_kernelINS0_14default_configENS1_35adjacent_difference_config_selectorILb0EiEEZNS1_24adjacent_difference_implIS3_Lb0ELb0EPKiPiN6thrust23THRUST_200600_302600_NS4plusIiEEEE10hipError_tPvRmT2_T3_mT4_P12ihipStream_tbEUlT_E_NS1_11comp_targetILNS1_3genE9ELNS1_11target_archE1100ELNS1_3gpuE3ELNS1_3repE0EEENS1_30default_config_static_selectorELNS0_4arch9wavefront6targetE1EEEvT1_
		.amdhsa_group_segment_fixed_size 0
		.amdhsa_private_segment_fixed_size 0
		.amdhsa_kernarg_size 56
		.amdhsa_user_sgpr_count 6
		.amdhsa_user_sgpr_private_segment_buffer 1
		.amdhsa_user_sgpr_dispatch_ptr 0
		.amdhsa_user_sgpr_queue_ptr 0
		.amdhsa_user_sgpr_kernarg_segment_ptr 1
		.amdhsa_user_sgpr_dispatch_id 0
		.amdhsa_user_sgpr_flat_scratch_init 0
		.amdhsa_user_sgpr_private_segment_size 0
		.amdhsa_uses_dynamic_stack 0
		.amdhsa_system_sgpr_private_segment_wavefront_offset 0
		.amdhsa_system_sgpr_workgroup_id_x 1
		.amdhsa_system_sgpr_workgroup_id_y 0
		.amdhsa_system_sgpr_workgroup_id_z 0
		.amdhsa_system_sgpr_workgroup_info 0
		.amdhsa_system_vgpr_workitem_id 0
		.amdhsa_next_free_vgpr 1
		.amdhsa_next_free_sgpr 0
		.amdhsa_reserve_vcc 0
		.amdhsa_reserve_flat_scratch 0
		.amdhsa_float_round_mode_32 0
		.amdhsa_float_round_mode_16_64 0
		.amdhsa_float_denorm_mode_32 3
		.amdhsa_float_denorm_mode_16_64 3
		.amdhsa_dx10_clamp 1
		.amdhsa_ieee_mode 1
		.amdhsa_fp16_overflow 0
		.amdhsa_exception_fp_ieee_invalid_op 0
		.amdhsa_exception_fp_denorm_src 0
		.amdhsa_exception_fp_ieee_div_zero 0
		.amdhsa_exception_fp_ieee_overflow 0
		.amdhsa_exception_fp_ieee_underflow 0
		.amdhsa_exception_fp_ieee_inexact 0
		.amdhsa_exception_int_div_zero 0
	.end_amdhsa_kernel
	.section	.text._ZN7rocprim17ROCPRIM_400000_NS6detail17trampoline_kernelINS0_14default_configENS1_35adjacent_difference_config_selectorILb0EiEEZNS1_24adjacent_difference_implIS3_Lb0ELb0EPKiPiN6thrust23THRUST_200600_302600_NS4plusIiEEEE10hipError_tPvRmT2_T3_mT4_P12ihipStream_tbEUlT_E_NS1_11comp_targetILNS1_3genE9ELNS1_11target_archE1100ELNS1_3gpuE3ELNS1_3repE0EEENS1_30default_config_static_selectorELNS0_4arch9wavefront6targetE1EEEvT1_,"axG",@progbits,_ZN7rocprim17ROCPRIM_400000_NS6detail17trampoline_kernelINS0_14default_configENS1_35adjacent_difference_config_selectorILb0EiEEZNS1_24adjacent_difference_implIS3_Lb0ELb0EPKiPiN6thrust23THRUST_200600_302600_NS4plusIiEEEE10hipError_tPvRmT2_T3_mT4_P12ihipStream_tbEUlT_E_NS1_11comp_targetILNS1_3genE9ELNS1_11target_archE1100ELNS1_3gpuE3ELNS1_3repE0EEENS1_30default_config_static_selectorELNS0_4arch9wavefront6targetE1EEEvT1_,comdat
.Lfunc_end729:
	.size	_ZN7rocprim17ROCPRIM_400000_NS6detail17trampoline_kernelINS0_14default_configENS1_35adjacent_difference_config_selectorILb0EiEEZNS1_24adjacent_difference_implIS3_Lb0ELb0EPKiPiN6thrust23THRUST_200600_302600_NS4plusIiEEEE10hipError_tPvRmT2_T3_mT4_P12ihipStream_tbEUlT_E_NS1_11comp_targetILNS1_3genE9ELNS1_11target_archE1100ELNS1_3gpuE3ELNS1_3repE0EEENS1_30default_config_static_selectorELNS0_4arch9wavefront6targetE1EEEvT1_, .Lfunc_end729-_ZN7rocprim17ROCPRIM_400000_NS6detail17trampoline_kernelINS0_14default_configENS1_35adjacent_difference_config_selectorILb0EiEEZNS1_24adjacent_difference_implIS3_Lb0ELb0EPKiPiN6thrust23THRUST_200600_302600_NS4plusIiEEEE10hipError_tPvRmT2_T3_mT4_P12ihipStream_tbEUlT_E_NS1_11comp_targetILNS1_3genE9ELNS1_11target_archE1100ELNS1_3gpuE3ELNS1_3repE0EEENS1_30default_config_static_selectorELNS0_4arch9wavefront6targetE1EEEvT1_
                                        ; -- End function
	.set _ZN7rocprim17ROCPRIM_400000_NS6detail17trampoline_kernelINS0_14default_configENS1_35adjacent_difference_config_selectorILb0EiEEZNS1_24adjacent_difference_implIS3_Lb0ELb0EPKiPiN6thrust23THRUST_200600_302600_NS4plusIiEEEE10hipError_tPvRmT2_T3_mT4_P12ihipStream_tbEUlT_E_NS1_11comp_targetILNS1_3genE9ELNS1_11target_archE1100ELNS1_3gpuE3ELNS1_3repE0EEENS1_30default_config_static_selectorELNS0_4arch9wavefront6targetE1EEEvT1_.num_vgpr, 0
	.set _ZN7rocprim17ROCPRIM_400000_NS6detail17trampoline_kernelINS0_14default_configENS1_35adjacent_difference_config_selectorILb0EiEEZNS1_24adjacent_difference_implIS3_Lb0ELb0EPKiPiN6thrust23THRUST_200600_302600_NS4plusIiEEEE10hipError_tPvRmT2_T3_mT4_P12ihipStream_tbEUlT_E_NS1_11comp_targetILNS1_3genE9ELNS1_11target_archE1100ELNS1_3gpuE3ELNS1_3repE0EEENS1_30default_config_static_selectorELNS0_4arch9wavefront6targetE1EEEvT1_.num_agpr, 0
	.set _ZN7rocprim17ROCPRIM_400000_NS6detail17trampoline_kernelINS0_14default_configENS1_35adjacent_difference_config_selectorILb0EiEEZNS1_24adjacent_difference_implIS3_Lb0ELb0EPKiPiN6thrust23THRUST_200600_302600_NS4plusIiEEEE10hipError_tPvRmT2_T3_mT4_P12ihipStream_tbEUlT_E_NS1_11comp_targetILNS1_3genE9ELNS1_11target_archE1100ELNS1_3gpuE3ELNS1_3repE0EEENS1_30default_config_static_selectorELNS0_4arch9wavefront6targetE1EEEvT1_.numbered_sgpr, 0
	.set _ZN7rocprim17ROCPRIM_400000_NS6detail17trampoline_kernelINS0_14default_configENS1_35adjacent_difference_config_selectorILb0EiEEZNS1_24adjacent_difference_implIS3_Lb0ELb0EPKiPiN6thrust23THRUST_200600_302600_NS4plusIiEEEE10hipError_tPvRmT2_T3_mT4_P12ihipStream_tbEUlT_E_NS1_11comp_targetILNS1_3genE9ELNS1_11target_archE1100ELNS1_3gpuE3ELNS1_3repE0EEENS1_30default_config_static_selectorELNS0_4arch9wavefront6targetE1EEEvT1_.num_named_barrier, 0
	.set _ZN7rocprim17ROCPRIM_400000_NS6detail17trampoline_kernelINS0_14default_configENS1_35adjacent_difference_config_selectorILb0EiEEZNS1_24adjacent_difference_implIS3_Lb0ELb0EPKiPiN6thrust23THRUST_200600_302600_NS4plusIiEEEE10hipError_tPvRmT2_T3_mT4_P12ihipStream_tbEUlT_E_NS1_11comp_targetILNS1_3genE9ELNS1_11target_archE1100ELNS1_3gpuE3ELNS1_3repE0EEENS1_30default_config_static_selectorELNS0_4arch9wavefront6targetE1EEEvT1_.private_seg_size, 0
	.set _ZN7rocprim17ROCPRIM_400000_NS6detail17trampoline_kernelINS0_14default_configENS1_35adjacent_difference_config_selectorILb0EiEEZNS1_24adjacent_difference_implIS3_Lb0ELb0EPKiPiN6thrust23THRUST_200600_302600_NS4plusIiEEEE10hipError_tPvRmT2_T3_mT4_P12ihipStream_tbEUlT_E_NS1_11comp_targetILNS1_3genE9ELNS1_11target_archE1100ELNS1_3gpuE3ELNS1_3repE0EEENS1_30default_config_static_selectorELNS0_4arch9wavefront6targetE1EEEvT1_.uses_vcc, 0
	.set _ZN7rocprim17ROCPRIM_400000_NS6detail17trampoline_kernelINS0_14default_configENS1_35adjacent_difference_config_selectorILb0EiEEZNS1_24adjacent_difference_implIS3_Lb0ELb0EPKiPiN6thrust23THRUST_200600_302600_NS4plusIiEEEE10hipError_tPvRmT2_T3_mT4_P12ihipStream_tbEUlT_E_NS1_11comp_targetILNS1_3genE9ELNS1_11target_archE1100ELNS1_3gpuE3ELNS1_3repE0EEENS1_30default_config_static_selectorELNS0_4arch9wavefront6targetE1EEEvT1_.uses_flat_scratch, 0
	.set _ZN7rocprim17ROCPRIM_400000_NS6detail17trampoline_kernelINS0_14default_configENS1_35adjacent_difference_config_selectorILb0EiEEZNS1_24adjacent_difference_implIS3_Lb0ELb0EPKiPiN6thrust23THRUST_200600_302600_NS4plusIiEEEE10hipError_tPvRmT2_T3_mT4_P12ihipStream_tbEUlT_E_NS1_11comp_targetILNS1_3genE9ELNS1_11target_archE1100ELNS1_3gpuE3ELNS1_3repE0EEENS1_30default_config_static_selectorELNS0_4arch9wavefront6targetE1EEEvT1_.has_dyn_sized_stack, 0
	.set _ZN7rocprim17ROCPRIM_400000_NS6detail17trampoline_kernelINS0_14default_configENS1_35adjacent_difference_config_selectorILb0EiEEZNS1_24adjacent_difference_implIS3_Lb0ELb0EPKiPiN6thrust23THRUST_200600_302600_NS4plusIiEEEE10hipError_tPvRmT2_T3_mT4_P12ihipStream_tbEUlT_E_NS1_11comp_targetILNS1_3genE9ELNS1_11target_archE1100ELNS1_3gpuE3ELNS1_3repE0EEENS1_30default_config_static_selectorELNS0_4arch9wavefront6targetE1EEEvT1_.has_recursion, 0
	.set _ZN7rocprim17ROCPRIM_400000_NS6detail17trampoline_kernelINS0_14default_configENS1_35adjacent_difference_config_selectorILb0EiEEZNS1_24adjacent_difference_implIS3_Lb0ELb0EPKiPiN6thrust23THRUST_200600_302600_NS4plusIiEEEE10hipError_tPvRmT2_T3_mT4_P12ihipStream_tbEUlT_E_NS1_11comp_targetILNS1_3genE9ELNS1_11target_archE1100ELNS1_3gpuE3ELNS1_3repE0EEENS1_30default_config_static_selectorELNS0_4arch9wavefront6targetE1EEEvT1_.has_indirect_call, 0
	.section	.AMDGPU.csdata,"",@progbits
; Kernel info:
; codeLenInByte = 0
; TotalNumSgprs: 4
; NumVgprs: 0
; ScratchSize: 0
; MemoryBound: 0
; FloatMode: 240
; IeeeMode: 1
; LDSByteSize: 0 bytes/workgroup (compile time only)
; SGPRBlocks: 0
; VGPRBlocks: 0
; NumSGPRsForWavesPerEU: 4
; NumVGPRsForWavesPerEU: 1
; Occupancy: 10
; WaveLimiterHint : 0
; COMPUTE_PGM_RSRC2:SCRATCH_EN: 0
; COMPUTE_PGM_RSRC2:USER_SGPR: 6
; COMPUTE_PGM_RSRC2:TRAP_HANDLER: 0
; COMPUTE_PGM_RSRC2:TGID_X_EN: 1
; COMPUTE_PGM_RSRC2:TGID_Y_EN: 0
; COMPUTE_PGM_RSRC2:TGID_Z_EN: 0
; COMPUTE_PGM_RSRC2:TIDIG_COMP_CNT: 0
	.section	.text._ZN7rocprim17ROCPRIM_400000_NS6detail17trampoline_kernelINS0_14default_configENS1_35adjacent_difference_config_selectorILb0EiEEZNS1_24adjacent_difference_implIS3_Lb0ELb0EPKiPiN6thrust23THRUST_200600_302600_NS4plusIiEEEE10hipError_tPvRmT2_T3_mT4_P12ihipStream_tbEUlT_E_NS1_11comp_targetILNS1_3genE8ELNS1_11target_archE1030ELNS1_3gpuE2ELNS1_3repE0EEENS1_30default_config_static_selectorELNS0_4arch9wavefront6targetE1EEEvT1_,"axG",@progbits,_ZN7rocprim17ROCPRIM_400000_NS6detail17trampoline_kernelINS0_14default_configENS1_35adjacent_difference_config_selectorILb0EiEEZNS1_24adjacent_difference_implIS3_Lb0ELb0EPKiPiN6thrust23THRUST_200600_302600_NS4plusIiEEEE10hipError_tPvRmT2_T3_mT4_P12ihipStream_tbEUlT_E_NS1_11comp_targetILNS1_3genE8ELNS1_11target_archE1030ELNS1_3gpuE2ELNS1_3repE0EEENS1_30default_config_static_selectorELNS0_4arch9wavefront6targetE1EEEvT1_,comdat
	.protected	_ZN7rocprim17ROCPRIM_400000_NS6detail17trampoline_kernelINS0_14default_configENS1_35adjacent_difference_config_selectorILb0EiEEZNS1_24adjacent_difference_implIS3_Lb0ELb0EPKiPiN6thrust23THRUST_200600_302600_NS4plusIiEEEE10hipError_tPvRmT2_T3_mT4_P12ihipStream_tbEUlT_E_NS1_11comp_targetILNS1_3genE8ELNS1_11target_archE1030ELNS1_3gpuE2ELNS1_3repE0EEENS1_30default_config_static_selectorELNS0_4arch9wavefront6targetE1EEEvT1_ ; -- Begin function _ZN7rocprim17ROCPRIM_400000_NS6detail17trampoline_kernelINS0_14default_configENS1_35adjacent_difference_config_selectorILb0EiEEZNS1_24adjacent_difference_implIS3_Lb0ELb0EPKiPiN6thrust23THRUST_200600_302600_NS4plusIiEEEE10hipError_tPvRmT2_T3_mT4_P12ihipStream_tbEUlT_E_NS1_11comp_targetILNS1_3genE8ELNS1_11target_archE1030ELNS1_3gpuE2ELNS1_3repE0EEENS1_30default_config_static_selectorELNS0_4arch9wavefront6targetE1EEEvT1_
	.globl	_ZN7rocprim17ROCPRIM_400000_NS6detail17trampoline_kernelINS0_14default_configENS1_35adjacent_difference_config_selectorILb0EiEEZNS1_24adjacent_difference_implIS3_Lb0ELb0EPKiPiN6thrust23THRUST_200600_302600_NS4plusIiEEEE10hipError_tPvRmT2_T3_mT4_P12ihipStream_tbEUlT_E_NS1_11comp_targetILNS1_3genE8ELNS1_11target_archE1030ELNS1_3gpuE2ELNS1_3repE0EEENS1_30default_config_static_selectorELNS0_4arch9wavefront6targetE1EEEvT1_
	.p2align	8
	.type	_ZN7rocprim17ROCPRIM_400000_NS6detail17trampoline_kernelINS0_14default_configENS1_35adjacent_difference_config_selectorILb0EiEEZNS1_24adjacent_difference_implIS3_Lb0ELb0EPKiPiN6thrust23THRUST_200600_302600_NS4plusIiEEEE10hipError_tPvRmT2_T3_mT4_P12ihipStream_tbEUlT_E_NS1_11comp_targetILNS1_3genE8ELNS1_11target_archE1030ELNS1_3gpuE2ELNS1_3repE0EEENS1_30default_config_static_selectorELNS0_4arch9wavefront6targetE1EEEvT1_,@function
_ZN7rocprim17ROCPRIM_400000_NS6detail17trampoline_kernelINS0_14default_configENS1_35adjacent_difference_config_selectorILb0EiEEZNS1_24adjacent_difference_implIS3_Lb0ELb0EPKiPiN6thrust23THRUST_200600_302600_NS4plusIiEEEE10hipError_tPvRmT2_T3_mT4_P12ihipStream_tbEUlT_E_NS1_11comp_targetILNS1_3genE8ELNS1_11target_archE1030ELNS1_3gpuE2ELNS1_3repE0EEENS1_30default_config_static_selectorELNS0_4arch9wavefront6targetE1EEEvT1_: ; @_ZN7rocprim17ROCPRIM_400000_NS6detail17trampoline_kernelINS0_14default_configENS1_35adjacent_difference_config_selectorILb0EiEEZNS1_24adjacent_difference_implIS3_Lb0ELb0EPKiPiN6thrust23THRUST_200600_302600_NS4plusIiEEEE10hipError_tPvRmT2_T3_mT4_P12ihipStream_tbEUlT_E_NS1_11comp_targetILNS1_3genE8ELNS1_11target_archE1030ELNS1_3gpuE2ELNS1_3repE0EEENS1_30default_config_static_selectorELNS0_4arch9wavefront6targetE1EEEvT1_
; %bb.0:
	.section	.rodata,"a",@progbits
	.p2align	6, 0x0
	.amdhsa_kernel _ZN7rocprim17ROCPRIM_400000_NS6detail17trampoline_kernelINS0_14default_configENS1_35adjacent_difference_config_selectorILb0EiEEZNS1_24adjacent_difference_implIS3_Lb0ELb0EPKiPiN6thrust23THRUST_200600_302600_NS4plusIiEEEE10hipError_tPvRmT2_T3_mT4_P12ihipStream_tbEUlT_E_NS1_11comp_targetILNS1_3genE8ELNS1_11target_archE1030ELNS1_3gpuE2ELNS1_3repE0EEENS1_30default_config_static_selectorELNS0_4arch9wavefront6targetE1EEEvT1_
		.amdhsa_group_segment_fixed_size 0
		.amdhsa_private_segment_fixed_size 0
		.amdhsa_kernarg_size 56
		.amdhsa_user_sgpr_count 6
		.amdhsa_user_sgpr_private_segment_buffer 1
		.amdhsa_user_sgpr_dispatch_ptr 0
		.amdhsa_user_sgpr_queue_ptr 0
		.amdhsa_user_sgpr_kernarg_segment_ptr 1
		.amdhsa_user_sgpr_dispatch_id 0
		.amdhsa_user_sgpr_flat_scratch_init 0
		.amdhsa_user_sgpr_private_segment_size 0
		.amdhsa_uses_dynamic_stack 0
		.amdhsa_system_sgpr_private_segment_wavefront_offset 0
		.amdhsa_system_sgpr_workgroup_id_x 1
		.amdhsa_system_sgpr_workgroup_id_y 0
		.amdhsa_system_sgpr_workgroup_id_z 0
		.amdhsa_system_sgpr_workgroup_info 0
		.amdhsa_system_vgpr_workitem_id 0
		.amdhsa_next_free_vgpr 1
		.amdhsa_next_free_sgpr 0
		.amdhsa_reserve_vcc 0
		.amdhsa_reserve_flat_scratch 0
		.amdhsa_float_round_mode_32 0
		.amdhsa_float_round_mode_16_64 0
		.amdhsa_float_denorm_mode_32 3
		.amdhsa_float_denorm_mode_16_64 3
		.amdhsa_dx10_clamp 1
		.amdhsa_ieee_mode 1
		.amdhsa_fp16_overflow 0
		.amdhsa_exception_fp_ieee_invalid_op 0
		.amdhsa_exception_fp_denorm_src 0
		.amdhsa_exception_fp_ieee_div_zero 0
		.amdhsa_exception_fp_ieee_overflow 0
		.amdhsa_exception_fp_ieee_underflow 0
		.amdhsa_exception_fp_ieee_inexact 0
		.amdhsa_exception_int_div_zero 0
	.end_amdhsa_kernel
	.section	.text._ZN7rocprim17ROCPRIM_400000_NS6detail17trampoline_kernelINS0_14default_configENS1_35adjacent_difference_config_selectorILb0EiEEZNS1_24adjacent_difference_implIS3_Lb0ELb0EPKiPiN6thrust23THRUST_200600_302600_NS4plusIiEEEE10hipError_tPvRmT2_T3_mT4_P12ihipStream_tbEUlT_E_NS1_11comp_targetILNS1_3genE8ELNS1_11target_archE1030ELNS1_3gpuE2ELNS1_3repE0EEENS1_30default_config_static_selectorELNS0_4arch9wavefront6targetE1EEEvT1_,"axG",@progbits,_ZN7rocprim17ROCPRIM_400000_NS6detail17trampoline_kernelINS0_14default_configENS1_35adjacent_difference_config_selectorILb0EiEEZNS1_24adjacent_difference_implIS3_Lb0ELb0EPKiPiN6thrust23THRUST_200600_302600_NS4plusIiEEEE10hipError_tPvRmT2_T3_mT4_P12ihipStream_tbEUlT_E_NS1_11comp_targetILNS1_3genE8ELNS1_11target_archE1030ELNS1_3gpuE2ELNS1_3repE0EEENS1_30default_config_static_selectorELNS0_4arch9wavefront6targetE1EEEvT1_,comdat
.Lfunc_end730:
	.size	_ZN7rocprim17ROCPRIM_400000_NS6detail17trampoline_kernelINS0_14default_configENS1_35adjacent_difference_config_selectorILb0EiEEZNS1_24adjacent_difference_implIS3_Lb0ELb0EPKiPiN6thrust23THRUST_200600_302600_NS4plusIiEEEE10hipError_tPvRmT2_T3_mT4_P12ihipStream_tbEUlT_E_NS1_11comp_targetILNS1_3genE8ELNS1_11target_archE1030ELNS1_3gpuE2ELNS1_3repE0EEENS1_30default_config_static_selectorELNS0_4arch9wavefront6targetE1EEEvT1_, .Lfunc_end730-_ZN7rocprim17ROCPRIM_400000_NS6detail17trampoline_kernelINS0_14default_configENS1_35adjacent_difference_config_selectorILb0EiEEZNS1_24adjacent_difference_implIS3_Lb0ELb0EPKiPiN6thrust23THRUST_200600_302600_NS4plusIiEEEE10hipError_tPvRmT2_T3_mT4_P12ihipStream_tbEUlT_E_NS1_11comp_targetILNS1_3genE8ELNS1_11target_archE1030ELNS1_3gpuE2ELNS1_3repE0EEENS1_30default_config_static_selectorELNS0_4arch9wavefront6targetE1EEEvT1_
                                        ; -- End function
	.set _ZN7rocprim17ROCPRIM_400000_NS6detail17trampoline_kernelINS0_14default_configENS1_35adjacent_difference_config_selectorILb0EiEEZNS1_24adjacent_difference_implIS3_Lb0ELb0EPKiPiN6thrust23THRUST_200600_302600_NS4plusIiEEEE10hipError_tPvRmT2_T3_mT4_P12ihipStream_tbEUlT_E_NS1_11comp_targetILNS1_3genE8ELNS1_11target_archE1030ELNS1_3gpuE2ELNS1_3repE0EEENS1_30default_config_static_selectorELNS0_4arch9wavefront6targetE1EEEvT1_.num_vgpr, 0
	.set _ZN7rocprim17ROCPRIM_400000_NS6detail17trampoline_kernelINS0_14default_configENS1_35adjacent_difference_config_selectorILb0EiEEZNS1_24adjacent_difference_implIS3_Lb0ELb0EPKiPiN6thrust23THRUST_200600_302600_NS4plusIiEEEE10hipError_tPvRmT2_T3_mT4_P12ihipStream_tbEUlT_E_NS1_11comp_targetILNS1_3genE8ELNS1_11target_archE1030ELNS1_3gpuE2ELNS1_3repE0EEENS1_30default_config_static_selectorELNS0_4arch9wavefront6targetE1EEEvT1_.num_agpr, 0
	.set _ZN7rocprim17ROCPRIM_400000_NS6detail17trampoline_kernelINS0_14default_configENS1_35adjacent_difference_config_selectorILb0EiEEZNS1_24adjacent_difference_implIS3_Lb0ELb0EPKiPiN6thrust23THRUST_200600_302600_NS4plusIiEEEE10hipError_tPvRmT2_T3_mT4_P12ihipStream_tbEUlT_E_NS1_11comp_targetILNS1_3genE8ELNS1_11target_archE1030ELNS1_3gpuE2ELNS1_3repE0EEENS1_30default_config_static_selectorELNS0_4arch9wavefront6targetE1EEEvT1_.numbered_sgpr, 0
	.set _ZN7rocprim17ROCPRIM_400000_NS6detail17trampoline_kernelINS0_14default_configENS1_35adjacent_difference_config_selectorILb0EiEEZNS1_24adjacent_difference_implIS3_Lb0ELb0EPKiPiN6thrust23THRUST_200600_302600_NS4plusIiEEEE10hipError_tPvRmT2_T3_mT4_P12ihipStream_tbEUlT_E_NS1_11comp_targetILNS1_3genE8ELNS1_11target_archE1030ELNS1_3gpuE2ELNS1_3repE0EEENS1_30default_config_static_selectorELNS0_4arch9wavefront6targetE1EEEvT1_.num_named_barrier, 0
	.set _ZN7rocprim17ROCPRIM_400000_NS6detail17trampoline_kernelINS0_14default_configENS1_35adjacent_difference_config_selectorILb0EiEEZNS1_24adjacent_difference_implIS3_Lb0ELb0EPKiPiN6thrust23THRUST_200600_302600_NS4plusIiEEEE10hipError_tPvRmT2_T3_mT4_P12ihipStream_tbEUlT_E_NS1_11comp_targetILNS1_3genE8ELNS1_11target_archE1030ELNS1_3gpuE2ELNS1_3repE0EEENS1_30default_config_static_selectorELNS0_4arch9wavefront6targetE1EEEvT1_.private_seg_size, 0
	.set _ZN7rocprim17ROCPRIM_400000_NS6detail17trampoline_kernelINS0_14default_configENS1_35adjacent_difference_config_selectorILb0EiEEZNS1_24adjacent_difference_implIS3_Lb0ELb0EPKiPiN6thrust23THRUST_200600_302600_NS4plusIiEEEE10hipError_tPvRmT2_T3_mT4_P12ihipStream_tbEUlT_E_NS1_11comp_targetILNS1_3genE8ELNS1_11target_archE1030ELNS1_3gpuE2ELNS1_3repE0EEENS1_30default_config_static_selectorELNS0_4arch9wavefront6targetE1EEEvT1_.uses_vcc, 0
	.set _ZN7rocprim17ROCPRIM_400000_NS6detail17trampoline_kernelINS0_14default_configENS1_35adjacent_difference_config_selectorILb0EiEEZNS1_24adjacent_difference_implIS3_Lb0ELb0EPKiPiN6thrust23THRUST_200600_302600_NS4plusIiEEEE10hipError_tPvRmT2_T3_mT4_P12ihipStream_tbEUlT_E_NS1_11comp_targetILNS1_3genE8ELNS1_11target_archE1030ELNS1_3gpuE2ELNS1_3repE0EEENS1_30default_config_static_selectorELNS0_4arch9wavefront6targetE1EEEvT1_.uses_flat_scratch, 0
	.set _ZN7rocprim17ROCPRIM_400000_NS6detail17trampoline_kernelINS0_14default_configENS1_35adjacent_difference_config_selectorILb0EiEEZNS1_24adjacent_difference_implIS3_Lb0ELb0EPKiPiN6thrust23THRUST_200600_302600_NS4plusIiEEEE10hipError_tPvRmT2_T3_mT4_P12ihipStream_tbEUlT_E_NS1_11comp_targetILNS1_3genE8ELNS1_11target_archE1030ELNS1_3gpuE2ELNS1_3repE0EEENS1_30default_config_static_selectorELNS0_4arch9wavefront6targetE1EEEvT1_.has_dyn_sized_stack, 0
	.set _ZN7rocprim17ROCPRIM_400000_NS6detail17trampoline_kernelINS0_14default_configENS1_35adjacent_difference_config_selectorILb0EiEEZNS1_24adjacent_difference_implIS3_Lb0ELb0EPKiPiN6thrust23THRUST_200600_302600_NS4plusIiEEEE10hipError_tPvRmT2_T3_mT4_P12ihipStream_tbEUlT_E_NS1_11comp_targetILNS1_3genE8ELNS1_11target_archE1030ELNS1_3gpuE2ELNS1_3repE0EEENS1_30default_config_static_selectorELNS0_4arch9wavefront6targetE1EEEvT1_.has_recursion, 0
	.set _ZN7rocprim17ROCPRIM_400000_NS6detail17trampoline_kernelINS0_14default_configENS1_35adjacent_difference_config_selectorILb0EiEEZNS1_24adjacent_difference_implIS3_Lb0ELb0EPKiPiN6thrust23THRUST_200600_302600_NS4plusIiEEEE10hipError_tPvRmT2_T3_mT4_P12ihipStream_tbEUlT_E_NS1_11comp_targetILNS1_3genE8ELNS1_11target_archE1030ELNS1_3gpuE2ELNS1_3repE0EEENS1_30default_config_static_selectorELNS0_4arch9wavefront6targetE1EEEvT1_.has_indirect_call, 0
	.section	.AMDGPU.csdata,"",@progbits
; Kernel info:
; codeLenInByte = 0
; TotalNumSgprs: 4
; NumVgprs: 0
; ScratchSize: 0
; MemoryBound: 0
; FloatMode: 240
; IeeeMode: 1
; LDSByteSize: 0 bytes/workgroup (compile time only)
; SGPRBlocks: 0
; VGPRBlocks: 0
; NumSGPRsForWavesPerEU: 4
; NumVGPRsForWavesPerEU: 1
; Occupancy: 10
; WaveLimiterHint : 0
; COMPUTE_PGM_RSRC2:SCRATCH_EN: 0
; COMPUTE_PGM_RSRC2:USER_SGPR: 6
; COMPUTE_PGM_RSRC2:TRAP_HANDLER: 0
; COMPUTE_PGM_RSRC2:TGID_X_EN: 1
; COMPUTE_PGM_RSRC2:TGID_Y_EN: 0
; COMPUTE_PGM_RSRC2:TGID_Z_EN: 0
; COMPUTE_PGM_RSRC2:TIDIG_COMP_CNT: 0
	.section	.text._ZN7rocprim17ROCPRIM_400000_NS6detail17trampoline_kernelINS0_14default_configENS1_25transform_config_selectorIiLb0EEEZNS1_14transform_implILb0ES3_S5_NS0_18transform_iteratorINS0_17counting_iteratorImlEEZNS1_24adjacent_difference_implIS3_Lb1ELb0EPKiPiN6thrust23THRUST_200600_302600_NS4plusIiEEEE10hipError_tPvRmT2_T3_mT4_P12ihipStream_tbEUlmE_iEESD_NS0_8identityIvEEEESI_SL_SM_mSN_SP_bEUlT_E_NS1_11comp_targetILNS1_3genE0ELNS1_11target_archE4294967295ELNS1_3gpuE0ELNS1_3repE0EEENS1_30default_config_static_selectorELNS0_4arch9wavefront6targetE1EEEvT1_,"axG",@progbits,_ZN7rocprim17ROCPRIM_400000_NS6detail17trampoline_kernelINS0_14default_configENS1_25transform_config_selectorIiLb0EEEZNS1_14transform_implILb0ES3_S5_NS0_18transform_iteratorINS0_17counting_iteratorImlEEZNS1_24adjacent_difference_implIS3_Lb1ELb0EPKiPiN6thrust23THRUST_200600_302600_NS4plusIiEEEE10hipError_tPvRmT2_T3_mT4_P12ihipStream_tbEUlmE_iEESD_NS0_8identityIvEEEESI_SL_SM_mSN_SP_bEUlT_E_NS1_11comp_targetILNS1_3genE0ELNS1_11target_archE4294967295ELNS1_3gpuE0ELNS1_3repE0EEENS1_30default_config_static_selectorELNS0_4arch9wavefront6targetE1EEEvT1_,comdat
	.protected	_ZN7rocprim17ROCPRIM_400000_NS6detail17trampoline_kernelINS0_14default_configENS1_25transform_config_selectorIiLb0EEEZNS1_14transform_implILb0ES3_S5_NS0_18transform_iteratorINS0_17counting_iteratorImlEEZNS1_24adjacent_difference_implIS3_Lb1ELb0EPKiPiN6thrust23THRUST_200600_302600_NS4plusIiEEEE10hipError_tPvRmT2_T3_mT4_P12ihipStream_tbEUlmE_iEESD_NS0_8identityIvEEEESI_SL_SM_mSN_SP_bEUlT_E_NS1_11comp_targetILNS1_3genE0ELNS1_11target_archE4294967295ELNS1_3gpuE0ELNS1_3repE0EEENS1_30default_config_static_selectorELNS0_4arch9wavefront6targetE1EEEvT1_ ; -- Begin function _ZN7rocprim17ROCPRIM_400000_NS6detail17trampoline_kernelINS0_14default_configENS1_25transform_config_selectorIiLb0EEEZNS1_14transform_implILb0ES3_S5_NS0_18transform_iteratorINS0_17counting_iteratorImlEEZNS1_24adjacent_difference_implIS3_Lb1ELb0EPKiPiN6thrust23THRUST_200600_302600_NS4plusIiEEEE10hipError_tPvRmT2_T3_mT4_P12ihipStream_tbEUlmE_iEESD_NS0_8identityIvEEEESI_SL_SM_mSN_SP_bEUlT_E_NS1_11comp_targetILNS1_3genE0ELNS1_11target_archE4294967295ELNS1_3gpuE0ELNS1_3repE0EEENS1_30default_config_static_selectorELNS0_4arch9wavefront6targetE1EEEvT1_
	.globl	_ZN7rocprim17ROCPRIM_400000_NS6detail17trampoline_kernelINS0_14default_configENS1_25transform_config_selectorIiLb0EEEZNS1_14transform_implILb0ES3_S5_NS0_18transform_iteratorINS0_17counting_iteratorImlEEZNS1_24adjacent_difference_implIS3_Lb1ELb0EPKiPiN6thrust23THRUST_200600_302600_NS4plusIiEEEE10hipError_tPvRmT2_T3_mT4_P12ihipStream_tbEUlmE_iEESD_NS0_8identityIvEEEESI_SL_SM_mSN_SP_bEUlT_E_NS1_11comp_targetILNS1_3genE0ELNS1_11target_archE4294967295ELNS1_3gpuE0ELNS1_3repE0EEENS1_30default_config_static_selectorELNS0_4arch9wavefront6targetE1EEEvT1_
	.p2align	8
	.type	_ZN7rocprim17ROCPRIM_400000_NS6detail17trampoline_kernelINS0_14default_configENS1_25transform_config_selectorIiLb0EEEZNS1_14transform_implILb0ES3_S5_NS0_18transform_iteratorINS0_17counting_iteratorImlEEZNS1_24adjacent_difference_implIS3_Lb1ELb0EPKiPiN6thrust23THRUST_200600_302600_NS4plusIiEEEE10hipError_tPvRmT2_T3_mT4_P12ihipStream_tbEUlmE_iEESD_NS0_8identityIvEEEESI_SL_SM_mSN_SP_bEUlT_E_NS1_11comp_targetILNS1_3genE0ELNS1_11target_archE4294967295ELNS1_3gpuE0ELNS1_3repE0EEENS1_30default_config_static_selectorELNS0_4arch9wavefront6targetE1EEEvT1_,@function
_ZN7rocprim17ROCPRIM_400000_NS6detail17trampoline_kernelINS0_14default_configENS1_25transform_config_selectorIiLb0EEEZNS1_14transform_implILb0ES3_S5_NS0_18transform_iteratorINS0_17counting_iteratorImlEEZNS1_24adjacent_difference_implIS3_Lb1ELb0EPKiPiN6thrust23THRUST_200600_302600_NS4plusIiEEEE10hipError_tPvRmT2_T3_mT4_P12ihipStream_tbEUlmE_iEESD_NS0_8identityIvEEEESI_SL_SM_mSN_SP_bEUlT_E_NS1_11comp_targetILNS1_3genE0ELNS1_11target_archE4294967295ELNS1_3gpuE0ELNS1_3repE0EEENS1_30default_config_static_selectorELNS0_4arch9wavefront6targetE1EEEvT1_: ; @_ZN7rocprim17ROCPRIM_400000_NS6detail17trampoline_kernelINS0_14default_configENS1_25transform_config_selectorIiLb0EEEZNS1_14transform_implILb0ES3_S5_NS0_18transform_iteratorINS0_17counting_iteratorImlEEZNS1_24adjacent_difference_implIS3_Lb1ELb0EPKiPiN6thrust23THRUST_200600_302600_NS4plusIiEEEE10hipError_tPvRmT2_T3_mT4_P12ihipStream_tbEUlmE_iEESD_NS0_8identityIvEEEESI_SL_SM_mSN_SP_bEUlT_E_NS1_11comp_targetILNS1_3genE0ELNS1_11target_archE4294967295ELNS1_3gpuE0ELNS1_3repE0EEENS1_30default_config_static_selectorELNS0_4arch9wavefront6targetE1EEEvT1_
; %bb.0:
	.section	.rodata,"a",@progbits
	.p2align	6, 0x0
	.amdhsa_kernel _ZN7rocprim17ROCPRIM_400000_NS6detail17trampoline_kernelINS0_14default_configENS1_25transform_config_selectorIiLb0EEEZNS1_14transform_implILb0ES3_S5_NS0_18transform_iteratorINS0_17counting_iteratorImlEEZNS1_24adjacent_difference_implIS3_Lb1ELb0EPKiPiN6thrust23THRUST_200600_302600_NS4plusIiEEEE10hipError_tPvRmT2_T3_mT4_P12ihipStream_tbEUlmE_iEESD_NS0_8identityIvEEEESI_SL_SM_mSN_SP_bEUlT_E_NS1_11comp_targetILNS1_3genE0ELNS1_11target_archE4294967295ELNS1_3gpuE0ELNS1_3repE0EEENS1_30default_config_static_selectorELNS0_4arch9wavefront6targetE1EEEvT1_
		.amdhsa_group_segment_fixed_size 0
		.amdhsa_private_segment_fixed_size 0
		.amdhsa_kernarg_size 56
		.amdhsa_user_sgpr_count 6
		.amdhsa_user_sgpr_private_segment_buffer 1
		.amdhsa_user_sgpr_dispatch_ptr 0
		.amdhsa_user_sgpr_queue_ptr 0
		.amdhsa_user_sgpr_kernarg_segment_ptr 1
		.amdhsa_user_sgpr_dispatch_id 0
		.amdhsa_user_sgpr_flat_scratch_init 0
		.amdhsa_user_sgpr_private_segment_size 0
		.amdhsa_uses_dynamic_stack 0
		.amdhsa_system_sgpr_private_segment_wavefront_offset 0
		.amdhsa_system_sgpr_workgroup_id_x 1
		.amdhsa_system_sgpr_workgroup_id_y 0
		.amdhsa_system_sgpr_workgroup_id_z 0
		.amdhsa_system_sgpr_workgroup_info 0
		.amdhsa_system_vgpr_workitem_id 0
		.amdhsa_next_free_vgpr 1
		.amdhsa_next_free_sgpr 0
		.amdhsa_reserve_vcc 0
		.amdhsa_reserve_flat_scratch 0
		.amdhsa_float_round_mode_32 0
		.amdhsa_float_round_mode_16_64 0
		.amdhsa_float_denorm_mode_32 3
		.amdhsa_float_denorm_mode_16_64 3
		.amdhsa_dx10_clamp 1
		.amdhsa_ieee_mode 1
		.amdhsa_fp16_overflow 0
		.amdhsa_exception_fp_ieee_invalid_op 0
		.amdhsa_exception_fp_denorm_src 0
		.amdhsa_exception_fp_ieee_div_zero 0
		.amdhsa_exception_fp_ieee_overflow 0
		.amdhsa_exception_fp_ieee_underflow 0
		.amdhsa_exception_fp_ieee_inexact 0
		.amdhsa_exception_int_div_zero 0
	.end_amdhsa_kernel
	.section	.text._ZN7rocprim17ROCPRIM_400000_NS6detail17trampoline_kernelINS0_14default_configENS1_25transform_config_selectorIiLb0EEEZNS1_14transform_implILb0ES3_S5_NS0_18transform_iteratorINS0_17counting_iteratorImlEEZNS1_24adjacent_difference_implIS3_Lb1ELb0EPKiPiN6thrust23THRUST_200600_302600_NS4plusIiEEEE10hipError_tPvRmT2_T3_mT4_P12ihipStream_tbEUlmE_iEESD_NS0_8identityIvEEEESI_SL_SM_mSN_SP_bEUlT_E_NS1_11comp_targetILNS1_3genE0ELNS1_11target_archE4294967295ELNS1_3gpuE0ELNS1_3repE0EEENS1_30default_config_static_selectorELNS0_4arch9wavefront6targetE1EEEvT1_,"axG",@progbits,_ZN7rocprim17ROCPRIM_400000_NS6detail17trampoline_kernelINS0_14default_configENS1_25transform_config_selectorIiLb0EEEZNS1_14transform_implILb0ES3_S5_NS0_18transform_iteratorINS0_17counting_iteratorImlEEZNS1_24adjacent_difference_implIS3_Lb1ELb0EPKiPiN6thrust23THRUST_200600_302600_NS4plusIiEEEE10hipError_tPvRmT2_T3_mT4_P12ihipStream_tbEUlmE_iEESD_NS0_8identityIvEEEESI_SL_SM_mSN_SP_bEUlT_E_NS1_11comp_targetILNS1_3genE0ELNS1_11target_archE4294967295ELNS1_3gpuE0ELNS1_3repE0EEENS1_30default_config_static_selectorELNS0_4arch9wavefront6targetE1EEEvT1_,comdat
.Lfunc_end731:
	.size	_ZN7rocprim17ROCPRIM_400000_NS6detail17trampoline_kernelINS0_14default_configENS1_25transform_config_selectorIiLb0EEEZNS1_14transform_implILb0ES3_S5_NS0_18transform_iteratorINS0_17counting_iteratorImlEEZNS1_24adjacent_difference_implIS3_Lb1ELb0EPKiPiN6thrust23THRUST_200600_302600_NS4plusIiEEEE10hipError_tPvRmT2_T3_mT4_P12ihipStream_tbEUlmE_iEESD_NS0_8identityIvEEEESI_SL_SM_mSN_SP_bEUlT_E_NS1_11comp_targetILNS1_3genE0ELNS1_11target_archE4294967295ELNS1_3gpuE0ELNS1_3repE0EEENS1_30default_config_static_selectorELNS0_4arch9wavefront6targetE1EEEvT1_, .Lfunc_end731-_ZN7rocprim17ROCPRIM_400000_NS6detail17trampoline_kernelINS0_14default_configENS1_25transform_config_selectorIiLb0EEEZNS1_14transform_implILb0ES3_S5_NS0_18transform_iteratorINS0_17counting_iteratorImlEEZNS1_24adjacent_difference_implIS3_Lb1ELb0EPKiPiN6thrust23THRUST_200600_302600_NS4plusIiEEEE10hipError_tPvRmT2_T3_mT4_P12ihipStream_tbEUlmE_iEESD_NS0_8identityIvEEEESI_SL_SM_mSN_SP_bEUlT_E_NS1_11comp_targetILNS1_3genE0ELNS1_11target_archE4294967295ELNS1_3gpuE0ELNS1_3repE0EEENS1_30default_config_static_selectorELNS0_4arch9wavefront6targetE1EEEvT1_
                                        ; -- End function
	.set _ZN7rocprim17ROCPRIM_400000_NS6detail17trampoline_kernelINS0_14default_configENS1_25transform_config_selectorIiLb0EEEZNS1_14transform_implILb0ES3_S5_NS0_18transform_iteratorINS0_17counting_iteratorImlEEZNS1_24adjacent_difference_implIS3_Lb1ELb0EPKiPiN6thrust23THRUST_200600_302600_NS4plusIiEEEE10hipError_tPvRmT2_T3_mT4_P12ihipStream_tbEUlmE_iEESD_NS0_8identityIvEEEESI_SL_SM_mSN_SP_bEUlT_E_NS1_11comp_targetILNS1_3genE0ELNS1_11target_archE4294967295ELNS1_3gpuE0ELNS1_3repE0EEENS1_30default_config_static_selectorELNS0_4arch9wavefront6targetE1EEEvT1_.num_vgpr, 0
	.set _ZN7rocprim17ROCPRIM_400000_NS6detail17trampoline_kernelINS0_14default_configENS1_25transform_config_selectorIiLb0EEEZNS1_14transform_implILb0ES3_S5_NS0_18transform_iteratorINS0_17counting_iteratorImlEEZNS1_24adjacent_difference_implIS3_Lb1ELb0EPKiPiN6thrust23THRUST_200600_302600_NS4plusIiEEEE10hipError_tPvRmT2_T3_mT4_P12ihipStream_tbEUlmE_iEESD_NS0_8identityIvEEEESI_SL_SM_mSN_SP_bEUlT_E_NS1_11comp_targetILNS1_3genE0ELNS1_11target_archE4294967295ELNS1_3gpuE0ELNS1_3repE0EEENS1_30default_config_static_selectorELNS0_4arch9wavefront6targetE1EEEvT1_.num_agpr, 0
	.set _ZN7rocprim17ROCPRIM_400000_NS6detail17trampoline_kernelINS0_14default_configENS1_25transform_config_selectorIiLb0EEEZNS1_14transform_implILb0ES3_S5_NS0_18transform_iteratorINS0_17counting_iteratorImlEEZNS1_24adjacent_difference_implIS3_Lb1ELb0EPKiPiN6thrust23THRUST_200600_302600_NS4plusIiEEEE10hipError_tPvRmT2_T3_mT4_P12ihipStream_tbEUlmE_iEESD_NS0_8identityIvEEEESI_SL_SM_mSN_SP_bEUlT_E_NS1_11comp_targetILNS1_3genE0ELNS1_11target_archE4294967295ELNS1_3gpuE0ELNS1_3repE0EEENS1_30default_config_static_selectorELNS0_4arch9wavefront6targetE1EEEvT1_.numbered_sgpr, 0
	.set _ZN7rocprim17ROCPRIM_400000_NS6detail17trampoline_kernelINS0_14default_configENS1_25transform_config_selectorIiLb0EEEZNS1_14transform_implILb0ES3_S5_NS0_18transform_iteratorINS0_17counting_iteratorImlEEZNS1_24adjacent_difference_implIS3_Lb1ELb0EPKiPiN6thrust23THRUST_200600_302600_NS4plusIiEEEE10hipError_tPvRmT2_T3_mT4_P12ihipStream_tbEUlmE_iEESD_NS0_8identityIvEEEESI_SL_SM_mSN_SP_bEUlT_E_NS1_11comp_targetILNS1_3genE0ELNS1_11target_archE4294967295ELNS1_3gpuE0ELNS1_3repE0EEENS1_30default_config_static_selectorELNS0_4arch9wavefront6targetE1EEEvT1_.num_named_barrier, 0
	.set _ZN7rocprim17ROCPRIM_400000_NS6detail17trampoline_kernelINS0_14default_configENS1_25transform_config_selectorIiLb0EEEZNS1_14transform_implILb0ES3_S5_NS0_18transform_iteratorINS0_17counting_iteratorImlEEZNS1_24adjacent_difference_implIS3_Lb1ELb0EPKiPiN6thrust23THRUST_200600_302600_NS4plusIiEEEE10hipError_tPvRmT2_T3_mT4_P12ihipStream_tbEUlmE_iEESD_NS0_8identityIvEEEESI_SL_SM_mSN_SP_bEUlT_E_NS1_11comp_targetILNS1_3genE0ELNS1_11target_archE4294967295ELNS1_3gpuE0ELNS1_3repE0EEENS1_30default_config_static_selectorELNS0_4arch9wavefront6targetE1EEEvT1_.private_seg_size, 0
	.set _ZN7rocprim17ROCPRIM_400000_NS6detail17trampoline_kernelINS0_14default_configENS1_25transform_config_selectorIiLb0EEEZNS1_14transform_implILb0ES3_S5_NS0_18transform_iteratorINS0_17counting_iteratorImlEEZNS1_24adjacent_difference_implIS3_Lb1ELb0EPKiPiN6thrust23THRUST_200600_302600_NS4plusIiEEEE10hipError_tPvRmT2_T3_mT4_P12ihipStream_tbEUlmE_iEESD_NS0_8identityIvEEEESI_SL_SM_mSN_SP_bEUlT_E_NS1_11comp_targetILNS1_3genE0ELNS1_11target_archE4294967295ELNS1_3gpuE0ELNS1_3repE0EEENS1_30default_config_static_selectorELNS0_4arch9wavefront6targetE1EEEvT1_.uses_vcc, 0
	.set _ZN7rocprim17ROCPRIM_400000_NS6detail17trampoline_kernelINS0_14default_configENS1_25transform_config_selectorIiLb0EEEZNS1_14transform_implILb0ES3_S5_NS0_18transform_iteratorINS0_17counting_iteratorImlEEZNS1_24adjacent_difference_implIS3_Lb1ELb0EPKiPiN6thrust23THRUST_200600_302600_NS4plusIiEEEE10hipError_tPvRmT2_T3_mT4_P12ihipStream_tbEUlmE_iEESD_NS0_8identityIvEEEESI_SL_SM_mSN_SP_bEUlT_E_NS1_11comp_targetILNS1_3genE0ELNS1_11target_archE4294967295ELNS1_3gpuE0ELNS1_3repE0EEENS1_30default_config_static_selectorELNS0_4arch9wavefront6targetE1EEEvT1_.uses_flat_scratch, 0
	.set _ZN7rocprim17ROCPRIM_400000_NS6detail17trampoline_kernelINS0_14default_configENS1_25transform_config_selectorIiLb0EEEZNS1_14transform_implILb0ES3_S5_NS0_18transform_iteratorINS0_17counting_iteratorImlEEZNS1_24adjacent_difference_implIS3_Lb1ELb0EPKiPiN6thrust23THRUST_200600_302600_NS4plusIiEEEE10hipError_tPvRmT2_T3_mT4_P12ihipStream_tbEUlmE_iEESD_NS0_8identityIvEEEESI_SL_SM_mSN_SP_bEUlT_E_NS1_11comp_targetILNS1_3genE0ELNS1_11target_archE4294967295ELNS1_3gpuE0ELNS1_3repE0EEENS1_30default_config_static_selectorELNS0_4arch9wavefront6targetE1EEEvT1_.has_dyn_sized_stack, 0
	.set _ZN7rocprim17ROCPRIM_400000_NS6detail17trampoline_kernelINS0_14default_configENS1_25transform_config_selectorIiLb0EEEZNS1_14transform_implILb0ES3_S5_NS0_18transform_iteratorINS0_17counting_iteratorImlEEZNS1_24adjacent_difference_implIS3_Lb1ELb0EPKiPiN6thrust23THRUST_200600_302600_NS4plusIiEEEE10hipError_tPvRmT2_T3_mT4_P12ihipStream_tbEUlmE_iEESD_NS0_8identityIvEEEESI_SL_SM_mSN_SP_bEUlT_E_NS1_11comp_targetILNS1_3genE0ELNS1_11target_archE4294967295ELNS1_3gpuE0ELNS1_3repE0EEENS1_30default_config_static_selectorELNS0_4arch9wavefront6targetE1EEEvT1_.has_recursion, 0
	.set _ZN7rocprim17ROCPRIM_400000_NS6detail17trampoline_kernelINS0_14default_configENS1_25transform_config_selectorIiLb0EEEZNS1_14transform_implILb0ES3_S5_NS0_18transform_iteratorINS0_17counting_iteratorImlEEZNS1_24adjacent_difference_implIS3_Lb1ELb0EPKiPiN6thrust23THRUST_200600_302600_NS4plusIiEEEE10hipError_tPvRmT2_T3_mT4_P12ihipStream_tbEUlmE_iEESD_NS0_8identityIvEEEESI_SL_SM_mSN_SP_bEUlT_E_NS1_11comp_targetILNS1_3genE0ELNS1_11target_archE4294967295ELNS1_3gpuE0ELNS1_3repE0EEENS1_30default_config_static_selectorELNS0_4arch9wavefront6targetE1EEEvT1_.has_indirect_call, 0
	.section	.AMDGPU.csdata,"",@progbits
; Kernel info:
; codeLenInByte = 0
; TotalNumSgprs: 4
; NumVgprs: 0
; ScratchSize: 0
; MemoryBound: 0
; FloatMode: 240
; IeeeMode: 1
; LDSByteSize: 0 bytes/workgroup (compile time only)
; SGPRBlocks: 0
; VGPRBlocks: 0
; NumSGPRsForWavesPerEU: 4
; NumVGPRsForWavesPerEU: 1
; Occupancy: 10
; WaveLimiterHint : 0
; COMPUTE_PGM_RSRC2:SCRATCH_EN: 0
; COMPUTE_PGM_RSRC2:USER_SGPR: 6
; COMPUTE_PGM_RSRC2:TRAP_HANDLER: 0
; COMPUTE_PGM_RSRC2:TGID_X_EN: 1
; COMPUTE_PGM_RSRC2:TGID_Y_EN: 0
; COMPUTE_PGM_RSRC2:TGID_Z_EN: 0
; COMPUTE_PGM_RSRC2:TIDIG_COMP_CNT: 0
	.section	.text._ZN7rocprim17ROCPRIM_400000_NS6detail17trampoline_kernelINS0_14default_configENS1_25transform_config_selectorIiLb0EEEZNS1_14transform_implILb0ES3_S5_NS0_18transform_iteratorINS0_17counting_iteratorImlEEZNS1_24adjacent_difference_implIS3_Lb1ELb0EPKiPiN6thrust23THRUST_200600_302600_NS4plusIiEEEE10hipError_tPvRmT2_T3_mT4_P12ihipStream_tbEUlmE_iEESD_NS0_8identityIvEEEESI_SL_SM_mSN_SP_bEUlT_E_NS1_11comp_targetILNS1_3genE5ELNS1_11target_archE942ELNS1_3gpuE9ELNS1_3repE0EEENS1_30default_config_static_selectorELNS0_4arch9wavefront6targetE1EEEvT1_,"axG",@progbits,_ZN7rocprim17ROCPRIM_400000_NS6detail17trampoline_kernelINS0_14default_configENS1_25transform_config_selectorIiLb0EEEZNS1_14transform_implILb0ES3_S5_NS0_18transform_iteratorINS0_17counting_iteratorImlEEZNS1_24adjacent_difference_implIS3_Lb1ELb0EPKiPiN6thrust23THRUST_200600_302600_NS4plusIiEEEE10hipError_tPvRmT2_T3_mT4_P12ihipStream_tbEUlmE_iEESD_NS0_8identityIvEEEESI_SL_SM_mSN_SP_bEUlT_E_NS1_11comp_targetILNS1_3genE5ELNS1_11target_archE942ELNS1_3gpuE9ELNS1_3repE0EEENS1_30default_config_static_selectorELNS0_4arch9wavefront6targetE1EEEvT1_,comdat
	.protected	_ZN7rocprim17ROCPRIM_400000_NS6detail17trampoline_kernelINS0_14default_configENS1_25transform_config_selectorIiLb0EEEZNS1_14transform_implILb0ES3_S5_NS0_18transform_iteratorINS0_17counting_iteratorImlEEZNS1_24adjacent_difference_implIS3_Lb1ELb0EPKiPiN6thrust23THRUST_200600_302600_NS4plusIiEEEE10hipError_tPvRmT2_T3_mT4_P12ihipStream_tbEUlmE_iEESD_NS0_8identityIvEEEESI_SL_SM_mSN_SP_bEUlT_E_NS1_11comp_targetILNS1_3genE5ELNS1_11target_archE942ELNS1_3gpuE9ELNS1_3repE0EEENS1_30default_config_static_selectorELNS0_4arch9wavefront6targetE1EEEvT1_ ; -- Begin function _ZN7rocprim17ROCPRIM_400000_NS6detail17trampoline_kernelINS0_14default_configENS1_25transform_config_selectorIiLb0EEEZNS1_14transform_implILb0ES3_S5_NS0_18transform_iteratorINS0_17counting_iteratorImlEEZNS1_24adjacent_difference_implIS3_Lb1ELb0EPKiPiN6thrust23THRUST_200600_302600_NS4plusIiEEEE10hipError_tPvRmT2_T3_mT4_P12ihipStream_tbEUlmE_iEESD_NS0_8identityIvEEEESI_SL_SM_mSN_SP_bEUlT_E_NS1_11comp_targetILNS1_3genE5ELNS1_11target_archE942ELNS1_3gpuE9ELNS1_3repE0EEENS1_30default_config_static_selectorELNS0_4arch9wavefront6targetE1EEEvT1_
	.globl	_ZN7rocprim17ROCPRIM_400000_NS6detail17trampoline_kernelINS0_14default_configENS1_25transform_config_selectorIiLb0EEEZNS1_14transform_implILb0ES3_S5_NS0_18transform_iteratorINS0_17counting_iteratorImlEEZNS1_24adjacent_difference_implIS3_Lb1ELb0EPKiPiN6thrust23THRUST_200600_302600_NS4plusIiEEEE10hipError_tPvRmT2_T3_mT4_P12ihipStream_tbEUlmE_iEESD_NS0_8identityIvEEEESI_SL_SM_mSN_SP_bEUlT_E_NS1_11comp_targetILNS1_3genE5ELNS1_11target_archE942ELNS1_3gpuE9ELNS1_3repE0EEENS1_30default_config_static_selectorELNS0_4arch9wavefront6targetE1EEEvT1_
	.p2align	8
	.type	_ZN7rocprim17ROCPRIM_400000_NS6detail17trampoline_kernelINS0_14default_configENS1_25transform_config_selectorIiLb0EEEZNS1_14transform_implILb0ES3_S5_NS0_18transform_iteratorINS0_17counting_iteratorImlEEZNS1_24adjacent_difference_implIS3_Lb1ELb0EPKiPiN6thrust23THRUST_200600_302600_NS4plusIiEEEE10hipError_tPvRmT2_T3_mT4_P12ihipStream_tbEUlmE_iEESD_NS0_8identityIvEEEESI_SL_SM_mSN_SP_bEUlT_E_NS1_11comp_targetILNS1_3genE5ELNS1_11target_archE942ELNS1_3gpuE9ELNS1_3repE0EEENS1_30default_config_static_selectorELNS0_4arch9wavefront6targetE1EEEvT1_,@function
_ZN7rocprim17ROCPRIM_400000_NS6detail17trampoline_kernelINS0_14default_configENS1_25transform_config_selectorIiLb0EEEZNS1_14transform_implILb0ES3_S5_NS0_18transform_iteratorINS0_17counting_iteratorImlEEZNS1_24adjacent_difference_implIS3_Lb1ELb0EPKiPiN6thrust23THRUST_200600_302600_NS4plusIiEEEE10hipError_tPvRmT2_T3_mT4_P12ihipStream_tbEUlmE_iEESD_NS0_8identityIvEEEESI_SL_SM_mSN_SP_bEUlT_E_NS1_11comp_targetILNS1_3genE5ELNS1_11target_archE942ELNS1_3gpuE9ELNS1_3repE0EEENS1_30default_config_static_selectorELNS0_4arch9wavefront6targetE1EEEvT1_: ; @_ZN7rocprim17ROCPRIM_400000_NS6detail17trampoline_kernelINS0_14default_configENS1_25transform_config_selectorIiLb0EEEZNS1_14transform_implILb0ES3_S5_NS0_18transform_iteratorINS0_17counting_iteratorImlEEZNS1_24adjacent_difference_implIS3_Lb1ELb0EPKiPiN6thrust23THRUST_200600_302600_NS4plusIiEEEE10hipError_tPvRmT2_T3_mT4_P12ihipStream_tbEUlmE_iEESD_NS0_8identityIvEEEESI_SL_SM_mSN_SP_bEUlT_E_NS1_11comp_targetILNS1_3genE5ELNS1_11target_archE942ELNS1_3gpuE9ELNS1_3repE0EEENS1_30default_config_static_selectorELNS0_4arch9wavefront6targetE1EEEvT1_
; %bb.0:
	.section	.rodata,"a",@progbits
	.p2align	6, 0x0
	.amdhsa_kernel _ZN7rocprim17ROCPRIM_400000_NS6detail17trampoline_kernelINS0_14default_configENS1_25transform_config_selectorIiLb0EEEZNS1_14transform_implILb0ES3_S5_NS0_18transform_iteratorINS0_17counting_iteratorImlEEZNS1_24adjacent_difference_implIS3_Lb1ELb0EPKiPiN6thrust23THRUST_200600_302600_NS4plusIiEEEE10hipError_tPvRmT2_T3_mT4_P12ihipStream_tbEUlmE_iEESD_NS0_8identityIvEEEESI_SL_SM_mSN_SP_bEUlT_E_NS1_11comp_targetILNS1_3genE5ELNS1_11target_archE942ELNS1_3gpuE9ELNS1_3repE0EEENS1_30default_config_static_selectorELNS0_4arch9wavefront6targetE1EEEvT1_
		.amdhsa_group_segment_fixed_size 0
		.amdhsa_private_segment_fixed_size 0
		.amdhsa_kernarg_size 56
		.amdhsa_user_sgpr_count 6
		.amdhsa_user_sgpr_private_segment_buffer 1
		.amdhsa_user_sgpr_dispatch_ptr 0
		.amdhsa_user_sgpr_queue_ptr 0
		.amdhsa_user_sgpr_kernarg_segment_ptr 1
		.amdhsa_user_sgpr_dispatch_id 0
		.amdhsa_user_sgpr_flat_scratch_init 0
		.amdhsa_user_sgpr_private_segment_size 0
		.amdhsa_uses_dynamic_stack 0
		.amdhsa_system_sgpr_private_segment_wavefront_offset 0
		.amdhsa_system_sgpr_workgroup_id_x 1
		.amdhsa_system_sgpr_workgroup_id_y 0
		.amdhsa_system_sgpr_workgroup_id_z 0
		.amdhsa_system_sgpr_workgroup_info 0
		.amdhsa_system_vgpr_workitem_id 0
		.amdhsa_next_free_vgpr 1
		.amdhsa_next_free_sgpr 0
		.amdhsa_reserve_vcc 0
		.amdhsa_reserve_flat_scratch 0
		.amdhsa_float_round_mode_32 0
		.amdhsa_float_round_mode_16_64 0
		.amdhsa_float_denorm_mode_32 3
		.amdhsa_float_denorm_mode_16_64 3
		.amdhsa_dx10_clamp 1
		.amdhsa_ieee_mode 1
		.amdhsa_fp16_overflow 0
		.amdhsa_exception_fp_ieee_invalid_op 0
		.amdhsa_exception_fp_denorm_src 0
		.amdhsa_exception_fp_ieee_div_zero 0
		.amdhsa_exception_fp_ieee_overflow 0
		.amdhsa_exception_fp_ieee_underflow 0
		.amdhsa_exception_fp_ieee_inexact 0
		.amdhsa_exception_int_div_zero 0
	.end_amdhsa_kernel
	.section	.text._ZN7rocprim17ROCPRIM_400000_NS6detail17trampoline_kernelINS0_14default_configENS1_25transform_config_selectorIiLb0EEEZNS1_14transform_implILb0ES3_S5_NS0_18transform_iteratorINS0_17counting_iteratorImlEEZNS1_24adjacent_difference_implIS3_Lb1ELb0EPKiPiN6thrust23THRUST_200600_302600_NS4plusIiEEEE10hipError_tPvRmT2_T3_mT4_P12ihipStream_tbEUlmE_iEESD_NS0_8identityIvEEEESI_SL_SM_mSN_SP_bEUlT_E_NS1_11comp_targetILNS1_3genE5ELNS1_11target_archE942ELNS1_3gpuE9ELNS1_3repE0EEENS1_30default_config_static_selectorELNS0_4arch9wavefront6targetE1EEEvT1_,"axG",@progbits,_ZN7rocprim17ROCPRIM_400000_NS6detail17trampoline_kernelINS0_14default_configENS1_25transform_config_selectorIiLb0EEEZNS1_14transform_implILb0ES3_S5_NS0_18transform_iteratorINS0_17counting_iteratorImlEEZNS1_24adjacent_difference_implIS3_Lb1ELb0EPKiPiN6thrust23THRUST_200600_302600_NS4plusIiEEEE10hipError_tPvRmT2_T3_mT4_P12ihipStream_tbEUlmE_iEESD_NS0_8identityIvEEEESI_SL_SM_mSN_SP_bEUlT_E_NS1_11comp_targetILNS1_3genE5ELNS1_11target_archE942ELNS1_3gpuE9ELNS1_3repE0EEENS1_30default_config_static_selectorELNS0_4arch9wavefront6targetE1EEEvT1_,comdat
.Lfunc_end732:
	.size	_ZN7rocprim17ROCPRIM_400000_NS6detail17trampoline_kernelINS0_14default_configENS1_25transform_config_selectorIiLb0EEEZNS1_14transform_implILb0ES3_S5_NS0_18transform_iteratorINS0_17counting_iteratorImlEEZNS1_24adjacent_difference_implIS3_Lb1ELb0EPKiPiN6thrust23THRUST_200600_302600_NS4plusIiEEEE10hipError_tPvRmT2_T3_mT4_P12ihipStream_tbEUlmE_iEESD_NS0_8identityIvEEEESI_SL_SM_mSN_SP_bEUlT_E_NS1_11comp_targetILNS1_3genE5ELNS1_11target_archE942ELNS1_3gpuE9ELNS1_3repE0EEENS1_30default_config_static_selectorELNS0_4arch9wavefront6targetE1EEEvT1_, .Lfunc_end732-_ZN7rocprim17ROCPRIM_400000_NS6detail17trampoline_kernelINS0_14default_configENS1_25transform_config_selectorIiLb0EEEZNS1_14transform_implILb0ES3_S5_NS0_18transform_iteratorINS0_17counting_iteratorImlEEZNS1_24adjacent_difference_implIS3_Lb1ELb0EPKiPiN6thrust23THRUST_200600_302600_NS4plusIiEEEE10hipError_tPvRmT2_T3_mT4_P12ihipStream_tbEUlmE_iEESD_NS0_8identityIvEEEESI_SL_SM_mSN_SP_bEUlT_E_NS1_11comp_targetILNS1_3genE5ELNS1_11target_archE942ELNS1_3gpuE9ELNS1_3repE0EEENS1_30default_config_static_selectorELNS0_4arch9wavefront6targetE1EEEvT1_
                                        ; -- End function
	.set _ZN7rocprim17ROCPRIM_400000_NS6detail17trampoline_kernelINS0_14default_configENS1_25transform_config_selectorIiLb0EEEZNS1_14transform_implILb0ES3_S5_NS0_18transform_iteratorINS0_17counting_iteratorImlEEZNS1_24adjacent_difference_implIS3_Lb1ELb0EPKiPiN6thrust23THRUST_200600_302600_NS4plusIiEEEE10hipError_tPvRmT2_T3_mT4_P12ihipStream_tbEUlmE_iEESD_NS0_8identityIvEEEESI_SL_SM_mSN_SP_bEUlT_E_NS1_11comp_targetILNS1_3genE5ELNS1_11target_archE942ELNS1_3gpuE9ELNS1_3repE0EEENS1_30default_config_static_selectorELNS0_4arch9wavefront6targetE1EEEvT1_.num_vgpr, 0
	.set _ZN7rocprim17ROCPRIM_400000_NS6detail17trampoline_kernelINS0_14default_configENS1_25transform_config_selectorIiLb0EEEZNS1_14transform_implILb0ES3_S5_NS0_18transform_iteratorINS0_17counting_iteratorImlEEZNS1_24adjacent_difference_implIS3_Lb1ELb0EPKiPiN6thrust23THRUST_200600_302600_NS4plusIiEEEE10hipError_tPvRmT2_T3_mT4_P12ihipStream_tbEUlmE_iEESD_NS0_8identityIvEEEESI_SL_SM_mSN_SP_bEUlT_E_NS1_11comp_targetILNS1_3genE5ELNS1_11target_archE942ELNS1_3gpuE9ELNS1_3repE0EEENS1_30default_config_static_selectorELNS0_4arch9wavefront6targetE1EEEvT1_.num_agpr, 0
	.set _ZN7rocprim17ROCPRIM_400000_NS6detail17trampoline_kernelINS0_14default_configENS1_25transform_config_selectorIiLb0EEEZNS1_14transform_implILb0ES3_S5_NS0_18transform_iteratorINS0_17counting_iteratorImlEEZNS1_24adjacent_difference_implIS3_Lb1ELb0EPKiPiN6thrust23THRUST_200600_302600_NS4plusIiEEEE10hipError_tPvRmT2_T3_mT4_P12ihipStream_tbEUlmE_iEESD_NS0_8identityIvEEEESI_SL_SM_mSN_SP_bEUlT_E_NS1_11comp_targetILNS1_3genE5ELNS1_11target_archE942ELNS1_3gpuE9ELNS1_3repE0EEENS1_30default_config_static_selectorELNS0_4arch9wavefront6targetE1EEEvT1_.numbered_sgpr, 0
	.set _ZN7rocprim17ROCPRIM_400000_NS6detail17trampoline_kernelINS0_14default_configENS1_25transform_config_selectorIiLb0EEEZNS1_14transform_implILb0ES3_S5_NS0_18transform_iteratorINS0_17counting_iteratorImlEEZNS1_24adjacent_difference_implIS3_Lb1ELb0EPKiPiN6thrust23THRUST_200600_302600_NS4plusIiEEEE10hipError_tPvRmT2_T3_mT4_P12ihipStream_tbEUlmE_iEESD_NS0_8identityIvEEEESI_SL_SM_mSN_SP_bEUlT_E_NS1_11comp_targetILNS1_3genE5ELNS1_11target_archE942ELNS1_3gpuE9ELNS1_3repE0EEENS1_30default_config_static_selectorELNS0_4arch9wavefront6targetE1EEEvT1_.num_named_barrier, 0
	.set _ZN7rocprim17ROCPRIM_400000_NS6detail17trampoline_kernelINS0_14default_configENS1_25transform_config_selectorIiLb0EEEZNS1_14transform_implILb0ES3_S5_NS0_18transform_iteratorINS0_17counting_iteratorImlEEZNS1_24adjacent_difference_implIS3_Lb1ELb0EPKiPiN6thrust23THRUST_200600_302600_NS4plusIiEEEE10hipError_tPvRmT2_T3_mT4_P12ihipStream_tbEUlmE_iEESD_NS0_8identityIvEEEESI_SL_SM_mSN_SP_bEUlT_E_NS1_11comp_targetILNS1_3genE5ELNS1_11target_archE942ELNS1_3gpuE9ELNS1_3repE0EEENS1_30default_config_static_selectorELNS0_4arch9wavefront6targetE1EEEvT1_.private_seg_size, 0
	.set _ZN7rocprim17ROCPRIM_400000_NS6detail17trampoline_kernelINS0_14default_configENS1_25transform_config_selectorIiLb0EEEZNS1_14transform_implILb0ES3_S5_NS0_18transform_iteratorINS0_17counting_iteratorImlEEZNS1_24adjacent_difference_implIS3_Lb1ELb0EPKiPiN6thrust23THRUST_200600_302600_NS4plusIiEEEE10hipError_tPvRmT2_T3_mT4_P12ihipStream_tbEUlmE_iEESD_NS0_8identityIvEEEESI_SL_SM_mSN_SP_bEUlT_E_NS1_11comp_targetILNS1_3genE5ELNS1_11target_archE942ELNS1_3gpuE9ELNS1_3repE0EEENS1_30default_config_static_selectorELNS0_4arch9wavefront6targetE1EEEvT1_.uses_vcc, 0
	.set _ZN7rocprim17ROCPRIM_400000_NS6detail17trampoline_kernelINS0_14default_configENS1_25transform_config_selectorIiLb0EEEZNS1_14transform_implILb0ES3_S5_NS0_18transform_iteratorINS0_17counting_iteratorImlEEZNS1_24adjacent_difference_implIS3_Lb1ELb0EPKiPiN6thrust23THRUST_200600_302600_NS4plusIiEEEE10hipError_tPvRmT2_T3_mT4_P12ihipStream_tbEUlmE_iEESD_NS0_8identityIvEEEESI_SL_SM_mSN_SP_bEUlT_E_NS1_11comp_targetILNS1_3genE5ELNS1_11target_archE942ELNS1_3gpuE9ELNS1_3repE0EEENS1_30default_config_static_selectorELNS0_4arch9wavefront6targetE1EEEvT1_.uses_flat_scratch, 0
	.set _ZN7rocprim17ROCPRIM_400000_NS6detail17trampoline_kernelINS0_14default_configENS1_25transform_config_selectorIiLb0EEEZNS1_14transform_implILb0ES3_S5_NS0_18transform_iteratorINS0_17counting_iteratorImlEEZNS1_24adjacent_difference_implIS3_Lb1ELb0EPKiPiN6thrust23THRUST_200600_302600_NS4plusIiEEEE10hipError_tPvRmT2_T3_mT4_P12ihipStream_tbEUlmE_iEESD_NS0_8identityIvEEEESI_SL_SM_mSN_SP_bEUlT_E_NS1_11comp_targetILNS1_3genE5ELNS1_11target_archE942ELNS1_3gpuE9ELNS1_3repE0EEENS1_30default_config_static_selectorELNS0_4arch9wavefront6targetE1EEEvT1_.has_dyn_sized_stack, 0
	.set _ZN7rocprim17ROCPRIM_400000_NS6detail17trampoline_kernelINS0_14default_configENS1_25transform_config_selectorIiLb0EEEZNS1_14transform_implILb0ES3_S5_NS0_18transform_iteratorINS0_17counting_iteratorImlEEZNS1_24adjacent_difference_implIS3_Lb1ELb0EPKiPiN6thrust23THRUST_200600_302600_NS4plusIiEEEE10hipError_tPvRmT2_T3_mT4_P12ihipStream_tbEUlmE_iEESD_NS0_8identityIvEEEESI_SL_SM_mSN_SP_bEUlT_E_NS1_11comp_targetILNS1_3genE5ELNS1_11target_archE942ELNS1_3gpuE9ELNS1_3repE0EEENS1_30default_config_static_selectorELNS0_4arch9wavefront6targetE1EEEvT1_.has_recursion, 0
	.set _ZN7rocprim17ROCPRIM_400000_NS6detail17trampoline_kernelINS0_14default_configENS1_25transform_config_selectorIiLb0EEEZNS1_14transform_implILb0ES3_S5_NS0_18transform_iteratorINS0_17counting_iteratorImlEEZNS1_24adjacent_difference_implIS3_Lb1ELb0EPKiPiN6thrust23THRUST_200600_302600_NS4plusIiEEEE10hipError_tPvRmT2_T3_mT4_P12ihipStream_tbEUlmE_iEESD_NS0_8identityIvEEEESI_SL_SM_mSN_SP_bEUlT_E_NS1_11comp_targetILNS1_3genE5ELNS1_11target_archE942ELNS1_3gpuE9ELNS1_3repE0EEENS1_30default_config_static_selectorELNS0_4arch9wavefront6targetE1EEEvT1_.has_indirect_call, 0
	.section	.AMDGPU.csdata,"",@progbits
; Kernel info:
; codeLenInByte = 0
; TotalNumSgprs: 4
; NumVgprs: 0
; ScratchSize: 0
; MemoryBound: 0
; FloatMode: 240
; IeeeMode: 1
; LDSByteSize: 0 bytes/workgroup (compile time only)
; SGPRBlocks: 0
; VGPRBlocks: 0
; NumSGPRsForWavesPerEU: 4
; NumVGPRsForWavesPerEU: 1
; Occupancy: 10
; WaveLimiterHint : 0
; COMPUTE_PGM_RSRC2:SCRATCH_EN: 0
; COMPUTE_PGM_RSRC2:USER_SGPR: 6
; COMPUTE_PGM_RSRC2:TRAP_HANDLER: 0
; COMPUTE_PGM_RSRC2:TGID_X_EN: 1
; COMPUTE_PGM_RSRC2:TGID_Y_EN: 0
; COMPUTE_PGM_RSRC2:TGID_Z_EN: 0
; COMPUTE_PGM_RSRC2:TIDIG_COMP_CNT: 0
	.section	.text._ZN7rocprim17ROCPRIM_400000_NS6detail17trampoline_kernelINS0_14default_configENS1_25transform_config_selectorIiLb0EEEZNS1_14transform_implILb0ES3_S5_NS0_18transform_iteratorINS0_17counting_iteratorImlEEZNS1_24adjacent_difference_implIS3_Lb1ELb0EPKiPiN6thrust23THRUST_200600_302600_NS4plusIiEEEE10hipError_tPvRmT2_T3_mT4_P12ihipStream_tbEUlmE_iEESD_NS0_8identityIvEEEESI_SL_SM_mSN_SP_bEUlT_E_NS1_11comp_targetILNS1_3genE4ELNS1_11target_archE910ELNS1_3gpuE8ELNS1_3repE0EEENS1_30default_config_static_selectorELNS0_4arch9wavefront6targetE1EEEvT1_,"axG",@progbits,_ZN7rocprim17ROCPRIM_400000_NS6detail17trampoline_kernelINS0_14default_configENS1_25transform_config_selectorIiLb0EEEZNS1_14transform_implILb0ES3_S5_NS0_18transform_iteratorINS0_17counting_iteratorImlEEZNS1_24adjacent_difference_implIS3_Lb1ELb0EPKiPiN6thrust23THRUST_200600_302600_NS4plusIiEEEE10hipError_tPvRmT2_T3_mT4_P12ihipStream_tbEUlmE_iEESD_NS0_8identityIvEEEESI_SL_SM_mSN_SP_bEUlT_E_NS1_11comp_targetILNS1_3genE4ELNS1_11target_archE910ELNS1_3gpuE8ELNS1_3repE0EEENS1_30default_config_static_selectorELNS0_4arch9wavefront6targetE1EEEvT1_,comdat
	.protected	_ZN7rocprim17ROCPRIM_400000_NS6detail17trampoline_kernelINS0_14default_configENS1_25transform_config_selectorIiLb0EEEZNS1_14transform_implILb0ES3_S5_NS0_18transform_iteratorINS0_17counting_iteratorImlEEZNS1_24adjacent_difference_implIS3_Lb1ELb0EPKiPiN6thrust23THRUST_200600_302600_NS4plusIiEEEE10hipError_tPvRmT2_T3_mT4_P12ihipStream_tbEUlmE_iEESD_NS0_8identityIvEEEESI_SL_SM_mSN_SP_bEUlT_E_NS1_11comp_targetILNS1_3genE4ELNS1_11target_archE910ELNS1_3gpuE8ELNS1_3repE0EEENS1_30default_config_static_selectorELNS0_4arch9wavefront6targetE1EEEvT1_ ; -- Begin function _ZN7rocprim17ROCPRIM_400000_NS6detail17trampoline_kernelINS0_14default_configENS1_25transform_config_selectorIiLb0EEEZNS1_14transform_implILb0ES3_S5_NS0_18transform_iteratorINS0_17counting_iteratorImlEEZNS1_24adjacent_difference_implIS3_Lb1ELb0EPKiPiN6thrust23THRUST_200600_302600_NS4plusIiEEEE10hipError_tPvRmT2_T3_mT4_P12ihipStream_tbEUlmE_iEESD_NS0_8identityIvEEEESI_SL_SM_mSN_SP_bEUlT_E_NS1_11comp_targetILNS1_3genE4ELNS1_11target_archE910ELNS1_3gpuE8ELNS1_3repE0EEENS1_30default_config_static_selectorELNS0_4arch9wavefront6targetE1EEEvT1_
	.globl	_ZN7rocprim17ROCPRIM_400000_NS6detail17trampoline_kernelINS0_14default_configENS1_25transform_config_selectorIiLb0EEEZNS1_14transform_implILb0ES3_S5_NS0_18transform_iteratorINS0_17counting_iteratorImlEEZNS1_24adjacent_difference_implIS3_Lb1ELb0EPKiPiN6thrust23THRUST_200600_302600_NS4plusIiEEEE10hipError_tPvRmT2_T3_mT4_P12ihipStream_tbEUlmE_iEESD_NS0_8identityIvEEEESI_SL_SM_mSN_SP_bEUlT_E_NS1_11comp_targetILNS1_3genE4ELNS1_11target_archE910ELNS1_3gpuE8ELNS1_3repE0EEENS1_30default_config_static_selectorELNS0_4arch9wavefront6targetE1EEEvT1_
	.p2align	8
	.type	_ZN7rocprim17ROCPRIM_400000_NS6detail17trampoline_kernelINS0_14default_configENS1_25transform_config_selectorIiLb0EEEZNS1_14transform_implILb0ES3_S5_NS0_18transform_iteratorINS0_17counting_iteratorImlEEZNS1_24adjacent_difference_implIS3_Lb1ELb0EPKiPiN6thrust23THRUST_200600_302600_NS4plusIiEEEE10hipError_tPvRmT2_T3_mT4_P12ihipStream_tbEUlmE_iEESD_NS0_8identityIvEEEESI_SL_SM_mSN_SP_bEUlT_E_NS1_11comp_targetILNS1_3genE4ELNS1_11target_archE910ELNS1_3gpuE8ELNS1_3repE0EEENS1_30default_config_static_selectorELNS0_4arch9wavefront6targetE1EEEvT1_,@function
_ZN7rocprim17ROCPRIM_400000_NS6detail17trampoline_kernelINS0_14default_configENS1_25transform_config_selectorIiLb0EEEZNS1_14transform_implILb0ES3_S5_NS0_18transform_iteratorINS0_17counting_iteratorImlEEZNS1_24adjacent_difference_implIS3_Lb1ELb0EPKiPiN6thrust23THRUST_200600_302600_NS4plusIiEEEE10hipError_tPvRmT2_T3_mT4_P12ihipStream_tbEUlmE_iEESD_NS0_8identityIvEEEESI_SL_SM_mSN_SP_bEUlT_E_NS1_11comp_targetILNS1_3genE4ELNS1_11target_archE910ELNS1_3gpuE8ELNS1_3repE0EEENS1_30default_config_static_selectorELNS0_4arch9wavefront6targetE1EEEvT1_: ; @_ZN7rocprim17ROCPRIM_400000_NS6detail17trampoline_kernelINS0_14default_configENS1_25transform_config_selectorIiLb0EEEZNS1_14transform_implILb0ES3_S5_NS0_18transform_iteratorINS0_17counting_iteratorImlEEZNS1_24adjacent_difference_implIS3_Lb1ELb0EPKiPiN6thrust23THRUST_200600_302600_NS4plusIiEEEE10hipError_tPvRmT2_T3_mT4_P12ihipStream_tbEUlmE_iEESD_NS0_8identityIvEEEESI_SL_SM_mSN_SP_bEUlT_E_NS1_11comp_targetILNS1_3genE4ELNS1_11target_archE910ELNS1_3gpuE8ELNS1_3repE0EEENS1_30default_config_static_selectorELNS0_4arch9wavefront6targetE1EEEvT1_
; %bb.0:
	.section	.rodata,"a",@progbits
	.p2align	6, 0x0
	.amdhsa_kernel _ZN7rocprim17ROCPRIM_400000_NS6detail17trampoline_kernelINS0_14default_configENS1_25transform_config_selectorIiLb0EEEZNS1_14transform_implILb0ES3_S5_NS0_18transform_iteratorINS0_17counting_iteratorImlEEZNS1_24adjacent_difference_implIS3_Lb1ELb0EPKiPiN6thrust23THRUST_200600_302600_NS4plusIiEEEE10hipError_tPvRmT2_T3_mT4_P12ihipStream_tbEUlmE_iEESD_NS0_8identityIvEEEESI_SL_SM_mSN_SP_bEUlT_E_NS1_11comp_targetILNS1_3genE4ELNS1_11target_archE910ELNS1_3gpuE8ELNS1_3repE0EEENS1_30default_config_static_selectorELNS0_4arch9wavefront6targetE1EEEvT1_
		.amdhsa_group_segment_fixed_size 0
		.amdhsa_private_segment_fixed_size 0
		.amdhsa_kernarg_size 56
		.amdhsa_user_sgpr_count 6
		.amdhsa_user_sgpr_private_segment_buffer 1
		.amdhsa_user_sgpr_dispatch_ptr 0
		.amdhsa_user_sgpr_queue_ptr 0
		.amdhsa_user_sgpr_kernarg_segment_ptr 1
		.amdhsa_user_sgpr_dispatch_id 0
		.amdhsa_user_sgpr_flat_scratch_init 0
		.amdhsa_user_sgpr_private_segment_size 0
		.amdhsa_uses_dynamic_stack 0
		.amdhsa_system_sgpr_private_segment_wavefront_offset 0
		.amdhsa_system_sgpr_workgroup_id_x 1
		.amdhsa_system_sgpr_workgroup_id_y 0
		.amdhsa_system_sgpr_workgroup_id_z 0
		.amdhsa_system_sgpr_workgroup_info 0
		.amdhsa_system_vgpr_workitem_id 0
		.amdhsa_next_free_vgpr 1
		.amdhsa_next_free_sgpr 0
		.amdhsa_reserve_vcc 0
		.amdhsa_reserve_flat_scratch 0
		.amdhsa_float_round_mode_32 0
		.amdhsa_float_round_mode_16_64 0
		.amdhsa_float_denorm_mode_32 3
		.amdhsa_float_denorm_mode_16_64 3
		.amdhsa_dx10_clamp 1
		.amdhsa_ieee_mode 1
		.amdhsa_fp16_overflow 0
		.amdhsa_exception_fp_ieee_invalid_op 0
		.amdhsa_exception_fp_denorm_src 0
		.amdhsa_exception_fp_ieee_div_zero 0
		.amdhsa_exception_fp_ieee_overflow 0
		.amdhsa_exception_fp_ieee_underflow 0
		.amdhsa_exception_fp_ieee_inexact 0
		.amdhsa_exception_int_div_zero 0
	.end_amdhsa_kernel
	.section	.text._ZN7rocprim17ROCPRIM_400000_NS6detail17trampoline_kernelINS0_14default_configENS1_25transform_config_selectorIiLb0EEEZNS1_14transform_implILb0ES3_S5_NS0_18transform_iteratorINS0_17counting_iteratorImlEEZNS1_24adjacent_difference_implIS3_Lb1ELb0EPKiPiN6thrust23THRUST_200600_302600_NS4plusIiEEEE10hipError_tPvRmT2_T3_mT4_P12ihipStream_tbEUlmE_iEESD_NS0_8identityIvEEEESI_SL_SM_mSN_SP_bEUlT_E_NS1_11comp_targetILNS1_3genE4ELNS1_11target_archE910ELNS1_3gpuE8ELNS1_3repE0EEENS1_30default_config_static_selectorELNS0_4arch9wavefront6targetE1EEEvT1_,"axG",@progbits,_ZN7rocprim17ROCPRIM_400000_NS6detail17trampoline_kernelINS0_14default_configENS1_25transform_config_selectorIiLb0EEEZNS1_14transform_implILb0ES3_S5_NS0_18transform_iteratorINS0_17counting_iteratorImlEEZNS1_24adjacent_difference_implIS3_Lb1ELb0EPKiPiN6thrust23THRUST_200600_302600_NS4plusIiEEEE10hipError_tPvRmT2_T3_mT4_P12ihipStream_tbEUlmE_iEESD_NS0_8identityIvEEEESI_SL_SM_mSN_SP_bEUlT_E_NS1_11comp_targetILNS1_3genE4ELNS1_11target_archE910ELNS1_3gpuE8ELNS1_3repE0EEENS1_30default_config_static_selectorELNS0_4arch9wavefront6targetE1EEEvT1_,comdat
.Lfunc_end733:
	.size	_ZN7rocprim17ROCPRIM_400000_NS6detail17trampoline_kernelINS0_14default_configENS1_25transform_config_selectorIiLb0EEEZNS1_14transform_implILb0ES3_S5_NS0_18transform_iteratorINS0_17counting_iteratorImlEEZNS1_24adjacent_difference_implIS3_Lb1ELb0EPKiPiN6thrust23THRUST_200600_302600_NS4plusIiEEEE10hipError_tPvRmT2_T3_mT4_P12ihipStream_tbEUlmE_iEESD_NS0_8identityIvEEEESI_SL_SM_mSN_SP_bEUlT_E_NS1_11comp_targetILNS1_3genE4ELNS1_11target_archE910ELNS1_3gpuE8ELNS1_3repE0EEENS1_30default_config_static_selectorELNS0_4arch9wavefront6targetE1EEEvT1_, .Lfunc_end733-_ZN7rocprim17ROCPRIM_400000_NS6detail17trampoline_kernelINS0_14default_configENS1_25transform_config_selectorIiLb0EEEZNS1_14transform_implILb0ES3_S5_NS0_18transform_iteratorINS0_17counting_iteratorImlEEZNS1_24adjacent_difference_implIS3_Lb1ELb0EPKiPiN6thrust23THRUST_200600_302600_NS4plusIiEEEE10hipError_tPvRmT2_T3_mT4_P12ihipStream_tbEUlmE_iEESD_NS0_8identityIvEEEESI_SL_SM_mSN_SP_bEUlT_E_NS1_11comp_targetILNS1_3genE4ELNS1_11target_archE910ELNS1_3gpuE8ELNS1_3repE0EEENS1_30default_config_static_selectorELNS0_4arch9wavefront6targetE1EEEvT1_
                                        ; -- End function
	.set _ZN7rocprim17ROCPRIM_400000_NS6detail17trampoline_kernelINS0_14default_configENS1_25transform_config_selectorIiLb0EEEZNS1_14transform_implILb0ES3_S5_NS0_18transform_iteratorINS0_17counting_iteratorImlEEZNS1_24adjacent_difference_implIS3_Lb1ELb0EPKiPiN6thrust23THRUST_200600_302600_NS4plusIiEEEE10hipError_tPvRmT2_T3_mT4_P12ihipStream_tbEUlmE_iEESD_NS0_8identityIvEEEESI_SL_SM_mSN_SP_bEUlT_E_NS1_11comp_targetILNS1_3genE4ELNS1_11target_archE910ELNS1_3gpuE8ELNS1_3repE0EEENS1_30default_config_static_selectorELNS0_4arch9wavefront6targetE1EEEvT1_.num_vgpr, 0
	.set _ZN7rocprim17ROCPRIM_400000_NS6detail17trampoline_kernelINS0_14default_configENS1_25transform_config_selectorIiLb0EEEZNS1_14transform_implILb0ES3_S5_NS0_18transform_iteratorINS0_17counting_iteratorImlEEZNS1_24adjacent_difference_implIS3_Lb1ELb0EPKiPiN6thrust23THRUST_200600_302600_NS4plusIiEEEE10hipError_tPvRmT2_T3_mT4_P12ihipStream_tbEUlmE_iEESD_NS0_8identityIvEEEESI_SL_SM_mSN_SP_bEUlT_E_NS1_11comp_targetILNS1_3genE4ELNS1_11target_archE910ELNS1_3gpuE8ELNS1_3repE0EEENS1_30default_config_static_selectorELNS0_4arch9wavefront6targetE1EEEvT1_.num_agpr, 0
	.set _ZN7rocprim17ROCPRIM_400000_NS6detail17trampoline_kernelINS0_14default_configENS1_25transform_config_selectorIiLb0EEEZNS1_14transform_implILb0ES3_S5_NS0_18transform_iteratorINS0_17counting_iteratorImlEEZNS1_24adjacent_difference_implIS3_Lb1ELb0EPKiPiN6thrust23THRUST_200600_302600_NS4plusIiEEEE10hipError_tPvRmT2_T3_mT4_P12ihipStream_tbEUlmE_iEESD_NS0_8identityIvEEEESI_SL_SM_mSN_SP_bEUlT_E_NS1_11comp_targetILNS1_3genE4ELNS1_11target_archE910ELNS1_3gpuE8ELNS1_3repE0EEENS1_30default_config_static_selectorELNS0_4arch9wavefront6targetE1EEEvT1_.numbered_sgpr, 0
	.set _ZN7rocprim17ROCPRIM_400000_NS6detail17trampoline_kernelINS0_14default_configENS1_25transform_config_selectorIiLb0EEEZNS1_14transform_implILb0ES3_S5_NS0_18transform_iteratorINS0_17counting_iteratorImlEEZNS1_24adjacent_difference_implIS3_Lb1ELb0EPKiPiN6thrust23THRUST_200600_302600_NS4plusIiEEEE10hipError_tPvRmT2_T3_mT4_P12ihipStream_tbEUlmE_iEESD_NS0_8identityIvEEEESI_SL_SM_mSN_SP_bEUlT_E_NS1_11comp_targetILNS1_3genE4ELNS1_11target_archE910ELNS1_3gpuE8ELNS1_3repE0EEENS1_30default_config_static_selectorELNS0_4arch9wavefront6targetE1EEEvT1_.num_named_barrier, 0
	.set _ZN7rocprim17ROCPRIM_400000_NS6detail17trampoline_kernelINS0_14default_configENS1_25transform_config_selectorIiLb0EEEZNS1_14transform_implILb0ES3_S5_NS0_18transform_iteratorINS0_17counting_iteratorImlEEZNS1_24adjacent_difference_implIS3_Lb1ELb0EPKiPiN6thrust23THRUST_200600_302600_NS4plusIiEEEE10hipError_tPvRmT2_T3_mT4_P12ihipStream_tbEUlmE_iEESD_NS0_8identityIvEEEESI_SL_SM_mSN_SP_bEUlT_E_NS1_11comp_targetILNS1_3genE4ELNS1_11target_archE910ELNS1_3gpuE8ELNS1_3repE0EEENS1_30default_config_static_selectorELNS0_4arch9wavefront6targetE1EEEvT1_.private_seg_size, 0
	.set _ZN7rocprim17ROCPRIM_400000_NS6detail17trampoline_kernelINS0_14default_configENS1_25transform_config_selectorIiLb0EEEZNS1_14transform_implILb0ES3_S5_NS0_18transform_iteratorINS0_17counting_iteratorImlEEZNS1_24adjacent_difference_implIS3_Lb1ELb0EPKiPiN6thrust23THRUST_200600_302600_NS4plusIiEEEE10hipError_tPvRmT2_T3_mT4_P12ihipStream_tbEUlmE_iEESD_NS0_8identityIvEEEESI_SL_SM_mSN_SP_bEUlT_E_NS1_11comp_targetILNS1_3genE4ELNS1_11target_archE910ELNS1_3gpuE8ELNS1_3repE0EEENS1_30default_config_static_selectorELNS0_4arch9wavefront6targetE1EEEvT1_.uses_vcc, 0
	.set _ZN7rocprim17ROCPRIM_400000_NS6detail17trampoline_kernelINS0_14default_configENS1_25transform_config_selectorIiLb0EEEZNS1_14transform_implILb0ES3_S5_NS0_18transform_iteratorINS0_17counting_iteratorImlEEZNS1_24adjacent_difference_implIS3_Lb1ELb0EPKiPiN6thrust23THRUST_200600_302600_NS4plusIiEEEE10hipError_tPvRmT2_T3_mT4_P12ihipStream_tbEUlmE_iEESD_NS0_8identityIvEEEESI_SL_SM_mSN_SP_bEUlT_E_NS1_11comp_targetILNS1_3genE4ELNS1_11target_archE910ELNS1_3gpuE8ELNS1_3repE0EEENS1_30default_config_static_selectorELNS0_4arch9wavefront6targetE1EEEvT1_.uses_flat_scratch, 0
	.set _ZN7rocprim17ROCPRIM_400000_NS6detail17trampoline_kernelINS0_14default_configENS1_25transform_config_selectorIiLb0EEEZNS1_14transform_implILb0ES3_S5_NS0_18transform_iteratorINS0_17counting_iteratorImlEEZNS1_24adjacent_difference_implIS3_Lb1ELb0EPKiPiN6thrust23THRUST_200600_302600_NS4plusIiEEEE10hipError_tPvRmT2_T3_mT4_P12ihipStream_tbEUlmE_iEESD_NS0_8identityIvEEEESI_SL_SM_mSN_SP_bEUlT_E_NS1_11comp_targetILNS1_3genE4ELNS1_11target_archE910ELNS1_3gpuE8ELNS1_3repE0EEENS1_30default_config_static_selectorELNS0_4arch9wavefront6targetE1EEEvT1_.has_dyn_sized_stack, 0
	.set _ZN7rocprim17ROCPRIM_400000_NS6detail17trampoline_kernelINS0_14default_configENS1_25transform_config_selectorIiLb0EEEZNS1_14transform_implILb0ES3_S5_NS0_18transform_iteratorINS0_17counting_iteratorImlEEZNS1_24adjacent_difference_implIS3_Lb1ELb0EPKiPiN6thrust23THRUST_200600_302600_NS4plusIiEEEE10hipError_tPvRmT2_T3_mT4_P12ihipStream_tbEUlmE_iEESD_NS0_8identityIvEEEESI_SL_SM_mSN_SP_bEUlT_E_NS1_11comp_targetILNS1_3genE4ELNS1_11target_archE910ELNS1_3gpuE8ELNS1_3repE0EEENS1_30default_config_static_selectorELNS0_4arch9wavefront6targetE1EEEvT1_.has_recursion, 0
	.set _ZN7rocprim17ROCPRIM_400000_NS6detail17trampoline_kernelINS0_14default_configENS1_25transform_config_selectorIiLb0EEEZNS1_14transform_implILb0ES3_S5_NS0_18transform_iteratorINS0_17counting_iteratorImlEEZNS1_24adjacent_difference_implIS3_Lb1ELb0EPKiPiN6thrust23THRUST_200600_302600_NS4plusIiEEEE10hipError_tPvRmT2_T3_mT4_P12ihipStream_tbEUlmE_iEESD_NS0_8identityIvEEEESI_SL_SM_mSN_SP_bEUlT_E_NS1_11comp_targetILNS1_3genE4ELNS1_11target_archE910ELNS1_3gpuE8ELNS1_3repE0EEENS1_30default_config_static_selectorELNS0_4arch9wavefront6targetE1EEEvT1_.has_indirect_call, 0
	.section	.AMDGPU.csdata,"",@progbits
; Kernel info:
; codeLenInByte = 0
; TotalNumSgprs: 4
; NumVgprs: 0
; ScratchSize: 0
; MemoryBound: 0
; FloatMode: 240
; IeeeMode: 1
; LDSByteSize: 0 bytes/workgroup (compile time only)
; SGPRBlocks: 0
; VGPRBlocks: 0
; NumSGPRsForWavesPerEU: 4
; NumVGPRsForWavesPerEU: 1
; Occupancy: 10
; WaveLimiterHint : 0
; COMPUTE_PGM_RSRC2:SCRATCH_EN: 0
; COMPUTE_PGM_RSRC2:USER_SGPR: 6
; COMPUTE_PGM_RSRC2:TRAP_HANDLER: 0
; COMPUTE_PGM_RSRC2:TGID_X_EN: 1
; COMPUTE_PGM_RSRC2:TGID_Y_EN: 0
; COMPUTE_PGM_RSRC2:TGID_Z_EN: 0
; COMPUTE_PGM_RSRC2:TIDIG_COMP_CNT: 0
	.section	.text._ZN7rocprim17ROCPRIM_400000_NS6detail17trampoline_kernelINS0_14default_configENS1_25transform_config_selectorIiLb0EEEZNS1_14transform_implILb0ES3_S5_NS0_18transform_iteratorINS0_17counting_iteratorImlEEZNS1_24adjacent_difference_implIS3_Lb1ELb0EPKiPiN6thrust23THRUST_200600_302600_NS4plusIiEEEE10hipError_tPvRmT2_T3_mT4_P12ihipStream_tbEUlmE_iEESD_NS0_8identityIvEEEESI_SL_SM_mSN_SP_bEUlT_E_NS1_11comp_targetILNS1_3genE3ELNS1_11target_archE908ELNS1_3gpuE7ELNS1_3repE0EEENS1_30default_config_static_selectorELNS0_4arch9wavefront6targetE1EEEvT1_,"axG",@progbits,_ZN7rocprim17ROCPRIM_400000_NS6detail17trampoline_kernelINS0_14default_configENS1_25transform_config_selectorIiLb0EEEZNS1_14transform_implILb0ES3_S5_NS0_18transform_iteratorINS0_17counting_iteratorImlEEZNS1_24adjacent_difference_implIS3_Lb1ELb0EPKiPiN6thrust23THRUST_200600_302600_NS4plusIiEEEE10hipError_tPvRmT2_T3_mT4_P12ihipStream_tbEUlmE_iEESD_NS0_8identityIvEEEESI_SL_SM_mSN_SP_bEUlT_E_NS1_11comp_targetILNS1_3genE3ELNS1_11target_archE908ELNS1_3gpuE7ELNS1_3repE0EEENS1_30default_config_static_selectorELNS0_4arch9wavefront6targetE1EEEvT1_,comdat
	.protected	_ZN7rocprim17ROCPRIM_400000_NS6detail17trampoline_kernelINS0_14default_configENS1_25transform_config_selectorIiLb0EEEZNS1_14transform_implILb0ES3_S5_NS0_18transform_iteratorINS0_17counting_iteratorImlEEZNS1_24adjacent_difference_implIS3_Lb1ELb0EPKiPiN6thrust23THRUST_200600_302600_NS4plusIiEEEE10hipError_tPvRmT2_T3_mT4_P12ihipStream_tbEUlmE_iEESD_NS0_8identityIvEEEESI_SL_SM_mSN_SP_bEUlT_E_NS1_11comp_targetILNS1_3genE3ELNS1_11target_archE908ELNS1_3gpuE7ELNS1_3repE0EEENS1_30default_config_static_selectorELNS0_4arch9wavefront6targetE1EEEvT1_ ; -- Begin function _ZN7rocprim17ROCPRIM_400000_NS6detail17trampoline_kernelINS0_14default_configENS1_25transform_config_selectorIiLb0EEEZNS1_14transform_implILb0ES3_S5_NS0_18transform_iteratorINS0_17counting_iteratorImlEEZNS1_24adjacent_difference_implIS3_Lb1ELb0EPKiPiN6thrust23THRUST_200600_302600_NS4plusIiEEEE10hipError_tPvRmT2_T3_mT4_P12ihipStream_tbEUlmE_iEESD_NS0_8identityIvEEEESI_SL_SM_mSN_SP_bEUlT_E_NS1_11comp_targetILNS1_3genE3ELNS1_11target_archE908ELNS1_3gpuE7ELNS1_3repE0EEENS1_30default_config_static_selectorELNS0_4arch9wavefront6targetE1EEEvT1_
	.globl	_ZN7rocprim17ROCPRIM_400000_NS6detail17trampoline_kernelINS0_14default_configENS1_25transform_config_selectorIiLb0EEEZNS1_14transform_implILb0ES3_S5_NS0_18transform_iteratorINS0_17counting_iteratorImlEEZNS1_24adjacent_difference_implIS3_Lb1ELb0EPKiPiN6thrust23THRUST_200600_302600_NS4plusIiEEEE10hipError_tPvRmT2_T3_mT4_P12ihipStream_tbEUlmE_iEESD_NS0_8identityIvEEEESI_SL_SM_mSN_SP_bEUlT_E_NS1_11comp_targetILNS1_3genE3ELNS1_11target_archE908ELNS1_3gpuE7ELNS1_3repE0EEENS1_30default_config_static_selectorELNS0_4arch9wavefront6targetE1EEEvT1_
	.p2align	8
	.type	_ZN7rocprim17ROCPRIM_400000_NS6detail17trampoline_kernelINS0_14default_configENS1_25transform_config_selectorIiLb0EEEZNS1_14transform_implILb0ES3_S5_NS0_18transform_iteratorINS0_17counting_iteratorImlEEZNS1_24adjacent_difference_implIS3_Lb1ELb0EPKiPiN6thrust23THRUST_200600_302600_NS4plusIiEEEE10hipError_tPvRmT2_T3_mT4_P12ihipStream_tbEUlmE_iEESD_NS0_8identityIvEEEESI_SL_SM_mSN_SP_bEUlT_E_NS1_11comp_targetILNS1_3genE3ELNS1_11target_archE908ELNS1_3gpuE7ELNS1_3repE0EEENS1_30default_config_static_selectorELNS0_4arch9wavefront6targetE1EEEvT1_,@function
_ZN7rocprim17ROCPRIM_400000_NS6detail17trampoline_kernelINS0_14default_configENS1_25transform_config_selectorIiLb0EEEZNS1_14transform_implILb0ES3_S5_NS0_18transform_iteratorINS0_17counting_iteratorImlEEZNS1_24adjacent_difference_implIS3_Lb1ELb0EPKiPiN6thrust23THRUST_200600_302600_NS4plusIiEEEE10hipError_tPvRmT2_T3_mT4_P12ihipStream_tbEUlmE_iEESD_NS0_8identityIvEEEESI_SL_SM_mSN_SP_bEUlT_E_NS1_11comp_targetILNS1_3genE3ELNS1_11target_archE908ELNS1_3gpuE7ELNS1_3repE0EEENS1_30default_config_static_selectorELNS0_4arch9wavefront6targetE1EEEvT1_: ; @_ZN7rocprim17ROCPRIM_400000_NS6detail17trampoline_kernelINS0_14default_configENS1_25transform_config_selectorIiLb0EEEZNS1_14transform_implILb0ES3_S5_NS0_18transform_iteratorINS0_17counting_iteratorImlEEZNS1_24adjacent_difference_implIS3_Lb1ELb0EPKiPiN6thrust23THRUST_200600_302600_NS4plusIiEEEE10hipError_tPvRmT2_T3_mT4_P12ihipStream_tbEUlmE_iEESD_NS0_8identityIvEEEESI_SL_SM_mSN_SP_bEUlT_E_NS1_11comp_targetILNS1_3genE3ELNS1_11target_archE908ELNS1_3gpuE7ELNS1_3repE0EEENS1_30default_config_static_selectorELNS0_4arch9wavefront6targetE1EEEvT1_
; %bb.0:
	.section	.rodata,"a",@progbits
	.p2align	6, 0x0
	.amdhsa_kernel _ZN7rocprim17ROCPRIM_400000_NS6detail17trampoline_kernelINS0_14default_configENS1_25transform_config_selectorIiLb0EEEZNS1_14transform_implILb0ES3_S5_NS0_18transform_iteratorINS0_17counting_iteratorImlEEZNS1_24adjacent_difference_implIS3_Lb1ELb0EPKiPiN6thrust23THRUST_200600_302600_NS4plusIiEEEE10hipError_tPvRmT2_T3_mT4_P12ihipStream_tbEUlmE_iEESD_NS0_8identityIvEEEESI_SL_SM_mSN_SP_bEUlT_E_NS1_11comp_targetILNS1_3genE3ELNS1_11target_archE908ELNS1_3gpuE7ELNS1_3repE0EEENS1_30default_config_static_selectorELNS0_4arch9wavefront6targetE1EEEvT1_
		.amdhsa_group_segment_fixed_size 0
		.amdhsa_private_segment_fixed_size 0
		.amdhsa_kernarg_size 56
		.amdhsa_user_sgpr_count 6
		.amdhsa_user_sgpr_private_segment_buffer 1
		.amdhsa_user_sgpr_dispatch_ptr 0
		.amdhsa_user_sgpr_queue_ptr 0
		.amdhsa_user_sgpr_kernarg_segment_ptr 1
		.amdhsa_user_sgpr_dispatch_id 0
		.amdhsa_user_sgpr_flat_scratch_init 0
		.amdhsa_user_sgpr_private_segment_size 0
		.amdhsa_uses_dynamic_stack 0
		.amdhsa_system_sgpr_private_segment_wavefront_offset 0
		.amdhsa_system_sgpr_workgroup_id_x 1
		.amdhsa_system_sgpr_workgroup_id_y 0
		.amdhsa_system_sgpr_workgroup_id_z 0
		.amdhsa_system_sgpr_workgroup_info 0
		.amdhsa_system_vgpr_workitem_id 0
		.amdhsa_next_free_vgpr 1
		.amdhsa_next_free_sgpr 0
		.amdhsa_reserve_vcc 0
		.amdhsa_reserve_flat_scratch 0
		.amdhsa_float_round_mode_32 0
		.amdhsa_float_round_mode_16_64 0
		.amdhsa_float_denorm_mode_32 3
		.amdhsa_float_denorm_mode_16_64 3
		.amdhsa_dx10_clamp 1
		.amdhsa_ieee_mode 1
		.amdhsa_fp16_overflow 0
		.amdhsa_exception_fp_ieee_invalid_op 0
		.amdhsa_exception_fp_denorm_src 0
		.amdhsa_exception_fp_ieee_div_zero 0
		.amdhsa_exception_fp_ieee_overflow 0
		.amdhsa_exception_fp_ieee_underflow 0
		.amdhsa_exception_fp_ieee_inexact 0
		.amdhsa_exception_int_div_zero 0
	.end_amdhsa_kernel
	.section	.text._ZN7rocprim17ROCPRIM_400000_NS6detail17trampoline_kernelINS0_14default_configENS1_25transform_config_selectorIiLb0EEEZNS1_14transform_implILb0ES3_S5_NS0_18transform_iteratorINS0_17counting_iteratorImlEEZNS1_24adjacent_difference_implIS3_Lb1ELb0EPKiPiN6thrust23THRUST_200600_302600_NS4plusIiEEEE10hipError_tPvRmT2_T3_mT4_P12ihipStream_tbEUlmE_iEESD_NS0_8identityIvEEEESI_SL_SM_mSN_SP_bEUlT_E_NS1_11comp_targetILNS1_3genE3ELNS1_11target_archE908ELNS1_3gpuE7ELNS1_3repE0EEENS1_30default_config_static_selectorELNS0_4arch9wavefront6targetE1EEEvT1_,"axG",@progbits,_ZN7rocprim17ROCPRIM_400000_NS6detail17trampoline_kernelINS0_14default_configENS1_25transform_config_selectorIiLb0EEEZNS1_14transform_implILb0ES3_S5_NS0_18transform_iteratorINS0_17counting_iteratorImlEEZNS1_24adjacent_difference_implIS3_Lb1ELb0EPKiPiN6thrust23THRUST_200600_302600_NS4plusIiEEEE10hipError_tPvRmT2_T3_mT4_P12ihipStream_tbEUlmE_iEESD_NS0_8identityIvEEEESI_SL_SM_mSN_SP_bEUlT_E_NS1_11comp_targetILNS1_3genE3ELNS1_11target_archE908ELNS1_3gpuE7ELNS1_3repE0EEENS1_30default_config_static_selectorELNS0_4arch9wavefront6targetE1EEEvT1_,comdat
.Lfunc_end734:
	.size	_ZN7rocprim17ROCPRIM_400000_NS6detail17trampoline_kernelINS0_14default_configENS1_25transform_config_selectorIiLb0EEEZNS1_14transform_implILb0ES3_S5_NS0_18transform_iteratorINS0_17counting_iteratorImlEEZNS1_24adjacent_difference_implIS3_Lb1ELb0EPKiPiN6thrust23THRUST_200600_302600_NS4plusIiEEEE10hipError_tPvRmT2_T3_mT4_P12ihipStream_tbEUlmE_iEESD_NS0_8identityIvEEEESI_SL_SM_mSN_SP_bEUlT_E_NS1_11comp_targetILNS1_3genE3ELNS1_11target_archE908ELNS1_3gpuE7ELNS1_3repE0EEENS1_30default_config_static_selectorELNS0_4arch9wavefront6targetE1EEEvT1_, .Lfunc_end734-_ZN7rocprim17ROCPRIM_400000_NS6detail17trampoline_kernelINS0_14default_configENS1_25transform_config_selectorIiLb0EEEZNS1_14transform_implILb0ES3_S5_NS0_18transform_iteratorINS0_17counting_iteratorImlEEZNS1_24adjacent_difference_implIS3_Lb1ELb0EPKiPiN6thrust23THRUST_200600_302600_NS4plusIiEEEE10hipError_tPvRmT2_T3_mT4_P12ihipStream_tbEUlmE_iEESD_NS0_8identityIvEEEESI_SL_SM_mSN_SP_bEUlT_E_NS1_11comp_targetILNS1_3genE3ELNS1_11target_archE908ELNS1_3gpuE7ELNS1_3repE0EEENS1_30default_config_static_selectorELNS0_4arch9wavefront6targetE1EEEvT1_
                                        ; -- End function
	.set _ZN7rocprim17ROCPRIM_400000_NS6detail17trampoline_kernelINS0_14default_configENS1_25transform_config_selectorIiLb0EEEZNS1_14transform_implILb0ES3_S5_NS0_18transform_iteratorINS0_17counting_iteratorImlEEZNS1_24adjacent_difference_implIS3_Lb1ELb0EPKiPiN6thrust23THRUST_200600_302600_NS4plusIiEEEE10hipError_tPvRmT2_T3_mT4_P12ihipStream_tbEUlmE_iEESD_NS0_8identityIvEEEESI_SL_SM_mSN_SP_bEUlT_E_NS1_11comp_targetILNS1_3genE3ELNS1_11target_archE908ELNS1_3gpuE7ELNS1_3repE0EEENS1_30default_config_static_selectorELNS0_4arch9wavefront6targetE1EEEvT1_.num_vgpr, 0
	.set _ZN7rocprim17ROCPRIM_400000_NS6detail17trampoline_kernelINS0_14default_configENS1_25transform_config_selectorIiLb0EEEZNS1_14transform_implILb0ES3_S5_NS0_18transform_iteratorINS0_17counting_iteratorImlEEZNS1_24adjacent_difference_implIS3_Lb1ELb0EPKiPiN6thrust23THRUST_200600_302600_NS4plusIiEEEE10hipError_tPvRmT2_T3_mT4_P12ihipStream_tbEUlmE_iEESD_NS0_8identityIvEEEESI_SL_SM_mSN_SP_bEUlT_E_NS1_11comp_targetILNS1_3genE3ELNS1_11target_archE908ELNS1_3gpuE7ELNS1_3repE0EEENS1_30default_config_static_selectorELNS0_4arch9wavefront6targetE1EEEvT1_.num_agpr, 0
	.set _ZN7rocprim17ROCPRIM_400000_NS6detail17trampoline_kernelINS0_14default_configENS1_25transform_config_selectorIiLb0EEEZNS1_14transform_implILb0ES3_S5_NS0_18transform_iteratorINS0_17counting_iteratorImlEEZNS1_24adjacent_difference_implIS3_Lb1ELb0EPKiPiN6thrust23THRUST_200600_302600_NS4plusIiEEEE10hipError_tPvRmT2_T3_mT4_P12ihipStream_tbEUlmE_iEESD_NS0_8identityIvEEEESI_SL_SM_mSN_SP_bEUlT_E_NS1_11comp_targetILNS1_3genE3ELNS1_11target_archE908ELNS1_3gpuE7ELNS1_3repE0EEENS1_30default_config_static_selectorELNS0_4arch9wavefront6targetE1EEEvT1_.numbered_sgpr, 0
	.set _ZN7rocprim17ROCPRIM_400000_NS6detail17trampoline_kernelINS0_14default_configENS1_25transform_config_selectorIiLb0EEEZNS1_14transform_implILb0ES3_S5_NS0_18transform_iteratorINS0_17counting_iteratorImlEEZNS1_24adjacent_difference_implIS3_Lb1ELb0EPKiPiN6thrust23THRUST_200600_302600_NS4plusIiEEEE10hipError_tPvRmT2_T3_mT4_P12ihipStream_tbEUlmE_iEESD_NS0_8identityIvEEEESI_SL_SM_mSN_SP_bEUlT_E_NS1_11comp_targetILNS1_3genE3ELNS1_11target_archE908ELNS1_3gpuE7ELNS1_3repE0EEENS1_30default_config_static_selectorELNS0_4arch9wavefront6targetE1EEEvT1_.num_named_barrier, 0
	.set _ZN7rocprim17ROCPRIM_400000_NS6detail17trampoline_kernelINS0_14default_configENS1_25transform_config_selectorIiLb0EEEZNS1_14transform_implILb0ES3_S5_NS0_18transform_iteratorINS0_17counting_iteratorImlEEZNS1_24adjacent_difference_implIS3_Lb1ELb0EPKiPiN6thrust23THRUST_200600_302600_NS4plusIiEEEE10hipError_tPvRmT2_T3_mT4_P12ihipStream_tbEUlmE_iEESD_NS0_8identityIvEEEESI_SL_SM_mSN_SP_bEUlT_E_NS1_11comp_targetILNS1_3genE3ELNS1_11target_archE908ELNS1_3gpuE7ELNS1_3repE0EEENS1_30default_config_static_selectorELNS0_4arch9wavefront6targetE1EEEvT1_.private_seg_size, 0
	.set _ZN7rocprim17ROCPRIM_400000_NS6detail17trampoline_kernelINS0_14default_configENS1_25transform_config_selectorIiLb0EEEZNS1_14transform_implILb0ES3_S5_NS0_18transform_iteratorINS0_17counting_iteratorImlEEZNS1_24adjacent_difference_implIS3_Lb1ELb0EPKiPiN6thrust23THRUST_200600_302600_NS4plusIiEEEE10hipError_tPvRmT2_T3_mT4_P12ihipStream_tbEUlmE_iEESD_NS0_8identityIvEEEESI_SL_SM_mSN_SP_bEUlT_E_NS1_11comp_targetILNS1_3genE3ELNS1_11target_archE908ELNS1_3gpuE7ELNS1_3repE0EEENS1_30default_config_static_selectorELNS0_4arch9wavefront6targetE1EEEvT1_.uses_vcc, 0
	.set _ZN7rocprim17ROCPRIM_400000_NS6detail17trampoline_kernelINS0_14default_configENS1_25transform_config_selectorIiLb0EEEZNS1_14transform_implILb0ES3_S5_NS0_18transform_iteratorINS0_17counting_iteratorImlEEZNS1_24adjacent_difference_implIS3_Lb1ELb0EPKiPiN6thrust23THRUST_200600_302600_NS4plusIiEEEE10hipError_tPvRmT2_T3_mT4_P12ihipStream_tbEUlmE_iEESD_NS0_8identityIvEEEESI_SL_SM_mSN_SP_bEUlT_E_NS1_11comp_targetILNS1_3genE3ELNS1_11target_archE908ELNS1_3gpuE7ELNS1_3repE0EEENS1_30default_config_static_selectorELNS0_4arch9wavefront6targetE1EEEvT1_.uses_flat_scratch, 0
	.set _ZN7rocprim17ROCPRIM_400000_NS6detail17trampoline_kernelINS0_14default_configENS1_25transform_config_selectorIiLb0EEEZNS1_14transform_implILb0ES3_S5_NS0_18transform_iteratorINS0_17counting_iteratorImlEEZNS1_24adjacent_difference_implIS3_Lb1ELb0EPKiPiN6thrust23THRUST_200600_302600_NS4plusIiEEEE10hipError_tPvRmT2_T3_mT4_P12ihipStream_tbEUlmE_iEESD_NS0_8identityIvEEEESI_SL_SM_mSN_SP_bEUlT_E_NS1_11comp_targetILNS1_3genE3ELNS1_11target_archE908ELNS1_3gpuE7ELNS1_3repE0EEENS1_30default_config_static_selectorELNS0_4arch9wavefront6targetE1EEEvT1_.has_dyn_sized_stack, 0
	.set _ZN7rocprim17ROCPRIM_400000_NS6detail17trampoline_kernelINS0_14default_configENS1_25transform_config_selectorIiLb0EEEZNS1_14transform_implILb0ES3_S5_NS0_18transform_iteratorINS0_17counting_iteratorImlEEZNS1_24adjacent_difference_implIS3_Lb1ELb0EPKiPiN6thrust23THRUST_200600_302600_NS4plusIiEEEE10hipError_tPvRmT2_T3_mT4_P12ihipStream_tbEUlmE_iEESD_NS0_8identityIvEEEESI_SL_SM_mSN_SP_bEUlT_E_NS1_11comp_targetILNS1_3genE3ELNS1_11target_archE908ELNS1_3gpuE7ELNS1_3repE0EEENS1_30default_config_static_selectorELNS0_4arch9wavefront6targetE1EEEvT1_.has_recursion, 0
	.set _ZN7rocprim17ROCPRIM_400000_NS6detail17trampoline_kernelINS0_14default_configENS1_25transform_config_selectorIiLb0EEEZNS1_14transform_implILb0ES3_S5_NS0_18transform_iteratorINS0_17counting_iteratorImlEEZNS1_24adjacent_difference_implIS3_Lb1ELb0EPKiPiN6thrust23THRUST_200600_302600_NS4plusIiEEEE10hipError_tPvRmT2_T3_mT4_P12ihipStream_tbEUlmE_iEESD_NS0_8identityIvEEEESI_SL_SM_mSN_SP_bEUlT_E_NS1_11comp_targetILNS1_3genE3ELNS1_11target_archE908ELNS1_3gpuE7ELNS1_3repE0EEENS1_30default_config_static_selectorELNS0_4arch9wavefront6targetE1EEEvT1_.has_indirect_call, 0
	.section	.AMDGPU.csdata,"",@progbits
; Kernel info:
; codeLenInByte = 0
; TotalNumSgprs: 4
; NumVgprs: 0
; ScratchSize: 0
; MemoryBound: 0
; FloatMode: 240
; IeeeMode: 1
; LDSByteSize: 0 bytes/workgroup (compile time only)
; SGPRBlocks: 0
; VGPRBlocks: 0
; NumSGPRsForWavesPerEU: 4
; NumVGPRsForWavesPerEU: 1
; Occupancy: 10
; WaveLimiterHint : 0
; COMPUTE_PGM_RSRC2:SCRATCH_EN: 0
; COMPUTE_PGM_RSRC2:USER_SGPR: 6
; COMPUTE_PGM_RSRC2:TRAP_HANDLER: 0
; COMPUTE_PGM_RSRC2:TGID_X_EN: 1
; COMPUTE_PGM_RSRC2:TGID_Y_EN: 0
; COMPUTE_PGM_RSRC2:TGID_Z_EN: 0
; COMPUTE_PGM_RSRC2:TIDIG_COMP_CNT: 0
	.section	.text._ZN7rocprim17ROCPRIM_400000_NS6detail17trampoline_kernelINS0_14default_configENS1_25transform_config_selectorIiLb0EEEZNS1_14transform_implILb0ES3_S5_NS0_18transform_iteratorINS0_17counting_iteratorImlEEZNS1_24adjacent_difference_implIS3_Lb1ELb0EPKiPiN6thrust23THRUST_200600_302600_NS4plusIiEEEE10hipError_tPvRmT2_T3_mT4_P12ihipStream_tbEUlmE_iEESD_NS0_8identityIvEEEESI_SL_SM_mSN_SP_bEUlT_E_NS1_11comp_targetILNS1_3genE2ELNS1_11target_archE906ELNS1_3gpuE6ELNS1_3repE0EEENS1_30default_config_static_selectorELNS0_4arch9wavefront6targetE1EEEvT1_,"axG",@progbits,_ZN7rocprim17ROCPRIM_400000_NS6detail17trampoline_kernelINS0_14default_configENS1_25transform_config_selectorIiLb0EEEZNS1_14transform_implILb0ES3_S5_NS0_18transform_iteratorINS0_17counting_iteratorImlEEZNS1_24adjacent_difference_implIS3_Lb1ELb0EPKiPiN6thrust23THRUST_200600_302600_NS4plusIiEEEE10hipError_tPvRmT2_T3_mT4_P12ihipStream_tbEUlmE_iEESD_NS0_8identityIvEEEESI_SL_SM_mSN_SP_bEUlT_E_NS1_11comp_targetILNS1_3genE2ELNS1_11target_archE906ELNS1_3gpuE6ELNS1_3repE0EEENS1_30default_config_static_selectorELNS0_4arch9wavefront6targetE1EEEvT1_,comdat
	.protected	_ZN7rocprim17ROCPRIM_400000_NS6detail17trampoline_kernelINS0_14default_configENS1_25transform_config_selectorIiLb0EEEZNS1_14transform_implILb0ES3_S5_NS0_18transform_iteratorINS0_17counting_iteratorImlEEZNS1_24adjacent_difference_implIS3_Lb1ELb0EPKiPiN6thrust23THRUST_200600_302600_NS4plusIiEEEE10hipError_tPvRmT2_T3_mT4_P12ihipStream_tbEUlmE_iEESD_NS0_8identityIvEEEESI_SL_SM_mSN_SP_bEUlT_E_NS1_11comp_targetILNS1_3genE2ELNS1_11target_archE906ELNS1_3gpuE6ELNS1_3repE0EEENS1_30default_config_static_selectorELNS0_4arch9wavefront6targetE1EEEvT1_ ; -- Begin function _ZN7rocprim17ROCPRIM_400000_NS6detail17trampoline_kernelINS0_14default_configENS1_25transform_config_selectorIiLb0EEEZNS1_14transform_implILb0ES3_S5_NS0_18transform_iteratorINS0_17counting_iteratorImlEEZNS1_24adjacent_difference_implIS3_Lb1ELb0EPKiPiN6thrust23THRUST_200600_302600_NS4plusIiEEEE10hipError_tPvRmT2_T3_mT4_P12ihipStream_tbEUlmE_iEESD_NS0_8identityIvEEEESI_SL_SM_mSN_SP_bEUlT_E_NS1_11comp_targetILNS1_3genE2ELNS1_11target_archE906ELNS1_3gpuE6ELNS1_3repE0EEENS1_30default_config_static_selectorELNS0_4arch9wavefront6targetE1EEEvT1_
	.globl	_ZN7rocprim17ROCPRIM_400000_NS6detail17trampoline_kernelINS0_14default_configENS1_25transform_config_selectorIiLb0EEEZNS1_14transform_implILb0ES3_S5_NS0_18transform_iteratorINS0_17counting_iteratorImlEEZNS1_24adjacent_difference_implIS3_Lb1ELb0EPKiPiN6thrust23THRUST_200600_302600_NS4plusIiEEEE10hipError_tPvRmT2_T3_mT4_P12ihipStream_tbEUlmE_iEESD_NS0_8identityIvEEEESI_SL_SM_mSN_SP_bEUlT_E_NS1_11comp_targetILNS1_3genE2ELNS1_11target_archE906ELNS1_3gpuE6ELNS1_3repE0EEENS1_30default_config_static_selectorELNS0_4arch9wavefront6targetE1EEEvT1_
	.p2align	8
	.type	_ZN7rocprim17ROCPRIM_400000_NS6detail17trampoline_kernelINS0_14default_configENS1_25transform_config_selectorIiLb0EEEZNS1_14transform_implILb0ES3_S5_NS0_18transform_iteratorINS0_17counting_iteratorImlEEZNS1_24adjacent_difference_implIS3_Lb1ELb0EPKiPiN6thrust23THRUST_200600_302600_NS4plusIiEEEE10hipError_tPvRmT2_T3_mT4_P12ihipStream_tbEUlmE_iEESD_NS0_8identityIvEEEESI_SL_SM_mSN_SP_bEUlT_E_NS1_11comp_targetILNS1_3genE2ELNS1_11target_archE906ELNS1_3gpuE6ELNS1_3repE0EEENS1_30default_config_static_selectorELNS0_4arch9wavefront6targetE1EEEvT1_,@function
_ZN7rocprim17ROCPRIM_400000_NS6detail17trampoline_kernelINS0_14default_configENS1_25transform_config_selectorIiLb0EEEZNS1_14transform_implILb0ES3_S5_NS0_18transform_iteratorINS0_17counting_iteratorImlEEZNS1_24adjacent_difference_implIS3_Lb1ELb0EPKiPiN6thrust23THRUST_200600_302600_NS4plusIiEEEE10hipError_tPvRmT2_T3_mT4_P12ihipStream_tbEUlmE_iEESD_NS0_8identityIvEEEESI_SL_SM_mSN_SP_bEUlT_E_NS1_11comp_targetILNS1_3genE2ELNS1_11target_archE906ELNS1_3gpuE6ELNS1_3repE0EEENS1_30default_config_static_selectorELNS0_4arch9wavefront6targetE1EEEvT1_: ; @_ZN7rocprim17ROCPRIM_400000_NS6detail17trampoline_kernelINS0_14default_configENS1_25transform_config_selectorIiLb0EEEZNS1_14transform_implILb0ES3_S5_NS0_18transform_iteratorINS0_17counting_iteratorImlEEZNS1_24adjacent_difference_implIS3_Lb1ELb0EPKiPiN6thrust23THRUST_200600_302600_NS4plusIiEEEE10hipError_tPvRmT2_T3_mT4_P12ihipStream_tbEUlmE_iEESD_NS0_8identityIvEEEESI_SL_SM_mSN_SP_bEUlT_E_NS1_11comp_targetILNS1_3genE2ELNS1_11target_archE906ELNS1_3gpuE6ELNS1_3repE0EEENS1_30default_config_static_selectorELNS0_4arch9wavefront6targetE1EEEvT1_
; %bb.0:
	s_load_dwordx4 s[0:3], s[4:5], 0x18
	s_load_dwordx2 s[14:15], s[4:5], 0x28
	s_load_dwordx4 s[8:11], s[4:5], 0x0
	s_load_dword s12, s[4:5], 0x10
	s_waitcnt lgkmcnt(0)
	s_load_dword s3, s[4:5], 0x38
                                        ; kill: killed $sgpr4_sgpr5
	s_lshl_b64 s[4:5], s[0:1], 2
	s_add_u32 s14, s14, s4
	s_addc_u32 s15, s15, s5
	s_lshl_b32 s4, s6, 11
	s_waitcnt lgkmcnt(0)
	s_add_i32 s3, s3, -1
	s_add_u32 s7, s8, s4
	s_addc_u32 s8, s9, 0
	s_add_u32 s16, s7, s0
	s_addc_u32 s17, s8, s1
	s_mov_b32 s5, 0
	s_cmp_lg_u32 s6, s3
	v_lshlrev_b32_e32 v5, 2, v0
	s_cbranch_scc0 .LBB735_2
; %bb.1:
	v_mov_b32_e32 v1, s17
	v_add_co_u32_e32 v2, vcc, s16, v0
	v_addc_co_u32_e32 v3, vcc, 0, v1, vcc
	v_mad_u64_u32 v[1:2], s[0:1], v2, s12, 0
	s_mov_b32 s13, s5
	s_lshl_b64 s[6:7], s[4:5], 2
	v_mad_u64_u32 v[2:3], s[0:1], v3, s12, v[2:3]
	v_mov_b32_e32 v3, s11
	s_lshl_b64 s[0:1], s[12:13], 12
	v_lshlrev_b64 v[1:2], 2, v[1:2]
	s_add_u32 s6, s14, s6
	v_add_co_u32_e32 v1, vcc, s10, v1
	v_addc_co_u32_e32 v2, vcc, v3, v2, vcc
	global_load_dword v6, v[1:2], off
	v_mov_b32_e32 v3, s1
	v_add_co_u32_e32 v1, vcc, s0, v1
	v_addc_co_u32_e32 v2, vcc, v2, v3, vcc
	global_load_dword v1, v[1:2], off
	s_addc_u32 s7, s15, s7
	v_mov_b32_e32 v2, s7
	v_add_co_u32_e32 v3, vcc, s6, v5
	v_addc_co_u32_e32 v4, vcc, 0, v2, vcc
	s_waitcnt vmcnt(1)
	global_store_dword v5, v6, s[6:7]
	s_mov_b64 s[6:7], -1
	s_cbranch_execz .LBB735_3
	s_branch .LBB735_12
.LBB735_2:
	s_mov_b64 s[6:7], 0
                                        ; implicit-def: $vgpr1
                                        ; implicit-def: $vgpr3_vgpr4
.LBB735_3:
	s_sub_i32 s8, s2, s4
	s_waitcnt vmcnt(1)
	v_mov_b32_e32 v1, 0
	v_cmp_gt_u32_e32 vcc, s8, v0
	v_mov_b32_e32 v2, v1
	s_and_saveexec_b64 s[2:3], vcc
	s_cbranch_execz .LBB735_5
; %bb.4:
	v_mov_b32_e32 v2, s17
	v_add_co_u32_e64 v3, s[0:1], s16, v0
	v_addc_co_u32_e64 v4, s[0:1], 0, v2, s[0:1]
	v_mad_u64_u32 v[2:3], s[0:1], v3, s12, 0
	v_mad_u64_u32 v[3:4], s[0:1], v4, s12, v[3:4]
	v_mov_b32_e32 v4, s11
	v_lshlrev_b64 v[2:3], 2, v[2:3]
	v_add_co_u32_e64 v2, s[0:1], s10, v2
	v_addc_co_u32_e64 v3, s[0:1], v4, v3, s[0:1]
	global_load_dword v2, v[2:3], off
	v_mov_b32_e32 v3, v1
	s_waitcnt vmcnt(0)
	v_mov_b32_e32 v1, v2
	v_mov_b32_e32 v2, v3
.LBB735_5:
	s_or_b64 exec, exec, s[2:3]
	v_or_b32_e32 v0, 0x400, v0
	v_cmp_gt_u32_e64 s[0:1], s8, v0
	s_and_saveexec_b64 s[8:9], s[0:1]
	s_cbranch_execz .LBB735_7
; %bb.6:
	v_mov_b32_e32 v2, s17
	v_add_co_u32_e64 v0, s[2:3], s16, v0
	v_addc_co_u32_e64 v4, s[2:3], 0, v2, s[2:3]
	v_mad_u64_u32 v[2:3], s[2:3], v0, s12, 0
	v_mov_b32_e32 v0, v3
	v_mad_u64_u32 v[3:4], s[2:3], v4, s12, v[0:1]
	v_mov_b32_e32 v0, s11
	v_lshlrev_b64 v[2:3], 2, v[2:3]
	v_add_co_u32_e64 v2, s[2:3], s10, v2
	v_addc_co_u32_e64 v3, s[2:3], v0, v3, s[2:3]
	global_load_dword v2, v[2:3], off
.LBB735_7:
	s_or_b64 exec, exec, s[8:9]
	s_lshl_b64 s[2:3], s[4:5], 2
	s_add_u32 s2, s14, s2
	s_addc_u32 s3, s15, s3
	v_cndmask_b32_e32 v0, 0, v1, vcc
	v_mov_b32_e32 v1, s3
	v_add_co_u32_e64 v3, s[2:3], s2, v5
	v_addc_co_u32_e64 v4, s[2:3], 0, v1, s[2:3]
	s_and_saveexec_b64 s[2:3], vcc
	s_cbranch_execz .LBB735_9
; %bb.8:
	global_store_dword v[3:4], v0, off
.LBB735_9:
	s_or_b64 exec, exec, s[2:3]
                                        ; implicit-def: $vgpr1
	s_and_saveexec_b64 s[2:3], s[0:1]
	s_cbranch_execz .LBB735_11
; %bb.10:
	s_waitcnt vmcnt(0)
	v_cndmask_b32_e64 v1, 0, v2, s[0:1]
	s_or_b64 s[6:7], s[6:7], exec
.LBB735_11:
	s_or_b64 exec, exec, s[2:3]
.LBB735_12:
	s_and_saveexec_b64 s[0:1], s[6:7]
	s_cbranch_execnz .LBB735_14
; %bb.13:
	s_endpgm
.LBB735_14:
	s_waitcnt vmcnt(0)
	v_add_co_u32_e32 v2, vcc, 0x1000, v3
	v_addc_co_u32_e32 v3, vcc, 0, v4, vcc
	global_store_dword v[2:3], v1, off
	s_endpgm
	.section	.rodata,"a",@progbits
	.p2align	6, 0x0
	.amdhsa_kernel _ZN7rocprim17ROCPRIM_400000_NS6detail17trampoline_kernelINS0_14default_configENS1_25transform_config_selectorIiLb0EEEZNS1_14transform_implILb0ES3_S5_NS0_18transform_iteratorINS0_17counting_iteratorImlEEZNS1_24adjacent_difference_implIS3_Lb1ELb0EPKiPiN6thrust23THRUST_200600_302600_NS4plusIiEEEE10hipError_tPvRmT2_T3_mT4_P12ihipStream_tbEUlmE_iEESD_NS0_8identityIvEEEESI_SL_SM_mSN_SP_bEUlT_E_NS1_11comp_targetILNS1_3genE2ELNS1_11target_archE906ELNS1_3gpuE6ELNS1_3repE0EEENS1_30default_config_static_selectorELNS0_4arch9wavefront6targetE1EEEvT1_
		.amdhsa_group_segment_fixed_size 0
		.amdhsa_private_segment_fixed_size 0
		.amdhsa_kernarg_size 312
		.amdhsa_user_sgpr_count 6
		.amdhsa_user_sgpr_private_segment_buffer 1
		.amdhsa_user_sgpr_dispatch_ptr 0
		.amdhsa_user_sgpr_queue_ptr 0
		.amdhsa_user_sgpr_kernarg_segment_ptr 1
		.amdhsa_user_sgpr_dispatch_id 0
		.amdhsa_user_sgpr_flat_scratch_init 0
		.amdhsa_user_sgpr_private_segment_size 0
		.amdhsa_uses_dynamic_stack 0
		.amdhsa_system_sgpr_private_segment_wavefront_offset 0
		.amdhsa_system_sgpr_workgroup_id_x 1
		.amdhsa_system_sgpr_workgroup_id_y 0
		.amdhsa_system_sgpr_workgroup_id_z 0
		.amdhsa_system_sgpr_workgroup_info 0
		.amdhsa_system_vgpr_workitem_id 0
		.amdhsa_next_free_vgpr 7
		.amdhsa_next_free_sgpr 18
		.amdhsa_reserve_vcc 1
		.amdhsa_reserve_flat_scratch 0
		.amdhsa_float_round_mode_32 0
		.amdhsa_float_round_mode_16_64 0
		.amdhsa_float_denorm_mode_32 3
		.amdhsa_float_denorm_mode_16_64 3
		.amdhsa_dx10_clamp 1
		.amdhsa_ieee_mode 1
		.amdhsa_fp16_overflow 0
		.amdhsa_exception_fp_ieee_invalid_op 0
		.amdhsa_exception_fp_denorm_src 0
		.amdhsa_exception_fp_ieee_div_zero 0
		.amdhsa_exception_fp_ieee_overflow 0
		.amdhsa_exception_fp_ieee_underflow 0
		.amdhsa_exception_fp_ieee_inexact 0
		.amdhsa_exception_int_div_zero 0
	.end_amdhsa_kernel
	.section	.text._ZN7rocprim17ROCPRIM_400000_NS6detail17trampoline_kernelINS0_14default_configENS1_25transform_config_selectorIiLb0EEEZNS1_14transform_implILb0ES3_S5_NS0_18transform_iteratorINS0_17counting_iteratorImlEEZNS1_24adjacent_difference_implIS3_Lb1ELb0EPKiPiN6thrust23THRUST_200600_302600_NS4plusIiEEEE10hipError_tPvRmT2_T3_mT4_P12ihipStream_tbEUlmE_iEESD_NS0_8identityIvEEEESI_SL_SM_mSN_SP_bEUlT_E_NS1_11comp_targetILNS1_3genE2ELNS1_11target_archE906ELNS1_3gpuE6ELNS1_3repE0EEENS1_30default_config_static_selectorELNS0_4arch9wavefront6targetE1EEEvT1_,"axG",@progbits,_ZN7rocprim17ROCPRIM_400000_NS6detail17trampoline_kernelINS0_14default_configENS1_25transform_config_selectorIiLb0EEEZNS1_14transform_implILb0ES3_S5_NS0_18transform_iteratorINS0_17counting_iteratorImlEEZNS1_24adjacent_difference_implIS3_Lb1ELb0EPKiPiN6thrust23THRUST_200600_302600_NS4plusIiEEEE10hipError_tPvRmT2_T3_mT4_P12ihipStream_tbEUlmE_iEESD_NS0_8identityIvEEEESI_SL_SM_mSN_SP_bEUlT_E_NS1_11comp_targetILNS1_3genE2ELNS1_11target_archE906ELNS1_3gpuE6ELNS1_3repE0EEENS1_30default_config_static_selectorELNS0_4arch9wavefront6targetE1EEEvT1_,comdat
.Lfunc_end735:
	.size	_ZN7rocprim17ROCPRIM_400000_NS6detail17trampoline_kernelINS0_14default_configENS1_25transform_config_selectorIiLb0EEEZNS1_14transform_implILb0ES3_S5_NS0_18transform_iteratorINS0_17counting_iteratorImlEEZNS1_24adjacent_difference_implIS3_Lb1ELb0EPKiPiN6thrust23THRUST_200600_302600_NS4plusIiEEEE10hipError_tPvRmT2_T3_mT4_P12ihipStream_tbEUlmE_iEESD_NS0_8identityIvEEEESI_SL_SM_mSN_SP_bEUlT_E_NS1_11comp_targetILNS1_3genE2ELNS1_11target_archE906ELNS1_3gpuE6ELNS1_3repE0EEENS1_30default_config_static_selectorELNS0_4arch9wavefront6targetE1EEEvT1_, .Lfunc_end735-_ZN7rocprim17ROCPRIM_400000_NS6detail17trampoline_kernelINS0_14default_configENS1_25transform_config_selectorIiLb0EEEZNS1_14transform_implILb0ES3_S5_NS0_18transform_iteratorINS0_17counting_iteratorImlEEZNS1_24adjacent_difference_implIS3_Lb1ELb0EPKiPiN6thrust23THRUST_200600_302600_NS4plusIiEEEE10hipError_tPvRmT2_T3_mT4_P12ihipStream_tbEUlmE_iEESD_NS0_8identityIvEEEESI_SL_SM_mSN_SP_bEUlT_E_NS1_11comp_targetILNS1_3genE2ELNS1_11target_archE906ELNS1_3gpuE6ELNS1_3repE0EEENS1_30default_config_static_selectorELNS0_4arch9wavefront6targetE1EEEvT1_
                                        ; -- End function
	.set _ZN7rocprim17ROCPRIM_400000_NS6detail17trampoline_kernelINS0_14default_configENS1_25transform_config_selectorIiLb0EEEZNS1_14transform_implILb0ES3_S5_NS0_18transform_iteratorINS0_17counting_iteratorImlEEZNS1_24adjacent_difference_implIS3_Lb1ELb0EPKiPiN6thrust23THRUST_200600_302600_NS4plusIiEEEE10hipError_tPvRmT2_T3_mT4_P12ihipStream_tbEUlmE_iEESD_NS0_8identityIvEEEESI_SL_SM_mSN_SP_bEUlT_E_NS1_11comp_targetILNS1_3genE2ELNS1_11target_archE906ELNS1_3gpuE6ELNS1_3repE0EEENS1_30default_config_static_selectorELNS0_4arch9wavefront6targetE1EEEvT1_.num_vgpr, 7
	.set _ZN7rocprim17ROCPRIM_400000_NS6detail17trampoline_kernelINS0_14default_configENS1_25transform_config_selectorIiLb0EEEZNS1_14transform_implILb0ES3_S5_NS0_18transform_iteratorINS0_17counting_iteratorImlEEZNS1_24adjacent_difference_implIS3_Lb1ELb0EPKiPiN6thrust23THRUST_200600_302600_NS4plusIiEEEE10hipError_tPvRmT2_T3_mT4_P12ihipStream_tbEUlmE_iEESD_NS0_8identityIvEEEESI_SL_SM_mSN_SP_bEUlT_E_NS1_11comp_targetILNS1_3genE2ELNS1_11target_archE906ELNS1_3gpuE6ELNS1_3repE0EEENS1_30default_config_static_selectorELNS0_4arch9wavefront6targetE1EEEvT1_.num_agpr, 0
	.set _ZN7rocprim17ROCPRIM_400000_NS6detail17trampoline_kernelINS0_14default_configENS1_25transform_config_selectorIiLb0EEEZNS1_14transform_implILb0ES3_S5_NS0_18transform_iteratorINS0_17counting_iteratorImlEEZNS1_24adjacent_difference_implIS3_Lb1ELb0EPKiPiN6thrust23THRUST_200600_302600_NS4plusIiEEEE10hipError_tPvRmT2_T3_mT4_P12ihipStream_tbEUlmE_iEESD_NS0_8identityIvEEEESI_SL_SM_mSN_SP_bEUlT_E_NS1_11comp_targetILNS1_3genE2ELNS1_11target_archE906ELNS1_3gpuE6ELNS1_3repE0EEENS1_30default_config_static_selectorELNS0_4arch9wavefront6targetE1EEEvT1_.numbered_sgpr, 18
	.set _ZN7rocprim17ROCPRIM_400000_NS6detail17trampoline_kernelINS0_14default_configENS1_25transform_config_selectorIiLb0EEEZNS1_14transform_implILb0ES3_S5_NS0_18transform_iteratorINS0_17counting_iteratorImlEEZNS1_24adjacent_difference_implIS3_Lb1ELb0EPKiPiN6thrust23THRUST_200600_302600_NS4plusIiEEEE10hipError_tPvRmT2_T3_mT4_P12ihipStream_tbEUlmE_iEESD_NS0_8identityIvEEEESI_SL_SM_mSN_SP_bEUlT_E_NS1_11comp_targetILNS1_3genE2ELNS1_11target_archE906ELNS1_3gpuE6ELNS1_3repE0EEENS1_30default_config_static_selectorELNS0_4arch9wavefront6targetE1EEEvT1_.num_named_barrier, 0
	.set _ZN7rocprim17ROCPRIM_400000_NS6detail17trampoline_kernelINS0_14default_configENS1_25transform_config_selectorIiLb0EEEZNS1_14transform_implILb0ES3_S5_NS0_18transform_iteratorINS0_17counting_iteratorImlEEZNS1_24adjacent_difference_implIS3_Lb1ELb0EPKiPiN6thrust23THRUST_200600_302600_NS4plusIiEEEE10hipError_tPvRmT2_T3_mT4_P12ihipStream_tbEUlmE_iEESD_NS0_8identityIvEEEESI_SL_SM_mSN_SP_bEUlT_E_NS1_11comp_targetILNS1_3genE2ELNS1_11target_archE906ELNS1_3gpuE6ELNS1_3repE0EEENS1_30default_config_static_selectorELNS0_4arch9wavefront6targetE1EEEvT1_.private_seg_size, 0
	.set _ZN7rocprim17ROCPRIM_400000_NS6detail17trampoline_kernelINS0_14default_configENS1_25transform_config_selectorIiLb0EEEZNS1_14transform_implILb0ES3_S5_NS0_18transform_iteratorINS0_17counting_iteratorImlEEZNS1_24adjacent_difference_implIS3_Lb1ELb0EPKiPiN6thrust23THRUST_200600_302600_NS4plusIiEEEE10hipError_tPvRmT2_T3_mT4_P12ihipStream_tbEUlmE_iEESD_NS0_8identityIvEEEESI_SL_SM_mSN_SP_bEUlT_E_NS1_11comp_targetILNS1_3genE2ELNS1_11target_archE906ELNS1_3gpuE6ELNS1_3repE0EEENS1_30default_config_static_selectorELNS0_4arch9wavefront6targetE1EEEvT1_.uses_vcc, 1
	.set _ZN7rocprim17ROCPRIM_400000_NS6detail17trampoline_kernelINS0_14default_configENS1_25transform_config_selectorIiLb0EEEZNS1_14transform_implILb0ES3_S5_NS0_18transform_iteratorINS0_17counting_iteratorImlEEZNS1_24adjacent_difference_implIS3_Lb1ELb0EPKiPiN6thrust23THRUST_200600_302600_NS4plusIiEEEE10hipError_tPvRmT2_T3_mT4_P12ihipStream_tbEUlmE_iEESD_NS0_8identityIvEEEESI_SL_SM_mSN_SP_bEUlT_E_NS1_11comp_targetILNS1_3genE2ELNS1_11target_archE906ELNS1_3gpuE6ELNS1_3repE0EEENS1_30default_config_static_selectorELNS0_4arch9wavefront6targetE1EEEvT1_.uses_flat_scratch, 0
	.set _ZN7rocprim17ROCPRIM_400000_NS6detail17trampoline_kernelINS0_14default_configENS1_25transform_config_selectorIiLb0EEEZNS1_14transform_implILb0ES3_S5_NS0_18transform_iteratorINS0_17counting_iteratorImlEEZNS1_24adjacent_difference_implIS3_Lb1ELb0EPKiPiN6thrust23THRUST_200600_302600_NS4plusIiEEEE10hipError_tPvRmT2_T3_mT4_P12ihipStream_tbEUlmE_iEESD_NS0_8identityIvEEEESI_SL_SM_mSN_SP_bEUlT_E_NS1_11comp_targetILNS1_3genE2ELNS1_11target_archE906ELNS1_3gpuE6ELNS1_3repE0EEENS1_30default_config_static_selectorELNS0_4arch9wavefront6targetE1EEEvT1_.has_dyn_sized_stack, 0
	.set _ZN7rocprim17ROCPRIM_400000_NS6detail17trampoline_kernelINS0_14default_configENS1_25transform_config_selectorIiLb0EEEZNS1_14transform_implILb0ES3_S5_NS0_18transform_iteratorINS0_17counting_iteratorImlEEZNS1_24adjacent_difference_implIS3_Lb1ELb0EPKiPiN6thrust23THRUST_200600_302600_NS4plusIiEEEE10hipError_tPvRmT2_T3_mT4_P12ihipStream_tbEUlmE_iEESD_NS0_8identityIvEEEESI_SL_SM_mSN_SP_bEUlT_E_NS1_11comp_targetILNS1_3genE2ELNS1_11target_archE906ELNS1_3gpuE6ELNS1_3repE0EEENS1_30default_config_static_selectorELNS0_4arch9wavefront6targetE1EEEvT1_.has_recursion, 0
	.set _ZN7rocprim17ROCPRIM_400000_NS6detail17trampoline_kernelINS0_14default_configENS1_25transform_config_selectorIiLb0EEEZNS1_14transform_implILb0ES3_S5_NS0_18transform_iteratorINS0_17counting_iteratorImlEEZNS1_24adjacent_difference_implIS3_Lb1ELb0EPKiPiN6thrust23THRUST_200600_302600_NS4plusIiEEEE10hipError_tPvRmT2_T3_mT4_P12ihipStream_tbEUlmE_iEESD_NS0_8identityIvEEEESI_SL_SM_mSN_SP_bEUlT_E_NS1_11comp_targetILNS1_3genE2ELNS1_11target_archE906ELNS1_3gpuE6ELNS1_3repE0EEENS1_30default_config_static_selectorELNS0_4arch9wavefront6targetE1EEEvT1_.has_indirect_call, 0
	.section	.AMDGPU.csdata,"",@progbits
; Kernel info:
; codeLenInByte = 584
; TotalNumSgprs: 22
; NumVgprs: 7
; ScratchSize: 0
; MemoryBound: 0
; FloatMode: 240
; IeeeMode: 1
; LDSByteSize: 0 bytes/workgroup (compile time only)
; SGPRBlocks: 2
; VGPRBlocks: 1
; NumSGPRsForWavesPerEU: 22
; NumVGPRsForWavesPerEU: 7
; Occupancy: 10
; WaveLimiterHint : 0
; COMPUTE_PGM_RSRC2:SCRATCH_EN: 0
; COMPUTE_PGM_RSRC2:USER_SGPR: 6
; COMPUTE_PGM_RSRC2:TRAP_HANDLER: 0
; COMPUTE_PGM_RSRC2:TGID_X_EN: 1
; COMPUTE_PGM_RSRC2:TGID_Y_EN: 0
; COMPUTE_PGM_RSRC2:TGID_Z_EN: 0
; COMPUTE_PGM_RSRC2:TIDIG_COMP_CNT: 0
	.section	.text._ZN7rocprim17ROCPRIM_400000_NS6detail17trampoline_kernelINS0_14default_configENS1_25transform_config_selectorIiLb0EEEZNS1_14transform_implILb0ES3_S5_NS0_18transform_iteratorINS0_17counting_iteratorImlEEZNS1_24adjacent_difference_implIS3_Lb1ELb0EPKiPiN6thrust23THRUST_200600_302600_NS4plusIiEEEE10hipError_tPvRmT2_T3_mT4_P12ihipStream_tbEUlmE_iEESD_NS0_8identityIvEEEESI_SL_SM_mSN_SP_bEUlT_E_NS1_11comp_targetILNS1_3genE10ELNS1_11target_archE1201ELNS1_3gpuE5ELNS1_3repE0EEENS1_30default_config_static_selectorELNS0_4arch9wavefront6targetE1EEEvT1_,"axG",@progbits,_ZN7rocprim17ROCPRIM_400000_NS6detail17trampoline_kernelINS0_14default_configENS1_25transform_config_selectorIiLb0EEEZNS1_14transform_implILb0ES3_S5_NS0_18transform_iteratorINS0_17counting_iteratorImlEEZNS1_24adjacent_difference_implIS3_Lb1ELb0EPKiPiN6thrust23THRUST_200600_302600_NS4plusIiEEEE10hipError_tPvRmT2_T3_mT4_P12ihipStream_tbEUlmE_iEESD_NS0_8identityIvEEEESI_SL_SM_mSN_SP_bEUlT_E_NS1_11comp_targetILNS1_3genE10ELNS1_11target_archE1201ELNS1_3gpuE5ELNS1_3repE0EEENS1_30default_config_static_selectorELNS0_4arch9wavefront6targetE1EEEvT1_,comdat
	.protected	_ZN7rocprim17ROCPRIM_400000_NS6detail17trampoline_kernelINS0_14default_configENS1_25transform_config_selectorIiLb0EEEZNS1_14transform_implILb0ES3_S5_NS0_18transform_iteratorINS0_17counting_iteratorImlEEZNS1_24adjacent_difference_implIS3_Lb1ELb0EPKiPiN6thrust23THRUST_200600_302600_NS4plusIiEEEE10hipError_tPvRmT2_T3_mT4_P12ihipStream_tbEUlmE_iEESD_NS0_8identityIvEEEESI_SL_SM_mSN_SP_bEUlT_E_NS1_11comp_targetILNS1_3genE10ELNS1_11target_archE1201ELNS1_3gpuE5ELNS1_3repE0EEENS1_30default_config_static_selectorELNS0_4arch9wavefront6targetE1EEEvT1_ ; -- Begin function _ZN7rocprim17ROCPRIM_400000_NS6detail17trampoline_kernelINS0_14default_configENS1_25transform_config_selectorIiLb0EEEZNS1_14transform_implILb0ES3_S5_NS0_18transform_iteratorINS0_17counting_iteratorImlEEZNS1_24adjacent_difference_implIS3_Lb1ELb0EPKiPiN6thrust23THRUST_200600_302600_NS4plusIiEEEE10hipError_tPvRmT2_T3_mT4_P12ihipStream_tbEUlmE_iEESD_NS0_8identityIvEEEESI_SL_SM_mSN_SP_bEUlT_E_NS1_11comp_targetILNS1_3genE10ELNS1_11target_archE1201ELNS1_3gpuE5ELNS1_3repE0EEENS1_30default_config_static_selectorELNS0_4arch9wavefront6targetE1EEEvT1_
	.globl	_ZN7rocprim17ROCPRIM_400000_NS6detail17trampoline_kernelINS0_14default_configENS1_25transform_config_selectorIiLb0EEEZNS1_14transform_implILb0ES3_S5_NS0_18transform_iteratorINS0_17counting_iteratorImlEEZNS1_24adjacent_difference_implIS3_Lb1ELb0EPKiPiN6thrust23THRUST_200600_302600_NS4plusIiEEEE10hipError_tPvRmT2_T3_mT4_P12ihipStream_tbEUlmE_iEESD_NS0_8identityIvEEEESI_SL_SM_mSN_SP_bEUlT_E_NS1_11comp_targetILNS1_3genE10ELNS1_11target_archE1201ELNS1_3gpuE5ELNS1_3repE0EEENS1_30default_config_static_selectorELNS0_4arch9wavefront6targetE1EEEvT1_
	.p2align	8
	.type	_ZN7rocprim17ROCPRIM_400000_NS6detail17trampoline_kernelINS0_14default_configENS1_25transform_config_selectorIiLb0EEEZNS1_14transform_implILb0ES3_S5_NS0_18transform_iteratorINS0_17counting_iteratorImlEEZNS1_24adjacent_difference_implIS3_Lb1ELb0EPKiPiN6thrust23THRUST_200600_302600_NS4plusIiEEEE10hipError_tPvRmT2_T3_mT4_P12ihipStream_tbEUlmE_iEESD_NS0_8identityIvEEEESI_SL_SM_mSN_SP_bEUlT_E_NS1_11comp_targetILNS1_3genE10ELNS1_11target_archE1201ELNS1_3gpuE5ELNS1_3repE0EEENS1_30default_config_static_selectorELNS0_4arch9wavefront6targetE1EEEvT1_,@function
_ZN7rocprim17ROCPRIM_400000_NS6detail17trampoline_kernelINS0_14default_configENS1_25transform_config_selectorIiLb0EEEZNS1_14transform_implILb0ES3_S5_NS0_18transform_iteratorINS0_17counting_iteratorImlEEZNS1_24adjacent_difference_implIS3_Lb1ELb0EPKiPiN6thrust23THRUST_200600_302600_NS4plusIiEEEE10hipError_tPvRmT2_T3_mT4_P12ihipStream_tbEUlmE_iEESD_NS0_8identityIvEEEESI_SL_SM_mSN_SP_bEUlT_E_NS1_11comp_targetILNS1_3genE10ELNS1_11target_archE1201ELNS1_3gpuE5ELNS1_3repE0EEENS1_30default_config_static_selectorELNS0_4arch9wavefront6targetE1EEEvT1_: ; @_ZN7rocprim17ROCPRIM_400000_NS6detail17trampoline_kernelINS0_14default_configENS1_25transform_config_selectorIiLb0EEEZNS1_14transform_implILb0ES3_S5_NS0_18transform_iteratorINS0_17counting_iteratorImlEEZNS1_24adjacent_difference_implIS3_Lb1ELb0EPKiPiN6thrust23THRUST_200600_302600_NS4plusIiEEEE10hipError_tPvRmT2_T3_mT4_P12ihipStream_tbEUlmE_iEESD_NS0_8identityIvEEEESI_SL_SM_mSN_SP_bEUlT_E_NS1_11comp_targetILNS1_3genE10ELNS1_11target_archE1201ELNS1_3gpuE5ELNS1_3repE0EEENS1_30default_config_static_selectorELNS0_4arch9wavefront6targetE1EEEvT1_
; %bb.0:
	.section	.rodata,"a",@progbits
	.p2align	6, 0x0
	.amdhsa_kernel _ZN7rocprim17ROCPRIM_400000_NS6detail17trampoline_kernelINS0_14default_configENS1_25transform_config_selectorIiLb0EEEZNS1_14transform_implILb0ES3_S5_NS0_18transform_iteratorINS0_17counting_iteratorImlEEZNS1_24adjacent_difference_implIS3_Lb1ELb0EPKiPiN6thrust23THRUST_200600_302600_NS4plusIiEEEE10hipError_tPvRmT2_T3_mT4_P12ihipStream_tbEUlmE_iEESD_NS0_8identityIvEEEESI_SL_SM_mSN_SP_bEUlT_E_NS1_11comp_targetILNS1_3genE10ELNS1_11target_archE1201ELNS1_3gpuE5ELNS1_3repE0EEENS1_30default_config_static_selectorELNS0_4arch9wavefront6targetE1EEEvT1_
		.amdhsa_group_segment_fixed_size 0
		.amdhsa_private_segment_fixed_size 0
		.amdhsa_kernarg_size 56
		.amdhsa_user_sgpr_count 6
		.amdhsa_user_sgpr_private_segment_buffer 1
		.amdhsa_user_sgpr_dispatch_ptr 0
		.amdhsa_user_sgpr_queue_ptr 0
		.amdhsa_user_sgpr_kernarg_segment_ptr 1
		.amdhsa_user_sgpr_dispatch_id 0
		.amdhsa_user_sgpr_flat_scratch_init 0
		.amdhsa_user_sgpr_private_segment_size 0
		.amdhsa_uses_dynamic_stack 0
		.amdhsa_system_sgpr_private_segment_wavefront_offset 0
		.amdhsa_system_sgpr_workgroup_id_x 1
		.amdhsa_system_sgpr_workgroup_id_y 0
		.amdhsa_system_sgpr_workgroup_id_z 0
		.amdhsa_system_sgpr_workgroup_info 0
		.amdhsa_system_vgpr_workitem_id 0
		.amdhsa_next_free_vgpr 1
		.amdhsa_next_free_sgpr 0
		.amdhsa_reserve_vcc 0
		.amdhsa_reserve_flat_scratch 0
		.amdhsa_float_round_mode_32 0
		.amdhsa_float_round_mode_16_64 0
		.amdhsa_float_denorm_mode_32 3
		.amdhsa_float_denorm_mode_16_64 3
		.amdhsa_dx10_clamp 1
		.amdhsa_ieee_mode 1
		.amdhsa_fp16_overflow 0
		.amdhsa_exception_fp_ieee_invalid_op 0
		.amdhsa_exception_fp_denorm_src 0
		.amdhsa_exception_fp_ieee_div_zero 0
		.amdhsa_exception_fp_ieee_overflow 0
		.amdhsa_exception_fp_ieee_underflow 0
		.amdhsa_exception_fp_ieee_inexact 0
		.amdhsa_exception_int_div_zero 0
	.end_amdhsa_kernel
	.section	.text._ZN7rocprim17ROCPRIM_400000_NS6detail17trampoline_kernelINS0_14default_configENS1_25transform_config_selectorIiLb0EEEZNS1_14transform_implILb0ES3_S5_NS0_18transform_iteratorINS0_17counting_iteratorImlEEZNS1_24adjacent_difference_implIS3_Lb1ELb0EPKiPiN6thrust23THRUST_200600_302600_NS4plusIiEEEE10hipError_tPvRmT2_T3_mT4_P12ihipStream_tbEUlmE_iEESD_NS0_8identityIvEEEESI_SL_SM_mSN_SP_bEUlT_E_NS1_11comp_targetILNS1_3genE10ELNS1_11target_archE1201ELNS1_3gpuE5ELNS1_3repE0EEENS1_30default_config_static_selectorELNS0_4arch9wavefront6targetE1EEEvT1_,"axG",@progbits,_ZN7rocprim17ROCPRIM_400000_NS6detail17trampoline_kernelINS0_14default_configENS1_25transform_config_selectorIiLb0EEEZNS1_14transform_implILb0ES3_S5_NS0_18transform_iteratorINS0_17counting_iteratorImlEEZNS1_24adjacent_difference_implIS3_Lb1ELb0EPKiPiN6thrust23THRUST_200600_302600_NS4plusIiEEEE10hipError_tPvRmT2_T3_mT4_P12ihipStream_tbEUlmE_iEESD_NS0_8identityIvEEEESI_SL_SM_mSN_SP_bEUlT_E_NS1_11comp_targetILNS1_3genE10ELNS1_11target_archE1201ELNS1_3gpuE5ELNS1_3repE0EEENS1_30default_config_static_selectorELNS0_4arch9wavefront6targetE1EEEvT1_,comdat
.Lfunc_end736:
	.size	_ZN7rocprim17ROCPRIM_400000_NS6detail17trampoline_kernelINS0_14default_configENS1_25transform_config_selectorIiLb0EEEZNS1_14transform_implILb0ES3_S5_NS0_18transform_iteratorINS0_17counting_iteratorImlEEZNS1_24adjacent_difference_implIS3_Lb1ELb0EPKiPiN6thrust23THRUST_200600_302600_NS4plusIiEEEE10hipError_tPvRmT2_T3_mT4_P12ihipStream_tbEUlmE_iEESD_NS0_8identityIvEEEESI_SL_SM_mSN_SP_bEUlT_E_NS1_11comp_targetILNS1_3genE10ELNS1_11target_archE1201ELNS1_3gpuE5ELNS1_3repE0EEENS1_30default_config_static_selectorELNS0_4arch9wavefront6targetE1EEEvT1_, .Lfunc_end736-_ZN7rocprim17ROCPRIM_400000_NS6detail17trampoline_kernelINS0_14default_configENS1_25transform_config_selectorIiLb0EEEZNS1_14transform_implILb0ES3_S5_NS0_18transform_iteratorINS0_17counting_iteratorImlEEZNS1_24adjacent_difference_implIS3_Lb1ELb0EPKiPiN6thrust23THRUST_200600_302600_NS4plusIiEEEE10hipError_tPvRmT2_T3_mT4_P12ihipStream_tbEUlmE_iEESD_NS0_8identityIvEEEESI_SL_SM_mSN_SP_bEUlT_E_NS1_11comp_targetILNS1_3genE10ELNS1_11target_archE1201ELNS1_3gpuE5ELNS1_3repE0EEENS1_30default_config_static_selectorELNS0_4arch9wavefront6targetE1EEEvT1_
                                        ; -- End function
	.set _ZN7rocprim17ROCPRIM_400000_NS6detail17trampoline_kernelINS0_14default_configENS1_25transform_config_selectorIiLb0EEEZNS1_14transform_implILb0ES3_S5_NS0_18transform_iteratorINS0_17counting_iteratorImlEEZNS1_24adjacent_difference_implIS3_Lb1ELb0EPKiPiN6thrust23THRUST_200600_302600_NS4plusIiEEEE10hipError_tPvRmT2_T3_mT4_P12ihipStream_tbEUlmE_iEESD_NS0_8identityIvEEEESI_SL_SM_mSN_SP_bEUlT_E_NS1_11comp_targetILNS1_3genE10ELNS1_11target_archE1201ELNS1_3gpuE5ELNS1_3repE0EEENS1_30default_config_static_selectorELNS0_4arch9wavefront6targetE1EEEvT1_.num_vgpr, 0
	.set _ZN7rocprim17ROCPRIM_400000_NS6detail17trampoline_kernelINS0_14default_configENS1_25transform_config_selectorIiLb0EEEZNS1_14transform_implILb0ES3_S5_NS0_18transform_iteratorINS0_17counting_iteratorImlEEZNS1_24adjacent_difference_implIS3_Lb1ELb0EPKiPiN6thrust23THRUST_200600_302600_NS4plusIiEEEE10hipError_tPvRmT2_T3_mT4_P12ihipStream_tbEUlmE_iEESD_NS0_8identityIvEEEESI_SL_SM_mSN_SP_bEUlT_E_NS1_11comp_targetILNS1_3genE10ELNS1_11target_archE1201ELNS1_3gpuE5ELNS1_3repE0EEENS1_30default_config_static_selectorELNS0_4arch9wavefront6targetE1EEEvT1_.num_agpr, 0
	.set _ZN7rocprim17ROCPRIM_400000_NS6detail17trampoline_kernelINS0_14default_configENS1_25transform_config_selectorIiLb0EEEZNS1_14transform_implILb0ES3_S5_NS0_18transform_iteratorINS0_17counting_iteratorImlEEZNS1_24adjacent_difference_implIS3_Lb1ELb0EPKiPiN6thrust23THRUST_200600_302600_NS4plusIiEEEE10hipError_tPvRmT2_T3_mT4_P12ihipStream_tbEUlmE_iEESD_NS0_8identityIvEEEESI_SL_SM_mSN_SP_bEUlT_E_NS1_11comp_targetILNS1_3genE10ELNS1_11target_archE1201ELNS1_3gpuE5ELNS1_3repE0EEENS1_30default_config_static_selectorELNS0_4arch9wavefront6targetE1EEEvT1_.numbered_sgpr, 0
	.set _ZN7rocprim17ROCPRIM_400000_NS6detail17trampoline_kernelINS0_14default_configENS1_25transform_config_selectorIiLb0EEEZNS1_14transform_implILb0ES3_S5_NS0_18transform_iteratorINS0_17counting_iteratorImlEEZNS1_24adjacent_difference_implIS3_Lb1ELb0EPKiPiN6thrust23THRUST_200600_302600_NS4plusIiEEEE10hipError_tPvRmT2_T3_mT4_P12ihipStream_tbEUlmE_iEESD_NS0_8identityIvEEEESI_SL_SM_mSN_SP_bEUlT_E_NS1_11comp_targetILNS1_3genE10ELNS1_11target_archE1201ELNS1_3gpuE5ELNS1_3repE0EEENS1_30default_config_static_selectorELNS0_4arch9wavefront6targetE1EEEvT1_.num_named_barrier, 0
	.set _ZN7rocprim17ROCPRIM_400000_NS6detail17trampoline_kernelINS0_14default_configENS1_25transform_config_selectorIiLb0EEEZNS1_14transform_implILb0ES3_S5_NS0_18transform_iteratorINS0_17counting_iteratorImlEEZNS1_24adjacent_difference_implIS3_Lb1ELb0EPKiPiN6thrust23THRUST_200600_302600_NS4plusIiEEEE10hipError_tPvRmT2_T3_mT4_P12ihipStream_tbEUlmE_iEESD_NS0_8identityIvEEEESI_SL_SM_mSN_SP_bEUlT_E_NS1_11comp_targetILNS1_3genE10ELNS1_11target_archE1201ELNS1_3gpuE5ELNS1_3repE0EEENS1_30default_config_static_selectorELNS0_4arch9wavefront6targetE1EEEvT1_.private_seg_size, 0
	.set _ZN7rocprim17ROCPRIM_400000_NS6detail17trampoline_kernelINS0_14default_configENS1_25transform_config_selectorIiLb0EEEZNS1_14transform_implILb0ES3_S5_NS0_18transform_iteratorINS0_17counting_iteratorImlEEZNS1_24adjacent_difference_implIS3_Lb1ELb0EPKiPiN6thrust23THRUST_200600_302600_NS4plusIiEEEE10hipError_tPvRmT2_T3_mT4_P12ihipStream_tbEUlmE_iEESD_NS0_8identityIvEEEESI_SL_SM_mSN_SP_bEUlT_E_NS1_11comp_targetILNS1_3genE10ELNS1_11target_archE1201ELNS1_3gpuE5ELNS1_3repE0EEENS1_30default_config_static_selectorELNS0_4arch9wavefront6targetE1EEEvT1_.uses_vcc, 0
	.set _ZN7rocprim17ROCPRIM_400000_NS6detail17trampoline_kernelINS0_14default_configENS1_25transform_config_selectorIiLb0EEEZNS1_14transform_implILb0ES3_S5_NS0_18transform_iteratorINS0_17counting_iteratorImlEEZNS1_24adjacent_difference_implIS3_Lb1ELb0EPKiPiN6thrust23THRUST_200600_302600_NS4plusIiEEEE10hipError_tPvRmT2_T3_mT4_P12ihipStream_tbEUlmE_iEESD_NS0_8identityIvEEEESI_SL_SM_mSN_SP_bEUlT_E_NS1_11comp_targetILNS1_3genE10ELNS1_11target_archE1201ELNS1_3gpuE5ELNS1_3repE0EEENS1_30default_config_static_selectorELNS0_4arch9wavefront6targetE1EEEvT1_.uses_flat_scratch, 0
	.set _ZN7rocprim17ROCPRIM_400000_NS6detail17trampoline_kernelINS0_14default_configENS1_25transform_config_selectorIiLb0EEEZNS1_14transform_implILb0ES3_S5_NS0_18transform_iteratorINS0_17counting_iteratorImlEEZNS1_24adjacent_difference_implIS3_Lb1ELb0EPKiPiN6thrust23THRUST_200600_302600_NS4plusIiEEEE10hipError_tPvRmT2_T3_mT4_P12ihipStream_tbEUlmE_iEESD_NS0_8identityIvEEEESI_SL_SM_mSN_SP_bEUlT_E_NS1_11comp_targetILNS1_3genE10ELNS1_11target_archE1201ELNS1_3gpuE5ELNS1_3repE0EEENS1_30default_config_static_selectorELNS0_4arch9wavefront6targetE1EEEvT1_.has_dyn_sized_stack, 0
	.set _ZN7rocprim17ROCPRIM_400000_NS6detail17trampoline_kernelINS0_14default_configENS1_25transform_config_selectorIiLb0EEEZNS1_14transform_implILb0ES3_S5_NS0_18transform_iteratorINS0_17counting_iteratorImlEEZNS1_24adjacent_difference_implIS3_Lb1ELb0EPKiPiN6thrust23THRUST_200600_302600_NS4plusIiEEEE10hipError_tPvRmT2_T3_mT4_P12ihipStream_tbEUlmE_iEESD_NS0_8identityIvEEEESI_SL_SM_mSN_SP_bEUlT_E_NS1_11comp_targetILNS1_3genE10ELNS1_11target_archE1201ELNS1_3gpuE5ELNS1_3repE0EEENS1_30default_config_static_selectorELNS0_4arch9wavefront6targetE1EEEvT1_.has_recursion, 0
	.set _ZN7rocprim17ROCPRIM_400000_NS6detail17trampoline_kernelINS0_14default_configENS1_25transform_config_selectorIiLb0EEEZNS1_14transform_implILb0ES3_S5_NS0_18transform_iteratorINS0_17counting_iteratorImlEEZNS1_24adjacent_difference_implIS3_Lb1ELb0EPKiPiN6thrust23THRUST_200600_302600_NS4plusIiEEEE10hipError_tPvRmT2_T3_mT4_P12ihipStream_tbEUlmE_iEESD_NS0_8identityIvEEEESI_SL_SM_mSN_SP_bEUlT_E_NS1_11comp_targetILNS1_3genE10ELNS1_11target_archE1201ELNS1_3gpuE5ELNS1_3repE0EEENS1_30default_config_static_selectorELNS0_4arch9wavefront6targetE1EEEvT1_.has_indirect_call, 0
	.section	.AMDGPU.csdata,"",@progbits
; Kernel info:
; codeLenInByte = 0
; TotalNumSgprs: 4
; NumVgprs: 0
; ScratchSize: 0
; MemoryBound: 0
; FloatMode: 240
; IeeeMode: 1
; LDSByteSize: 0 bytes/workgroup (compile time only)
; SGPRBlocks: 0
; VGPRBlocks: 0
; NumSGPRsForWavesPerEU: 4
; NumVGPRsForWavesPerEU: 1
; Occupancy: 10
; WaveLimiterHint : 0
; COMPUTE_PGM_RSRC2:SCRATCH_EN: 0
; COMPUTE_PGM_RSRC2:USER_SGPR: 6
; COMPUTE_PGM_RSRC2:TRAP_HANDLER: 0
; COMPUTE_PGM_RSRC2:TGID_X_EN: 1
; COMPUTE_PGM_RSRC2:TGID_Y_EN: 0
; COMPUTE_PGM_RSRC2:TGID_Z_EN: 0
; COMPUTE_PGM_RSRC2:TIDIG_COMP_CNT: 0
	.section	.text._ZN7rocprim17ROCPRIM_400000_NS6detail17trampoline_kernelINS0_14default_configENS1_25transform_config_selectorIiLb0EEEZNS1_14transform_implILb0ES3_S5_NS0_18transform_iteratorINS0_17counting_iteratorImlEEZNS1_24adjacent_difference_implIS3_Lb1ELb0EPKiPiN6thrust23THRUST_200600_302600_NS4plusIiEEEE10hipError_tPvRmT2_T3_mT4_P12ihipStream_tbEUlmE_iEESD_NS0_8identityIvEEEESI_SL_SM_mSN_SP_bEUlT_E_NS1_11comp_targetILNS1_3genE10ELNS1_11target_archE1200ELNS1_3gpuE4ELNS1_3repE0EEENS1_30default_config_static_selectorELNS0_4arch9wavefront6targetE1EEEvT1_,"axG",@progbits,_ZN7rocprim17ROCPRIM_400000_NS6detail17trampoline_kernelINS0_14default_configENS1_25transform_config_selectorIiLb0EEEZNS1_14transform_implILb0ES3_S5_NS0_18transform_iteratorINS0_17counting_iteratorImlEEZNS1_24adjacent_difference_implIS3_Lb1ELb0EPKiPiN6thrust23THRUST_200600_302600_NS4plusIiEEEE10hipError_tPvRmT2_T3_mT4_P12ihipStream_tbEUlmE_iEESD_NS0_8identityIvEEEESI_SL_SM_mSN_SP_bEUlT_E_NS1_11comp_targetILNS1_3genE10ELNS1_11target_archE1200ELNS1_3gpuE4ELNS1_3repE0EEENS1_30default_config_static_selectorELNS0_4arch9wavefront6targetE1EEEvT1_,comdat
	.protected	_ZN7rocprim17ROCPRIM_400000_NS6detail17trampoline_kernelINS0_14default_configENS1_25transform_config_selectorIiLb0EEEZNS1_14transform_implILb0ES3_S5_NS0_18transform_iteratorINS0_17counting_iteratorImlEEZNS1_24adjacent_difference_implIS3_Lb1ELb0EPKiPiN6thrust23THRUST_200600_302600_NS4plusIiEEEE10hipError_tPvRmT2_T3_mT4_P12ihipStream_tbEUlmE_iEESD_NS0_8identityIvEEEESI_SL_SM_mSN_SP_bEUlT_E_NS1_11comp_targetILNS1_3genE10ELNS1_11target_archE1200ELNS1_3gpuE4ELNS1_3repE0EEENS1_30default_config_static_selectorELNS0_4arch9wavefront6targetE1EEEvT1_ ; -- Begin function _ZN7rocprim17ROCPRIM_400000_NS6detail17trampoline_kernelINS0_14default_configENS1_25transform_config_selectorIiLb0EEEZNS1_14transform_implILb0ES3_S5_NS0_18transform_iteratorINS0_17counting_iteratorImlEEZNS1_24adjacent_difference_implIS3_Lb1ELb0EPKiPiN6thrust23THRUST_200600_302600_NS4plusIiEEEE10hipError_tPvRmT2_T3_mT4_P12ihipStream_tbEUlmE_iEESD_NS0_8identityIvEEEESI_SL_SM_mSN_SP_bEUlT_E_NS1_11comp_targetILNS1_3genE10ELNS1_11target_archE1200ELNS1_3gpuE4ELNS1_3repE0EEENS1_30default_config_static_selectorELNS0_4arch9wavefront6targetE1EEEvT1_
	.globl	_ZN7rocprim17ROCPRIM_400000_NS6detail17trampoline_kernelINS0_14default_configENS1_25transform_config_selectorIiLb0EEEZNS1_14transform_implILb0ES3_S5_NS0_18transform_iteratorINS0_17counting_iteratorImlEEZNS1_24adjacent_difference_implIS3_Lb1ELb0EPKiPiN6thrust23THRUST_200600_302600_NS4plusIiEEEE10hipError_tPvRmT2_T3_mT4_P12ihipStream_tbEUlmE_iEESD_NS0_8identityIvEEEESI_SL_SM_mSN_SP_bEUlT_E_NS1_11comp_targetILNS1_3genE10ELNS1_11target_archE1200ELNS1_3gpuE4ELNS1_3repE0EEENS1_30default_config_static_selectorELNS0_4arch9wavefront6targetE1EEEvT1_
	.p2align	8
	.type	_ZN7rocprim17ROCPRIM_400000_NS6detail17trampoline_kernelINS0_14default_configENS1_25transform_config_selectorIiLb0EEEZNS1_14transform_implILb0ES3_S5_NS0_18transform_iteratorINS0_17counting_iteratorImlEEZNS1_24adjacent_difference_implIS3_Lb1ELb0EPKiPiN6thrust23THRUST_200600_302600_NS4plusIiEEEE10hipError_tPvRmT2_T3_mT4_P12ihipStream_tbEUlmE_iEESD_NS0_8identityIvEEEESI_SL_SM_mSN_SP_bEUlT_E_NS1_11comp_targetILNS1_3genE10ELNS1_11target_archE1200ELNS1_3gpuE4ELNS1_3repE0EEENS1_30default_config_static_selectorELNS0_4arch9wavefront6targetE1EEEvT1_,@function
_ZN7rocprim17ROCPRIM_400000_NS6detail17trampoline_kernelINS0_14default_configENS1_25transform_config_selectorIiLb0EEEZNS1_14transform_implILb0ES3_S5_NS0_18transform_iteratorINS0_17counting_iteratorImlEEZNS1_24adjacent_difference_implIS3_Lb1ELb0EPKiPiN6thrust23THRUST_200600_302600_NS4plusIiEEEE10hipError_tPvRmT2_T3_mT4_P12ihipStream_tbEUlmE_iEESD_NS0_8identityIvEEEESI_SL_SM_mSN_SP_bEUlT_E_NS1_11comp_targetILNS1_3genE10ELNS1_11target_archE1200ELNS1_3gpuE4ELNS1_3repE0EEENS1_30default_config_static_selectorELNS0_4arch9wavefront6targetE1EEEvT1_: ; @_ZN7rocprim17ROCPRIM_400000_NS6detail17trampoline_kernelINS0_14default_configENS1_25transform_config_selectorIiLb0EEEZNS1_14transform_implILb0ES3_S5_NS0_18transform_iteratorINS0_17counting_iteratorImlEEZNS1_24adjacent_difference_implIS3_Lb1ELb0EPKiPiN6thrust23THRUST_200600_302600_NS4plusIiEEEE10hipError_tPvRmT2_T3_mT4_P12ihipStream_tbEUlmE_iEESD_NS0_8identityIvEEEESI_SL_SM_mSN_SP_bEUlT_E_NS1_11comp_targetILNS1_3genE10ELNS1_11target_archE1200ELNS1_3gpuE4ELNS1_3repE0EEENS1_30default_config_static_selectorELNS0_4arch9wavefront6targetE1EEEvT1_
; %bb.0:
	.section	.rodata,"a",@progbits
	.p2align	6, 0x0
	.amdhsa_kernel _ZN7rocprim17ROCPRIM_400000_NS6detail17trampoline_kernelINS0_14default_configENS1_25transform_config_selectorIiLb0EEEZNS1_14transform_implILb0ES3_S5_NS0_18transform_iteratorINS0_17counting_iteratorImlEEZNS1_24adjacent_difference_implIS3_Lb1ELb0EPKiPiN6thrust23THRUST_200600_302600_NS4plusIiEEEE10hipError_tPvRmT2_T3_mT4_P12ihipStream_tbEUlmE_iEESD_NS0_8identityIvEEEESI_SL_SM_mSN_SP_bEUlT_E_NS1_11comp_targetILNS1_3genE10ELNS1_11target_archE1200ELNS1_3gpuE4ELNS1_3repE0EEENS1_30default_config_static_selectorELNS0_4arch9wavefront6targetE1EEEvT1_
		.amdhsa_group_segment_fixed_size 0
		.amdhsa_private_segment_fixed_size 0
		.amdhsa_kernarg_size 56
		.amdhsa_user_sgpr_count 6
		.amdhsa_user_sgpr_private_segment_buffer 1
		.amdhsa_user_sgpr_dispatch_ptr 0
		.amdhsa_user_sgpr_queue_ptr 0
		.amdhsa_user_sgpr_kernarg_segment_ptr 1
		.amdhsa_user_sgpr_dispatch_id 0
		.amdhsa_user_sgpr_flat_scratch_init 0
		.amdhsa_user_sgpr_private_segment_size 0
		.amdhsa_uses_dynamic_stack 0
		.amdhsa_system_sgpr_private_segment_wavefront_offset 0
		.amdhsa_system_sgpr_workgroup_id_x 1
		.amdhsa_system_sgpr_workgroup_id_y 0
		.amdhsa_system_sgpr_workgroup_id_z 0
		.amdhsa_system_sgpr_workgroup_info 0
		.amdhsa_system_vgpr_workitem_id 0
		.amdhsa_next_free_vgpr 1
		.amdhsa_next_free_sgpr 0
		.amdhsa_reserve_vcc 0
		.amdhsa_reserve_flat_scratch 0
		.amdhsa_float_round_mode_32 0
		.amdhsa_float_round_mode_16_64 0
		.amdhsa_float_denorm_mode_32 3
		.amdhsa_float_denorm_mode_16_64 3
		.amdhsa_dx10_clamp 1
		.amdhsa_ieee_mode 1
		.amdhsa_fp16_overflow 0
		.amdhsa_exception_fp_ieee_invalid_op 0
		.amdhsa_exception_fp_denorm_src 0
		.amdhsa_exception_fp_ieee_div_zero 0
		.amdhsa_exception_fp_ieee_overflow 0
		.amdhsa_exception_fp_ieee_underflow 0
		.amdhsa_exception_fp_ieee_inexact 0
		.amdhsa_exception_int_div_zero 0
	.end_amdhsa_kernel
	.section	.text._ZN7rocprim17ROCPRIM_400000_NS6detail17trampoline_kernelINS0_14default_configENS1_25transform_config_selectorIiLb0EEEZNS1_14transform_implILb0ES3_S5_NS0_18transform_iteratorINS0_17counting_iteratorImlEEZNS1_24adjacent_difference_implIS3_Lb1ELb0EPKiPiN6thrust23THRUST_200600_302600_NS4plusIiEEEE10hipError_tPvRmT2_T3_mT4_P12ihipStream_tbEUlmE_iEESD_NS0_8identityIvEEEESI_SL_SM_mSN_SP_bEUlT_E_NS1_11comp_targetILNS1_3genE10ELNS1_11target_archE1200ELNS1_3gpuE4ELNS1_3repE0EEENS1_30default_config_static_selectorELNS0_4arch9wavefront6targetE1EEEvT1_,"axG",@progbits,_ZN7rocprim17ROCPRIM_400000_NS6detail17trampoline_kernelINS0_14default_configENS1_25transform_config_selectorIiLb0EEEZNS1_14transform_implILb0ES3_S5_NS0_18transform_iteratorINS0_17counting_iteratorImlEEZNS1_24adjacent_difference_implIS3_Lb1ELb0EPKiPiN6thrust23THRUST_200600_302600_NS4plusIiEEEE10hipError_tPvRmT2_T3_mT4_P12ihipStream_tbEUlmE_iEESD_NS0_8identityIvEEEESI_SL_SM_mSN_SP_bEUlT_E_NS1_11comp_targetILNS1_3genE10ELNS1_11target_archE1200ELNS1_3gpuE4ELNS1_3repE0EEENS1_30default_config_static_selectorELNS0_4arch9wavefront6targetE1EEEvT1_,comdat
.Lfunc_end737:
	.size	_ZN7rocprim17ROCPRIM_400000_NS6detail17trampoline_kernelINS0_14default_configENS1_25transform_config_selectorIiLb0EEEZNS1_14transform_implILb0ES3_S5_NS0_18transform_iteratorINS0_17counting_iteratorImlEEZNS1_24adjacent_difference_implIS3_Lb1ELb0EPKiPiN6thrust23THRUST_200600_302600_NS4plusIiEEEE10hipError_tPvRmT2_T3_mT4_P12ihipStream_tbEUlmE_iEESD_NS0_8identityIvEEEESI_SL_SM_mSN_SP_bEUlT_E_NS1_11comp_targetILNS1_3genE10ELNS1_11target_archE1200ELNS1_3gpuE4ELNS1_3repE0EEENS1_30default_config_static_selectorELNS0_4arch9wavefront6targetE1EEEvT1_, .Lfunc_end737-_ZN7rocprim17ROCPRIM_400000_NS6detail17trampoline_kernelINS0_14default_configENS1_25transform_config_selectorIiLb0EEEZNS1_14transform_implILb0ES3_S5_NS0_18transform_iteratorINS0_17counting_iteratorImlEEZNS1_24adjacent_difference_implIS3_Lb1ELb0EPKiPiN6thrust23THRUST_200600_302600_NS4plusIiEEEE10hipError_tPvRmT2_T3_mT4_P12ihipStream_tbEUlmE_iEESD_NS0_8identityIvEEEESI_SL_SM_mSN_SP_bEUlT_E_NS1_11comp_targetILNS1_3genE10ELNS1_11target_archE1200ELNS1_3gpuE4ELNS1_3repE0EEENS1_30default_config_static_selectorELNS0_4arch9wavefront6targetE1EEEvT1_
                                        ; -- End function
	.set _ZN7rocprim17ROCPRIM_400000_NS6detail17trampoline_kernelINS0_14default_configENS1_25transform_config_selectorIiLb0EEEZNS1_14transform_implILb0ES3_S5_NS0_18transform_iteratorINS0_17counting_iteratorImlEEZNS1_24adjacent_difference_implIS3_Lb1ELb0EPKiPiN6thrust23THRUST_200600_302600_NS4plusIiEEEE10hipError_tPvRmT2_T3_mT4_P12ihipStream_tbEUlmE_iEESD_NS0_8identityIvEEEESI_SL_SM_mSN_SP_bEUlT_E_NS1_11comp_targetILNS1_3genE10ELNS1_11target_archE1200ELNS1_3gpuE4ELNS1_3repE0EEENS1_30default_config_static_selectorELNS0_4arch9wavefront6targetE1EEEvT1_.num_vgpr, 0
	.set _ZN7rocprim17ROCPRIM_400000_NS6detail17trampoline_kernelINS0_14default_configENS1_25transform_config_selectorIiLb0EEEZNS1_14transform_implILb0ES3_S5_NS0_18transform_iteratorINS0_17counting_iteratorImlEEZNS1_24adjacent_difference_implIS3_Lb1ELb0EPKiPiN6thrust23THRUST_200600_302600_NS4plusIiEEEE10hipError_tPvRmT2_T3_mT4_P12ihipStream_tbEUlmE_iEESD_NS0_8identityIvEEEESI_SL_SM_mSN_SP_bEUlT_E_NS1_11comp_targetILNS1_3genE10ELNS1_11target_archE1200ELNS1_3gpuE4ELNS1_3repE0EEENS1_30default_config_static_selectorELNS0_4arch9wavefront6targetE1EEEvT1_.num_agpr, 0
	.set _ZN7rocprim17ROCPRIM_400000_NS6detail17trampoline_kernelINS0_14default_configENS1_25transform_config_selectorIiLb0EEEZNS1_14transform_implILb0ES3_S5_NS0_18transform_iteratorINS0_17counting_iteratorImlEEZNS1_24adjacent_difference_implIS3_Lb1ELb0EPKiPiN6thrust23THRUST_200600_302600_NS4plusIiEEEE10hipError_tPvRmT2_T3_mT4_P12ihipStream_tbEUlmE_iEESD_NS0_8identityIvEEEESI_SL_SM_mSN_SP_bEUlT_E_NS1_11comp_targetILNS1_3genE10ELNS1_11target_archE1200ELNS1_3gpuE4ELNS1_3repE0EEENS1_30default_config_static_selectorELNS0_4arch9wavefront6targetE1EEEvT1_.numbered_sgpr, 0
	.set _ZN7rocprim17ROCPRIM_400000_NS6detail17trampoline_kernelINS0_14default_configENS1_25transform_config_selectorIiLb0EEEZNS1_14transform_implILb0ES3_S5_NS0_18transform_iteratorINS0_17counting_iteratorImlEEZNS1_24adjacent_difference_implIS3_Lb1ELb0EPKiPiN6thrust23THRUST_200600_302600_NS4plusIiEEEE10hipError_tPvRmT2_T3_mT4_P12ihipStream_tbEUlmE_iEESD_NS0_8identityIvEEEESI_SL_SM_mSN_SP_bEUlT_E_NS1_11comp_targetILNS1_3genE10ELNS1_11target_archE1200ELNS1_3gpuE4ELNS1_3repE0EEENS1_30default_config_static_selectorELNS0_4arch9wavefront6targetE1EEEvT1_.num_named_barrier, 0
	.set _ZN7rocprim17ROCPRIM_400000_NS6detail17trampoline_kernelINS0_14default_configENS1_25transform_config_selectorIiLb0EEEZNS1_14transform_implILb0ES3_S5_NS0_18transform_iteratorINS0_17counting_iteratorImlEEZNS1_24adjacent_difference_implIS3_Lb1ELb0EPKiPiN6thrust23THRUST_200600_302600_NS4plusIiEEEE10hipError_tPvRmT2_T3_mT4_P12ihipStream_tbEUlmE_iEESD_NS0_8identityIvEEEESI_SL_SM_mSN_SP_bEUlT_E_NS1_11comp_targetILNS1_3genE10ELNS1_11target_archE1200ELNS1_3gpuE4ELNS1_3repE0EEENS1_30default_config_static_selectorELNS0_4arch9wavefront6targetE1EEEvT1_.private_seg_size, 0
	.set _ZN7rocprim17ROCPRIM_400000_NS6detail17trampoline_kernelINS0_14default_configENS1_25transform_config_selectorIiLb0EEEZNS1_14transform_implILb0ES3_S5_NS0_18transform_iteratorINS0_17counting_iteratorImlEEZNS1_24adjacent_difference_implIS3_Lb1ELb0EPKiPiN6thrust23THRUST_200600_302600_NS4plusIiEEEE10hipError_tPvRmT2_T3_mT4_P12ihipStream_tbEUlmE_iEESD_NS0_8identityIvEEEESI_SL_SM_mSN_SP_bEUlT_E_NS1_11comp_targetILNS1_3genE10ELNS1_11target_archE1200ELNS1_3gpuE4ELNS1_3repE0EEENS1_30default_config_static_selectorELNS0_4arch9wavefront6targetE1EEEvT1_.uses_vcc, 0
	.set _ZN7rocprim17ROCPRIM_400000_NS6detail17trampoline_kernelINS0_14default_configENS1_25transform_config_selectorIiLb0EEEZNS1_14transform_implILb0ES3_S5_NS0_18transform_iteratorINS0_17counting_iteratorImlEEZNS1_24adjacent_difference_implIS3_Lb1ELb0EPKiPiN6thrust23THRUST_200600_302600_NS4plusIiEEEE10hipError_tPvRmT2_T3_mT4_P12ihipStream_tbEUlmE_iEESD_NS0_8identityIvEEEESI_SL_SM_mSN_SP_bEUlT_E_NS1_11comp_targetILNS1_3genE10ELNS1_11target_archE1200ELNS1_3gpuE4ELNS1_3repE0EEENS1_30default_config_static_selectorELNS0_4arch9wavefront6targetE1EEEvT1_.uses_flat_scratch, 0
	.set _ZN7rocprim17ROCPRIM_400000_NS6detail17trampoline_kernelINS0_14default_configENS1_25transform_config_selectorIiLb0EEEZNS1_14transform_implILb0ES3_S5_NS0_18transform_iteratorINS0_17counting_iteratorImlEEZNS1_24adjacent_difference_implIS3_Lb1ELb0EPKiPiN6thrust23THRUST_200600_302600_NS4plusIiEEEE10hipError_tPvRmT2_T3_mT4_P12ihipStream_tbEUlmE_iEESD_NS0_8identityIvEEEESI_SL_SM_mSN_SP_bEUlT_E_NS1_11comp_targetILNS1_3genE10ELNS1_11target_archE1200ELNS1_3gpuE4ELNS1_3repE0EEENS1_30default_config_static_selectorELNS0_4arch9wavefront6targetE1EEEvT1_.has_dyn_sized_stack, 0
	.set _ZN7rocprim17ROCPRIM_400000_NS6detail17trampoline_kernelINS0_14default_configENS1_25transform_config_selectorIiLb0EEEZNS1_14transform_implILb0ES3_S5_NS0_18transform_iteratorINS0_17counting_iteratorImlEEZNS1_24adjacent_difference_implIS3_Lb1ELb0EPKiPiN6thrust23THRUST_200600_302600_NS4plusIiEEEE10hipError_tPvRmT2_T3_mT4_P12ihipStream_tbEUlmE_iEESD_NS0_8identityIvEEEESI_SL_SM_mSN_SP_bEUlT_E_NS1_11comp_targetILNS1_3genE10ELNS1_11target_archE1200ELNS1_3gpuE4ELNS1_3repE0EEENS1_30default_config_static_selectorELNS0_4arch9wavefront6targetE1EEEvT1_.has_recursion, 0
	.set _ZN7rocprim17ROCPRIM_400000_NS6detail17trampoline_kernelINS0_14default_configENS1_25transform_config_selectorIiLb0EEEZNS1_14transform_implILb0ES3_S5_NS0_18transform_iteratorINS0_17counting_iteratorImlEEZNS1_24adjacent_difference_implIS3_Lb1ELb0EPKiPiN6thrust23THRUST_200600_302600_NS4plusIiEEEE10hipError_tPvRmT2_T3_mT4_P12ihipStream_tbEUlmE_iEESD_NS0_8identityIvEEEESI_SL_SM_mSN_SP_bEUlT_E_NS1_11comp_targetILNS1_3genE10ELNS1_11target_archE1200ELNS1_3gpuE4ELNS1_3repE0EEENS1_30default_config_static_selectorELNS0_4arch9wavefront6targetE1EEEvT1_.has_indirect_call, 0
	.section	.AMDGPU.csdata,"",@progbits
; Kernel info:
; codeLenInByte = 0
; TotalNumSgprs: 4
; NumVgprs: 0
; ScratchSize: 0
; MemoryBound: 0
; FloatMode: 240
; IeeeMode: 1
; LDSByteSize: 0 bytes/workgroup (compile time only)
; SGPRBlocks: 0
; VGPRBlocks: 0
; NumSGPRsForWavesPerEU: 4
; NumVGPRsForWavesPerEU: 1
; Occupancy: 10
; WaveLimiterHint : 0
; COMPUTE_PGM_RSRC2:SCRATCH_EN: 0
; COMPUTE_PGM_RSRC2:USER_SGPR: 6
; COMPUTE_PGM_RSRC2:TRAP_HANDLER: 0
; COMPUTE_PGM_RSRC2:TGID_X_EN: 1
; COMPUTE_PGM_RSRC2:TGID_Y_EN: 0
; COMPUTE_PGM_RSRC2:TGID_Z_EN: 0
; COMPUTE_PGM_RSRC2:TIDIG_COMP_CNT: 0
	.section	.text._ZN7rocprim17ROCPRIM_400000_NS6detail17trampoline_kernelINS0_14default_configENS1_25transform_config_selectorIiLb0EEEZNS1_14transform_implILb0ES3_S5_NS0_18transform_iteratorINS0_17counting_iteratorImlEEZNS1_24adjacent_difference_implIS3_Lb1ELb0EPKiPiN6thrust23THRUST_200600_302600_NS4plusIiEEEE10hipError_tPvRmT2_T3_mT4_P12ihipStream_tbEUlmE_iEESD_NS0_8identityIvEEEESI_SL_SM_mSN_SP_bEUlT_E_NS1_11comp_targetILNS1_3genE9ELNS1_11target_archE1100ELNS1_3gpuE3ELNS1_3repE0EEENS1_30default_config_static_selectorELNS0_4arch9wavefront6targetE1EEEvT1_,"axG",@progbits,_ZN7rocprim17ROCPRIM_400000_NS6detail17trampoline_kernelINS0_14default_configENS1_25transform_config_selectorIiLb0EEEZNS1_14transform_implILb0ES3_S5_NS0_18transform_iteratorINS0_17counting_iteratorImlEEZNS1_24adjacent_difference_implIS3_Lb1ELb0EPKiPiN6thrust23THRUST_200600_302600_NS4plusIiEEEE10hipError_tPvRmT2_T3_mT4_P12ihipStream_tbEUlmE_iEESD_NS0_8identityIvEEEESI_SL_SM_mSN_SP_bEUlT_E_NS1_11comp_targetILNS1_3genE9ELNS1_11target_archE1100ELNS1_3gpuE3ELNS1_3repE0EEENS1_30default_config_static_selectorELNS0_4arch9wavefront6targetE1EEEvT1_,comdat
	.protected	_ZN7rocprim17ROCPRIM_400000_NS6detail17trampoline_kernelINS0_14default_configENS1_25transform_config_selectorIiLb0EEEZNS1_14transform_implILb0ES3_S5_NS0_18transform_iteratorINS0_17counting_iteratorImlEEZNS1_24adjacent_difference_implIS3_Lb1ELb0EPKiPiN6thrust23THRUST_200600_302600_NS4plusIiEEEE10hipError_tPvRmT2_T3_mT4_P12ihipStream_tbEUlmE_iEESD_NS0_8identityIvEEEESI_SL_SM_mSN_SP_bEUlT_E_NS1_11comp_targetILNS1_3genE9ELNS1_11target_archE1100ELNS1_3gpuE3ELNS1_3repE0EEENS1_30default_config_static_selectorELNS0_4arch9wavefront6targetE1EEEvT1_ ; -- Begin function _ZN7rocprim17ROCPRIM_400000_NS6detail17trampoline_kernelINS0_14default_configENS1_25transform_config_selectorIiLb0EEEZNS1_14transform_implILb0ES3_S5_NS0_18transform_iteratorINS0_17counting_iteratorImlEEZNS1_24adjacent_difference_implIS3_Lb1ELb0EPKiPiN6thrust23THRUST_200600_302600_NS4plusIiEEEE10hipError_tPvRmT2_T3_mT4_P12ihipStream_tbEUlmE_iEESD_NS0_8identityIvEEEESI_SL_SM_mSN_SP_bEUlT_E_NS1_11comp_targetILNS1_3genE9ELNS1_11target_archE1100ELNS1_3gpuE3ELNS1_3repE0EEENS1_30default_config_static_selectorELNS0_4arch9wavefront6targetE1EEEvT1_
	.globl	_ZN7rocprim17ROCPRIM_400000_NS6detail17trampoline_kernelINS0_14default_configENS1_25transform_config_selectorIiLb0EEEZNS1_14transform_implILb0ES3_S5_NS0_18transform_iteratorINS0_17counting_iteratorImlEEZNS1_24adjacent_difference_implIS3_Lb1ELb0EPKiPiN6thrust23THRUST_200600_302600_NS4plusIiEEEE10hipError_tPvRmT2_T3_mT4_P12ihipStream_tbEUlmE_iEESD_NS0_8identityIvEEEESI_SL_SM_mSN_SP_bEUlT_E_NS1_11comp_targetILNS1_3genE9ELNS1_11target_archE1100ELNS1_3gpuE3ELNS1_3repE0EEENS1_30default_config_static_selectorELNS0_4arch9wavefront6targetE1EEEvT1_
	.p2align	8
	.type	_ZN7rocprim17ROCPRIM_400000_NS6detail17trampoline_kernelINS0_14default_configENS1_25transform_config_selectorIiLb0EEEZNS1_14transform_implILb0ES3_S5_NS0_18transform_iteratorINS0_17counting_iteratorImlEEZNS1_24adjacent_difference_implIS3_Lb1ELb0EPKiPiN6thrust23THRUST_200600_302600_NS4plusIiEEEE10hipError_tPvRmT2_T3_mT4_P12ihipStream_tbEUlmE_iEESD_NS0_8identityIvEEEESI_SL_SM_mSN_SP_bEUlT_E_NS1_11comp_targetILNS1_3genE9ELNS1_11target_archE1100ELNS1_3gpuE3ELNS1_3repE0EEENS1_30default_config_static_selectorELNS0_4arch9wavefront6targetE1EEEvT1_,@function
_ZN7rocprim17ROCPRIM_400000_NS6detail17trampoline_kernelINS0_14default_configENS1_25transform_config_selectorIiLb0EEEZNS1_14transform_implILb0ES3_S5_NS0_18transform_iteratorINS0_17counting_iteratorImlEEZNS1_24adjacent_difference_implIS3_Lb1ELb0EPKiPiN6thrust23THRUST_200600_302600_NS4plusIiEEEE10hipError_tPvRmT2_T3_mT4_P12ihipStream_tbEUlmE_iEESD_NS0_8identityIvEEEESI_SL_SM_mSN_SP_bEUlT_E_NS1_11comp_targetILNS1_3genE9ELNS1_11target_archE1100ELNS1_3gpuE3ELNS1_3repE0EEENS1_30default_config_static_selectorELNS0_4arch9wavefront6targetE1EEEvT1_: ; @_ZN7rocprim17ROCPRIM_400000_NS6detail17trampoline_kernelINS0_14default_configENS1_25transform_config_selectorIiLb0EEEZNS1_14transform_implILb0ES3_S5_NS0_18transform_iteratorINS0_17counting_iteratorImlEEZNS1_24adjacent_difference_implIS3_Lb1ELb0EPKiPiN6thrust23THRUST_200600_302600_NS4plusIiEEEE10hipError_tPvRmT2_T3_mT4_P12ihipStream_tbEUlmE_iEESD_NS0_8identityIvEEEESI_SL_SM_mSN_SP_bEUlT_E_NS1_11comp_targetILNS1_3genE9ELNS1_11target_archE1100ELNS1_3gpuE3ELNS1_3repE0EEENS1_30default_config_static_selectorELNS0_4arch9wavefront6targetE1EEEvT1_
; %bb.0:
	.section	.rodata,"a",@progbits
	.p2align	6, 0x0
	.amdhsa_kernel _ZN7rocprim17ROCPRIM_400000_NS6detail17trampoline_kernelINS0_14default_configENS1_25transform_config_selectorIiLb0EEEZNS1_14transform_implILb0ES3_S5_NS0_18transform_iteratorINS0_17counting_iteratorImlEEZNS1_24adjacent_difference_implIS3_Lb1ELb0EPKiPiN6thrust23THRUST_200600_302600_NS4plusIiEEEE10hipError_tPvRmT2_T3_mT4_P12ihipStream_tbEUlmE_iEESD_NS0_8identityIvEEEESI_SL_SM_mSN_SP_bEUlT_E_NS1_11comp_targetILNS1_3genE9ELNS1_11target_archE1100ELNS1_3gpuE3ELNS1_3repE0EEENS1_30default_config_static_selectorELNS0_4arch9wavefront6targetE1EEEvT1_
		.amdhsa_group_segment_fixed_size 0
		.amdhsa_private_segment_fixed_size 0
		.amdhsa_kernarg_size 56
		.amdhsa_user_sgpr_count 6
		.amdhsa_user_sgpr_private_segment_buffer 1
		.amdhsa_user_sgpr_dispatch_ptr 0
		.amdhsa_user_sgpr_queue_ptr 0
		.amdhsa_user_sgpr_kernarg_segment_ptr 1
		.amdhsa_user_sgpr_dispatch_id 0
		.amdhsa_user_sgpr_flat_scratch_init 0
		.amdhsa_user_sgpr_private_segment_size 0
		.amdhsa_uses_dynamic_stack 0
		.amdhsa_system_sgpr_private_segment_wavefront_offset 0
		.amdhsa_system_sgpr_workgroup_id_x 1
		.amdhsa_system_sgpr_workgroup_id_y 0
		.amdhsa_system_sgpr_workgroup_id_z 0
		.amdhsa_system_sgpr_workgroup_info 0
		.amdhsa_system_vgpr_workitem_id 0
		.amdhsa_next_free_vgpr 1
		.amdhsa_next_free_sgpr 0
		.amdhsa_reserve_vcc 0
		.amdhsa_reserve_flat_scratch 0
		.amdhsa_float_round_mode_32 0
		.amdhsa_float_round_mode_16_64 0
		.amdhsa_float_denorm_mode_32 3
		.amdhsa_float_denorm_mode_16_64 3
		.amdhsa_dx10_clamp 1
		.amdhsa_ieee_mode 1
		.amdhsa_fp16_overflow 0
		.amdhsa_exception_fp_ieee_invalid_op 0
		.amdhsa_exception_fp_denorm_src 0
		.amdhsa_exception_fp_ieee_div_zero 0
		.amdhsa_exception_fp_ieee_overflow 0
		.amdhsa_exception_fp_ieee_underflow 0
		.amdhsa_exception_fp_ieee_inexact 0
		.amdhsa_exception_int_div_zero 0
	.end_amdhsa_kernel
	.section	.text._ZN7rocprim17ROCPRIM_400000_NS6detail17trampoline_kernelINS0_14default_configENS1_25transform_config_selectorIiLb0EEEZNS1_14transform_implILb0ES3_S5_NS0_18transform_iteratorINS0_17counting_iteratorImlEEZNS1_24adjacent_difference_implIS3_Lb1ELb0EPKiPiN6thrust23THRUST_200600_302600_NS4plusIiEEEE10hipError_tPvRmT2_T3_mT4_P12ihipStream_tbEUlmE_iEESD_NS0_8identityIvEEEESI_SL_SM_mSN_SP_bEUlT_E_NS1_11comp_targetILNS1_3genE9ELNS1_11target_archE1100ELNS1_3gpuE3ELNS1_3repE0EEENS1_30default_config_static_selectorELNS0_4arch9wavefront6targetE1EEEvT1_,"axG",@progbits,_ZN7rocprim17ROCPRIM_400000_NS6detail17trampoline_kernelINS0_14default_configENS1_25transform_config_selectorIiLb0EEEZNS1_14transform_implILb0ES3_S5_NS0_18transform_iteratorINS0_17counting_iteratorImlEEZNS1_24adjacent_difference_implIS3_Lb1ELb0EPKiPiN6thrust23THRUST_200600_302600_NS4plusIiEEEE10hipError_tPvRmT2_T3_mT4_P12ihipStream_tbEUlmE_iEESD_NS0_8identityIvEEEESI_SL_SM_mSN_SP_bEUlT_E_NS1_11comp_targetILNS1_3genE9ELNS1_11target_archE1100ELNS1_3gpuE3ELNS1_3repE0EEENS1_30default_config_static_selectorELNS0_4arch9wavefront6targetE1EEEvT1_,comdat
.Lfunc_end738:
	.size	_ZN7rocprim17ROCPRIM_400000_NS6detail17trampoline_kernelINS0_14default_configENS1_25transform_config_selectorIiLb0EEEZNS1_14transform_implILb0ES3_S5_NS0_18transform_iteratorINS0_17counting_iteratorImlEEZNS1_24adjacent_difference_implIS3_Lb1ELb0EPKiPiN6thrust23THRUST_200600_302600_NS4plusIiEEEE10hipError_tPvRmT2_T3_mT4_P12ihipStream_tbEUlmE_iEESD_NS0_8identityIvEEEESI_SL_SM_mSN_SP_bEUlT_E_NS1_11comp_targetILNS1_3genE9ELNS1_11target_archE1100ELNS1_3gpuE3ELNS1_3repE0EEENS1_30default_config_static_selectorELNS0_4arch9wavefront6targetE1EEEvT1_, .Lfunc_end738-_ZN7rocprim17ROCPRIM_400000_NS6detail17trampoline_kernelINS0_14default_configENS1_25transform_config_selectorIiLb0EEEZNS1_14transform_implILb0ES3_S5_NS0_18transform_iteratorINS0_17counting_iteratorImlEEZNS1_24adjacent_difference_implIS3_Lb1ELb0EPKiPiN6thrust23THRUST_200600_302600_NS4plusIiEEEE10hipError_tPvRmT2_T3_mT4_P12ihipStream_tbEUlmE_iEESD_NS0_8identityIvEEEESI_SL_SM_mSN_SP_bEUlT_E_NS1_11comp_targetILNS1_3genE9ELNS1_11target_archE1100ELNS1_3gpuE3ELNS1_3repE0EEENS1_30default_config_static_selectorELNS0_4arch9wavefront6targetE1EEEvT1_
                                        ; -- End function
	.set _ZN7rocprim17ROCPRIM_400000_NS6detail17trampoline_kernelINS0_14default_configENS1_25transform_config_selectorIiLb0EEEZNS1_14transform_implILb0ES3_S5_NS0_18transform_iteratorINS0_17counting_iteratorImlEEZNS1_24adjacent_difference_implIS3_Lb1ELb0EPKiPiN6thrust23THRUST_200600_302600_NS4plusIiEEEE10hipError_tPvRmT2_T3_mT4_P12ihipStream_tbEUlmE_iEESD_NS0_8identityIvEEEESI_SL_SM_mSN_SP_bEUlT_E_NS1_11comp_targetILNS1_3genE9ELNS1_11target_archE1100ELNS1_3gpuE3ELNS1_3repE0EEENS1_30default_config_static_selectorELNS0_4arch9wavefront6targetE1EEEvT1_.num_vgpr, 0
	.set _ZN7rocprim17ROCPRIM_400000_NS6detail17trampoline_kernelINS0_14default_configENS1_25transform_config_selectorIiLb0EEEZNS1_14transform_implILb0ES3_S5_NS0_18transform_iteratorINS0_17counting_iteratorImlEEZNS1_24adjacent_difference_implIS3_Lb1ELb0EPKiPiN6thrust23THRUST_200600_302600_NS4plusIiEEEE10hipError_tPvRmT2_T3_mT4_P12ihipStream_tbEUlmE_iEESD_NS0_8identityIvEEEESI_SL_SM_mSN_SP_bEUlT_E_NS1_11comp_targetILNS1_3genE9ELNS1_11target_archE1100ELNS1_3gpuE3ELNS1_3repE0EEENS1_30default_config_static_selectorELNS0_4arch9wavefront6targetE1EEEvT1_.num_agpr, 0
	.set _ZN7rocprim17ROCPRIM_400000_NS6detail17trampoline_kernelINS0_14default_configENS1_25transform_config_selectorIiLb0EEEZNS1_14transform_implILb0ES3_S5_NS0_18transform_iteratorINS0_17counting_iteratorImlEEZNS1_24adjacent_difference_implIS3_Lb1ELb0EPKiPiN6thrust23THRUST_200600_302600_NS4plusIiEEEE10hipError_tPvRmT2_T3_mT4_P12ihipStream_tbEUlmE_iEESD_NS0_8identityIvEEEESI_SL_SM_mSN_SP_bEUlT_E_NS1_11comp_targetILNS1_3genE9ELNS1_11target_archE1100ELNS1_3gpuE3ELNS1_3repE0EEENS1_30default_config_static_selectorELNS0_4arch9wavefront6targetE1EEEvT1_.numbered_sgpr, 0
	.set _ZN7rocprim17ROCPRIM_400000_NS6detail17trampoline_kernelINS0_14default_configENS1_25transform_config_selectorIiLb0EEEZNS1_14transform_implILb0ES3_S5_NS0_18transform_iteratorINS0_17counting_iteratorImlEEZNS1_24adjacent_difference_implIS3_Lb1ELb0EPKiPiN6thrust23THRUST_200600_302600_NS4plusIiEEEE10hipError_tPvRmT2_T3_mT4_P12ihipStream_tbEUlmE_iEESD_NS0_8identityIvEEEESI_SL_SM_mSN_SP_bEUlT_E_NS1_11comp_targetILNS1_3genE9ELNS1_11target_archE1100ELNS1_3gpuE3ELNS1_3repE0EEENS1_30default_config_static_selectorELNS0_4arch9wavefront6targetE1EEEvT1_.num_named_barrier, 0
	.set _ZN7rocprim17ROCPRIM_400000_NS6detail17trampoline_kernelINS0_14default_configENS1_25transform_config_selectorIiLb0EEEZNS1_14transform_implILb0ES3_S5_NS0_18transform_iteratorINS0_17counting_iteratorImlEEZNS1_24adjacent_difference_implIS3_Lb1ELb0EPKiPiN6thrust23THRUST_200600_302600_NS4plusIiEEEE10hipError_tPvRmT2_T3_mT4_P12ihipStream_tbEUlmE_iEESD_NS0_8identityIvEEEESI_SL_SM_mSN_SP_bEUlT_E_NS1_11comp_targetILNS1_3genE9ELNS1_11target_archE1100ELNS1_3gpuE3ELNS1_3repE0EEENS1_30default_config_static_selectorELNS0_4arch9wavefront6targetE1EEEvT1_.private_seg_size, 0
	.set _ZN7rocprim17ROCPRIM_400000_NS6detail17trampoline_kernelINS0_14default_configENS1_25transform_config_selectorIiLb0EEEZNS1_14transform_implILb0ES3_S5_NS0_18transform_iteratorINS0_17counting_iteratorImlEEZNS1_24adjacent_difference_implIS3_Lb1ELb0EPKiPiN6thrust23THRUST_200600_302600_NS4plusIiEEEE10hipError_tPvRmT2_T3_mT4_P12ihipStream_tbEUlmE_iEESD_NS0_8identityIvEEEESI_SL_SM_mSN_SP_bEUlT_E_NS1_11comp_targetILNS1_3genE9ELNS1_11target_archE1100ELNS1_3gpuE3ELNS1_3repE0EEENS1_30default_config_static_selectorELNS0_4arch9wavefront6targetE1EEEvT1_.uses_vcc, 0
	.set _ZN7rocprim17ROCPRIM_400000_NS6detail17trampoline_kernelINS0_14default_configENS1_25transform_config_selectorIiLb0EEEZNS1_14transform_implILb0ES3_S5_NS0_18transform_iteratorINS0_17counting_iteratorImlEEZNS1_24adjacent_difference_implIS3_Lb1ELb0EPKiPiN6thrust23THRUST_200600_302600_NS4plusIiEEEE10hipError_tPvRmT2_T3_mT4_P12ihipStream_tbEUlmE_iEESD_NS0_8identityIvEEEESI_SL_SM_mSN_SP_bEUlT_E_NS1_11comp_targetILNS1_3genE9ELNS1_11target_archE1100ELNS1_3gpuE3ELNS1_3repE0EEENS1_30default_config_static_selectorELNS0_4arch9wavefront6targetE1EEEvT1_.uses_flat_scratch, 0
	.set _ZN7rocprim17ROCPRIM_400000_NS6detail17trampoline_kernelINS0_14default_configENS1_25transform_config_selectorIiLb0EEEZNS1_14transform_implILb0ES3_S5_NS0_18transform_iteratorINS0_17counting_iteratorImlEEZNS1_24adjacent_difference_implIS3_Lb1ELb0EPKiPiN6thrust23THRUST_200600_302600_NS4plusIiEEEE10hipError_tPvRmT2_T3_mT4_P12ihipStream_tbEUlmE_iEESD_NS0_8identityIvEEEESI_SL_SM_mSN_SP_bEUlT_E_NS1_11comp_targetILNS1_3genE9ELNS1_11target_archE1100ELNS1_3gpuE3ELNS1_3repE0EEENS1_30default_config_static_selectorELNS0_4arch9wavefront6targetE1EEEvT1_.has_dyn_sized_stack, 0
	.set _ZN7rocprim17ROCPRIM_400000_NS6detail17trampoline_kernelINS0_14default_configENS1_25transform_config_selectorIiLb0EEEZNS1_14transform_implILb0ES3_S5_NS0_18transform_iteratorINS0_17counting_iteratorImlEEZNS1_24adjacent_difference_implIS3_Lb1ELb0EPKiPiN6thrust23THRUST_200600_302600_NS4plusIiEEEE10hipError_tPvRmT2_T3_mT4_P12ihipStream_tbEUlmE_iEESD_NS0_8identityIvEEEESI_SL_SM_mSN_SP_bEUlT_E_NS1_11comp_targetILNS1_3genE9ELNS1_11target_archE1100ELNS1_3gpuE3ELNS1_3repE0EEENS1_30default_config_static_selectorELNS0_4arch9wavefront6targetE1EEEvT1_.has_recursion, 0
	.set _ZN7rocprim17ROCPRIM_400000_NS6detail17trampoline_kernelINS0_14default_configENS1_25transform_config_selectorIiLb0EEEZNS1_14transform_implILb0ES3_S5_NS0_18transform_iteratorINS0_17counting_iteratorImlEEZNS1_24adjacent_difference_implIS3_Lb1ELb0EPKiPiN6thrust23THRUST_200600_302600_NS4plusIiEEEE10hipError_tPvRmT2_T3_mT4_P12ihipStream_tbEUlmE_iEESD_NS0_8identityIvEEEESI_SL_SM_mSN_SP_bEUlT_E_NS1_11comp_targetILNS1_3genE9ELNS1_11target_archE1100ELNS1_3gpuE3ELNS1_3repE0EEENS1_30default_config_static_selectorELNS0_4arch9wavefront6targetE1EEEvT1_.has_indirect_call, 0
	.section	.AMDGPU.csdata,"",@progbits
; Kernel info:
; codeLenInByte = 0
; TotalNumSgprs: 4
; NumVgprs: 0
; ScratchSize: 0
; MemoryBound: 0
; FloatMode: 240
; IeeeMode: 1
; LDSByteSize: 0 bytes/workgroup (compile time only)
; SGPRBlocks: 0
; VGPRBlocks: 0
; NumSGPRsForWavesPerEU: 4
; NumVGPRsForWavesPerEU: 1
; Occupancy: 10
; WaveLimiterHint : 0
; COMPUTE_PGM_RSRC2:SCRATCH_EN: 0
; COMPUTE_PGM_RSRC2:USER_SGPR: 6
; COMPUTE_PGM_RSRC2:TRAP_HANDLER: 0
; COMPUTE_PGM_RSRC2:TGID_X_EN: 1
; COMPUTE_PGM_RSRC2:TGID_Y_EN: 0
; COMPUTE_PGM_RSRC2:TGID_Z_EN: 0
; COMPUTE_PGM_RSRC2:TIDIG_COMP_CNT: 0
	.section	.text._ZN7rocprim17ROCPRIM_400000_NS6detail17trampoline_kernelINS0_14default_configENS1_25transform_config_selectorIiLb0EEEZNS1_14transform_implILb0ES3_S5_NS0_18transform_iteratorINS0_17counting_iteratorImlEEZNS1_24adjacent_difference_implIS3_Lb1ELb0EPKiPiN6thrust23THRUST_200600_302600_NS4plusIiEEEE10hipError_tPvRmT2_T3_mT4_P12ihipStream_tbEUlmE_iEESD_NS0_8identityIvEEEESI_SL_SM_mSN_SP_bEUlT_E_NS1_11comp_targetILNS1_3genE8ELNS1_11target_archE1030ELNS1_3gpuE2ELNS1_3repE0EEENS1_30default_config_static_selectorELNS0_4arch9wavefront6targetE1EEEvT1_,"axG",@progbits,_ZN7rocprim17ROCPRIM_400000_NS6detail17trampoline_kernelINS0_14default_configENS1_25transform_config_selectorIiLb0EEEZNS1_14transform_implILb0ES3_S5_NS0_18transform_iteratorINS0_17counting_iteratorImlEEZNS1_24adjacent_difference_implIS3_Lb1ELb0EPKiPiN6thrust23THRUST_200600_302600_NS4plusIiEEEE10hipError_tPvRmT2_T3_mT4_P12ihipStream_tbEUlmE_iEESD_NS0_8identityIvEEEESI_SL_SM_mSN_SP_bEUlT_E_NS1_11comp_targetILNS1_3genE8ELNS1_11target_archE1030ELNS1_3gpuE2ELNS1_3repE0EEENS1_30default_config_static_selectorELNS0_4arch9wavefront6targetE1EEEvT1_,comdat
	.protected	_ZN7rocprim17ROCPRIM_400000_NS6detail17trampoline_kernelINS0_14default_configENS1_25transform_config_selectorIiLb0EEEZNS1_14transform_implILb0ES3_S5_NS0_18transform_iteratorINS0_17counting_iteratorImlEEZNS1_24adjacent_difference_implIS3_Lb1ELb0EPKiPiN6thrust23THRUST_200600_302600_NS4plusIiEEEE10hipError_tPvRmT2_T3_mT4_P12ihipStream_tbEUlmE_iEESD_NS0_8identityIvEEEESI_SL_SM_mSN_SP_bEUlT_E_NS1_11comp_targetILNS1_3genE8ELNS1_11target_archE1030ELNS1_3gpuE2ELNS1_3repE0EEENS1_30default_config_static_selectorELNS0_4arch9wavefront6targetE1EEEvT1_ ; -- Begin function _ZN7rocprim17ROCPRIM_400000_NS6detail17trampoline_kernelINS0_14default_configENS1_25transform_config_selectorIiLb0EEEZNS1_14transform_implILb0ES3_S5_NS0_18transform_iteratorINS0_17counting_iteratorImlEEZNS1_24adjacent_difference_implIS3_Lb1ELb0EPKiPiN6thrust23THRUST_200600_302600_NS4plusIiEEEE10hipError_tPvRmT2_T3_mT4_P12ihipStream_tbEUlmE_iEESD_NS0_8identityIvEEEESI_SL_SM_mSN_SP_bEUlT_E_NS1_11comp_targetILNS1_3genE8ELNS1_11target_archE1030ELNS1_3gpuE2ELNS1_3repE0EEENS1_30default_config_static_selectorELNS0_4arch9wavefront6targetE1EEEvT1_
	.globl	_ZN7rocprim17ROCPRIM_400000_NS6detail17trampoline_kernelINS0_14default_configENS1_25transform_config_selectorIiLb0EEEZNS1_14transform_implILb0ES3_S5_NS0_18transform_iteratorINS0_17counting_iteratorImlEEZNS1_24adjacent_difference_implIS3_Lb1ELb0EPKiPiN6thrust23THRUST_200600_302600_NS4plusIiEEEE10hipError_tPvRmT2_T3_mT4_P12ihipStream_tbEUlmE_iEESD_NS0_8identityIvEEEESI_SL_SM_mSN_SP_bEUlT_E_NS1_11comp_targetILNS1_3genE8ELNS1_11target_archE1030ELNS1_3gpuE2ELNS1_3repE0EEENS1_30default_config_static_selectorELNS0_4arch9wavefront6targetE1EEEvT1_
	.p2align	8
	.type	_ZN7rocprim17ROCPRIM_400000_NS6detail17trampoline_kernelINS0_14default_configENS1_25transform_config_selectorIiLb0EEEZNS1_14transform_implILb0ES3_S5_NS0_18transform_iteratorINS0_17counting_iteratorImlEEZNS1_24adjacent_difference_implIS3_Lb1ELb0EPKiPiN6thrust23THRUST_200600_302600_NS4plusIiEEEE10hipError_tPvRmT2_T3_mT4_P12ihipStream_tbEUlmE_iEESD_NS0_8identityIvEEEESI_SL_SM_mSN_SP_bEUlT_E_NS1_11comp_targetILNS1_3genE8ELNS1_11target_archE1030ELNS1_3gpuE2ELNS1_3repE0EEENS1_30default_config_static_selectorELNS0_4arch9wavefront6targetE1EEEvT1_,@function
_ZN7rocprim17ROCPRIM_400000_NS6detail17trampoline_kernelINS0_14default_configENS1_25transform_config_selectorIiLb0EEEZNS1_14transform_implILb0ES3_S5_NS0_18transform_iteratorINS0_17counting_iteratorImlEEZNS1_24adjacent_difference_implIS3_Lb1ELb0EPKiPiN6thrust23THRUST_200600_302600_NS4plusIiEEEE10hipError_tPvRmT2_T3_mT4_P12ihipStream_tbEUlmE_iEESD_NS0_8identityIvEEEESI_SL_SM_mSN_SP_bEUlT_E_NS1_11comp_targetILNS1_3genE8ELNS1_11target_archE1030ELNS1_3gpuE2ELNS1_3repE0EEENS1_30default_config_static_selectorELNS0_4arch9wavefront6targetE1EEEvT1_: ; @_ZN7rocprim17ROCPRIM_400000_NS6detail17trampoline_kernelINS0_14default_configENS1_25transform_config_selectorIiLb0EEEZNS1_14transform_implILb0ES3_S5_NS0_18transform_iteratorINS0_17counting_iteratorImlEEZNS1_24adjacent_difference_implIS3_Lb1ELb0EPKiPiN6thrust23THRUST_200600_302600_NS4plusIiEEEE10hipError_tPvRmT2_T3_mT4_P12ihipStream_tbEUlmE_iEESD_NS0_8identityIvEEEESI_SL_SM_mSN_SP_bEUlT_E_NS1_11comp_targetILNS1_3genE8ELNS1_11target_archE1030ELNS1_3gpuE2ELNS1_3repE0EEENS1_30default_config_static_selectorELNS0_4arch9wavefront6targetE1EEEvT1_
; %bb.0:
	.section	.rodata,"a",@progbits
	.p2align	6, 0x0
	.amdhsa_kernel _ZN7rocprim17ROCPRIM_400000_NS6detail17trampoline_kernelINS0_14default_configENS1_25transform_config_selectorIiLb0EEEZNS1_14transform_implILb0ES3_S5_NS0_18transform_iteratorINS0_17counting_iteratorImlEEZNS1_24adjacent_difference_implIS3_Lb1ELb0EPKiPiN6thrust23THRUST_200600_302600_NS4plusIiEEEE10hipError_tPvRmT2_T3_mT4_P12ihipStream_tbEUlmE_iEESD_NS0_8identityIvEEEESI_SL_SM_mSN_SP_bEUlT_E_NS1_11comp_targetILNS1_3genE8ELNS1_11target_archE1030ELNS1_3gpuE2ELNS1_3repE0EEENS1_30default_config_static_selectorELNS0_4arch9wavefront6targetE1EEEvT1_
		.amdhsa_group_segment_fixed_size 0
		.amdhsa_private_segment_fixed_size 0
		.amdhsa_kernarg_size 56
		.amdhsa_user_sgpr_count 6
		.amdhsa_user_sgpr_private_segment_buffer 1
		.amdhsa_user_sgpr_dispatch_ptr 0
		.amdhsa_user_sgpr_queue_ptr 0
		.amdhsa_user_sgpr_kernarg_segment_ptr 1
		.amdhsa_user_sgpr_dispatch_id 0
		.amdhsa_user_sgpr_flat_scratch_init 0
		.amdhsa_user_sgpr_private_segment_size 0
		.amdhsa_uses_dynamic_stack 0
		.amdhsa_system_sgpr_private_segment_wavefront_offset 0
		.amdhsa_system_sgpr_workgroup_id_x 1
		.amdhsa_system_sgpr_workgroup_id_y 0
		.amdhsa_system_sgpr_workgroup_id_z 0
		.amdhsa_system_sgpr_workgroup_info 0
		.amdhsa_system_vgpr_workitem_id 0
		.amdhsa_next_free_vgpr 1
		.amdhsa_next_free_sgpr 0
		.amdhsa_reserve_vcc 0
		.amdhsa_reserve_flat_scratch 0
		.amdhsa_float_round_mode_32 0
		.amdhsa_float_round_mode_16_64 0
		.amdhsa_float_denorm_mode_32 3
		.amdhsa_float_denorm_mode_16_64 3
		.amdhsa_dx10_clamp 1
		.amdhsa_ieee_mode 1
		.amdhsa_fp16_overflow 0
		.amdhsa_exception_fp_ieee_invalid_op 0
		.amdhsa_exception_fp_denorm_src 0
		.amdhsa_exception_fp_ieee_div_zero 0
		.amdhsa_exception_fp_ieee_overflow 0
		.amdhsa_exception_fp_ieee_underflow 0
		.amdhsa_exception_fp_ieee_inexact 0
		.amdhsa_exception_int_div_zero 0
	.end_amdhsa_kernel
	.section	.text._ZN7rocprim17ROCPRIM_400000_NS6detail17trampoline_kernelINS0_14default_configENS1_25transform_config_selectorIiLb0EEEZNS1_14transform_implILb0ES3_S5_NS0_18transform_iteratorINS0_17counting_iteratorImlEEZNS1_24adjacent_difference_implIS3_Lb1ELb0EPKiPiN6thrust23THRUST_200600_302600_NS4plusIiEEEE10hipError_tPvRmT2_T3_mT4_P12ihipStream_tbEUlmE_iEESD_NS0_8identityIvEEEESI_SL_SM_mSN_SP_bEUlT_E_NS1_11comp_targetILNS1_3genE8ELNS1_11target_archE1030ELNS1_3gpuE2ELNS1_3repE0EEENS1_30default_config_static_selectorELNS0_4arch9wavefront6targetE1EEEvT1_,"axG",@progbits,_ZN7rocprim17ROCPRIM_400000_NS6detail17trampoline_kernelINS0_14default_configENS1_25transform_config_selectorIiLb0EEEZNS1_14transform_implILb0ES3_S5_NS0_18transform_iteratorINS0_17counting_iteratorImlEEZNS1_24adjacent_difference_implIS3_Lb1ELb0EPKiPiN6thrust23THRUST_200600_302600_NS4plusIiEEEE10hipError_tPvRmT2_T3_mT4_P12ihipStream_tbEUlmE_iEESD_NS0_8identityIvEEEESI_SL_SM_mSN_SP_bEUlT_E_NS1_11comp_targetILNS1_3genE8ELNS1_11target_archE1030ELNS1_3gpuE2ELNS1_3repE0EEENS1_30default_config_static_selectorELNS0_4arch9wavefront6targetE1EEEvT1_,comdat
.Lfunc_end739:
	.size	_ZN7rocprim17ROCPRIM_400000_NS6detail17trampoline_kernelINS0_14default_configENS1_25transform_config_selectorIiLb0EEEZNS1_14transform_implILb0ES3_S5_NS0_18transform_iteratorINS0_17counting_iteratorImlEEZNS1_24adjacent_difference_implIS3_Lb1ELb0EPKiPiN6thrust23THRUST_200600_302600_NS4plusIiEEEE10hipError_tPvRmT2_T3_mT4_P12ihipStream_tbEUlmE_iEESD_NS0_8identityIvEEEESI_SL_SM_mSN_SP_bEUlT_E_NS1_11comp_targetILNS1_3genE8ELNS1_11target_archE1030ELNS1_3gpuE2ELNS1_3repE0EEENS1_30default_config_static_selectorELNS0_4arch9wavefront6targetE1EEEvT1_, .Lfunc_end739-_ZN7rocprim17ROCPRIM_400000_NS6detail17trampoline_kernelINS0_14default_configENS1_25transform_config_selectorIiLb0EEEZNS1_14transform_implILb0ES3_S5_NS0_18transform_iteratorINS0_17counting_iteratorImlEEZNS1_24adjacent_difference_implIS3_Lb1ELb0EPKiPiN6thrust23THRUST_200600_302600_NS4plusIiEEEE10hipError_tPvRmT2_T3_mT4_P12ihipStream_tbEUlmE_iEESD_NS0_8identityIvEEEESI_SL_SM_mSN_SP_bEUlT_E_NS1_11comp_targetILNS1_3genE8ELNS1_11target_archE1030ELNS1_3gpuE2ELNS1_3repE0EEENS1_30default_config_static_selectorELNS0_4arch9wavefront6targetE1EEEvT1_
                                        ; -- End function
	.set _ZN7rocprim17ROCPRIM_400000_NS6detail17trampoline_kernelINS0_14default_configENS1_25transform_config_selectorIiLb0EEEZNS1_14transform_implILb0ES3_S5_NS0_18transform_iteratorINS0_17counting_iteratorImlEEZNS1_24adjacent_difference_implIS3_Lb1ELb0EPKiPiN6thrust23THRUST_200600_302600_NS4plusIiEEEE10hipError_tPvRmT2_T3_mT4_P12ihipStream_tbEUlmE_iEESD_NS0_8identityIvEEEESI_SL_SM_mSN_SP_bEUlT_E_NS1_11comp_targetILNS1_3genE8ELNS1_11target_archE1030ELNS1_3gpuE2ELNS1_3repE0EEENS1_30default_config_static_selectorELNS0_4arch9wavefront6targetE1EEEvT1_.num_vgpr, 0
	.set _ZN7rocprim17ROCPRIM_400000_NS6detail17trampoline_kernelINS0_14default_configENS1_25transform_config_selectorIiLb0EEEZNS1_14transform_implILb0ES3_S5_NS0_18transform_iteratorINS0_17counting_iteratorImlEEZNS1_24adjacent_difference_implIS3_Lb1ELb0EPKiPiN6thrust23THRUST_200600_302600_NS4plusIiEEEE10hipError_tPvRmT2_T3_mT4_P12ihipStream_tbEUlmE_iEESD_NS0_8identityIvEEEESI_SL_SM_mSN_SP_bEUlT_E_NS1_11comp_targetILNS1_3genE8ELNS1_11target_archE1030ELNS1_3gpuE2ELNS1_3repE0EEENS1_30default_config_static_selectorELNS0_4arch9wavefront6targetE1EEEvT1_.num_agpr, 0
	.set _ZN7rocprim17ROCPRIM_400000_NS6detail17trampoline_kernelINS0_14default_configENS1_25transform_config_selectorIiLb0EEEZNS1_14transform_implILb0ES3_S5_NS0_18transform_iteratorINS0_17counting_iteratorImlEEZNS1_24adjacent_difference_implIS3_Lb1ELb0EPKiPiN6thrust23THRUST_200600_302600_NS4plusIiEEEE10hipError_tPvRmT2_T3_mT4_P12ihipStream_tbEUlmE_iEESD_NS0_8identityIvEEEESI_SL_SM_mSN_SP_bEUlT_E_NS1_11comp_targetILNS1_3genE8ELNS1_11target_archE1030ELNS1_3gpuE2ELNS1_3repE0EEENS1_30default_config_static_selectorELNS0_4arch9wavefront6targetE1EEEvT1_.numbered_sgpr, 0
	.set _ZN7rocprim17ROCPRIM_400000_NS6detail17trampoline_kernelINS0_14default_configENS1_25transform_config_selectorIiLb0EEEZNS1_14transform_implILb0ES3_S5_NS0_18transform_iteratorINS0_17counting_iteratorImlEEZNS1_24adjacent_difference_implIS3_Lb1ELb0EPKiPiN6thrust23THRUST_200600_302600_NS4plusIiEEEE10hipError_tPvRmT2_T3_mT4_P12ihipStream_tbEUlmE_iEESD_NS0_8identityIvEEEESI_SL_SM_mSN_SP_bEUlT_E_NS1_11comp_targetILNS1_3genE8ELNS1_11target_archE1030ELNS1_3gpuE2ELNS1_3repE0EEENS1_30default_config_static_selectorELNS0_4arch9wavefront6targetE1EEEvT1_.num_named_barrier, 0
	.set _ZN7rocprim17ROCPRIM_400000_NS6detail17trampoline_kernelINS0_14default_configENS1_25transform_config_selectorIiLb0EEEZNS1_14transform_implILb0ES3_S5_NS0_18transform_iteratorINS0_17counting_iteratorImlEEZNS1_24adjacent_difference_implIS3_Lb1ELb0EPKiPiN6thrust23THRUST_200600_302600_NS4plusIiEEEE10hipError_tPvRmT2_T3_mT4_P12ihipStream_tbEUlmE_iEESD_NS0_8identityIvEEEESI_SL_SM_mSN_SP_bEUlT_E_NS1_11comp_targetILNS1_3genE8ELNS1_11target_archE1030ELNS1_3gpuE2ELNS1_3repE0EEENS1_30default_config_static_selectorELNS0_4arch9wavefront6targetE1EEEvT1_.private_seg_size, 0
	.set _ZN7rocprim17ROCPRIM_400000_NS6detail17trampoline_kernelINS0_14default_configENS1_25transform_config_selectorIiLb0EEEZNS1_14transform_implILb0ES3_S5_NS0_18transform_iteratorINS0_17counting_iteratorImlEEZNS1_24adjacent_difference_implIS3_Lb1ELb0EPKiPiN6thrust23THRUST_200600_302600_NS4plusIiEEEE10hipError_tPvRmT2_T3_mT4_P12ihipStream_tbEUlmE_iEESD_NS0_8identityIvEEEESI_SL_SM_mSN_SP_bEUlT_E_NS1_11comp_targetILNS1_3genE8ELNS1_11target_archE1030ELNS1_3gpuE2ELNS1_3repE0EEENS1_30default_config_static_selectorELNS0_4arch9wavefront6targetE1EEEvT1_.uses_vcc, 0
	.set _ZN7rocprim17ROCPRIM_400000_NS6detail17trampoline_kernelINS0_14default_configENS1_25transform_config_selectorIiLb0EEEZNS1_14transform_implILb0ES3_S5_NS0_18transform_iteratorINS0_17counting_iteratorImlEEZNS1_24adjacent_difference_implIS3_Lb1ELb0EPKiPiN6thrust23THRUST_200600_302600_NS4plusIiEEEE10hipError_tPvRmT2_T3_mT4_P12ihipStream_tbEUlmE_iEESD_NS0_8identityIvEEEESI_SL_SM_mSN_SP_bEUlT_E_NS1_11comp_targetILNS1_3genE8ELNS1_11target_archE1030ELNS1_3gpuE2ELNS1_3repE0EEENS1_30default_config_static_selectorELNS0_4arch9wavefront6targetE1EEEvT1_.uses_flat_scratch, 0
	.set _ZN7rocprim17ROCPRIM_400000_NS6detail17trampoline_kernelINS0_14default_configENS1_25transform_config_selectorIiLb0EEEZNS1_14transform_implILb0ES3_S5_NS0_18transform_iteratorINS0_17counting_iteratorImlEEZNS1_24adjacent_difference_implIS3_Lb1ELb0EPKiPiN6thrust23THRUST_200600_302600_NS4plusIiEEEE10hipError_tPvRmT2_T3_mT4_P12ihipStream_tbEUlmE_iEESD_NS0_8identityIvEEEESI_SL_SM_mSN_SP_bEUlT_E_NS1_11comp_targetILNS1_3genE8ELNS1_11target_archE1030ELNS1_3gpuE2ELNS1_3repE0EEENS1_30default_config_static_selectorELNS0_4arch9wavefront6targetE1EEEvT1_.has_dyn_sized_stack, 0
	.set _ZN7rocprim17ROCPRIM_400000_NS6detail17trampoline_kernelINS0_14default_configENS1_25transform_config_selectorIiLb0EEEZNS1_14transform_implILb0ES3_S5_NS0_18transform_iteratorINS0_17counting_iteratorImlEEZNS1_24adjacent_difference_implIS3_Lb1ELb0EPKiPiN6thrust23THRUST_200600_302600_NS4plusIiEEEE10hipError_tPvRmT2_T3_mT4_P12ihipStream_tbEUlmE_iEESD_NS0_8identityIvEEEESI_SL_SM_mSN_SP_bEUlT_E_NS1_11comp_targetILNS1_3genE8ELNS1_11target_archE1030ELNS1_3gpuE2ELNS1_3repE0EEENS1_30default_config_static_selectorELNS0_4arch9wavefront6targetE1EEEvT1_.has_recursion, 0
	.set _ZN7rocprim17ROCPRIM_400000_NS6detail17trampoline_kernelINS0_14default_configENS1_25transform_config_selectorIiLb0EEEZNS1_14transform_implILb0ES3_S5_NS0_18transform_iteratorINS0_17counting_iteratorImlEEZNS1_24adjacent_difference_implIS3_Lb1ELb0EPKiPiN6thrust23THRUST_200600_302600_NS4plusIiEEEE10hipError_tPvRmT2_T3_mT4_P12ihipStream_tbEUlmE_iEESD_NS0_8identityIvEEEESI_SL_SM_mSN_SP_bEUlT_E_NS1_11comp_targetILNS1_3genE8ELNS1_11target_archE1030ELNS1_3gpuE2ELNS1_3repE0EEENS1_30default_config_static_selectorELNS0_4arch9wavefront6targetE1EEEvT1_.has_indirect_call, 0
	.section	.AMDGPU.csdata,"",@progbits
; Kernel info:
; codeLenInByte = 0
; TotalNumSgprs: 4
; NumVgprs: 0
; ScratchSize: 0
; MemoryBound: 0
; FloatMode: 240
; IeeeMode: 1
; LDSByteSize: 0 bytes/workgroup (compile time only)
; SGPRBlocks: 0
; VGPRBlocks: 0
; NumSGPRsForWavesPerEU: 4
; NumVGPRsForWavesPerEU: 1
; Occupancy: 10
; WaveLimiterHint : 0
; COMPUTE_PGM_RSRC2:SCRATCH_EN: 0
; COMPUTE_PGM_RSRC2:USER_SGPR: 6
; COMPUTE_PGM_RSRC2:TRAP_HANDLER: 0
; COMPUTE_PGM_RSRC2:TGID_X_EN: 1
; COMPUTE_PGM_RSRC2:TGID_Y_EN: 0
; COMPUTE_PGM_RSRC2:TGID_Z_EN: 0
; COMPUTE_PGM_RSRC2:TIDIG_COMP_CNT: 0
	.section	.text._ZN7rocprim17ROCPRIM_400000_NS6detail17trampoline_kernelINS0_14default_configENS1_35adjacent_difference_config_selectorILb1EiEEZNS1_24adjacent_difference_implIS3_Lb1ELb0EPKiPiN6thrust23THRUST_200600_302600_NS4plusIiEEEE10hipError_tPvRmT2_T3_mT4_P12ihipStream_tbEUlT_E_NS1_11comp_targetILNS1_3genE0ELNS1_11target_archE4294967295ELNS1_3gpuE0ELNS1_3repE0EEENS1_30default_config_static_selectorELNS0_4arch9wavefront6targetE1EEEvT1_,"axG",@progbits,_ZN7rocprim17ROCPRIM_400000_NS6detail17trampoline_kernelINS0_14default_configENS1_35adjacent_difference_config_selectorILb1EiEEZNS1_24adjacent_difference_implIS3_Lb1ELb0EPKiPiN6thrust23THRUST_200600_302600_NS4plusIiEEEE10hipError_tPvRmT2_T3_mT4_P12ihipStream_tbEUlT_E_NS1_11comp_targetILNS1_3genE0ELNS1_11target_archE4294967295ELNS1_3gpuE0ELNS1_3repE0EEENS1_30default_config_static_selectorELNS0_4arch9wavefront6targetE1EEEvT1_,comdat
	.protected	_ZN7rocprim17ROCPRIM_400000_NS6detail17trampoline_kernelINS0_14default_configENS1_35adjacent_difference_config_selectorILb1EiEEZNS1_24adjacent_difference_implIS3_Lb1ELb0EPKiPiN6thrust23THRUST_200600_302600_NS4plusIiEEEE10hipError_tPvRmT2_T3_mT4_P12ihipStream_tbEUlT_E_NS1_11comp_targetILNS1_3genE0ELNS1_11target_archE4294967295ELNS1_3gpuE0ELNS1_3repE0EEENS1_30default_config_static_selectorELNS0_4arch9wavefront6targetE1EEEvT1_ ; -- Begin function _ZN7rocprim17ROCPRIM_400000_NS6detail17trampoline_kernelINS0_14default_configENS1_35adjacent_difference_config_selectorILb1EiEEZNS1_24adjacent_difference_implIS3_Lb1ELb0EPKiPiN6thrust23THRUST_200600_302600_NS4plusIiEEEE10hipError_tPvRmT2_T3_mT4_P12ihipStream_tbEUlT_E_NS1_11comp_targetILNS1_3genE0ELNS1_11target_archE4294967295ELNS1_3gpuE0ELNS1_3repE0EEENS1_30default_config_static_selectorELNS0_4arch9wavefront6targetE1EEEvT1_
	.globl	_ZN7rocprim17ROCPRIM_400000_NS6detail17trampoline_kernelINS0_14default_configENS1_35adjacent_difference_config_selectorILb1EiEEZNS1_24adjacent_difference_implIS3_Lb1ELb0EPKiPiN6thrust23THRUST_200600_302600_NS4plusIiEEEE10hipError_tPvRmT2_T3_mT4_P12ihipStream_tbEUlT_E_NS1_11comp_targetILNS1_3genE0ELNS1_11target_archE4294967295ELNS1_3gpuE0ELNS1_3repE0EEENS1_30default_config_static_selectorELNS0_4arch9wavefront6targetE1EEEvT1_
	.p2align	8
	.type	_ZN7rocprim17ROCPRIM_400000_NS6detail17trampoline_kernelINS0_14default_configENS1_35adjacent_difference_config_selectorILb1EiEEZNS1_24adjacent_difference_implIS3_Lb1ELb0EPKiPiN6thrust23THRUST_200600_302600_NS4plusIiEEEE10hipError_tPvRmT2_T3_mT4_P12ihipStream_tbEUlT_E_NS1_11comp_targetILNS1_3genE0ELNS1_11target_archE4294967295ELNS1_3gpuE0ELNS1_3repE0EEENS1_30default_config_static_selectorELNS0_4arch9wavefront6targetE1EEEvT1_,@function
_ZN7rocprim17ROCPRIM_400000_NS6detail17trampoline_kernelINS0_14default_configENS1_35adjacent_difference_config_selectorILb1EiEEZNS1_24adjacent_difference_implIS3_Lb1ELb0EPKiPiN6thrust23THRUST_200600_302600_NS4plusIiEEEE10hipError_tPvRmT2_T3_mT4_P12ihipStream_tbEUlT_E_NS1_11comp_targetILNS1_3genE0ELNS1_11target_archE4294967295ELNS1_3gpuE0ELNS1_3repE0EEENS1_30default_config_static_selectorELNS0_4arch9wavefront6targetE1EEEvT1_: ; @_ZN7rocprim17ROCPRIM_400000_NS6detail17trampoline_kernelINS0_14default_configENS1_35adjacent_difference_config_selectorILb1EiEEZNS1_24adjacent_difference_implIS3_Lb1ELb0EPKiPiN6thrust23THRUST_200600_302600_NS4plusIiEEEE10hipError_tPvRmT2_T3_mT4_P12ihipStream_tbEUlT_E_NS1_11comp_targetILNS1_3genE0ELNS1_11target_archE4294967295ELNS1_3gpuE0ELNS1_3repE0EEENS1_30default_config_static_selectorELNS0_4arch9wavefront6targetE1EEEvT1_
; %bb.0:
	.section	.rodata,"a",@progbits
	.p2align	6, 0x0
	.amdhsa_kernel _ZN7rocprim17ROCPRIM_400000_NS6detail17trampoline_kernelINS0_14default_configENS1_35adjacent_difference_config_selectorILb1EiEEZNS1_24adjacent_difference_implIS3_Lb1ELb0EPKiPiN6thrust23THRUST_200600_302600_NS4plusIiEEEE10hipError_tPvRmT2_T3_mT4_P12ihipStream_tbEUlT_E_NS1_11comp_targetILNS1_3genE0ELNS1_11target_archE4294967295ELNS1_3gpuE0ELNS1_3repE0EEENS1_30default_config_static_selectorELNS0_4arch9wavefront6targetE1EEEvT1_
		.amdhsa_group_segment_fixed_size 0
		.amdhsa_private_segment_fixed_size 0
		.amdhsa_kernarg_size 56
		.amdhsa_user_sgpr_count 6
		.amdhsa_user_sgpr_private_segment_buffer 1
		.amdhsa_user_sgpr_dispatch_ptr 0
		.amdhsa_user_sgpr_queue_ptr 0
		.amdhsa_user_sgpr_kernarg_segment_ptr 1
		.amdhsa_user_sgpr_dispatch_id 0
		.amdhsa_user_sgpr_flat_scratch_init 0
		.amdhsa_user_sgpr_private_segment_size 0
		.amdhsa_uses_dynamic_stack 0
		.amdhsa_system_sgpr_private_segment_wavefront_offset 0
		.amdhsa_system_sgpr_workgroup_id_x 1
		.amdhsa_system_sgpr_workgroup_id_y 0
		.amdhsa_system_sgpr_workgroup_id_z 0
		.amdhsa_system_sgpr_workgroup_info 0
		.amdhsa_system_vgpr_workitem_id 0
		.amdhsa_next_free_vgpr 1
		.amdhsa_next_free_sgpr 0
		.amdhsa_reserve_vcc 0
		.amdhsa_reserve_flat_scratch 0
		.amdhsa_float_round_mode_32 0
		.amdhsa_float_round_mode_16_64 0
		.amdhsa_float_denorm_mode_32 3
		.amdhsa_float_denorm_mode_16_64 3
		.amdhsa_dx10_clamp 1
		.amdhsa_ieee_mode 1
		.amdhsa_fp16_overflow 0
		.amdhsa_exception_fp_ieee_invalid_op 0
		.amdhsa_exception_fp_denorm_src 0
		.amdhsa_exception_fp_ieee_div_zero 0
		.amdhsa_exception_fp_ieee_overflow 0
		.amdhsa_exception_fp_ieee_underflow 0
		.amdhsa_exception_fp_ieee_inexact 0
		.amdhsa_exception_int_div_zero 0
	.end_amdhsa_kernel
	.section	.text._ZN7rocprim17ROCPRIM_400000_NS6detail17trampoline_kernelINS0_14default_configENS1_35adjacent_difference_config_selectorILb1EiEEZNS1_24adjacent_difference_implIS3_Lb1ELb0EPKiPiN6thrust23THRUST_200600_302600_NS4plusIiEEEE10hipError_tPvRmT2_T3_mT4_P12ihipStream_tbEUlT_E_NS1_11comp_targetILNS1_3genE0ELNS1_11target_archE4294967295ELNS1_3gpuE0ELNS1_3repE0EEENS1_30default_config_static_selectorELNS0_4arch9wavefront6targetE1EEEvT1_,"axG",@progbits,_ZN7rocprim17ROCPRIM_400000_NS6detail17trampoline_kernelINS0_14default_configENS1_35adjacent_difference_config_selectorILb1EiEEZNS1_24adjacent_difference_implIS3_Lb1ELb0EPKiPiN6thrust23THRUST_200600_302600_NS4plusIiEEEE10hipError_tPvRmT2_T3_mT4_P12ihipStream_tbEUlT_E_NS1_11comp_targetILNS1_3genE0ELNS1_11target_archE4294967295ELNS1_3gpuE0ELNS1_3repE0EEENS1_30default_config_static_selectorELNS0_4arch9wavefront6targetE1EEEvT1_,comdat
.Lfunc_end740:
	.size	_ZN7rocprim17ROCPRIM_400000_NS6detail17trampoline_kernelINS0_14default_configENS1_35adjacent_difference_config_selectorILb1EiEEZNS1_24adjacent_difference_implIS3_Lb1ELb0EPKiPiN6thrust23THRUST_200600_302600_NS4plusIiEEEE10hipError_tPvRmT2_T3_mT4_P12ihipStream_tbEUlT_E_NS1_11comp_targetILNS1_3genE0ELNS1_11target_archE4294967295ELNS1_3gpuE0ELNS1_3repE0EEENS1_30default_config_static_selectorELNS0_4arch9wavefront6targetE1EEEvT1_, .Lfunc_end740-_ZN7rocprim17ROCPRIM_400000_NS6detail17trampoline_kernelINS0_14default_configENS1_35adjacent_difference_config_selectorILb1EiEEZNS1_24adjacent_difference_implIS3_Lb1ELb0EPKiPiN6thrust23THRUST_200600_302600_NS4plusIiEEEE10hipError_tPvRmT2_T3_mT4_P12ihipStream_tbEUlT_E_NS1_11comp_targetILNS1_3genE0ELNS1_11target_archE4294967295ELNS1_3gpuE0ELNS1_3repE0EEENS1_30default_config_static_selectorELNS0_4arch9wavefront6targetE1EEEvT1_
                                        ; -- End function
	.set _ZN7rocprim17ROCPRIM_400000_NS6detail17trampoline_kernelINS0_14default_configENS1_35adjacent_difference_config_selectorILb1EiEEZNS1_24adjacent_difference_implIS3_Lb1ELb0EPKiPiN6thrust23THRUST_200600_302600_NS4plusIiEEEE10hipError_tPvRmT2_T3_mT4_P12ihipStream_tbEUlT_E_NS1_11comp_targetILNS1_3genE0ELNS1_11target_archE4294967295ELNS1_3gpuE0ELNS1_3repE0EEENS1_30default_config_static_selectorELNS0_4arch9wavefront6targetE1EEEvT1_.num_vgpr, 0
	.set _ZN7rocprim17ROCPRIM_400000_NS6detail17trampoline_kernelINS0_14default_configENS1_35adjacent_difference_config_selectorILb1EiEEZNS1_24adjacent_difference_implIS3_Lb1ELb0EPKiPiN6thrust23THRUST_200600_302600_NS4plusIiEEEE10hipError_tPvRmT2_T3_mT4_P12ihipStream_tbEUlT_E_NS1_11comp_targetILNS1_3genE0ELNS1_11target_archE4294967295ELNS1_3gpuE0ELNS1_3repE0EEENS1_30default_config_static_selectorELNS0_4arch9wavefront6targetE1EEEvT1_.num_agpr, 0
	.set _ZN7rocprim17ROCPRIM_400000_NS6detail17trampoline_kernelINS0_14default_configENS1_35adjacent_difference_config_selectorILb1EiEEZNS1_24adjacent_difference_implIS3_Lb1ELb0EPKiPiN6thrust23THRUST_200600_302600_NS4plusIiEEEE10hipError_tPvRmT2_T3_mT4_P12ihipStream_tbEUlT_E_NS1_11comp_targetILNS1_3genE0ELNS1_11target_archE4294967295ELNS1_3gpuE0ELNS1_3repE0EEENS1_30default_config_static_selectorELNS0_4arch9wavefront6targetE1EEEvT1_.numbered_sgpr, 0
	.set _ZN7rocprim17ROCPRIM_400000_NS6detail17trampoline_kernelINS0_14default_configENS1_35adjacent_difference_config_selectorILb1EiEEZNS1_24adjacent_difference_implIS3_Lb1ELb0EPKiPiN6thrust23THRUST_200600_302600_NS4plusIiEEEE10hipError_tPvRmT2_T3_mT4_P12ihipStream_tbEUlT_E_NS1_11comp_targetILNS1_3genE0ELNS1_11target_archE4294967295ELNS1_3gpuE0ELNS1_3repE0EEENS1_30default_config_static_selectorELNS0_4arch9wavefront6targetE1EEEvT1_.num_named_barrier, 0
	.set _ZN7rocprim17ROCPRIM_400000_NS6detail17trampoline_kernelINS0_14default_configENS1_35adjacent_difference_config_selectorILb1EiEEZNS1_24adjacent_difference_implIS3_Lb1ELb0EPKiPiN6thrust23THRUST_200600_302600_NS4plusIiEEEE10hipError_tPvRmT2_T3_mT4_P12ihipStream_tbEUlT_E_NS1_11comp_targetILNS1_3genE0ELNS1_11target_archE4294967295ELNS1_3gpuE0ELNS1_3repE0EEENS1_30default_config_static_selectorELNS0_4arch9wavefront6targetE1EEEvT1_.private_seg_size, 0
	.set _ZN7rocprim17ROCPRIM_400000_NS6detail17trampoline_kernelINS0_14default_configENS1_35adjacent_difference_config_selectorILb1EiEEZNS1_24adjacent_difference_implIS3_Lb1ELb0EPKiPiN6thrust23THRUST_200600_302600_NS4plusIiEEEE10hipError_tPvRmT2_T3_mT4_P12ihipStream_tbEUlT_E_NS1_11comp_targetILNS1_3genE0ELNS1_11target_archE4294967295ELNS1_3gpuE0ELNS1_3repE0EEENS1_30default_config_static_selectorELNS0_4arch9wavefront6targetE1EEEvT1_.uses_vcc, 0
	.set _ZN7rocprim17ROCPRIM_400000_NS6detail17trampoline_kernelINS0_14default_configENS1_35adjacent_difference_config_selectorILb1EiEEZNS1_24adjacent_difference_implIS3_Lb1ELb0EPKiPiN6thrust23THRUST_200600_302600_NS4plusIiEEEE10hipError_tPvRmT2_T3_mT4_P12ihipStream_tbEUlT_E_NS1_11comp_targetILNS1_3genE0ELNS1_11target_archE4294967295ELNS1_3gpuE0ELNS1_3repE0EEENS1_30default_config_static_selectorELNS0_4arch9wavefront6targetE1EEEvT1_.uses_flat_scratch, 0
	.set _ZN7rocprim17ROCPRIM_400000_NS6detail17trampoline_kernelINS0_14default_configENS1_35adjacent_difference_config_selectorILb1EiEEZNS1_24adjacent_difference_implIS3_Lb1ELb0EPKiPiN6thrust23THRUST_200600_302600_NS4plusIiEEEE10hipError_tPvRmT2_T3_mT4_P12ihipStream_tbEUlT_E_NS1_11comp_targetILNS1_3genE0ELNS1_11target_archE4294967295ELNS1_3gpuE0ELNS1_3repE0EEENS1_30default_config_static_selectorELNS0_4arch9wavefront6targetE1EEEvT1_.has_dyn_sized_stack, 0
	.set _ZN7rocprim17ROCPRIM_400000_NS6detail17trampoline_kernelINS0_14default_configENS1_35adjacent_difference_config_selectorILb1EiEEZNS1_24adjacent_difference_implIS3_Lb1ELb0EPKiPiN6thrust23THRUST_200600_302600_NS4plusIiEEEE10hipError_tPvRmT2_T3_mT4_P12ihipStream_tbEUlT_E_NS1_11comp_targetILNS1_3genE0ELNS1_11target_archE4294967295ELNS1_3gpuE0ELNS1_3repE0EEENS1_30default_config_static_selectorELNS0_4arch9wavefront6targetE1EEEvT1_.has_recursion, 0
	.set _ZN7rocprim17ROCPRIM_400000_NS6detail17trampoline_kernelINS0_14default_configENS1_35adjacent_difference_config_selectorILb1EiEEZNS1_24adjacent_difference_implIS3_Lb1ELb0EPKiPiN6thrust23THRUST_200600_302600_NS4plusIiEEEE10hipError_tPvRmT2_T3_mT4_P12ihipStream_tbEUlT_E_NS1_11comp_targetILNS1_3genE0ELNS1_11target_archE4294967295ELNS1_3gpuE0ELNS1_3repE0EEENS1_30default_config_static_selectorELNS0_4arch9wavefront6targetE1EEEvT1_.has_indirect_call, 0
	.section	.AMDGPU.csdata,"",@progbits
; Kernel info:
; codeLenInByte = 0
; TotalNumSgprs: 4
; NumVgprs: 0
; ScratchSize: 0
; MemoryBound: 0
; FloatMode: 240
; IeeeMode: 1
; LDSByteSize: 0 bytes/workgroup (compile time only)
; SGPRBlocks: 0
; VGPRBlocks: 0
; NumSGPRsForWavesPerEU: 4
; NumVGPRsForWavesPerEU: 1
; Occupancy: 10
; WaveLimiterHint : 0
; COMPUTE_PGM_RSRC2:SCRATCH_EN: 0
; COMPUTE_PGM_RSRC2:USER_SGPR: 6
; COMPUTE_PGM_RSRC2:TRAP_HANDLER: 0
; COMPUTE_PGM_RSRC2:TGID_X_EN: 1
; COMPUTE_PGM_RSRC2:TGID_Y_EN: 0
; COMPUTE_PGM_RSRC2:TGID_Z_EN: 0
; COMPUTE_PGM_RSRC2:TIDIG_COMP_CNT: 0
	.section	.text._ZN7rocprim17ROCPRIM_400000_NS6detail17trampoline_kernelINS0_14default_configENS1_35adjacent_difference_config_selectorILb1EiEEZNS1_24adjacent_difference_implIS3_Lb1ELb0EPKiPiN6thrust23THRUST_200600_302600_NS4plusIiEEEE10hipError_tPvRmT2_T3_mT4_P12ihipStream_tbEUlT_E_NS1_11comp_targetILNS1_3genE10ELNS1_11target_archE1201ELNS1_3gpuE5ELNS1_3repE0EEENS1_30default_config_static_selectorELNS0_4arch9wavefront6targetE1EEEvT1_,"axG",@progbits,_ZN7rocprim17ROCPRIM_400000_NS6detail17trampoline_kernelINS0_14default_configENS1_35adjacent_difference_config_selectorILb1EiEEZNS1_24adjacent_difference_implIS3_Lb1ELb0EPKiPiN6thrust23THRUST_200600_302600_NS4plusIiEEEE10hipError_tPvRmT2_T3_mT4_P12ihipStream_tbEUlT_E_NS1_11comp_targetILNS1_3genE10ELNS1_11target_archE1201ELNS1_3gpuE5ELNS1_3repE0EEENS1_30default_config_static_selectorELNS0_4arch9wavefront6targetE1EEEvT1_,comdat
	.protected	_ZN7rocprim17ROCPRIM_400000_NS6detail17trampoline_kernelINS0_14default_configENS1_35adjacent_difference_config_selectorILb1EiEEZNS1_24adjacent_difference_implIS3_Lb1ELb0EPKiPiN6thrust23THRUST_200600_302600_NS4plusIiEEEE10hipError_tPvRmT2_T3_mT4_P12ihipStream_tbEUlT_E_NS1_11comp_targetILNS1_3genE10ELNS1_11target_archE1201ELNS1_3gpuE5ELNS1_3repE0EEENS1_30default_config_static_selectorELNS0_4arch9wavefront6targetE1EEEvT1_ ; -- Begin function _ZN7rocprim17ROCPRIM_400000_NS6detail17trampoline_kernelINS0_14default_configENS1_35adjacent_difference_config_selectorILb1EiEEZNS1_24adjacent_difference_implIS3_Lb1ELb0EPKiPiN6thrust23THRUST_200600_302600_NS4plusIiEEEE10hipError_tPvRmT2_T3_mT4_P12ihipStream_tbEUlT_E_NS1_11comp_targetILNS1_3genE10ELNS1_11target_archE1201ELNS1_3gpuE5ELNS1_3repE0EEENS1_30default_config_static_selectorELNS0_4arch9wavefront6targetE1EEEvT1_
	.globl	_ZN7rocprim17ROCPRIM_400000_NS6detail17trampoline_kernelINS0_14default_configENS1_35adjacent_difference_config_selectorILb1EiEEZNS1_24adjacent_difference_implIS3_Lb1ELb0EPKiPiN6thrust23THRUST_200600_302600_NS4plusIiEEEE10hipError_tPvRmT2_T3_mT4_P12ihipStream_tbEUlT_E_NS1_11comp_targetILNS1_3genE10ELNS1_11target_archE1201ELNS1_3gpuE5ELNS1_3repE0EEENS1_30default_config_static_selectorELNS0_4arch9wavefront6targetE1EEEvT1_
	.p2align	8
	.type	_ZN7rocprim17ROCPRIM_400000_NS6detail17trampoline_kernelINS0_14default_configENS1_35adjacent_difference_config_selectorILb1EiEEZNS1_24adjacent_difference_implIS3_Lb1ELb0EPKiPiN6thrust23THRUST_200600_302600_NS4plusIiEEEE10hipError_tPvRmT2_T3_mT4_P12ihipStream_tbEUlT_E_NS1_11comp_targetILNS1_3genE10ELNS1_11target_archE1201ELNS1_3gpuE5ELNS1_3repE0EEENS1_30default_config_static_selectorELNS0_4arch9wavefront6targetE1EEEvT1_,@function
_ZN7rocprim17ROCPRIM_400000_NS6detail17trampoline_kernelINS0_14default_configENS1_35adjacent_difference_config_selectorILb1EiEEZNS1_24adjacent_difference_implIS3_Lb1ELb0EPKiPiN6thrust23THRUST_200600_302600_NS4plusIiEEEE10hipError_tPvRmT2_T3_mT4_P12ihipStream_tbEUlT_E_NS1_11comp_targetILNS1_3genE10ELNS1_11target_archE1201ELNS1_3gpuE5ELNS1_3repE0EEENS1_30default_config_static_selectorELNS0_4arch9wavefront6targetE1EEEvT1_: ; @_ZN7rocprim17ROCPRIM_400000_NS6detail17trampoline_kernelINS0_14default_configENS1_35adjacent_difference_config_selectorILb1EiEEZNS1_24adjacent_difference_implIS3_Lb1ELb0EPKiPiN6thrust23THRUST_200600_302600_NS4plusIiEEEE10hipError_tPvRmT2_T3_mT4_P12ihipStream_tbEUlT_E_NS1_11comp_targetILNS1_3genE10ELNS1_11target_archE1201ELNS1_3gpuE5ELNS1_3repE0EEENS1_30default_config_static_selectorELNS0_4arch9wavefront6targetE1EEEvT1_
; %bb.0:
	.section	.rodata,"a",@progbits
	.p2align	6, 0x0
	.amdhsa_kernel _ZN7rocprim17ROCPRIM_400000_NS6detail17trampoline_kernelINS0_14default_configENS1_35adjacent_difference_config_selectorILb1EiEEZNS1_24adjacent_difference_implIS3_Lb1ELb0EPKiPiN6thrust23THRUST_200600_302600_NS4plusIiEEEE10hipError_tPvRmT2_T3_mT4_P12ihipStream_tbEUlT_E_NS1_11comp_targetILNS1_3genE10ELNS1_11target_archE1201ELNS1_3gpuE5ELNS1_3repE0EEENS1_30default_config_static_selectorELNS0_4arch9wavefront6targetE1EEEvT1_
		.amdhsa_group_segment_fixed_size 0
		.amdhsa_private_segment_fixed_size 0
		.amdhsa_kernarg_size 56
		.amdhsa_user_sgpr_count 6
		.amdhsa_user_sgpr_private_segment_buffer 1
		.amdhsa_user_sgpr_dispatch_ptr 0
		.amdhsa_user_sgpr_queue_ptr 0
		.amdhsa_user_sgpr_kernarg_segment_ptr 1
		.amdhsa_user_sgpr_dispatch_id 0
		.amdhsa_user_sgpr_flat_scratch_init 0
		.amdhsa_user_sgpr_private_segment_size 0
		.amdhsa_uses_dynamic_stack 0
		.amdhsa_system_sgpr_private_segment_wavefront_offset 0
		.amdhsa_system_sgpr_workgroup_id_x 1
		.amdhsa_system_sgpr_workgroup_id_y 0
		.amdhsa_system_sgpr_workgroup_id_z 0
		.amdhsa_system_sgpr_workgroup_info 0
		.amdhsa_system_vgpr_workitem_id 0
		.amdhsa_next_free_vgpr 1
		.amdhsa_next_free_sgpr 0
		.amdhsa_reserve_vcc 0
		.amdhsa_reserve_flat_scratch 0
		.amdhsa_float_round_mode_32 0
		.amdhsa_float_round_mode_16_64 0
		.amdhsa_float_denorm_mode_32 3
		.amdhsa_float_denorm_mode_16_64 3
		.amdhsa_dx10_clamp 1
		.amdhsa_ieee_mode 1
		.amdhsa_fp16_overflow 0
		.amdhsa_exception_fp_ieee_invalid_op 0
		.amdhsa_exception_fp_denorm_src 0
		.amdhsa_exception_fp_ieee_div_zero 0
		.amdhsa_exception_fp_ieee_overflow 0
		.amdhsa_exception_fp_ieee_underflow 0
		.amdhsa_exception_fp_ieee_inexact 0
		.amdhsa_exception_int_div_zero 0
	.end_amdhsa_kernel
	.section	.text._ZN7rocprim17ROCPRIM_400000_NS6detail17trampoline_kernelINS0_14default_configENS1_35adjacent_difference_config_selectorILb1EiEEZNS1_24adjacent_difference_implIS3_Lb1ELb0EPKiPiN6thrust23THRUST_200600_302600_NS4plusIiEEEE10hipError_tPvRmT2_T3_mT4_P12ihipStream_tbEUlT_E_NS1_11comp_targetILNS1_3genE10ELNS1_11target_archE1201ELNS1_3gpuE5ELNS1_3repE0EEENS1_30default_config_static_selectorELNS0_4arch9wavefront6targetE1EEEvT1_,"axG",@progbits,_ZN7rocprim17ROCPRIM_400000_NS6detail17trampoline_kernelINS0_14default_configENS1_35adjacent_difference_config_selectorILb1EiEEZNS1_24adjacent_difference_implIS3_Lb1ELb0EPKiPiN6thrust23THRUST_200600_302600_NS4plusIiEEEE10hipError_tPvRmT2_T3_mT4_P12ihipStream_tbEUlT_E_NS1_11comp_targetILNS1_3genE10ELNS1_11target_archE1201ELNS1_3gpuE5ELNS1_3repE0EEENS1_30default_config_static_selectorELNS0_4arch9wavefront6targetE1EEEvT1_,comdat
.Lfunc_end741:
	.size	_ZN7rocprim17ROCPRIM_400000_NS6detail17trampoline_kernelINS0_14default_configENS1_35adjacent_difference_config_selectorILb1EiEEZNS1_24adjacent_difference_implIS3_Lb1ELb0EPKiPiN6thrust23THRUST_200600_302600_NS4plusIiEEEE10hipError_tPvRmT2_T3_mT4_P12ihipStream_tbEUlT_E_NS1_11comp_targetILNS1_3genE10ELNS1_11target_archE1201ELNS1_3gpuE5ELNS1_3repE0EEENS1_30default_config_static_selectorELNS0_4arch9wavefront6targetE1EEEvT1_, .Lfunc_end741-_ZN7rocprim17ROCPRIM_400000_NS6detail17trampoline_kernelINS0_14default_configENS1_35adjacent_difference_config_selectorILb1EiEEZNS1_24adjacent_difference_implIS3_Lb1ELb0EPKiPiN6thrust23THRUST_200600_302600_NS4plusIiEEEE10hipError_tPvRmT2_T3_mT4_P12ihipStream_tbEUlT_E_NS1_11comp_targetILNS1_3genE10ELNS1_11target_archE1201ELNS1_3gpuE5ELNS1_3repE0EEENS1_30default_config_static_selectorELNS0_4arch9wavefront6targetE1EEEvT1_
                                        ; -- End function
	.set _ZN7rocprim17ROCPRIM_400000_NS6detail17trampoline_kernelINS0_14default_configENS1_35adjacent_difference_config_selectorILb1EiEEZNS1_24adjacent_difference_implIS3_Lb1ELb0EPKiPiN6thrust23THRUST_200600_302600_NS4plusIiEEEE10hipError_tPvRmT2_T3_mT4_P12ihipStream_tbEUlT_E_NS1_11comp_targetILNS1_3genE10ELNS1_11target_archE1201ELNS1_3gpuE5ELNS1_3repE0EEENS1_30default_config_static_selectorELNS0_4arch9wavefront6targetE1EEEvT1_.num_vgpr, 0
	.set _ZN7rocprim17ROCPRIM_400000_NS6detail17trampoline_kernelINS0_14default_configENS1_35adjacent_difference_config_selectorILb1EiEEZNS1_24adjacent_difference_implIS3_Lb1ELb0EPKiPiN6thrust23THRUST_200600_302600_NS4plusIiEEEE10hipError_tPvRmT2_T3_mT4_P12ihipStream_tbEUlT_E_NS1_11comp_targetILNS1_3genE10ELNS1_11target_archE1201ELNS1_3gpuE5ELNS1_3repE0EEENS1_30default_config_static_selectorELNS0_4arch9wavefront6targetE1EEEvT1_.num_agpr, 0
	.set _ZN7rocprim17ROCPRIM_400000_NS6detail17trampoline_kernelINS0_14default_configENS1_35adjacent_difference_config_selectorILb1EiEEZNS1_24adjacent_difference_implIS3_Lb1ELb0EPKiPiN6thrust23THRUST_200600_302600_NS4plusIiEEEE10hipError_tPvRmT2_T3_mT4_P12ihipStream_tbEUlT_E_NS1_11comp_targetILNS1_3genE10ELNS1_11target_archE1201ELNS1_3gpuE5ELNS1_3repE0EEENS1_30default_config_static_selectorELNS0_4arch9wavefront6targetE1EEEvT1_.numbered_sgpr, 0
	.set _ZN7rocprim17ROCPRIM_400000_NS6detail17trampoline_kernelINS0_14default_configENS1_35adjacent_difference_config_selectorILb1EiEEZNS1_24adjacent_difference_implIS3_Lb1ELb0EPKiPiN6thrust23THRUST_200600_302600_NS4plusIiEEEE10hipError_tPvRmT2_T3_mT4_P12ihipStream_tbEUlT_E_NS1_11comp_targetILNS1_3genE10ELNS1_11target_archE1201ELNS1_3gpuE5ELNS1_3repE0EEENS1_30default_config_static_selectorELNS0_4arch9wavefront6targetE1EEEvT1_.num_named_barrier, 0
	.set _ZN7rocprim17ROCPRIM_400000_NS6detail17trampoline_kernelINS0_14default_configENS1_35adjacent_difference_config_selectorILb1EiEEZNS1_24adjacent_difference_implIS3_Lb1ELb0EPKiPiN6thrust23THRUST_200600_302600_NS4plusIiEEEE10hipError_tPvRmT2_T3_mT4_P12ihipStream_tbEUlT_E_NS1_11comp_targetILNS1_3genE10ELNS1_11target_archE1201ELNS1_3gpuE5ELNS1_3repE0EEENS1_30default_config_static_selectorELNS0_4arch9wavefront6targetE1EEEvT1_.private_seg_size, 0
	.set _ZN7rocprim17ROCPRIM_400000_NS6detail17trampoline_kernelINS0_14default_configENS1_35adjacent_difference_config_selectorILb1EiEEZNS1_24adjacent_difference_implIS3_Lb1ELb0EPKiPiN6thrust23THRUST_200600_302600_NS4plusIiEEEE10hipError_tPvRmT2_T3_mT4_P12ihipStream_tbEUlT_E_NS1_11comp_targetILNS1_3genE10ELNS1_11target_archE1201ELNS1_3gpuE5ELNS1_3repE0EEENS1_30default_config_static_selectorELNS0_4arch9wavefront6targetE1EEEvT1_.uses_vcc, 0
	.set _ZN7rocprim17ROCPRIM_400000_NS6detail17trampoline_kernelINS0_14default_configENS1_35adjacent_difference_config_selectorILb1EiEEZNS1_24adjacent_difference_implIS3_Lb1ELb0EPKiPiN6thrust23THRUST_200600_302600_NS4plusIiEEEE10hipError_tPvRmT2_T3_mT4_P12ihipStream_tbEUlT_E_NS1_11comp_targetILNS1_3genE10ELNS1_11target_archE1201ELNS1_3gpuE5ELNS1_3repE0EEENS1_30default_config_static_selectorELNS0_4arch9wavefront6targetE1EEEvT1_.uses_flat_scratch, 0
	.set _ZN7rocprim17ROCPRIM_400000_NS6detail17trampoline_kernelINS0_14default_configENS1_35adjacent_difference_config_selectorILb1EiEEZNS1_24adjacent_difference_implIS3_Lb1ELb0EPKiPiN6thrust23THRUST_200600_302600_NS4plusIiEEEE10hipError_tPvRmT2_T3_mT4_P12ihipStream_tbEUlT_E_NS1_11comp_targetILNS1_3genE10ELNS1_11target_archE1201ELNS1_3gpuE5ELNS1_3repE0EEENS1_30default_config_static_selectorELNS0_4arch9wavefront6targetE1EEEvT1_.has_dyn_sized_stack, 0
	.set _ZN7rocprim17ROCPRIM_400000_NS6detail17trampoline_kernelINS0_14default_configENS1_35adjacent_difference_config_selectorILb1EiEEZNS1_24adjacent_difference_implIS3_Lb1ELb0EPKiPiN6thrust23THRUST_200600_302600_NS4plusIiEEEE10hipError_tPvRmT2_T3_mT4_P12ihipStream_tbEUlT_E_NS1_11comp_targetILNS1_3genE10ELNS1_11target_archE1201ELNS1_3gpuE5ELNS1_3repE0EEENS1_30default_config_static_selectorELNS0_4arch9wavefront6targetE1EEEvT1_.has_recursion, 0
	.set _ZN7rocprim17ROCPRIM_400000_NS6detail17trampoline_kernelINS0_14default_configENS1_35adjacent_difference_config_selectorILb1EiEEZNS1_24adjacent_difference_implIS3_Lb1ELb0EPKiPiN6thrust23THRUST_200600_302600_NS4plusIiEEEE10hipError_tPvRmT2_T3_mT4_P12ihipStream_tbEUlT_E_NS1_11comp_targetILNS1_3genE10ELNS1_11target_archE1201ELNS1_3gpuE5ELNS1_3repE0EEENS1_30default_config_static_selectorELNS0_4arch9wavefront6targetE1EEEvT1_.has_indirect_call, 0
	.section	.AMDGPU.csdata,"",@progbits
; Kernel info:
; codeLenInByte = 0
; TotalNumSgprs: 4
; NumVgprs: 0
; ScratchSize: 0
; MemoryBound: 0
; FloatMode: 240
; IeeeMode: 1
; LDSByteSize: 0 bytes/workgroup (compile time only)
; SGPRBlocks: 0
; VGPRBlocks: 0
; NumSGPRsForWavesPerEU: 4
; NumVGPRsForWavesPerEU: 1
; Occupancy: 10
; WaveLimiterHint : 0
; COMPUTE_PGM_RSRC2:SCRATCH_EN: 0
; COMPUTE_PGM_RSRC2:USER_SGPR: 6
; COMPUTE_PGM_RSRC2:TRAP_HANDLER: 0
; COMPUTE_PGM_RSRC2:TGID_X_EN: 1
; COMPUTE_PGM_RSRC2:TGID_Y_EN: 0
; COMPUTE_PGM_RSRC2:TGID_Z_EN: 0
; COMPUTE_PGM_RSRC2:TIDIG_COMP_CNT: 0
	.section	.text._ZN7rocprim17ROCPRIM_400000_NS6detail17trampoline_kernelINS0_14default_configENS1_35adjacent_difference_config_selectorILb1EiEEZNS1_24adjacent_difference_implIS3_Lb1ELb0EPKiPiN6thrust23THRUST_200600_302600_NS4plusIiEEEE10hipError_tPvRmT2_T3_mT4_P12ihipStream_tbEUlT_E_NS1_11comp_targetILNS1_3genE5ELNS1_11target_archE942ELNS1_3gpuE9ELNS1_3repE0EEENS1_30default_config_static_selectorELNS0_4arch9wavefront6targetE1EEEvT1_,"axG",@progbits,_ZN7rocprim17ROCPRIM_400000_NS6detail17trampoline_kernelINS0_14default_configENS1_35adjacent_difference_config_selectorILb1EiEEZNS1_24adjacent_difference_implIS3_Lb1ELb0EPKiPiN6thrust23THRUST_200600_302600_NS4plusIiEEEE10hipError_tPvRmT2_T3_mT4_P12ihipStream_tbEUlT_E_NS1_11comp_targetILNS1_3genE5ELNS1_11target_archE942ELNS1_3gpuE9ELNS1_3repE0EEENS1_30default_config_static_selectorELNS0_4arch9wavefront6targetE1EEEvT1_,comdat
	.protected	_ZN7rocprim17ROCPRIM_400000_NS6detail17trampoline_kernelINS0_14default_configENS1_35adjacent_difference_config_selectorILb1EiEEZNS1_24adjacent_difference_implIS3_Lb1ELb0EPKiPiN6thrust23THRUST_200600_302600_NS4plusIiEEEE10hipError_tPvRmT2_T3_mT4_P12ihipStream_tbEUlT_E_NS1_11comp_targetILNS1_3genE5ELNS1_11target_archE942ELNS1_3gpuE9ELNS1_3repE0EEENS1_30default_config_static_selectorELNS0_4arch9wavefront6targetE1EEEvT1_ ; -- Begin function _ZN7rocprim17ROCPRIM_400000_NS6detail17trampoline_kernelINS0_14default_configENS1_35adjacent_difference_config_selectorILb1EiEEZNS1_24adjacent_difference_implIS3_Lb1ELb0EPKiPiN6thrust23THRUST_200600_302600_NS4plusIiEEEE10hipError_tPvRmT2_T3_mT4_P12ihipStream_tbEUlT_E_NS1_11comp_targetILNS1_3genE5ELNS1_11target_archE942ELNS1_3gpuE9ELNS1_3repE0EEENS1_30default_config_static_selectorELNS0_4arch9wavefront6targetE1EEEvT1_
	.globl	_ZN7rocprim17ROCPRIM_400000_NS6detail17trampoline_kernelINS0_14default_configENS1_35adjacent_difference_config_selectorILb1EiEEZNS1_24adjacent_difference_implIS3_Lb1ELb0EPKiPiN6thrust23THRUST_200600_302600_NS4plusIiEEEE10hipError_tPvRmT2_T3_mT4_P12ihipStream_tbEUlT_E_NS1_11comp_targetILNS1_3genE5ELNS1_11target_archE942ELNS1_3gpuE9ELNS1_3repE0EEENS1_30default_config_static_selectorELNS0_4arch9wavefront6targetE1EEEvT1_
	.p2align	8
	.type	_ZN7rocprim17ROCPRIM_400000_NS6detail17trampoline_kernelINS0_14default_configENS1_35adjacent_difference_config_selectorILb1EiEEZNS1_24adjacent_difference_implIS3_Lb1ELb0EPKiPiN6thrust23THRUST_200600_302600_NS4plusIiEEEE10hipError_tPvRmT2_T3_mT4_P12ihipStream_tbEUlT_E_NS1_11comp_targetILNS1_3genE5ELNS1_11target_archE942ELNS1_3gpuE9ELNS1_3repE0EEENS1_30default_config_static_selectorELNS0_4arch9wavefront6targetE1EEEvT1_,@function
_ZN7rocprim17ROCPRIM_400000_NS6detail17trampoline_kernelINS0_14default_configENS1_35adjacent_difference_config_selectorILb1EiEEZNS1_24adjacent_difference_implIS3_Lb1ELb0EPKiPiN6thrust23THRUST_200600_302600_NS4plusIiEEEE10hipError_tPvRmT2_T3_mT4_P12ihipStream_tbEUlT_E_NS1_11comp_targetILNS1_3genE5ELNS1_11target_archE942ELNS1_3gpuE9ELNS1_3repE0EEENS1_30default_config_static_selectorELNS0_4arch9wavefront6targetE1EEEvT1_: ; @_ZN7rocprim17ROCPRIM_400000_NS6detail17trampoline_kernelINS0_14default_configENS1_35adjacent_difference_config_selectorILb1EiEEZNS1_24adjacent_difference_implIS3_Lb1ELb0EPKiPiN6thrust23THRUST_200600_302600_NS4plusIiEEEE10hipError_tPvRmT2_T3_mT4_P12ihipStream_tbEUlT_E_NS1_11comp_targetILNS1_3genE5ELNS1_11target_archE942ELNS1_3gpuE9ELNS1_3repE0EEENS1_30default_config_static_selectorELNS0_4arch9wavefront6targetE1EEEvT1_
; %bb.0:
	.section	.rodata,"a",@progbits
	.p2align	6, 0x0
	.amdhsa_kernel _ZN7rocprim17ROCPRIM_400000_NS6detail17trampoline_kernelINS0_14default_configENS1_35adjacent_difference_config_selectorILb1EiEEZNS1_24adjacent_difference_implIS3_Lb1ELb0EPKiPiN6thrust23THRUST_200600_302600_NS4plusIiEEEE10hipError_tPvRmT2_T3_mT4_P12ihipStream_tbEUlT_E_NS1_11comp_targetILNS1_3genE5ELNS1_11target_archE942ELNS1_3gpuE9ELNS1_3repE0EEENS1_30default_config_static_selectorELNS0_4arch9wavefront6targetE1EEEvT1_
		.amdhsa_group_segment_fixed_size 0
		.amdhsa_private_segment_fixed_size 0
		.amdhsa_kernarg_size 56
		.amdhsa_user_sgpr_count 6
		.amdhsa_user_sgpr_private_segment_buffer 1
		.amdhsa_user_sgpr_dispatch_ptr 0
		.amdhsa_user_sgpr_queue_ptr 0
		.amdhsa_user_sgpr_kernarg_segment_ptr 1
		.amdhsa_user_sgpr_dispatch_id 0
		.amdhsa_user_sgpr_flat_scratch_init 0
		.amdhsa_user_sgpr_private_segment_size 0
		.amdhsa_uses_dynamic_stack 0
		.amdhsa_system_sgpr_private_segment_wavefront_offset 0
		.amdhsa_system_sgpr_workgroup_id_x 1
		.amdhsa_system_sgpr_workgroup_id_y 0
		.amdhsa_system_sgpr_workgroup_id_z 0
		.amdhsa_system_sgpr_workgroup_info 0
		.amdhsa_system_vgpr_workitem_id 0
		.amdhsa_next_free_vgpr 1
		.amdhsa_next_free_sgpr 0
		.amdhsa_reserve_vcc 0
		.amdhsa_reserve_flat_scratch 0
		.amdhsa_float_round_mode_32 0
		.amdhsa_float_round_mode_16_64 0
		.amdhsa_float_denorm_mode_32 3
		.amdhsa_float_denorm_mode_16_64 3
		.amdhsa_dx10_clamp 1
		.amdhsa_ieee_mode 1
		.amdhsa_fp16_overflow 0
		.amdhsa_exception_fp_ieee_invalid_op 0
		.amdhsa_exception_fp_denorm_src 0
		.amdhsa_exception_fp_ieee_div_zero 0
		.amdhsa_exception_fp_ieee_overflow 0
		.amdhsa_exception_fp_ieee_underflow 0
		.amdhsa_exception_fp_ieee_inexact 0
		.amdhsa_exception_int_div_zero 0
	.end_amdhsa_kernel
	.section	.text._ZN7rocprim17ROCPRIM_400000_NS6detail17trampoline_kernelINS0_14default_configENS1_35adjacent_difference_config_selectorILb1EiEEZNS1_24adjacent_difference_implIS3_Lb1ELb0EPKiPiN6thrust23THRUST_200600_302600_NS4plusIiEEEE10hipError_tPvRmT2_T3_mT4_P12ihipStream_tbEUlT_E_NS1_11comp_targetILNS1_3genE5ELNS1_11target_archE942ELNS1_3gpuE9ELNS1_3repE0EEENS1_30default_config_static_selectorELNS0_4arch9wavefront6targetE1EEEvT1_,"axG",@progbits,_ZN7rocprim17ROCPRIM_400000_NS6detail17trampoline_kernelINS0_14default_configENS1_35adjacent_difference_config_selectorILb1EiEEZNS1_24adjacent_difference_implIS3_Lb1ELb0EPKiPiN6thrust23THRUST_200600_302600_NS4plusIiEEEE10hipError_tPvRmT2_T3_mT4_P12ihipStream_tbEUlT_E_NS1_11comp_targetILNS1_3genE5ELNS1_11target_archE942ELNS1_3gpuE9ELNS1_3repE0EEENS1_30default_config_static_selectorELNS0_4arch9wavefront6targetE1EEEvT1_,comdat
.Lfunc_end742:
	.size	_ZN7rocprim17ROCPRIM_400000_NS6detail17trampoline_kernelINS0_14default_configENS1_35adjacent_difference_config_selectorILb1EiEEZNS1_24adjacent_difference_implIS3_Lb1ELb0EPKiPiN6thrust23THRUST_200600_302600_NS4plusIiEEEE10hipError_tPvRmT2_T3_mT4_P12ihipStream_tbEUlT_E_NS1_11comp_targetILNS1_3genE5ELNS1_11target_archE942ELNS1_3gpuE9ELNS1_3repE0EEENS1_30default_config_static_selectorELNS0_4arch9wavefront6targetE1EEEvT1_, .Lfunc_end742-_ZN7rocprim17ROCPRIM_400000_NS6detail17trampoline_kernelINS0_14default_configENS1_35adjacent_difference_config_selectorILb1EiEEZNS1_24adjacent_difference_implIS3_Lb1ELb0EPKiPiN6thrust23THRUST_200600_302600_NS4plusIiEEEE10hipError_tPvRmT2_T3_mT4_P12ihipStream_tbEUlT_E_NS1_11comp_targetILNS1_3genE5ELNS1_11target_archE942ELNS1_3gpuE9ELNS1_3repE0EEENS1_30default_config_static_selectorELNS0_4arch9wavefront6targetE1EEEvT1_
                                        ; -- End function
	.set _ZN7rocprim17ROCPRIM_400000_NS6detail17trampoline_kernelINS0_14default_configENS1_35adjacent_difference_config_selectorILb1EiEEZNS1_24adjacent_difference_implIS3_Lb1ELb0EPKiPiN6thrust23THRUST_200600_302600_NS4plusIiEEEE10hipError_tPvRmT2_T3_mT4_P12ihipStream_tbEUlT_E_NS1_11comp_targetILNS1_3genE5ELNS1_11target_archE942ELNS1_3gpuE9ELNS1_3repE0EEENS1_30default_config_static_selectorELNS0_4arch9wavefront6targetE1EEEvT1_.num_vgpr, 0
	.set _ZN7rocprim17ROCPRIM_400000_NS6detail17trampoline_kernelINS0_14default_configENS1_35adjacent_difference_config_selectorILb1EiEEZNS1_24adjacent_difference_implIS3_Lb1ELb0EPKiPiN6thrust23THRUST_200600_302600_NS4plusIiEEEE10hipError_tPvRmT2_T3_mT4_P12ihipStream_tbEUlT_E_NS1_11comp_targetILNS1_3genE5ELNS1_11target_archE942ELNS1_3gpuE9ELNS1_3repE0EEENS1_30default_config_static_selectorELNS0_4arch9wavefront6targetE1EEEvT1_.num_agpr, 0
	.set _ZN7rocprim17ROCPRIM_400000_NS6detail17trampoline_kernelINS0_14default_configENS1_35adjacent_difference_config_selectorILb1EiEEZNS1_24adjacent_difference_implIS3_Lb1ELb0EPKiPiN6thrust23THRUST_200600_302600_NS4plusIiEEEE10hipError_tPvRmT2_T3_mT4_P12ihipStream_tbEUlT_E_NS1_11comp_targetILNS1_3genE5ELNS1_11target_archE942ELNS1_3gpuE9ELNS1_3repE0EEENS1_30default_config_static_selectorELNS0_4arch9wavefront6targetE1EEEvT1_.numbered_sgpr, 0
	.set _ZN7rocprim17ROCPRIM_400000_NS6detail17trampoline_kernelINS0_14default_configENS1_35adjacent_difference_config_selectorILb1EiEEZNS1_24adjacent_difference_implIS3_Lb1ELb0EPKiPiN6thrust23THRUST_200600_302600_NS4plusIiEEEE10hipError_tPvRmT2_T3_mT4_P12ihipStream_tbEUlT_E_NS1_11comp_targetILNS1_3genE5ELNS1_11target_archE942ELNS1_3gpuE9ELNS1_3repE0EEENS1_30default_config_static_selectorELNS0_4arch9wavefront6targetE1EEEvT1_.num_named_barrier, 0
	.set _ZN7rocprim17ROCPRIM_400000_NS6detail17trampoline_kernelINS0_14default_configENS1_35adjacent_difference_config_selectorILb1EiEEZNS1_24adjacent_difference_implIS3_Lb1ELb0EPKiPiN6thrust23THRUST_200600_302600_NS4plusIiEEEE10hipError_tPvRmT2_T3_mT4_P12ihipStream_tbEUlT_E_NS1_11comp_targetILNS1_3genE5ELNS1_11target_archE942ELNS1_3gpuE9ELNS1_3repE0EEENS1_30default_config_static_selectorELNS0_4arch9wavefront6targetE1EEEvT1_.private_seg_size, 0
	.set _ZN7rocprim17ROCPRIM_400000_NS6detail17trampoline_kernelINS0_14default_configENS1_35adjacent_difference_config_selectorILb1EiEEZNS1_24adjacent_difference_implIS3_Lb1ELb0EPKiPiN6thrust23THRUST_200600_302600_NS4plusIiEEEE10hipError_tPvRmT2_T3_mT4_P12ihipStream_tbEUlT_E_NS1_11comp_targetILNS1_3genE5ELNS1_11target_archE942ELNS1_3gpuE9ELNS1_3repE0EEENS1_30default_config_static_selectorELNS0_4arch9wavefront6targetE1EEEvT1_.uses_vcc, 0
	.set _ZN7rocprim17ROCPRIM_400000_NS6detail17trampoline_kernelINS0_14default_configENS1_35adjacent_difference_config_selectorILb1EiEEZNS1_24adjacent_difference_implIS3_Lb1ELb0EPKiPiN6thrust23THRUST_200600_302600_NS4plusIiEEEE10hipError_tPvRmT2_T3_mT4_P12ihipStream_tbEUlT_E_NS1_11comp_targetILNS1_3genE5ELNS1_11target_archE942ELNS1_3gpuE9ELNS1_3repE0EEENS1_30default_config_static_selectorELNS0_4arch9wavefront6targetE1EEEvT1_.uses_flat_scratch, 0
	.set _ZN7rocprim17ROCPRIM_400000_NS6detail17trampoline_kernelINS0_14default_configENS1_35adjacent_difference_config_selectorILb1EiEEZNS1_24adjacent_difference_implIS3_Lb1ELb0EPKiPiN6thrust23THRUST_200600_302600_NS4plusIiEEEE10hipError_tPvRmT2_T3_mT4_P12ihipStream_tbEUlT_E_NS1_11comp_targetILNS1_3genE5ELNS1_11target_archE942ELNS1_3gpuE9ELNS1_3repE0EEENS1_30default_config_static_selectorELNS0_4arch9wavefront6targetE1EEEvT1_.has_dyn_sized_stack, 0
	.set _ZN7rocprim17ROCPRIM_400000_NS6detail17trampoline_kernelINS0_14default_configENS1_35adjacent_difference_config_selectorILb1EiEEZNS1_24adjacent_difference_implIS3_Lb1ELb0EPKiPiN6thrust23THRUST_200600_302600_NS4plusIiEEEE10hipError_tPvRmT2_T3_mT4_P12ihipStream_tbEUlT_E_NS1_11comp_targetILNS1_3genE5ELNS1_11target_archE942ELNS1_3gpuE9ELNS1_3repE0EEENS1_30default_config_static_selectorELNS0_4arch9wavefront6targetE1EEEvT1_.has_recursion, 0
	.set _ZN7rocprim17ROCPRIM_400000_NS6detail17trampoline_kernelINS0_14default_configENS1_35adjacent_difference_config_selectorILb1EiEEZNS1_24adjacent_difference_implIS3_Lb1ELb0EPKiPiN6thrust23THRUST_200600_302600_NS4plusIiEEEE10hipError_tPvRmT2_T3_mT4_P12ihipStream_tbEUlT_E_NS1_11comp_targetILNS1_3genE5ELNS1_11target_archE942ELNS1_3gpuE9ELNS1_3repE0EEENS1_30default_config_static_selectorELNS0_4arch9wavefront6targetE1EEEvT1_.has_indirect_call, 0
	.section	.AMDGPU.csdata,"",@progbits
; Kernel info:
; codeLenInByte = 0
; TotalNumSgprs: 4
; NumVgprs: 0
; ScratchSize: 0
; MemoryBound: 0
; FloatMode: 240
; IeeeMode: 1
; LDSByteSize: 0 bytes/workgroup (compile time only)
; SGPRBlocks: 0
; VGPRBlocks: 0
; NumSGPRsForWavesPerEU: 4
; NumVGPRsForWavesPerEU: 1
; Occupancy: 10
; WaveLimiterHint : 0
; COMPUTE_PGM_RSRC2:SCRATCH_EN: 0
; COMPUTE_PGM_RSRC2:USER_SGPR: 6
; COMPUTE_PGM_RSRC2:TRAP_HANDLER: 0
; COMPUTE_PGM_RSRC2:TGID_X_EN: 1
; COMPUTE_PGM_RSRC2:TGID_Y_EN: 0
; COMPUTE_PGM_RSRC2:TGID_Z_EN: 0
; COMPUTE_PGM_RSRC2:TIDIG_COMP_CNT: 0
	.section	.text._ZN7rocprim17ROCPRIM_400000_NS6detail17trampoline_kernelINS0_14default_configENS1_35adjacent_difference_config_selectorILb1EiEEZNS1_24adjacent_difference_implIS3_Lb1ELb0EPKiPiN6thrust23THRUST_200600_302600_NS4plusIiEEEE10hipError_tPvRmT2_T3_mT4_P12ihipStream_tbEUlT_E_NS1_11comp_targetILNS1_3genE4ELNS1_11target_archE910ELNS1_3gpuE8ELNS1_3repE0EEENS1_30default_config_static_selectorELNS0_4arch9wavefront6targetE1EEEvT1_,"axG",@progbits,_ZN7rocprim17ROCPRIM_400000_NS6detail17trampoline_kernelINS0_14default_configENS1_35adjacent_difference_config_selectorILb1EiEEZNS1_24adjacent_difference_implIS3_Lb1ELb0EPKiPiN6thrust23THRUST_200600_302600_NS4plusIiEEEE10hipError_tPvRmT2_T3_mT4_P12ihipStream_tbEUlT_E_NS1_11comp_targetILNS1_3genE4ELNS1_11target_archE910ELNS1_3gpuE8ELNS1_3repE0EEENS1_30default_config_static_selectorELNS0_4arch9wavefront6targetE1EEEvT1_,comdat
	.protected	_ZN7rocprim17ROCPRIM_400000_NS6detail17trampoline_kernelINS0_14default_configENS1_35adjacent_difference_config_selectorILb1EiEEZNS1_24adjacent_difference_implIS3_Lb1ELb0EPKiPiN6thrust23THRUST_200600_302600_NS4plusIiEEEE10hipError_tPvRmT2_T3_mT4_P12ihipStream_tbEUlT_E_NS1_11comp_targetILNS1_3genE4ELNS1_11target_archE910ELNS1_3gpuE8ELNS1_3repE0EEENS1_30default_config_static_selectorELNS0_4arch9wavefront6targetE1EEEvT1_ ; -- Begin function _ZN7rocprim17ROCPRIM_400000_NS6detail17trampoline_kernelINS0_14default_configENS1_35adjacent_difference_config_selectorILb1EiEEZNS1_24adjacent_difference_implIS3_Lb1ELb0EPKiPiN6thrust23THRUST_200600_302600_NS4plusIiEEEE10hipError_tPvRmT2_T3_mT4_P12ihipStream_tbEUlT_E_NS1_11comp_targetILNS1_3genE4ELNS1_11target_archE910ELNS1_3gpuE8ELNS1_3repE0EEENS1_30default_config_static_selectorELNS0_4arch9wavefront6targetE1EEEvT1_
	.globl	_ZN7rocprim17ROCPRIM_400000_NS6detail17trampoline_kernelINS0_14default_configENS1_35adjacent_difference_config_selectorILb1EiEEZNS1_24adjacent_difference_implIS3_Lb1ELb0EPKiPiN6thrust23THRUST_200600_302600_NS4plusIiEEEE10hipError_tPvRmT2_T3_mT4_P12ihipStream_tbEUlT_E_NS1_11comp_targetILNS1_3genE4ELNS1_11target_archE910ELNS1_3gpuE8ELNS1_3repE0EEENS1_30default_config_static_selectorELNS0_4arch9wavefront6targetE1EEEvT1_
	.p2align	8
	.type	_ZN7rocprim17ROCPRIM_400000_NS6detail17trampoline_kernelINS0_14default_configENS1_35adjacent_difference_config_selectorILb1EiEEZNS1_24adjacent_difference_implIS3_Lb1ELb0EPKiPiN6thrust23THRUST_200600_302600_NS4plusIiEEEE10hipError_tPvRmT2_T3_mT4_P12ihipStream_tbEUlT_E_NS1_11comp_targetILNS1_3genE4ELNS1_11target_archE910ELNS1_3gpuE8ELNS1_3repE0EEENS1_30default_config_static_selectorELNS0_4arch9wavefront6targetE1EEEvT1_,@function
_ZN7rocprim17ROCPRIM_400000_NS6detail17trampoline_kernelINS0_14default_configENS1_35adjacent_difference_config_selectorILb1EiEEZNS1_24adjacent_difference_implIS3_Lb1ELb0EPKiPiN6thrust23THRUST_200600_302600_NS4plusIiEEEE10hipError_tPvRmT2_T3_mT4_P12ihipStream_tbEUlT_E_NS1_11comp_targetILNS1_3genE4ELNS1_11target_archE910ELNS1_3gpuE8ELNS1_3repE0EEENS1_30default_config_static_selectorELNS0_4arch9wavefront6targetE1EEEvT1_: ; @_ZN7rocprim17ROCPRIM_400000_NS6detail17trampoline_kernelINS0_14default_configENS1_35adjacent_difference_config_selectorILb1EiEEZNS1_24adjacent_difference_implIS3_Lb1ELb0EPKiPiN6thrust23THRUST_200600_302600_NS4plusIiEEEE10hipError_tPvRmT2_T3_mT4_P12ihipStream_tbEUlT_E_NS1_11comp_targetILNS1_3genE4ELNS1_11target_archE910ELNS1_3gpuE8ELNS1_3repE0EEENS1_30default_config_static_selectorELNS0_4arch9wavefront6targetE1EEEvT1_
; %bb.0:
	.section	.rodata,"a",@progbits
	.p2align	6, 0x0
	.amdhsa_kernel _ZN7rocprim17ROCPRIM_400000_NS6detail17trampoline_kernelINS0_14default_configENS1_35adjacent_difference_config_selectorILb1EiEEZNS1_24adjacent_difference_implIS3_Lb1ELb0EPKiPiN6thrust23THRUST_200600_302600_NS4plusIiEEEE10hipError_tPvRmT2_T3_mT4_P12ihipStream_tbEUlT_E_NS1_11comp_targetILNS1_3genE4ELNS1_11target_archE910ELNS1_3gpuE8ELNS1_3repE0EEENS1_30default_config_static_selectorELNS0_4arch9wavefront6targetE1EEEvT1_
		.amdhsa_group_segment_fixed_size 0
		.amdhsa_private_segment_fixed_size 0
		.amdhsa_kernarg_size 56
		.amdhsa_user_sgpr_count 6
		.amdhsa_user_sgpr_private_segment_buffer 1
		.amdhsa_user_sgpr_dispatch_ptr 0
		.amdhsa_user_sgpr_queue_ptr 0
		.amdhsa_user_sgpr_kernarg_segment_ptr 1
		.amdhsa_user_sgpr_dispatch_id 0
		.amdhsa_user_sgpr_flat_scratch_init 0
		.amdhsa_user_sgpr_private_segment_size 0
		.amdhsa_uses_dynamic_stack 0
		.amdhsa_system_sgpr_private_segment_wavefront_offset 0
		.amdhsa_system_sgpr_workgroup_id_x 1
		.amdhsa_system_sgpr_workgroup_id_y 0
		.amdhsa_system_sgpr_workgroup_id_z 0
		.amdhsa_system_sgpr_workgroup_info 0
		.amdhsa_system_vgpr_workitem_id 0
		.amdhsa_next_free_vgpr 1
		.amdhsa_next_free_sgpr 0
		.amdhsa_reserve_vcc 0
		.amdhsa_reserve_flat_scratch 0
		.amdhsa_float_round_mode_32 0
		.amdhsa_float_round_mode_16_64 0
		.amdhsa_float_denorm_mode_32 3
		.amdhsa_float_denorm_mode_16_64 3
		.amdhsa_dx10_clamp 1
		.amdhsa_ieee_mode 1
		.amdhsa_fp16_overflow 0
		.amdhsa_exception_fp_ieee_invalid_op 0
		.amdhsa_exception_fp_denorm_src 0
		.amdhsa_exception_fp_ieee_div_zero 0
		.amdhsa_exception_fp_ieee_overflow 0
		.amdhsa_exception_fp_ieee_underflow 0
		.amdhsa_exception_fp_ieee_inexact 0
		.amdhsa_exception_int_div_zero 0
	.end_amdhsa_kernel
	.section	.text._ZN7rocprim17ROCPRIM_400000_NS6detail17trampoline_kernelINS0_14default_configENS1_35adjacent_difference_config_selectorILb1EiEEZNS1_24adjacent_difference_implIS3_Lb1ELb0EPKiPiN6thrust23THRUST_200600_302600_NS4plusIiEEEE10hipError_tPvRmT2_T3_mT4_P12ihipStream_tbEUlT_E_NS1_11comp_targetILNS1_3genE4ELNS1_11target_archE910ELNS1_3gpuE8ELNS1_3repE0EEENS1_30default_config_static_selectorELNS0_4arch9wavefront6targetE1EEEvT1_,"axG",@progbits,_ZN7rocprim17ROCPRIM_400000_NS6detail17trampoline_kernelINS0_14default_configENS1_35adjacent_difference_config_selectorILb1EiEEZNS1_24adjacent_difference_implIS3_Lb1ELb0EPKiPiN6thrust23THRUST_200600_302600_NS4plusIiEEEE10hipError_tPvRmT2_T3_mT4_P12ihipStream_tbEUlT_E_NS1_11comp_targetILNS1_3genE4ELNS1_11target_archE910ELNS1_3gpuE8ELNS1_3repE0EEENS1_30default_config_static_selectorELNS0_4arch9wavefront6targetE1EEEvT1_,comdat
.Lfunc_end743:
	.size	_ZN7rocprim17ROCPRIM_400000_NS6detail17trampoline_kernelINS0_14default_configENS1_35adjacent_difference_config_selectorILb1EiEEZNS1_24adjacent_difference_implIS3_Lb1ELb0EPKiPiN6thrust23THRUST_200600_302600_NS4plusIiEEEE10hipError_tPvRmT2_T3_mT4_P12ihipStream_tbEUlT_E_NS1_11comp_targetILNS1_3genE4ELNS1_11target_archE910ELNS1_3gpuE8ELNS1_3repE0EEENS1_30default_config_static_selectorELNS0_4arch9wavefront6targetE1EEEvT1_, .Lfunc_end743-_ZN7rocprim17ROCPRIM_400000_NS6detail17trampoline_kernelINS0_14default_configENS1_35adjacent_difference_config_selectorILb1EiEEZNS1_24adjacent_difference_implIS3_Lb1ELb0EPKiPiN6thrust23THRUST_200600_302600_NS4plusIiEEEE10hipError_tPvRmT2_T3_mT4_P12ihipStream_tbEUlT_E_NS1_11comp_targetILNS1_3genE4ELNS1_11target_archE910ELNS1_3gpuE8ELNS1_3repE0EEENS1_30default_config_static_selectorELNS0_4arch9wavefront6targetE1EEEvT1_
                                        ; -- End function
	.set _ZN7rocprim17ROCPRIM_400000_NS6detail17trampoline_kernelINS0_14default_configENS1_35adjacent_difference_config_selectorILb1EiEEZNS1_24adjacent_difference_implIS3_Lb1ELb0EPKiPiN6thrust23THRUST_200600_302600_NS4plusIiEEEE10hipError_tPvRmT2_T3_mT4_P12ihipStream_tbEUlT_E_NS1_11comp_targetILNS1_3genE4ELNS1_11target_archE910ELNS1_3gpuE8ELNS1_3repE0EEENS1_30default_config_static_selectorELNS0_4arch9wavefront6targetE1EEEvT1_.num_vgpr, 0
	.set _ZN7rocprim17ROCPRIM_400000_NS6detail17trampoline_kernelINS0_14default_configENS1_35adjacent_difference_config_selectorILb1EiEEZNS1_24adjacent_difference_implIS3_Lb1ELb0EPKiPiN6thrust23THRUST_200600_302600_NS4plusIiEEEE10hipError_tPvRmT2_T3_mT4_P12ihipStream_tbEUlT_E_NS1_11comp_targetILNS1_3genE4ELNS1_11target_archE910ELNS1_3gpuE8ELNS1_3repE0EEENS1_30default_config_static_selectorELNS0_4arch9wavefront6targetE1EEEvT1_.num_agpr, 0
	.set _ZN7rocprim17ROCPRIM_400000_NS6detail17trampoline_kernelINS0_14default_configENS1_35adjacent_difference_config_selectorILb1EiEEZNS1_24adjacent_difference_implIS3_Lb1ELb0EPKiPiN6thrust23THRUST_200600_302600_NS4plusIiEEEE10hipError_tPvRmT2_T3_mT4_P12ihipStream_tbEUlT_E_NS1_11comp_targetILNS1_3genE4ELNS1_11target_archE910ELNS1_3gpuE8ELNS1_3repE0EEENS1_30default_config_static_selectorELNS0_4arch9wavefront6targetE1EEEvT1_.numbered_sgpr, 0
	.set _ZN7rocprim17ROCPRIM_400000_NS6detail17trampoline_kernelINS0_14default_configENS1_35adjacent_difference_config_selectorILb1EiEEZNS1_24adjacent_difference_implIS3_Lb1ELb0EPKiPiN6thrust23THRUST_200600_302600_NS4plusIiEEEE10hipError_tPvRmT2_T3_mT4_P12ihipStream_tbEUlT_E_NS1_11comp_targetILNS1_3genE4ELNS1_11target_archE910ELNS1_3gpuE8ELNS1_3repE0EEENS1_30default_config_static_selectorELNS0_4arch9wavefront6targetE1EEEvT1_.num_named_barrier, 0
	.set _ZN7rocprim17ROCPRIM_400000_NS6detail17trampoline_kernelINS0_14default_configENS1_35adjacent_difference_config_selectorILb1EiEEZNS1_24adjacent_difference_implIS3_Lb1ELb0EPKiPiN6thrust23THRUST_200600_302600_NS4plusIiEEEE10hipError_tPvRmT2_T3_mT4_P12ihipStream_tbEUlT_E_NS1_11comp_targetILNS1_3genE4ELNS1_11target_archE910ELNS1_3gpuE8ELNS1_3repE0EEENS1_30default_config_static_selectorELNS0_4arch9wavefront6targetE1EEEvT1_.private_seg_size, 0
	.set _ZN7rocprim17ROCPRIM_400000_NS6detail17trampoline_kernelINS0_14default_configENS1_35adjacent_difference_config_selectorILb1EiEEZNS1_24adjacent_difference_implIS3_Lb1ELb0EPKiPiN6thrust23THRUST_200600_302600_NS4plusIiEEEE10hipError_tPvRmT2_T3_mT4_P12ihipStream_tbEUlT_E_NS1_11comp_targetILNS1_3genE4ELNS1_11target_archE910ELNS1_3gpuE8ELNS1_3repE0EEENS1_30default_config_static_selectorELNS0_4arch9wavefront6targetE1EEEvT1_.uses_vcc, 0
	.set _ZN7rocprim17ROCPRIM_400000_NS6detail17trampoline_kernelINS0_14default_configENS1_35adjacent_difference_config_selectorILb1EiEEZNS1_24adjacent_difference_implIS3_Lb1ELb0EPKiPiN6thrust23THRUST_200600_302600_NS4plusIiEEEE10hipError_tPvRmT2_T3_mT4_P12ihipStream_tbEUlT_E_NS1_11comp_targetILNS1_3genE4ELNS1_11target_archE910ELNS1_3gpuE8ELNS1_3repE0EEENS1_30default_config_static_selectorELNS0_4arch9wavefront6targetE1EEEvT1_.uses_flat_scratch, 0
	.set _ZN7rocprim17ROCPRIM_400000_NS6detail17trampoline_kernelINS0_14default_configENS1_35adjacent_difference_config_selectorILb1EiEEZNS1_24adjacent_difference_implIS3_Lb1ELb0EPKiPiN6thrust23THRUST_200600_302600_NS4plusIiEEEE10hipError_tPvRmT2_T3_mT4_P12ihipStream_tbEUlT_E_NS1_11comp_targetILNS1_3genE4ELNS1_11target_archE910ELNS1_3gpuE8ELNS1_3repE0EEENS1_30default_config_static_selectorELNS0_4arch9wavefront6targetE1EEEvT1_.has_dyn_sized_stack, 0
	.set _ZN7rocprim17ROCPRIM_400000_NS6detail17trampoline_kernelINS0_14default_configENS1_35adjacent_difference_config_selectorILb1EiEEZNS1_24adjacent_difference_implIS3_Lb1ELb0EPKiPiN6thrust23THRUST_200600_302600_NS4plusIiEEEE10hipError_tPvRmT2_T3_mT4_P12ihipStream_tbEUlT_E_NS1_11comp_targetILNS1_3genE4ELNS1_11target_archE910ELNS1_3gpuE8ELNS1_3repE0EEENS1_30default_config_static_selectorELNS0_4arch9wavefront6targetE1EEEvT1_.has_recursion, 0
	.set _ZN7rocprim17ROCPRIM_400000_NS6detail17trampoline_kernelINS0_14default_configENS1_35adjacent_difference_config_selectorILb1EiEEZNS1_24adjacent_difference_implIS3_Lb1ELb0EPKiPiN6thrust23THRUST_200600_302600_NS4plusIiEEEE10hipError_tPvRmT2_T3_mT4_P12ihipStream_tbEUlT_E_NS1_11comp_targetILNS1_3genE4ELNS1_11target_archE910ELNS1_3gpuE8ELNS1_3repE0EEENS1_30default_config_static_selectorELNS0_4arch9wavefront6targetE1EEEvT1_.has_indirect_call, 0
	.section	.AMDGPU.csdata,"",@progbits
; Kernel info:
; codeLenInByte = 0
; TotalNumSgprs: 4
; NumVgprs: 0
; ScratchSize: 0
; MemoryBound: 0
; FloatMode: 240
; IeeeMode: 1
; LDSByteSize: 0 bytes/workgroup (compile time only)
; SGPRBlocks: 0
; VGPRBlocks: 0
; NumSGPRsForWavesPerEU: 4
; NumVGPRsForWavesPerEU: 1
; Occupancy: 10
; WaveLimiterHint : 0
; COMPUTE_PGM_RSRC2:SCRATCH_EN: 0
; COMPUTE_PGM_RSRC2:USER_SGPR: 6
; COMPUTE_PGM_RSRC2:TRAP_HANDLER: 0
; COMPUTE_PGM_RSRC2:TGID_X_EN: 1
; COMPUTE_PGM_RSRC2:TGID_Y_EN: 0
; COMPUTE_PGM_RSRC2:TGID_Z_EN: 0
; COMPUTE_PGM_RSRC2:TIDIG_COMP_CNT: 0
	.section	.text._ZN7rocprim17ROCPRIM_400000_NS6detail17trampoline_kernelINS0_14default_configENS1_35adjacent_difference_config_selectorILb1EiEEZNS1_24adjacent_difference_implIS3_Lb1ELb0EPKiPiN6thrust23THRUST_200600_302600_NS4plusIiEEEE10hipError_tPvRmT2_T3_mT4_P12ihipStream_tbEUlT_E_NS1_11comp_targetILNS1_3genE3ELNS1_11target_archE908ELNS1_3gpuE7ELNS1_3repE0EEENS1_30default_config_static_selectorELNS0_4arch9wavefront6targetE1EEEvT1_,"axG",@progbits,_ZN7rocprim17ROCPRIM_400000_NS6detail17trampoline_kernelINS0_14default_configENS1_35adjacent_difference_config_selectorILb1EiEEZNS1_24adjacent_difference_implIS3_Lb1ELb0EPKiPiN6thrust23THRUST_200600_302600_NS4plusIiEEEE10hipError_tPvRmT2_T3_mT4_P12ihipStream_tbEUlT_E_NS1_11comp_targetILNS1_3genE3ELNS1_11target_archE908ELNS1_3gpuE7ELNS1_3repE0EEENS1_30default_config_static_selectorELNS0_4arch9wavefront6targetE1EEEvT1_,comdat
	.protected	_ZN7rocprim17ROCPRIM_400000_NS6detail17trampoline_kernelINS0_14default_configENS1_35adjacent_difference_config_selectorILb1EiEEZNS1_24adjacent_difference_implIS3_Lb1ELb0EPKiPiN6thrust23THRUST_200600_302600_NS4plusIiEEEE10hipError_tPvRmT2_T3_mT4_P12ihipStream_tbEUlT_E_NS1_11comp_targetILNS1_3genE3ELNS1_11target_archE908ELNS1_3gpuE7ELNS1_3repE0EEENS1_30default_config_static_selectorELNS0_4arch9wavefront6targetE1EEEvT1_ ; -- Begin function _ZN7rocprim17ROCPRIM_400000_NS6detail17trampoline_kernelINS0_14default_configENS1_35adjacent_difference_config_selectorILb1EiEEZNS1_24adjacent_difference_implIS3_Lb1ELb0EPKiPiN6thrust23THRUST_200600_302600_NS4plusIiEEEE10hipError_tPvRmT2_T3_mT4_P12ihipStream_tbEUlT_E_NS1_11comp_targetILNS1_3genE3ELNS1_11target_archE908ELNS1_3gpuE7ELNS1_3repE0EEENS1_30default_config_static_selectorELNS0_4arch9wavefront6targetE1EEEvT1_
	.globl	_ZN7rocprim17ROCPRIM_400000_NS6detail17trampoline_kernelINS0_14default_configENS1_35adjacent_difference_config_selectorILb1EiEEZNS1_24adjacent_difference_implIS3_Lb1ELb0EPKiPiN6thrust23THRUST_200600_302600_NS4plusIiEEEE10hipError_tPvRmT2_T3_mT4_P12ihipStream_tbEUlT_E_NS1_11comp_targetILNS1_3genE3ELNS1_11target_archE908ELNS1_3gpuE7ELNS1_3repE0EEENS1_30default_config_static_selectorELNS0_4arch9wavefront6targetE1EEEvT1_
	.p2align	8
	.type	_ZN7rocprim17ROCPRIM_400000_NS6detail17trampoline_kernelINS0_14default_configENS1_35adjacent_difference_config_selectorILb1EiEEZNS1_24adjacent_difference_implIS3_Lb1ELb0EPKiPiN6thrust23THRUST_200600_302600_NS4plusIiEEEE10hipError_tPvRmT2_T3_mT4_P12ihipStream_tbEUlT_E_NS1_11comp_targetILNS1_3genE3ELNS1_11target_archE908ELNS1_3gpuE7ELNS1_3repE0EEENS1_30default_config_static_selectorELNS0_4arch9wavefront6targetE1EEEvT1_,@function
_ZN7rocprim17ROCPRIM_400000_NS6detail17trampoline_kernelINS0_14default_configENS1_35adjacent_difference_config_selectorILb1EiEEZNS1_24adjacent_difference_implIS3_Lb1ELb0EPKiPiN6thrust23THRUST_200600_302600_NS4plusIiEEEE10hipError_tPvRmT2_T3_mT4_P12ihipStream_tbEUlT_E_NS1_11comp_targetILNS1_3genE3ELNS1_11target_archE908ELNS1_3gpuE7ELNS1_3repE0EEENS1_30default_config_static_selectorELNS0_4arch9wavefront6targetE1EEEvT1_: ; @_ZN7rocprim17ROCPRIM_400000_NS6detail17trampoline_kernelINS0_14default_configENS1_35adjacent_difference_config_selectorILb1EiEEZNS1_24adjacent_difference_implIS3_Lb1ELb0EPKiPiN6thrust23THRUST_200600_302600_NS4plusIiEEEE10hipError_tPvRmT2_T3_mT4_P12ihipStream_tbEUlT_E_NS1_11comp_targetILNS1_3genE3ELNS1_11target_archE908ELNS1_3gpuE7ELNS1_3repE0EEENS1_30default_config_static_selectorELNS0_4arch9wavefront6targetE1EEEvT1_
; %bb.0:
	.section	.rodata,"a",@progbits
	.p2align	6, 0x0
	.amdhsa_kernel _ZN7rocprim17ROCPRIM_400000_NS6detail17trampoline_kernelINS0_14default_configENS1_35adjacent_difference_config_selectorILb1EiEEZNS1_24adjacent_difference_implIS3_Lb1ELb0EPKiPiN6thrust23THRUST_200600_302600_NS4plusIiEEEE10hipError_tPvRmT2_T3_mT4_P12ihipStream_tbEUlT_E_NS1_11comp_targetILNS1_3genE3ELNS1_11target_archE908ELNS1_3gpuE7ELNS1_3repE0EEENS1_30default_config_static_selectorELNS0_4arch9wavefront6targetE1EEEvT1_
		.amdhsa_group_segment_fixed_size 0
		.amdhsa_private_segment_fixed_size 0
		.amdhsa_kernarg_size 56
		.amdhsa_user_sgpr_count 6
		.amdhsa_user_sgpr_private_segment_buffer 1
		.amdhsa_user_sgpr_dispatch_ptr 0
		.amdhsa_user_sgpr_queue_ptr 0
		.amdhsa_user_sgpr_kernarg_segment_ptr 1
		.amdhsa_user_sgpr_dispatch_id 0
		.amdhsa_user_sgpr_flat_scratch_init 0
		.amdhsa_user_sgpr_private_segment_size 0
		.amdhsa_uses_dynamic_stack 0
		.amdhsa_system_sgpr_private_segment_wavefront_offset 0
		.amdhsa_system_sgpr_workgroup_id_x 1
		.amdhsa_system_sgpr_workgroup_id_y 0
		.amdhsa_system_sgpr_workgroup_id_z 0
		.amdhsa_system_sgpr_workgroup_info 0
		.amdhsa_system_vgpr_workitem_id 0
		.amdhsa_next_free_vgpr 1
		.amdhsa_next_free_sgpr 0
		.amdhsa_reserve_vcc 0
		.amdhsa_reserve_flat_scratch 0
		.amdhsa_float_round_mode_32 0
		.amdhsa_float_round_mode_16_64 0
		.amdhsa_float_denorm_mode_32 3
		.amdhsa_float_denorm_mode_16_64 3
		.amdhsa_dx10_clamp 1
		.amdhsa_ieee_mode 1
		.amdhsa_fp16_overflow 0
		.amdhsa_exception_fp_ieee_invalid_op 0
		.amdhsa_exception_fp_denorm_src 0
		.amdhsa_exception_fp_ieee_div_zero 0
		.amdhsa_exception_fp_ieee_overflow 0
		.amdhsa_exception_fp_ieee_underflow 0
		.amdhsa_exception_fp_ieee_inexact 0
		.amdhsa_exception_int_div_zero 0
	.end_amdhsa_kernel
	.section	.text._ZN7rocprim17ROCPRIM_400000_NS6detail17trampoline_kernelINS0_14default_configENS1_35adjacent_difference_config_selectorILb1EiEEZNS1_24adjacent_difference_implIS3_Lb1ELb0EPKiPiN6thrust23THRUST_200600_302600_NS4plusIiEEEE10hipError_tPvRmT2_T3_mT4_P12ihipStream_tbEUlT_E_NS1_11comp_targetILNS1_3genE3ELNS1_11target_archE908ELNS1_3gpuE7ELNS1_3repE0EEENS1_30default_config_static_selectorELNS0_4arch9wavefront6targetE1EEEvT1_,"axG",@progbits,_ZN7rocprim17ROCPRIM_400000_NS6detail17trampoline_kernelINS0_14default_configENS1_35adjacent_difference_config_selectorILb1EiEEZNS1_24adjacent_difference_implIS3_Lb1ELb0EPKiPiN6thrust23THRUST_200600_302600_NS4plusIiEEEE10hipError_tPvRmT2_T3_mT4_P12ihipStream_tbEUlT_E_NS1_11comp_targetILNS1_3genE3ELNS1_11target_archE908ELNS1_3gpuE7ELNS1_3repE0EEENS1_30default_config_static_selectorELNS0_4arch9wavefront6targetE1EEEvT1_,comdat
.Lfunc_end744:
	.size	_ZN7rocprim17ROCPRIM_400000_NS6detail17trampoline_kernelINS0_14default_configENS1_35adjacent_difference_config_selectorILb1EiEEZNS1_24adjacent_difference_implIS3_Lb1ELb0EPKiPiN6thrust23THRUST_200600_302600_NS4plusIiEEEE10hipError_tPvRmT2_T3_mT4_P12ihipStream_tbEUlT_E_NS1_11comp_targetILNS1_3genE3ELNS1_11target_archE908ELNS1_3gpuE7ELNS1_3repE0EEENS1_30default_config_static_selectorELNS0_4arch9wavefront6targetE1EEEvT1_, .Lfunc_end744-_ZN7rocprim17ROCPRIM_400000_NS6detail17trampoline_kernelINS0_14default_configENS1_35adjacent_difference_config_selectorILb1EiEEZNS1_24adjacent_difference_implIS3_Lb1ELb0EPKiPiN6thrust23THRUST_200600_302600_NS4plusIiEEEE10hipError_tPvRmT2_T3_mT4_P12ihipStream_tbEUlT_E_NS1_11comp_targetILNS1_3genE3ELNS1_11target_archE908ELNS1_3gpuE7ELNS1_3repE0EEENS1_30default_config_static_selectorELNS0_4arch9wavefront6targetE1EEEvT1_
                                        ; -- End function
	.set _ZN7rocprim17ROCPRIM_400000_NS6detail17trampoline_kernelINS0_14default_configENS1_35adjacent_difference_config_selectorILb1EiEEZNS1_24adjacent_difference_implIS3_Lb1ELb0EPKiPiN6thrust23THRUST_200600_302600_NS4plusIiEEEE10hipError_tPvRmT2_T3_mT4_P12ihipStream_tbEUlT_E_NS1_11comp_targetILNS1_3genE3ELNS1_11target_archE908ELNS1_3gpuE7ELNS1_3repE0EEENS1_30default_config_static_selectorELNS0_4arch9wavefront6targetE1EEEvT1_.num_vgpr, 0
	.set _ZN7rocprim17ROCPRIM_400000_NS6detail17trampoline_kernelINS0_14default_configENS1_35adjacent_difference_config_selectorILb1EiEEZNS1_24adjacent_difference_implIS3_Lb1ELb0EPKiPiN6thrust23THRUST_200600_302600_NS4plusIiEEEE10hipError_tPvRmT2_T3_mT4_P12ihipStream_tbEUlT_E_NS1_11comp_targetILNS1_3genE3ELNS1_11target_archE908ELNS1_3gpuE7ELNS1_3repE0EEENS1_30default_config_static_selectorELNS0_4arch9wavefront6targetE1EEEvT1_.num_agpr, 0
	.set _ZN7rocprim17ROCPRIM_400000_NS6detail17trampoline_kernelINS0_14default_configENS1_35adjacent_difference_config_selectorILb1EiEEZNS1_24adjacent_difference_implIS3_Lb1ELb0EPKiPiN6thrust23THRUST_200600_302600_NS4plusIiEEEE10hipError_tPvRmT2_T3_mT4_P12ihipStream_tbEUlT_E_NS1_11comp_targetILNS1_3genE3ELNS1_11target_archE908ELNS1_3gpuE7ELNS1_3repE0EEENS1_30default_config_static_selectorELNS0_4arch9wavefront6targetE1EEEvT1_.numbered_sgpr, 0
	.set _ZN7rocprim17ROCPRIM_400000_NS6detail17trampoline_kernelINS0_14default_configENS1_35adjacent_difference_config_selectorILb1EiEEZNS1_24adjacent_difference_implIS3_Lb1ELb0EPKiPiN6thrust23THRUST_200600_302600_NS4plusIiEEEE10hipError_tPvRmT2_T3_mT4_P12ihipStream_tbEUlT_E_NS1_11comp_targetILNS1_3genE3ELNS1_11target_archE908ELNS1_3gpuE7ELNS1_3repE0EEENS1_30default_config_static_selectorELNS0_4arch9wavefront6targetE1EEEvT1_.num_named_barrier, 0
	.set _ZN7rocprim17ROCPRIM_400000_NS6detail17trampoline_kernelINS0_14default_configENS1_35adjacent_difference_config_selectorILb1EiEEZNS1_24adjacent_difference_implIS3_Lb1ELb0EPKiPiN6thrust23THRUST_200600_302600_NS4plusIiEEEE10hipError_tPvRmT2_T3_mT4_P12ihipStream_tbEUlT_E_NS1_11comp_targetILNS1_3genE3ELNS1_11target_archE908ELNS1_3gpuE7ELNS1_3repE0EEENS1_30default_config_static_selectorELNS0_4arch9wavefront6targetE1EEEvT1_.private_seg_size, 0
	.set _ZN7rocprim17ROCPRIM_400000_NS6detail17trampoline_kernelINS0_14default_configENS1_35adjacent_difference_config_selectorILb1EiEEZNS1_24adjacent_difference_implIS3_Lb1ELb0EPKiPiN6thrust23THRUST_200600_302600_NS4plusIiEEEE10hipError_tPvRmT2_T3_mT4_P12ihipStream_tbEUlT_E_NS1_11comp_targetILNS1_3genE3ELNS1_11target_archE908ELNS1_3gpuE7ELNS1_3repE0EEENS1_30default_config_static_selectorELNS0_4arch9wavefront6targetE1EEEvT1_.uses_vcc, 0
	.set _ZN7rocprim17ROCPRIM_400000_NS6detail17trampoline_kernelINS0_14default_configENS1_35adjacent_difference_config_selectorILb1EiEEZNS1_24adjacent_difference_implIS3_Lb1ELb0EPKiPiN6thrust23THRUST_200600_302600_NS4plusIiEEEE10hipError_tPvRmT2_T3_mT4_P12ihipStream_tbEUlT_E_NS1_11comp_targetILNS1_3genE3ELNS1_11target_archE908ELNS1_3gpuE7ELNS1_3repE0EEENS1_30default_config_static_selectorELNS0_4arch9wavefront6targetE1EEEvT1_.uses_flat_scratch, 0
	.set _ZN7rocprim17ROCPRIM_400000_NS6detail17trampoline_kernelINS0_14default_configENS1_35adjacent_difference_config_selectorILb1EiEEZNS1_24adjacent_difference_implIS3_Lb1ELb0EPKiPiN6thrust23THRUST_200600_302600_NS4plusIiEEEE10hipError_tPvRmT2_T3_mT4_P12ihipStream_tbEUlT_E_NS1_11comp_targetILNS1_3genE3ELNS1_11target_archE908ELNS1_3gpuE7ELNS1_3repE0EEENS1_30default_config_static_selectorELNS0_4arch9wavefront6targetE1EEEvT1_.has_dyn_sized_stack, 0
	.set _ZN7rocprim17ROCPRIM_400000_NS6detail17trampoline_kernelINS0_14default_configENS1_35adjacent_difference_config_selectorILb1EiEEZNS1_24adjacent_difference_implIS3_Lb1ELb0EPKiPiN6thrust23THRUST_200600_302600_NS4plusIiEEEE10hipError_tPvRmT2_T3_mT4_P12ihipStream_tbEUlT_E_NS1_11comp_targetILNS1_3genE3ELNS1_11target_archE908ELNS1_3gpuE7ELNS1_3repE0EEENS1_30default_config_static_selectorELNS0_4arch9wavefront6targetE1EEEvT1_.has_recursion, 0
	.set _ZN7rocprim17ROCPRIM_400000_NS6detail17trampoline_kernelINS0_14default_configENS1_35adjacent_difference_config_selectorILb1EiEEZNS1_24adjacent_difference_implIS3_Lb1ELb0EPKiPiN6thrust23THRUST_200600_302600_NS4plusIiEEEE10hipError_tPvRmT2_T3_mT4_P12ihipStream_tbEUlT_E_NS1_11comp_targetILNS1_3genE3ELNS1_11target_archE908ELNS1_3gpuE7ELNS1_3repE0EEENS1_30default_config_static_selectorELNS0_4arch9wavefront6targetE1EEEvT1_.has_indirect_call, 0
	.section	.AMDGPU.csdata,"",@progbits
; Kernel info:
; codeLenInByte = 0
; TotalNumSgprs: 4
; NumVgprs: 0
; ScratchSize: 0
; MemoryBound: 0
; FloatMode: 240
; IeeeMode: 1
; LDSByteSize: 0 bytes/workgroup (compile time only)
; SGPRBlocks: 0
; VGPRBlocks: 0
; NumSGPRsForWavesPerEU: 4
; NumVGPRsForWavesPerEU: 1
; Occupancy: 10
; WaveLimiterHint : 0
; COMPUTE_PGM_RSRC2:SCRATCH_EN: 0
; COMPUTE_PGM_RSRC2:USER_SGPR: 6
; COMPUTE_PGM_RSRC2:TRAP_HANDLER: 0
; COMPUTE_PGM_RSRC2:TGID_X_EN: 1
; COMPUTE_PGM_RSRC2:TGID_Y_EN: 0
; COMPUTE_PGM_RSRC2:TGID_Z_EN: 0
; COMPUTE_PGM_RSRC2:TIDIG_COMP_CNT: 0
	.section	.text._ZN7rocprim17ROCPRIM_400000_NS6detail17trampoline_kernelINS0_14default_configENS1_35adjacent_difference_config_selectorILb1EiEEZNS1_24adjacent_difference_implIS3_Lb1ELb0EPKiPiN6thrust23THRUST_200600_302600_NS4plusIiEEEE10hipError_tPvRmT2_T3_mT4_P12ihipStream_tbEUlT_E_NS1_11comp_targetILNS1_3genE2ELNS1_11target_archE906ELNS1_3gpuE6ELNS1_3repE0EEENS1_30default_config_static_selectorELNS0_4arch9wavefront6targetE1EEEvT1_,"axG",@progbits,_ZN7rocprim17ROCPRIM_400000_NS6detail17trampoline_kernelINS0_14default_configENS1_35adjacent_difference_config_selectorILb1EiEEZNS1_24adjacent_difference_implIS3_Lb1ELb0EPKiPiN6thrust23THRUST_200600_302600_NS4plusIiEEEE10hipError_tPvRmT2_T3_mT4_P12ihipStream_tbEUlT_E_NS1_11comp_targetILNS1_3genE2ELNS1_11target_archE906ELNS1_3gpuE6ELNS1_3repE0EEENS1_30default_config_static_selectorELNS0_4arch9wavefront6targetE1EEEvT1_,comdat
	.protected	_ZN7rocprim17ROCPRIM_400000_NS6detail17trampoline_kernelINS0_14default_configENS1_35adjacent_difference_config_selectorILb1EiEEZNS1_24adjacent_difference_implIS3_Lb1ELb0EPKiPiN6thrust23THRUST_200600_302600_NS4plusIiEEEE10hipError_tPvRmT2_T3_mT4_P12ihipStream_tbEUlT_E_NS1_11comp_targetILNS1_3genE2ELNS1_11target_archE906ELNS1_3gpuE6ELNS1_3repE0EEENS1_30default_config_static_selectorELNS0_4arch9wavefront6targetE1EEEvT1_ ; -- Begin function _ZN7rocprim17ROCPRIM_400000_NS6detail17trampoline_kernelINS0_14default_configENS1_35adjacent_difference_config_selectorILb1EiEEZNS1_24adjacent_difference_implIS3_Lb1ELb0EPKiPiN6thrust23THRUST_200600_302600_NS4plusIiEEEE10hipError_tPvRmT2_T3_mT4_P12ihipStream_tbEUlT_E_NS1_11comp_targetILNS1_3genE2ELNS1_11target_archE906ELNS1_3gpuE6ELNS1_3repE0EEENS1_30default_config_static_selectorELNS0_4arch9wavefront6targetE1EEEvT1_
	.globl	_ZN7rocprim17ROCPRIM_400000_NS6detail17trampoline_kernelINS0_14default_configENS1_35adjacent_difference_config_selectorILb1EiEEZNS1_24adjacent_difference_implIS3_Lb1ELb0EPKiPiN6thrust23THRUST_200600_302600_NS4plusIiEEEE10hipError_tPvRmT2_T3_mT4_P12ihipStream_tbEUlT_E_NS1_11comp_targetILNS1_3genE2ELNS1_11target_archE906ELNS1_3gpuE6ELNS1_3repE0EEENS1_30default_config_static_selectorELNS0_4arch9wavefront6targetE1EEEvT1_
	.p2align	8
	.type	_ZN7rocprim17ROCPRIM_400000_NS6detail17trampoline_kernelINS0_14default_configENS1_35adjacent_difference_config_selectorILb1EiEEZNS1_24adjacent_difference_implIS3_Lb1ELb0EPKiPiN6thrust23THRUST_200600_302600_NS4plusIiEEEE10hipError_tPvRmT2_T3_mT4_P12ihipStream_tbEUlT_E_NS1_11comp_targetILNS1_3genE2ELNS1_11target_archE906ELNS1_3gpuE6ELNS1_3repE0EEENS1_30default_config_static_selectorELNS0_4arch9wavefront6targetE1EEEvT1_,@function
_ZN7rocprim17ROCPRIM_400000_NS6detail17trampoline_kernelINS0_14default_configENS1_35adjacent_difference_config_selectorILb1EiEEZNS1_24adjacent_difference_implIS3_Lb1ELb0EPKiPiN6thrust23THRUST_200600_302600_NS4plusIiEEEE10hipError_tPvRmT2_T3_mT4_P12ihipStream_tbEUlT_E_NS1_11comp_targetILNS1_3genE2ELNS1_11target_archE906ELNS1_3gpuE6ELNS1_3repE0EEENS1_30default_config_static_selectorELNS0_4arch9wavefront6targetE1EEEvT1_: ; @_ZN7rocprim17ROCPRIM_400000_NS6detail17trampoline_kernelINS0_14default_configENS1_35adjacent_difference_config_selectorILb1EiEEZNS1_24adjacent_difference_implIS3_Lb1ELb0EPKiPiN6thrust23THRUST_200600_302600_NS4plusIiEEEE10hipError_tPvRmT2_T3_mT4_P12ihipStream_tbEUlT_E_NS1_11comp_targetILNS1_3genE2ELNS1_11target_archE906ELNS1_3gpuE6ELNS1_3repE0EEENS1_30default_config_static_selectorELNS0_4arch9wavefront6targetE1EEEvT1_
; %bb.0:
	s_load_dwordx8 s[8:15], s[4:5], 0x0
	s_load_dwordx4 s[16:19], s[4:5], 0x28
	s_mul_i32 s20, s6, 0xb00
	s_mov_b32 s7, 0
	s_mov_b64 s[22:23], -1
	s_waitcnt lgkmcnt(0)
	s_lshl_b64 s[10:11], s[10:11], 2
	s_add_u32 s26, s8, s10
	s_addc_u32 s27, s9, s11
	s_mul_i32 s3, s15, 0xba2e8ba3
	s_mul_hi_u32 s4, s14, 0xba2e8ba3
	s_mul_hi_u32 s2, s15, 0xba2e8ba3
	s_add_u32 s3, s3, s4
	s_mul_i32 s1, s14, 0x2e8ba2e8
	s_addc_u32 s2, s2, 0
	s_mul_hi_u32 s0, s14, 0x2e8ba2e8
	s_add_u32 s1, s1, s3
	s_addc_u32 s0, s0, 0
	s_add_u32 s0, s2, s0
	s_addc_u32 s1, 0, 0
	s_mul_i32 s3, s15, 0x2e8ba2e8
	s_mul_hi_u32 s2, s15, 0x2e8ba2e8
	s_add_u32 s0, s3, s0
	s_addc_u32 s1, s2, s1
	s_lshr_b64 s[2:3], s[0:1], 9
	s_lshr_b32 s0, s1, 9
	s_mulk_i32 s0, 0xb00
	s_mul_hi_u32 s1, s2, 0xb00
	s_add_i32 s1, s1, s0
	s_mul_i32 s0, s2, 0xb00
	s_sub_u32 s0, s14, s0
	s_subb_u32 s1, s15, s1
	s_cmp_lg_u64 s[0:1], 0
	s_cselect_b64 s[0:1], -1, 0
	v_cndmask_b32_e64 v1, 0, 1, s[0:1]
	v_readfirstlane_b32 s0, v1
	s_add_u32 s2, s2, s0
	s_addc_u32 s3, s3, 0
	s_add_u32 s4, s18, s6
	s_addc_u32 s5, s19, 0
	s_add_u32 s8, s2, -1
	s_addc_u32 s9, s3, -1
	v_mov_b32_e32 v1, s8
	v_mov_b32_e32 v2, s9
	v_cmp_ge_u64_e64 s[0:1], s[4:5], v[1:2]
	s_mul_i32 s15, s8, 0xfffff500
	s_and_b64 vcc, exec, s[0:1]
	s_cbranch_vccz .LBB745_24
; %bb.1:
	s_mov_b32 s21, s7
	s_add_i32 s28, s15, s14
	s_lshl_b64 s[22:23], s[20:21], 2
	s_add_u32 s22, s26, s22
	v_mov_b32_e32 v1, 0
	s_addc_u32 s23, s27, s23
	v_cmp_gt_u32_e32 vcc, s28, v0
	v_mov_b32_e32 v2, v1
	v_mov_b32_e32 v3, v1
	;; [unrolled: 1-line block ×10, first 2 shown]
	s_and_saveexec_b64 s[24:25], vcc
	s_cbranch_execz .LBB745_3
; %bb.2:
	v_lshlrev_b32_e32 v2, 2, v0
	global_load_dword v2, v2, s[22:23]
	v_mov_b32_e32 v3, v1
	v_mov_b32_e32 v4, v1
	;; [unrolled: 1-line block ×10, first 2 shown]
	s_waitcnt vmcnt(0)
	v_mov_b32_e32 v1, v2
	v_mov_b32_e32 v2, v3
	;; [unrolled: 1-line block ×11, first 2 shown]
.LBB745_3:
	s_or_b64 exec, exec, s[24:25]
	v_or_b32_e32 v12, 0x100, v0
	v_cmp_gt_u32_e32 vcc, s28, v12
	s_and_saveexec_b64 s[24:25], vcc
	s_cbranch_execz .LBB745_5
; %bb.4:
	v_lshlrev_b32_e32 v2, 2, v0
	global_load_dword v2, v2, s[22:23] offset:1024
.LBB745_5:
	s_or_b64 exec, exec, s[24:25]
	v_or_b32_e32 v12, 0x200, v0
	v_cmp_gt_u32_e32 vcc, s28, v12
	s_and_saveexec_b64 s[24:25], vcc
	s_cbranch_execz .LBB745_7
; %bb.6:
	v_lshlrev_b32_e32 v3, 2, v0
	global_load_dword v3, v3, s[22:23] offset:2048
.LBB745_7:
	;; [unrolled: 9-line block ×3, first 2 shown]
	s_or_b64 exec, exec, s[24:25]
	v_or_b32_e32 v12, 0x400, v0
	v_cmp_gt_u32_e32 vcc, s28, v12
	s_and_saveexec_b64 s[24:25], vcc
	s_cbranch_execz .LBB745_11
; %bb.10:
	v_lshlrev_b32_e32 v5, 2, v12
	global_load_dword v5, v5, s[22:23]
.LBB745_11:
	s_or_b64 exec, exec, s[24:25]
	v_or_b32_e32 v12, 0x500, v0
	v_cmp_gt_u32_e32 vcc, s28, v12
	s_and_saveexec_b64 s[24:25], vcc
	s_cbranch_execz .LBB745_13
; %bb.12:
	v_lshlrev_b32_e32 v6, 2, v12
	global_load_dword v6, v6, s[22:23]
.LBB745_13:
	;; [unrolled: 9-line block ×7, first 2 shown]
	s_or_b64 exec, exec, s[24:25]
	v_lshlrev_b32_e32 v12, 2, v0
	s_mov_b64 s[22:23], 0
	s_waitcnt vmcnt(0)
	ds_write2st64_b32 v12, v1, v2 offset1:4
	ds_write2st64_b32 v12, v3, v4 offset0:8 offset1:12
	ds_write2st64_b32 v12, v5, v6 offset0:16 offset1:20
	;; [unrolled: 1-line block ×4, first 2 shown]
	ds_write_b32 v12, v11 offset:10240
	s_waitcnt lgkmcnt(0)
	s_barrier
.LBB745_24:
	s_and_b64 vcc, exec, s[22:23]
	v_lshlrev_b32_e32 v13, 2, v0
	s_cbranch_vccz .LBB745_26
; %bb.25:
	s_mov_b32 s21, 0
	s_lshl_b64 s[22:23], s[20:21], 2
	s_add_u32 s22, s26, s22
	s_addc_u32 s23, s27, s23
	v_mov_b32_e32 v1, s23
	v_add_co_u32_e32 v3, vcc, s22, v13
	v_addc_co_u32_e32 v4, vcc, 0, v1, vcc
	v_add_co_u32_e32 v1, vcc, 0x1000, v3
	v_addc_co_u32_e32 v2, vcc, 0, v4, vcc
	v_add_co_u32_e32 v3, vcc, 0x2000, v3
	global_load_dword v5, v13, s[22:23] offset:1024
	global_load_dword v6, v13, s[22:23] offset:2048
	;; [unrolled: 1-line block ×3, first 2 shown]
	v_addc_co_u32_e32 v4, vcc, 0, v4, vcc
	global_load_dword v8, v13, s[22:23]
	global_load_dword v9, v[1:2], off
	global_load_dword v10, v[1:2], off offset:1024
	global_load_dword v11, v[1:2], off offset:2048
	;; [unrolled: 1-line block ×3, first 2 shown]
	global_load_dword v14, v[3:4], off
	global_load_dword v15, v[3:4], off offset:1024
	global_load_dword v16, v[3:4], off offset:2048
	s_waitcnt vmcnt(7)
	ds_write2st64_b32 v13, v8, v5 offset1:4
	ds_write2st64_b32 v13, v6, v7 offset0:8 offset1:12
	s_waitcnt vmcnt(5)
	ds_write2st64_b32 v13, v9, v10 offset0:16 offset1:20
	s_waitcnt vmcnt(3)
	;; [unrolled: 2-line block ×4, first 2 shown]
	ds_write_b32 v13, v16 offset:10240
	s_waitcnt lgkmcnt(0)
	s_barrier
.LBB745_26:
	v_mul_u32_u24_e32 v14, 44, v0
	ds_read2_b32 v[3:4], v14 offset1:1
	ds_read2_b32 v[5:6], v14 offset0:2 offset1:3
	ds_read2_b32 v[7:8], v14 offset0:4 offset1:5
	;; [unrolled: 1-line block ×4, first 2 shown]
	ds_read_b32 v11, v14 offset:40
	s_cmp_eq_u64 s[4:5], 0
	s_waitcnt lgkmcnt(0)
	s_barrier
	s_cbranch_scc1 .LBB745_31
; %bb.27:
	s_lshl_b64 s[18:19], s[18:19], 2
	s_add_u32 s16, s16, s18
	s_addc_u32 s17, s17, s19
	s_lshl_b64 s[6:7], s[6:7], 2
	s_add_u32 s6, s16, s6
	s_addc_u32 s7, s17, s7
	s_add_u32 s6, s6, -4
	s_addc_u32 s7, s7, -1
	s_load_dword s16, s[6:7], 0x0
	s_cmp_eq_u64 s[4:5], s[8:9]
	s_cbranch_scc1 .LBB745_32
; %bb.28:
	v_cmp_ne_u32_e32 vcc, 0, v0
	s_waitcnt lgkmcnt(0)
	v_mov_b32_e32 v12, s16
	ds_write_b32 v13, v11
	s_waitcnt lgkmcnt(0)
	s_barrier
	s_and_saveexec_b64 s[6:7], vcc
; %bb.29:
	v_add_u32_e32 v12, -4, v13
	ds_read_b32 v12, v12
; %bb.30:
	s_or_b64 exec, exec, s[6:7]
	v_add_u32_e32 v15, v2, v1
	v_add_u32_e32 v16, v1, v10
	;; [unrolled: 1-line block ×9, first 2 shown]
	s_waitcnt lgkmcnt(0)
	v_add_u32_e32 v20, v12, v3
	v_mov_b32_e32 v12, v2
	s_branch .LBB745_36
.LBB745_31:
                                        ; implicit-def: $vgpr12
                                        ; implicit-def: $vgpr15
                                        ; implicit-def: $vgpr16
                                        ; implicit-def: $vgpr20
                                        ; implicit-def: $vgpr24
                                        ; implicit-def: $vgpr23
                                        ; implicit-def: $vgpr22
                                        ; implicit-def: $vgpr21
                                        ; implicit-def: $vgpr19
                                        ; implicit-def: $vgpr18
                                        ; implicit-def: $vgpr17
	s_branch .LBB745_37
.LBB745_32:
                                        ; implicit-def: $vgpr15
                                        ; implicit-def: $vgpr16
                                        ; implicit-def: $vgpr20
                                        ; implicit-def: $vgpr24
                                        ; implicit-def: $vgpr23
                                        ; implicit-def: $vgpr22
                                        ; implicit-def: $vgpr21
                                        ; implicit-def: $vgpr19
                                        ; implicit-def: $vgpr18
                                        ; implicit-def: $vgpr17
	v_mov_b32_e32 v12, v2
	s_cbranch_execz .LBB745_36
; %bb.33:
	v_mul_u32_u24_e32 v20, 11, v0
	v_cmp_ne_u32_e32 vcc, 0, v0
	s_waitcnt lgkmcnt(0)
	v_mov_b32_e32 v25, s16
	ds_write_b32 v13, v11
	s_waitcnt lgkmcnt(0)
	s_barrier
	s_and_saveexec_b64 s[6:7], vcc
; %bb.34:
	v_add_u32_e32 v12, -4, v13
	ds_read_b32 v25, v12
; %bb.35:
	s_or_b64 exec, exec, s[6:7]
	s_mulk_i32 s4, 0xf500
	s_add_i32 s4, s4, s14
	v_add_u32_e32 v12, 10, v20
	v_cmp_gt_u32_e32 vcc, s4, v12
	v_add_u32_e32 v15, 9, v20
	v_cndmask_b32_e32 v12, 0, v2, vcc
	v_cmp_gt_u32_e32 vcc, s4, v15
	v_add_u32_e32 v16, 8, v20
	v_cndmask_b32_e32 v15, 0, v1, vcc
	;; [unrolled: 3-line block ×9, first 2 shown]
	v_cmp_gt_u32_e32 vcc, s4, v24
	v_cndmask_b32_e32 v24, 0, v3, vcc
	v_cmp_gt_u32_e32 vcc, s4, v20
	s_waitcnt lgkmcnt(0)
	v_cndmask_b32_e32 v20, 0, v25, vcc
	v_add_u32_e32 v15, v15, v2
	v_add_u32_e32 v16, v16, v1
	;; [unrolled: 1-line block ×10, first 2 shown]
.LBB745_36:
	s_cbranch_execnz .LBB745_46
.LBB745_37:
	s_cmp_eq_u64 s[2:3], 1
	v_cmp_ne_u32_e32 vcc, 0, v0
	s_cbranch_scc1 .LBB745_41
; %bb.38:
	v_mov_b32_e32 v20, v3
	ds_write_b32 v13, v11
	s_waitcnt lgkmcnt(0)
	s_barrier
	s_and_saveexec_b64 s[2:3], vcc
	s_cbranch_execz .LBB745_40
; %bb.39:
	v_add_u32_e32 v12, -4, v13
	ds_read_b32 v12, v12
	s_waitcnt lgkmcnt(0)
	v_add_u32_e32 v20, v12, v3
.LBB745_40:
	s_or_b64 exec, exec, s[2:3]
	v_add_u32_e32 v15, v2, v1
	v_add_u32_e32 v16, v1, v10
	;; [unrolled: 1-line block ×9, first 2 shown]
	s_cbranch_execz .LBB745_42
	s_branch .LBB745_45
.LBB745_41:
                                        ; implicit-def: $vgpr15
                                        ; implicit-def: $vgpr16
                                        ; implicit-def: $vgpr20
                                        ; implicit-def: $vgpr24
                                        ; implicit-def: $vgpr23
                                        ; implicit-def: $vgpr22
                                        ; implicit-def: $vgpr21
                                        ; implicit-def: $vgpr19
                                        ; implicit-def: $vgpr18
                                        ; implicit-def: $vgpr17
.LBB745_42:
	v_mad_u32_u24 v12, v0, 11, 10
	v_cmp_gt_u32_e32 vcc, s14, v12
	v_mad_u32_u24 v12, v0, 11, 9
	v_cmp_gt_u32_e64 s[2:3], s14, v12
	v_mad_u32_u24 v16, v0, 11, 8
	v_cndmask_b32_e64 v12, 0, v1, s[2:3]
	v_cmp_gt_u32_e64 s[2:3], s14, v16
	v_mad_u32_u24 v17, v0, 11, 7
	v_cndmask_b32_e64 v16, 0, v10, s[2:3]
	;; [unrolled: 3-line block ×7, first 2 shown]
	v_cmp_gt_u32_e64 s[2:3], s14, v21
	v_mad_u32_u24 v21, v0, 11, 1
	v_mul_u32_u24_e32 v15, 11, v0
	v_cndmask_b32_e64 v23, 0, v4, s[2:3]
	v_cmp_gt_u32_e64 s[2:3], s14, v21
	v_cndmask_b32_e64 v24, 0, v3, s[2:3]
	v_cmp_ne_u32_e64 s[2:3], 0, v0
	v_cmp_gt_u32_e64 s[4:5], s14, v15
	s_and_b64 s[4:5], s[2:3], s[4:5]
	ds_write_b32 v13, v11
	s_waitcnt lgkmcnt(0)
	s_barrier
	s_and_saveexec_b64 s[2:3], s[4:5]
	s_cbranch_execz .LBB745_44
; %bb.43:
	v_add_u32_e32 v15, -4, v13
	ds_read_b32 v15, v15
	s_waitcnt lgkmcnt(0)
	v_add_u32_e32 v3, v15, v3
.LBB745_44:
	s_or_b64 exec, exec, s[2:3]
	v_cndmask_b32_e32 v25, 0, v2, vcc
	v_add_u32_e32 v15, v12, v2
	v_add_u32_e32 v16, v16, v1
	;; [unrolled: 1-line block ×9, first 2 shown]
	v_mov_b32_e32 v2, v25
	v_mov_b32_e32 v20, v3
.LBB745_45:
	v_mov_b32_e32 v12, v2
.LBB745_46:
	s_add_u32 s4, s12, s10
	s_addc_u32 s5, s13, s11
	v_add_u32_e32 v25, v12, v11
	s_and_b64 vcc, exec, s[0:1]
	s_waitcnt lgkmcnt(0)
	s_barrier
	s_cbranch_vccz .LBB745_68
; %bb.47:
	v_mul_i32_i24_e32 v26, 0xffffffd8, v0
	v_mad_u32_u24 v1, v0, 44, v26
	ds_write2_b32 v14, v20, v24 offset1:1
	ds_write2_b32 v14, v23, v22 offset0:2 offset1:3
	ds_write2_b32 v14, v21, v19 offset0:4 offset1:5
	;; [unrolled: 1-line block ×4, first 2 shown]
	ds_write_b32 v14, v25 offset:40
	s_waitcnt lgkmcnt(0)
	s_barrier
	ds_read2st64_b32 v[11:12], v1 offset0:4 offset1:8
	ds_read2st64_b32 v[9:10], v1 offset0:12 offset1:16
	;; [unrolled: 1-line block ×5, first 2 shown]
	s_mov_b32 s21, 0
	s_add_i32 s15, s15, s14
	s_lshl_b64 s[0:1], s[20:21], 2
	s_add_u32 s0, s4, s0
	s_addc_u32 s1, s5, s1
	v_mov_b32_e32 v4, s1
	v_add_co_u32_e32 v3, vcc, s0, v13
	v_addc_co_u32_e32 v4, vcc, 0, v4, vcc
	v_cmp_gt_u32_e32 vcc, s15, v0
	s_and_saveexec_b64 s[0:1], vcc
	s_cbranch_execz .LBB745_49
; %bb.48:
	v_add_u32_e32 v26, v14, v26
	ds_read_b32 v26, v26
	s_waitcnt lgkmcnt(0)
	global_store_dword v[3:4], v26, off
.LBB745_49:
	s_or_b64 exec, exec, s[0:1]
	v_or_b32_e32 v26, 0x100, v0
	v_cmp_gt_u32_e32 vcc, s15, v26
	s_and_saveexec_b64 s[0:1], vcc
	s_cbranch_execz .LBB745_51
; %bb.50:
	s_waitcnt lgkmcnt(4)
	global_store_dword v[3:4], v11, off offset:1024
.LBB745_51:
	s_or_b64 exec, exec, s[0:1]
	s_waitcnt lgkmcnt(4)
	v_or_b32_e32 v11, 0x200, v0
	v_cmp_gt_u32_e32 vcc, s15, v11
	s_and_saveexec_b64 s[0:1], vcc
	s_cbranch_execz .LBB745_53
; %bb.52:
	global_store_dword v[3:4], v12, off offset:2048
.LBB745_53:
	s_or_b64 exec, exec, s[0:1]
	v_or_b32_e32 v11, 0x300, v0
	v_cmp_gt_u32_e32 vcc, s15, v11
	s_and_saveexec_b64 s[0:1], vcc
	s_cbranch_execz .LBB745_55
; %bb.54:
	s_waitcnt lgkmcnt(3)
	global_store_dword v[3:4], v9, off offset:3072
.LBB745_55:
	s_or_b64 exec, exec, s[0:1]
	s_waitcnt lgkmcnt(3)
	v_or_b32_e32 v9, 0x400, v0
	v_cmp_gt_u32_e32 vcc, s15, v9
	s_and_saveexec_b64 s[0:1], vcc
	s_cbranch_execz .LBB745_57
; %bb.56:
	v_add_co_u32_e32 v11, vcc, 0x1000, v3
	v_addc_co_u32_e32 v12, vcc, 0, v4, vcc
	global_store_dword v[11:12], v10, off
.LBB745_57:
	s_or_b64 exec, exec, s[0:1]
	v_or_b32_e32 v9, 0x500, v0
	v_cmp_gt_u32_e32 vcc, s15, v9
	s_and_saveexec_b64 s[0:1], vcc
	s_cbranch_execz .LBB745_59
; %bb.58:
	v_add_co_u32_e32 v9, vcc, 0x1000, v3
	v_addc_co_u32_e32 v10, vcc, 0, v4, vcc
	s_waitcnt lgkmcnt(2)
	global_store_dword v[9:10], v7, off offset:1024
.LBB745_59:
	s_or_b64 exec, exec, s[0:1]
	s_waitcnt lgkmcnt(2)
	v_or_b32_e32 v7, 0x600, v0
	v_cmp_gt_u32_e32 vcc, s15, v7
	s_and_saveexec_b64 s[0:1], vcc
	s_cbranch_execz .LBB745_61
; %bb.60:
	v_add_co_u32_e32 v9, vcc, 0x1000, v3
	v_addc_co_u32_e32 v10, vcc, 0, v4, vcc
	global_store_dword v[9:10], v8, off offset:2048
.LBB745_61:
	s_or_b64 exec, exec, s[0:1]
	v_or_b32_e32 v7, 0x700, v0
	v_cmp_gt_u32_e32 vcc, s15, v7
	s_and_saveexec_b64 s[0:1], vcc
	s_cbranch_execz .LBB745_63
; %bb.62:
	v_add_co_u32_e32 v7, vcc, 0x1000, v3
	v_addc_co_u32_e32 v8, vcc, 0, v4, vcc
	s_waitcnt lgkmcnt(1)
	global_store_dword v[7:8], v5, off offset:3072
.LBB745_63:
	s_or_b64 exec, exec, s[0:1]
	s_waitcnt lgkmcnt(1)
	v_or_b32_e32 v5, 0x800, v0
	v_cmp_gt_u32_e32 vcc, s15, v5
	s_and_saveexec_b64 s[0:1], vcc
	s_cbranch_execz .LBB745_65
; %bb.64:
	v_add_co_u32_e32 v7, vcc, 0x2000, v3
	v_addc_co_u32_e32 v8, vcc, 0, v4, vcc
	global_store_dword v[7:8], v6, off
.LBB745_65:
	s_or_b64 exec, exec, s[0:1]
	v_or_b32_e32 v5, 0x900, v0
	v_cmp_gt_u32_e32 vcc, s15, v5
	s_and_saveexec_b64 s[0:1], vcc
	s_cbranch_execz .LBB745_67
; %bb.66:
	v_add_co_u32_e32 v5, vcc, 0x2000, v3
	v_addc_co_u32_e32 v6, vcc, 0, v4, vcc
	s_waitcnt lgkmcnt(0)
	global_store_dword v[5:6], v1, off offset:1024
.LBB745_67:
	s_or_b64 exec, exec, s[0:1]
	s_waitcnt lgkmcnt(0)
	v_or_b32_e32 v1, 0xa00, v0
	v_cmp_gt_u32_e64 s[0:1], s15, v1
	s_branch .LBB745_70
.LBB745_68:
	s_mov_b64 s[0:1], 0
                                        ; implicit-def: $vgpr2
                                        ; implicit-def: $vgpr3_vgpr4
	s_cbranch_execz .LBB745_70
; %bb.69:
	s_mov_b32 s21, 0
	s_lshl_b64 s[2:3], s[20:21], 2
	s_add_u32 s2, s4, s2
	v_mul_i32_i24_e32 v1, 0xffffffd8, v0
	s_addc_u32 s3, s5, s3
	v_mad_u32_u24 v2, v0, 44, v1
	ds_write2_b32 v14, v20, v24 offset1:1
	ds_write2_b32 v14, v23, v22 offset0:2 offset1:3
	ds_write2_b32 v14, v21, v19 offset0:4 offset1:5
	;; [unrolled: 1-line block ×4, first 2 shown]
	ds_write_b32 v14, v25 offset:40
	s_waitcnt vmcnt(0) lgkmcnt(0)
	s_barrier
	ds_read2st64_b32 v[0:1], v2 offset1:4
	ds_read2st64_b32 v[5:6], v2 offset0:8 offset1:12
	ds_read2st64_b32 v[7:8], v2 offset0:16 offset1:20
	;; [unrolled: 1-line block ×4, first 2 shown]
	ds_read_b32 v2, v2 offset:10240
	v_mov_b32_e32 v4, s3
	v_add_co_u32_e32 v3, vcc, s2, v13
	v_addc_co_u32_e32 v4, vcc, 0, v4, vcc
	s_waitcnt lgkmcnt(5)
	global_store_dword v13, v0, s[2:3]
	global_store_dword v13, v1, s[2:3] offset:1024
	s_waitcnt lgkmcnt(4)
	global_store_dword v13, v5, s[2:3] offset:2048
	global_store_dword v13, v6, s[2:3] offset:3072
	s_movk_i32 s2, 0x1000
	v_add_co_u32_e32 v0, vcc, s2, v3
	v_addc_co_u32_e32 v1, vcc, 0, v4, vcc
	s_waitcnt lgkmcnt(3)
	global_store_dword v[0:1], v7, off
	global_store_dword v[0:1], v8, off offset:1024
	s_waitcnt lgkmcnt(2)
	global_store_dword v[0:1], v9, off offset:2048
	global_store_dword v[0:1], v10, off offset:3072
	v_add_co_u32_e32 v0, vcc, 0x2000, v3
	v_addc_co_u32_e32 v1, vcc, 0, v4, vcc
	s_or_b64 s[0:1], s[0:1], exec
	s_waitcnt lgkmcnt(1)
	global_store_dword v[0:1], v11, off
	global_store_dword v[0:1], v12, off offset:1024
.LBB745_70:
	s_and_saveexec_b64 s[2:3], s[0:1]
	s_cbranch_execnz .LBB745_72
; %bb.71:
	s_endpgm
.LBB745_72:
	v_add_co_u32_e32 v0, vcc, 0x2000, v3
	v_addc_co_u32_e32 v1, vcc, 0, v4, vcc
	s_waitcnt lgkmcnt(0)
	global_store_dword v[0:1], v2, off offset:2048
	s_endpgm
	.section	.rodata,"a",@progbits
	.p2align	6, 0x0
	.amdhsa_kernel _ZN7rocprim17ROCPRIM_400000_NS6detail17trampoline_kernelINS0_14default_configENS1_35adjacent_difference_config_selectorILb1EiEEZNS1_24adjacent_difference_implIS3_Lb1ELb0EPKiPiN6thrust23THRUST_200600_302600_NS4plusIiEEEE10hipError_tPvRmT2_T3_mT4_P12ihipStream_tbEUlT_E_NS1_11comp_targetILNS1_3genE2ELNS1_11target_archE906ELNS1_3gpuE6ELNS1_3repE0EEENS1_30default_config_static_selectorELNS0_4arch9wavefront6targetE1EEEvT1_
		.amdhsa_group_segment_fixed_size 11264
		.amdhsa_private_segment_fixed_size 0
		.amdhsa_kernarg_size 56
		.amdhsa_user_sgpr_count 6
		.amdhsa_user_sgpr_private_segment_buffer 1
		.amdhsa_user_sgpr_dispatch_ptr 0
		.amdhsa_user_sgpr_queue_ptr 0
		.amdhsa_user_sgpr_kernarg_segment_ptr 1
		.amdhsa_user_sgpr_dispatch_id 0
		.amdhsa_user_sgpr_flat_scratch_init 0
		.amdhsa_user_sgpr_private_segment_size 0
		.amdhsa_uses_dynamic_stack 0
		.amdhsa_system_sgpr_private_segment_wavefront_offset 0
		.amdhsa_system_sgpr_workgroup_id_x 1
		.amdhsa_system_sgpr_workgroup_id_y 0
		.amdhsa_system_sgpr_workgroup_id_z 0
		.amdhsa_system_sgpr_workgroup_info 0
		.amdhsa_system_vgpr_workitem_id 0
		.amdhsa_next_free_vgpr 41
		.amdhsa_next_free_sgpr 98
		.amdhsa_reserve_vcc 1
		.amdhsa_reserve_flat_scratch 0
		.amdhsa_float_round_mode_32 0
		.amdhsa_float_round_mode_16_64 0
		.amdhsa_float_denorm_mode_32 3
		.amdhsa_float_denorm_mode_16_64 3
		.amdhsa_dx10_clamp 1
		.amdhsa_ieee_mode 1
		.amdhsa_fp16_overflow 0
		.amdhsa_exception_fp_ieee_invalid_op 0
		.amdhsa_exception_fp_denorm_src 0
		.amdhsa_exception_fp_ieee_div_zero 0
		.amdhsa_exception_fp_ieee_overflow 0
		.amdhsa_exception_fp_ieee_underflow 0
		.amdhsa_exception_fp_ieee_inexact 0
		.amdhsa_exception_int_div_zero 0
	.end_amdhsa_kernel
	.section	.text._ZN7rocprim17ROCPRIM_400000_NS6detail17trampoline_kernelINS0_14default_configENS1_35adjacent_difference_config_selectorILb1EiEEZNS1_24adjacent_difference_implIS3_Lb1ELb0EPKiPiN6thrust23THRUST_200600_302600_NS4plusIiEEEE10hipError_tPvRmT2_T3_mT4_P12ihipStream_tbEUlT_E_NS1_11comp_targetILNS1_3genE2ELNS1_11target_archE906ELNS1_3gpuE6ELNS1_3repE0EEENS1_30default_config_static_selectorELNS0_4arch9wavefront6targetE1EEEvT1_,"axG",@progbits,_ZN7rocprim17ROCPRIM_400000_NS6detail17trampoline_kernelINS0_14default_configENS1_35adjacent_difference_config_selectorILb1EiEEZNS1_24adjacent_difference_implIS3_Lb1ELb0EPKiPiN6thrust23THRUST_200600_302600_NS4plusIiEEEE10hipError_tPvRmT2_T3_mT4_P12ihipStream_tbEUlT_E_NS1_11comp_targetILNS1_3genE2ELNS1_11target_archE906ELNS1_3gpuE6ELNS1_3repE0EEENS1_30default_config_static_selectorELNS0_4arch9wavefront6targetE1EEEvT1_,comdat
.Lfunc_end745:
	.size	_ZN7rocprim17ROCPRIM_400000_NS6detail17trampoline_kernelINS0_14default_configENS1_35adjacent_difference_config_selectorILb1EiEEZNS1_24adjacent_difference_implIS3_Lb1ELb0EPKiPiN6thrust23THRUST_200600_302600_NS4plusIiEEEE10hipError_tPvRmT2_T3_mT4_P12ihipStream_tbEUlT_E_NS1_11comp_targetILNS1_3genE2ELNS1_11target_archE906ELNS1_3gpuE6ELNS1_3repE0EEENS1_30default_config_static_selectorELNS0_4arch9wavefront6targetE1EEEvT1_, .Lfunc_end745-_ZN7rocprim17ROCPRIM_400000_NS6detail17trampoline_kernelINS0_14default_configENS1_35adjacent_difference_config_selectorILb1EiEEZNS1_24adjacent_difference_implIS3_Lb1ELb0EPKiPiN6thrust23THRUST_200600_302600_NS4plusIiEEEE10hipError_tPvRmT2_T3_mT4_P12ihipStream_tbEUlT_E_NS1_11comp_targetILNS1_3genE2ELNS1_11target_archE906ELNS1_3gpuE6ELNS1_3repE0EEENS1_30default_config_static_selectorELNS0_4arch9wavefront6targetE1EEEvT1_
                                        ; -- End function
	.set _ZN7rocprim17ROCPRIM_400000_NS6detail17trampoline_kernelINS0_14default_configENS1_35adjacent_difference_config_selectorILb1EiEEZNS1_24adjacent_difference_implIS3_Lb1ELb0EPKiPiN6thrust23THRUST_200600_302600_NS4plusIiEEEE10hipError_tPvRmT2_T3_mT4_P12ihipStream_tbEUlT_E_NS1_11comp_targetILNS1_3genE2ELNS1_11target_archE906ELNS1_3gpuE6ELNS1_3repE0EEENS1_30default_config_static_selectorELNS0_4arch9wavefront6targetE1EEEvT1_.num_vgpr, 27
	.set _ZN7rocprim17ROCPRIM_400000_NS6detail17trampoline_kernelINS0_14default_configENS1_35adjacent_difference_config_selectorILb1EiEEZNS1_24adjacent_difference_implIS3_Lb1ELb0EPKiPiN6thrust23THRUST_200600_302600_NS4plusIiEEEE10hipError_tPvRmT2_T3_mT4_P12ihipStream_tbEUlT_E_NS1_11comp_targetILNS1_3genE2ELNS1_11target_archE906ELNS1_3gpuE6ELNS1_3repE0EEENS1_30default_config_static_selectorELNS0_4arch9wavefront6targetE1EEEvT1_.num_agpr, 0
	.set _ZN7rocprim17ROCPRIM_400000_NS6detail17trampoline_kernelINS0_14default_configENS1_35adjacent_difference_config_selectorILb1EiEEZNS1_24adjacent_difference_implIS3_Lb1ELb0EPKiPiN6thrust23THRUST_200600_302600_NS4plusIiEEEE10hipError_tPvRmT2_T3_mT4_P12ihipStream_tbEUlT_E_NS1_11comp_targetILNS1_3genE2ELNS1_11target_archE906ELNS1_3gpuE6ELNS1_3repE0EEENS1_30default_config_static_selectorELNS0_4arch9wavefront6targetE1EEEvT1_.numbered_sgpr, 29
	.set _ZN7rocprim17ROCPRIM_400000_NS6detail17trampoline_kernelINS0_14default_configENS1_35adjacent_difference_config_selectorILb1EiEEZNS1_24adjacent_difference_implIS3_Lb1ELb0EPKiPiN6thrust23THRUST_200600_302600_NS4plusIiEEEE10hipError_tPvRmT2_T3_mT4_P12ihipStream_tbEUlT_E_NS1_11comp_targetILNS1_3genE2ELNS1_11target_archE906ELNS1_3gpuE6ELNS1_3repE0EEENS1_30default_config_static_selectorELNS0_4arch9wavefront6targetE1EEEvT1_.num_named_barrier, 0
	.set _ZN7rocprim17ROCPRIM_400000_NS6detail17trampoline_kernelINS0_14default_configENS1_35adjacent_difference_config_selectorILb1EiEEZNS1_24adjacent_difference_implIS3_Lb1ELb0EPKiPiN6thrust23THRUST_200600_302600_NS4plusIiEEEE10hipError_tPvRmT2_T3_mT4_P12ihipStream_tbEUlT_E_NS1_11comp_targetILNS1_3genE2ELNS1_11target_archE906ELNS1_3gpuE6ELNS1_3repE0EEENS1_30default_config_static_selectorELNS0_4arch9wavefront6targetE1EEEvT1_.private_seg_size, 0
	.set _ZN7rocprim17ROCPRIM_400000_NS6detail17trampoline_kernelINS0_14default_configENS1_35adjacent_difference_config_selectorILb1EiEEZNS1_24adjacent_difference_implIS3_Lb1ELb0EPKiPiN6thrust23THRUST_200600_302600_NS4plusIiEEEE10hipError_tPvRmT2_T3_mT4_P12ihipStream_tbEUlT_E_NS1_11comp_targetILNS1_3genE2ELNS1_11target_archE906ELNS1_3gpuE6ELNS1_3repE0EEENS1_30default_config_static_selectorELNS0_4arch9wavefront6targetE1EEEvT1_.uses_vcc, 1
	.set _ZN7rocprim17ROCPRIM_400000_NS6detail17trampoline_kernelINS0_14default_configENS1_35adjacent_difference_config_selectorILb1EiEEZNS1_24adjacent_difference_implIS3_Lb1ELb0EPKiPiN6thrust23THRUST_200600_302600_NS4plusIiEEEE10hipError_tPvRmT2_T3_mT4_P12ihipStream_tbEUlT_E_NS1_11comp_targetILNS1_3genE2ELNS1_11target_archE906ELNS1_3gpuE6ELNS1_3repE0EEENS1_30default_config_static_selectorELNS0_4arch9wavefront6targetE1EEEvT1_.uses_flat_scratch, 0
	.set _ZN7rocprim17ROCPRIM_400000_NS6detail17trampoline_kernelINS0_14default_configENS1_35adjacent_difference_config_selectorILb1EiEEZNS1_24adjacent_difference_implIS3_Lb1ELb0EPKiPiN6thrust23THRUST_200600_302600_NS4plusIiEEEE10hipError_tPvRmT2_T3_mT4_P12ihipStream_tbEUlT_E_NS1_11comp_targetILNS1_3genE2ELNS1_11target_archE906ELNS1_3gpuE6ELNS1_3repE0EEENS1_30default_config_static_selectorELNS0_4arch9wavefront6targetE1EEEvT1_.has_dyn_sized_stack, 0
	.set _ZN7rocprim17ROCPRIM_400000_NS6detail17trampoline_kernelINS0_14default_configENS1_35adjacent_difference_config_selectorILb1EiEEZNS1_24adjacent_difference_implIS3_Lb1ELb0EPKiPiN6thrust23THRUST_200600_302600_NS4plusIiEEEE10hipError_tPvRmT2_T3_mT4_P12ihipStream_tbEUlT_E_NS1_11comp_targetILNS1_3genE2ELNS1_11target_archE906ELNS1_3gpuE6ELNS1_3repE0EEENS1_30default_config_static_selectorELNS0_4arch9wavefront6targetE1EEEvT1_.has_recursion, 0
	.set _ZN7rocprim17ROCPRIM_400000_NS6detail17trampoline_kernelINS0_14default_configENS1_35adjacent_difference_config_selectorILb1EiEEZNS1_24adjacent_difference_implIS3_Lb1ELb0EPKiPiN6thrust23THRUST_200600_302600_NS4plusIiEEEE10hipError_tPvRmT2_T3_mT4_P12ihipStream_tbEUlT_E_NS1_11comp_targetILNS1_3genE2ELNS1_11target_archE906ELNS1_3gpuE6ELNS1_3repE0EEENS1_30default_config_static_selectorELNS0_4arch9wavefront6targetE1EEEvT1_.has_indirect_call, 0
	.section	.AMDGPU.csdata,"",@progbits
; Kernel info:
; codeLenInByte = 2968
; TotalNumSgprs: 33
; NumVgprs: 27
; ScratchSize: 0
; MemoryBound: 0
; FloatMode: 240
; IeeeMode: 1
; LDSByteSize: 11264 bytes/workgroup (compile time only)
; SGPRBlocks: 12
; VGPRBlocks: 10
; NumSGPRsForWavesPerEU: 102
; NumVGPRsForWavesPerEU: 41
; Occupancy: 5
; WaveLimiterHint : 1
; COMPUTE_PGM_RSRC2:SCRATCH_EN: 0
; COMPUTE_PGM_RSRC2:USER_SGPR: 6
; COMPUTE_PGM_RSRC2:TRAP_HANDLER: 0
; COMPUTE_PGM_RSRC2:TGID_X_EN: 1
; COMPUTE_PGM_RSRC2:TGID_Y_EN: 0
; COMPUTE_PGM_RSRC2:TGID_Z_EN: 0
; COMPUTE_PGM_RSRC2:TIDIG_COMP_CNT: 0
	.section	.text._ZN7rocprim17ROCPRIM_400000_NS6detail17trampoline_kernelINS0_14default_configENS1_35adjacent_difference_config_selectorILb1EiEEZNS1_24adjacent_difference_implIS3_Lb1ELb0EPKiPiN6thrust23THRUST_200600_302600_NS4plusIiEEEE10hipError_tPvRmT2_T3_mT4_P12ihipStream_tbEUlT_E_NS1_11comp_targetILNS1_3genE9ELNS1_11target_archE1100ELNS1_3gpuE3ELNS1_3repE0EEENS1_30default_config_static_selectorELNS0_4arch9wavefront6targetE1EEEvT1_,"axG",@progbits,_ZN7rocprim17ROCPRIM_400000_NS6detail17trampoline_kernelINS0_14default_configENS1_35adjacent_difference_config_selectorILb1EiEEZNS1_24adjacent_difference_implIS3_Lb1ELb0EPKiPiN6thrust23THRUST_200600_302600_NS4plusIiEEEE10hipError_tPvRmT2_T3_mT4_P12ihipStream_tbEUlT_E_NS1_11comp_targetILNS1_3genE9ELNS1_11target_archE1100ELNS1_3gpuE3ELNS1_3repE0EEENS1_30default_config_static_selectorELNS0_4arch9wavefront6targetE1EEEvT1_,comdat
	.protected	_ZN7rocprim17ROCPRIM_400000_NS6detail17trampoline_kernelINS0_14default_configENS1_35adjacent_difference_config_selectorILb1EiEEZNS1_24adjacent_difference_implIS3_Lb1ELb0EPKiPiN6thrust23THRUST_200600_302600_NS4plusIiEEEE10hipError_tPvRmT2_T3_mT4_P12ihipStream_tbEUlT_E_NS1_11comp_targetILNS1_3genE9ELNS1_11target_archE1100ELNS1_3gpuE3ELNS1_3repE0EEENS1_30default_config_static_selectorELNS0_4arch9wavefront6targetE1EEEvT1_ ; -- Begin function _ZN7rocprim17ROCPRIM_400000_NS6detail17trampoline_kernelINS0_14default_configENS1_35adjacent_difference_config_selectorILb1EiEEZNS1_24adjacent_difference_implIS3_Lb1ELb0EPKiPiN6thrust23THRUST_200600_302600_NS4plusIiEEEE10hipError_tPvRmT2_T3_mT4_P12ihipStream_tbEUlT_E_NS1_11comp_targetILNS1_3genE9ELNS1_11target_archE1100ELNS1_3gpuE3ELNS1_3repE0EEENS1_30default_config_static_selectorELNS0_4arch9wavefront6targetE1EEEvT1_
	.globl	_ZN7rocprim17ROCPRIM_400000_NS6detail17trampoline_kernelINS0_14default_configENS1_35adjacent_difference_config_selectorILb1EiEEZNS1_24adjacent_difference_implIS3_Lb1ELb0EPKiPiN6thrust23THRUST_200600_302600_NS4plusIiEEEE10hipError_tPvRmT2_T3_mT4_P12ihipStream_tbEUlT_E_NS1_11comp_targetILNS1_3genE9ELNS1_11target_archE1100ELNS1_3gpuE3ELNS1_3repE0EEENS1_30default_config_static_selectorELNS0_4arch9wavefront6targetE1EEEvT1_
	.p2align	8
	.type	_ZN7rocprim17ROCPRIM_400000_NS6detail17trampoline_kernelINS0_14default_configENS1_35adjacent_difference_config_selectorILb1EiEEZNS1_24adjacent_difference_implIS3_Lb1ELb0EPKiPiN6thrust23THRUST_200600_302600_NS4plusIiEEEE10hipError_tPvRmT2_T3_mT4_P12ihipStream_tbEUlT_E_NS1_11comp_targetILNS1_3genE9ELNS1_11target_archE1100ELNS1_3gpuE3ELNS1_3repE0EEENS1_30default_config_static_selectorELNS0_4arch9wavefront6targetE1EEEvT1_,@function
_ZN7rocprim17ROCPRIM_400000_NS6detail17trampoline_kernelINS0_14default_configENS1_35adjacent_difference_config_selectorILb1EiEEZNS1_24adjacent_difference_implIS3_Lb1ELb0EPKiPiN6thrust23THRUST_200600_302600_NS4plusIiEEEE10hipError_tPvRmT2_T3_mT4_P12ihipStream_tbEUlT_E_NS1_11comp_targetILNS1_3genE9ELNS1_11target_archE1100ELNS1_3gpuE3ELNS1_3repE0EEENS1_30default_config_static_selectorELNS0_4arch9wavefront6targetE1EEEvT1_: ; @_ZN7rocprim17ROCPRIM_400000_NS6detail17trampoline_kernelINS0_14default_configENS1_35adjacent_difference_config_selectorILb1EiEEZNS1_24adjacent_difference_implIS3_Lb1ELb0EPKiPiN6thrust23THRUST_200600_302600_NS4plusIiEEEE10hipError_tPvRmT2_T3_mT4_P12ihipStream_tbEUlT_E_NS1_11comp_targetILNS1_3genE9ELNS1_11target_archE1100ELNS1_3gpuE3ELNS1_3repE0EEENS1_30default_config_static_selectorELNS0_4arch9wavefront6targetE1EEEvT1_
; %bb.0:
	.section	.rodata,"a",@progbits
	.p2align	6, 0x0
	.amdhsa_kernel _ZN7rocprim17ROCPRIM_400000_NS6detail17trampoline_kernelINS0_14default_configENS1_35adjacent_difference_config_selectorILb1EiEEZNS1_24adjacent_difference_implIS3_Lb1ELb0EPKiPiN6thrust23THRUST_200600_302600_NS4plusIiEEEE10hipError_tPvRmT2_T3_mT4_P12ihipStream_tbEUlT_E_NS1_11comp_targetILNS1_3genE9ELNS1_11target_archE1100ELNS1_3gpuE3ELNS1_3repE0EEENS1_30default_config_static_selectorELNS0_4arch9wavefront6targetE1EEEvT1_
		.amdhsa_group_segment_fixed_size 0
		.amdhsa_private_segment_fixed_size 0
		.amdhsa_kernarg_size 56
		.amdhsa_user_sgpr_count 6
		.amdhsa_user_sgpr_private_segment_buffer 1
		.amdhsa_user_sgpr_dispatch_ptr 0
		.amdhsa_user_sgpr_queue_ptr 0
		.amdhsa_user_sgpr_kernarg_segment_ptr 1
		.amdhsa_user_sgpr_dispatch_id 0
		.amdhsa_user_sgpr_flat_scratch_init 0
		.amdhsa_user_sgpr_private_segment_size 0
		.amdhsa_uses_dynamic_stack 0
		.amdhsa_system_sgpr_private_segment_wavefront_offset 0
		.amdhsa_system_sgpr_workgroup_id_x 1
		.amdhsa_system_sgpr_workgroup_id_y 0
		.amdhsa_system_sgpr_workgroup_id_z 0
		.amdhsa_system_sgpr_workgroup_info 0
		.amdhsa_system_vgpr_workitem_id 0
		.amdhsa_next_free_vgpr 1
		.amdhsa_next_free_sgpr 0
		.amdhsa_reserve_vcc 0
		.amdhsa_reserve_flat_scratch 0
		.amdhsa_float_round_mode_32 0
		.amdhsa_float_round_mode_16_64 0
		.amdhsa_float_denorm_mode_32 3
		.amdhsa_float_denorm_mode_16_64 3
		.amdhsa_dx10_clamp 1
		.amdhsa_ieee_mode 1
		.amdhsa_fp16_overflow 0
		.amdhsa_exception_fp_ieee_invalid_op 0
		.amdhsa_exception_fp_denorm_src 0
		.amdhsa_exception_fp_ieee_div_zero 0
		.amdhsa_exception_fp_ieee_overflow 0
		.amdhsa_exception_fp_ieee_underflow 0
		.amdhsa_exception_fp_ieee_inexact 0
		.amdhsa_exception_int_div_zero 0
	.end_amdhsa_kernel
	.section	.text._ZN7rocprim17ROCPRIM_400000_NS6detail17trampoline_kernelINS0_14default_configENS1_35adjacent_difference_config_selectorILb1EiEEZNS1_24adjacent_difference_implIS3_Lb1ELb0EPKiPiN6thrust23THRUST_200600_302600_NS4plusIiEEEE10hipError_tPvRmT2_T3_mT4_P12ihipStream_tbEUlT_E_NS1_11comp_targetILNS1_3genE9ELNS1_11target_archE1100ELNS1_3gpuE3ELNS1_3repE0EEENS1_30default_config_static_selectorELNS0_4arch9wavefront6targetE1EEEvT1_,"axG",@progbits,_ZN7rocprim17ROCPRIM_400000_NS6detail17trampoline_kernelINS0_14default_configENS1_35adjacent_difference_config_selectorILb1EiEEZNS1_24adjacent_difference_implIS3_Lb1ELb0EPKiPiN6thrust23THRUST_200600_302600_NS4plusIiEEEE10hipError_tPvRmT2_T3_mT4_P12ihipStream_tbEUlT_E_NS1_11comp_targetILNS1_3genE9ELNS1_11target_archE1100ELNS1_3gpuE3ELNS1_3repE0EEENS1_30default_config_static_selectorELNS0_4arch9wavefront6targetE1EEEvT1_,comdat
.Lfunc_end746:
	.size	_ZN7rocprim17ROCPRIM_400000_NS6detail17trampoline_kernelINS0_14default_configENS1_35adjacent_difference_config_selectorILb1EiEEZNS1_24adjacent_difference_implIS3_Lb1ELb0EPKiPiN6thrust23THRUST_200600_302600_NS4plusIiEEEE10hipError_tPvRmT2_T3_mT4_P12ihipStream_tbEUlT_E_NS1_11comp_targetILNS1_3genE9ELNS1_11target_archE1100ELNS1_3gpuE3ELNS1_3repE0EEENS1_30default_config_static_selectorELNS0_4arch9wavefront6targetE1EEEvT1_, .Lfunc_end746-_ZN7rocprim17ROCPRIM_400000_NS6detail17trampoline_kernelINS0_14default_configENS1_35adjacent_difference_config_selectorILb1EiEEZNS1_24adjacent_difference_implIS3_Lb1ELb0EPKiPiN6thrust23THRUST_200600_302600_NS4plusIiEEEE10hipError_tPvRmT2_T3_mT4_P12ihipStream_tbEUlT_E_NS1_11comp_targetILNS1_3genE9ELNS1_11target_archE1100ELNS1_3gpuE3ELNS1_3repE0EEENS1_30default_config_static_selectorELNS0_4arch9wavefront6targetE1EEEvT1_
                                        ; -- End function
	.set _ZN7rocprim17ROCPRIM_400000_NS6detail17trampoline_kernelINS0_14default_configENS1_35adjacent_difference_config_selectorILb1EiEEZNS1_24adjacent_difference_implIS3_Lb1ELb0EPKiPiN6thrust23THRUST_200600_302600_NS4plusIiEEEE10hipError_tPvRmT2_T3_mT4_P12ihipStream_tbEUlT_E_NS1_11comp_targetILNS1_3genE9ELNS1_11target_archE1100ELNS1_3gpuE3ELNS1_3repE0EEENS1_30default_config_static_selectorELNS0_4arch9wavefront6targetE1EEEvT1_.num_vgpr, 0
	.set _ZN7rocprim17ROCPRIM_400000_NS6detail17trampoline_kernelINS0_14default_configENS1_35adjacent_difference_config_selectorILb1EiEEZNS1_24adjacent_difference_implIS3_Lb1ELb0EPKiPiN6thrust23THRUST_200600_302600_NS4plusIiEEEE10hipError_tPvRmT2_T3_mT4_P12ihipStream_tbEUlT_E_NS1_11comp_targetILNS1_3genE9ELNS1_11target_archE1100ELNS1_3gpuE3ELNS1_3repE0EEENS1_30default_config_static_selectorELNS0_4arch9wavefront6targetE1EEEvT1_.num_agpr, 0
	.set _ZN7rocprim17ROCPRIM_400000_NS6detail17trampoline_kernelINS0_14default_configENS1_35adjacent_difference_config_selectorILb1EiEEZNS1_24adjacent_difference_implIS3_Lb1ELb0EPKiPiN6thrust23THRUST_200600_302600_NS4plusIiEEEE10hipError_tPvRmT2_T3_mT4_P12ihipStream_tbEUlT_E_NS1_11comp_targetILNS1_3genE9ELNS1_11target_archE1100ELNS1_3gpuE3ELNS1_3repE0EEENS1_30default_config_static_selectorELNS0_4arch9wavefront6targetE1EEEvT1_.numbered_sgpr, 0
	.set _ZN7rocprim17ROCPRIM_400000_NS6detail17trampoline_kernelINS0_14default_configENS1_35adjacent_difference_config_selectorILb1EiEEZNS1_24adjacent_difference_implIS3_Lb1ELb0EPKiPiN6thrust23THRUST_200600_302600_NS4plusIiEEEE10hipError_tPvRmT2_T3_mT4_P12ihipStream_tbEUlT_E_NS1_11comp_targetILNS1_3genE9ELNS1_11target_archE1100ELNS1_3gpuE3ELNS1_3repE0EEENS1_30default_config_static_selectorELNS0_4arch9wavefront6targetE1EEEvT1_.num_named_barrier, 0
	.set _ZN7rocprim17ROCPRIM_400000_NS6detail17trampoline_kernelINS0_14default_configENS1_35adjacent_difference_config_selectorILb1EiEEZNS1_24adjacent_difference_implIS3_Lb1ELb0EPKiPiN6thrust23THRUST_200600_302600_NS4plusIiEEEE10hipError_tPvRmT2_T3_mT4_P12ihipStream_tbEUlT_E_NS1_11comp_targetILNS1_3genE9ELNS1_11target_archE1100ELNS1_3gpuE3ELNS1_3repE0EEENS1_30default_config_static_selectorELNS0_4arch9wavefront6targetE1EEEvT1_.private_seg_size, 0
	.set _ZN7rocprim17ROCPRIM_400000_NS6detail17trampoline_kernelINS0_14default_configENS1_35adjacent_difference_config_selectorILb1EiEEZNS1_24adjacent_difference_implIS3_Lb1ELb0EPKiPiN6thrust23THRUST_200600_302600_NS4plusIiEEEE10hipError_tPvRmT2_T3_mT4_P12ihipStream_tbEUlT_E_NS1_11comp_targetILNS1_3genE9ELNS1_11target_archE1100ELNS1_3gpuE3ELNS1_3repE0EEENS1_30default_config_static_selectorELNS0_4arch9wavefront6targetE1EEEvT1_.uses_vcc, 0
	.set _ZN7rocprim17ROCPRIM_400000_NS6detail17trampoline_kernelINS0_14default_configENS1_35adjacent_difference_config_selectorILb1EiEEZNS1_24adjacent_difference_implIS3_Lb1ELb0EPKiPiN6thrust23THRUST_200600_302600_NS4plusIiEEEE10hipError_tPvRmT2_T3_mT4_P12ihipStream_tbEUlT_E_NS1_11comp_targetILNS1_3genE9ELNS1_11target_archE1100ELNS1_3gpuE3ELNS1_3repE0EEENS1_30default_config_static_selectorELNS0_4arch9wavefront6targetE1EEEvT1_.uses_flat_scratch, 0
	.set _ZN7rocprim17ROCPRIM_400000_NS6detail17trampoline_kernelINS0_14default_configENS1_35adjacent_difference_config_selectorILb1EiEEZNS1_24adjacent_difference_implIS3_Lb1ELb0EPKiPiN6thrust23THRUST_200600_302600_NS4plusIiEEEE10hipError_tPvRmT2_T3_mT4_P12ihipStream_tbEUlT_E_NS1_11comp_targetILNS1_3genE9ELNS1_11target_archE1100ELNS1_3gpuE3ELNS1_3repE0EEENS1_30default_config_static_selectorELNS0_4arch9wavefront6targetE1EEEvT1_.has_dyn_sized_stack, 0
	.set _ZN7rocprim17ROCPRIM_400000_NS6detail17trampoline_kernelINS0_14default_configENS1_35adjacent_difference_config_selectorILb1EiEEZNS1_24adjacent_difference_implIS3_Lb1ELb0EPKiPiN6thrust23THRUST_200600_302600_NS4plusIiEEEE10hipError_tPvRmT2_T3_mT4_P12ihipStream_tbEUlT_E_NS1_11comp_targetILNS1_3genE9ELNS1_11target_archE1100ELNS1_3gpuE3ELNS1_3repE0EEENS1_30default_config_static_selectorELNS0_4arch9wavefront6targetE1EEEvT1_.has_recursion, 0
	.set _ZN7rocprim17ROCPRIM_400000_NS6detail17trampoline_kernelINS0_14default_configENS1_35adjacent_difference_config_selectorILb1EiEEZNS1_24adjacent_difference_implIS3_Lb1ELb0EPKiPiN6thrust23THRUST_200600_302600_NS4plusIiEEEE10hipError_tPvRmT2_T3_mT4_P12ihipStream_tbEUlT_E_NS1_11comp_targetILNS1_3genE9ELNS1_11target_archE1100ELNS1_3gpuE3ELNS1_3repE0EEENS1_30default_config_static_selectorELNS0_4arch9wavefront6targetE1EEEvT1_.has_indirect_call, 0
	.section	.AMDGPU.csdata,"",@progbits
; Kernel info:
; codeLenInByte = 0
; TotalNumSgprs: 4
; NumVgprs: 0
; ScratchSize: 0
; MemoryBound: 0
; FloatMode: 240
; IeeeMode: 1
; LDSByteSize: 0 bytes/workgroup (compile time only)
; SGPRBlocks: 0
; VGPRBlocks: 0
; NumSGPRsForWavesPerEU: 4
; NumVGPRsForWavesPerEU: 1
; Occupancy: 10
; WaveLimiterHint : 0
; COMPUTE_PGM_RSRC2:SCRATCH_EN: 0
; COMPUTE_PGM_RSRC2:USER_SGPR: 6
; COMPUTE_PGM_RSRC2:TRAP_HANDLER: 0
; COMPUTE_PGM_RSRC2:TGID_X_EN: 1
; COMPUTE_PGM_RSRC2:TGID_Y_EN: 0
; COMPUTE_PGM_RSRC2:TGID_Z_EN: 0
; COMPUTE_PGM_RSRC2:TIDIG_COMP_CNT: 0
	.section	.text._ZN7rocprim17ROCPRIM_400000_NS6detail17trampoline_kernelINS0_14default_configENS1_35adjacent_difference_config_selectorILb1EiEEZNS1_24adjacent_difference_implIS3_Lb1ELb0EPKiPiN6thrust23THRUST_200600_302600_NS4plusIiEEEE10hipError_tPvRmT2_T3_mT4_P12ihipStream_tbEUlT_E_NS1_11comp_targetILNS1_3genE8ELNS1_11target_archE1030ELNS1_3gpuE2ELNS1_3repE0EEENS1_30default_config_static_selectorELNS0_4arch9wavefront6targetE1EEEvT1_,"axG",@progbits,_ZN7rocprim17ROCPRIM_400000_NS6detail17trampoline_kernelINS0_14default_configENS1_35adjacent_difference_config_selectorILb1EiEEZNS1_24adjacent_difference_implIS3_Lb1ELb0EPKiPiN6thrust23THRUST_200600_302600_NS4plusIiEEEE10hipError_tPvRmT2_T3_mT4_P12ihipStream_tbEUlT_E_NS1_11comp_targetILNS1_3genE8ELNS1_11target_archE1030ELNS1_3gpuE2ELNS1_3repE0EEENS1_30default_config_static_selectorELNS0_4arch9wavefront6targetE1EEEvT1_,comdat
	.protected	_ZN7rocprim17ROCPRIM_400000_NS6detail17trampoline_kernelINS0_14default_configENS1_35adjacent_difference_config_selectorILb1EiEEZNS1_24adjacent_difference_implIS3_Lb1ELb0EPKiPiN6thrust23THRUST_200600_302600_NS4plusIiEEEE10hipError_tPvRmT2_T3_mT4_P12ihipStream_tbEUlT_E_NS1_11comp_targetILNS1_3genE8ELNS1_11target_archE1030ELNS1_3gpuE2ELNS1_3repE0EEENS1_30default_config_static_selectorELNS0_4arch9wavefront6targetE1EEEvT1_ ; -- Begin function _ZN7rocprim17ROCPRIM_400000_NS6detail17trampoline_kernelINS0_14default_configENS1_35adjacent_difference_config_selectorILb1EiEEZNS1_24adjacent_difference_implIS3_Lb1ELb0EPKiPiN6thrust23THRUST_200600_302600_NS4plusIiEEEE10hipError_tPvRmT2_T3_mT4_P12ihipStream_tbEUlT_E_NS1_11comp_targetILNS1_3genE8ELNS1_11target_archE1030ELNS1_3gpuE2ELNS1_3repE0EEENS1_30default_config_static_selectorELNS0_4arch9wavefront6targetE1EEEvT1_
	.globl	_ZN7rocprim17ROCPRIM_400000_NS6detail17trampoline_kernelINS0_14default_configENS1_35adjacent_difference_config_selectorILb1EiEEZNS1_24adjacent_difference_implIS3_Lb1ELb0EPKiPiN6thrust23THRUST_200600_302600_NS4plusIiEEEE10hipError_tPvRmT2_T3_mT4_P12ihipStream_tbEUlT_E_NS1_11comp_targetILNS1_3genE8ELNS1_11target_archE1030ELNS1_3gpuE2ELNS1_3repE0EEENS1_30default_config_static_selectorELNS0_4arch9wavefront6targetE1EEEvT1_
	.p2align	8
	.type	_ZN7rocprim17ROCPRIM_400000_NS6detail17trampoline_kernelINS0_14default_configENS1_35adjacent_difference_config_selectorILb1EiEEZNS1_24adjacent_difference_implIS3_Lb1ELb0EPKiPiN6thrust23THRUST_200600_302600_NS4plusIiEEEE10hipError_tPvRmT2_T3_mT4_P12ihipStream_tbEUlT_E_NS1_11comp_targetILNS1_3genE8ELNS1_11target_archE1030ELNS1_3gpuE2ELNS1_3repE0EEENS1_30default_config_static_selectorELNS0_4arch9wavefront6targetE1EEEvT1_,@function
_ZN7rocprim17ROCPRIM_400000_NS6detail17trampoline_kernelINS0_14default_configENS1_35adjacent_difference_config_selectorILb1EiEEZNS1_24adjacent_difference_implIS3_Lb1ELb0EPKiPiN6thrust23THRUST_200600_302600_NS4plusIiEEEE10hipError_tPvRmT2_T3_mT4_P12ihipStream_tbEUlT_E_NS1_11comp_targetILNS1_3genE8ELNS1_11target_archE1030ELNS1_3gpuE2ELNS1_3repE0EEENS1_30default_config_static_selectorELNS0_4arch9wavefront6targetE1EEEvT1_: ; @_ZN7rocprim17ROCPRIM_400000_NS6detail17trampoline_kernelINS0_14default_configENS1_35adjacent_difference_config_selectorILb1EiEEZNS1_24adjacent_difference_implIS3_Lb1ELb0EPKiPiN6thrust23THRUST_200600_302600_NS4plusIiEEEE10hipError_tPvRmT2_T3_mT4_P12ihipStream_tbEUlT_E_NS1_11comp_targetILNS1_3genE8ELNS1_11target_archE1030ELNS1_3gpuE2ELNS1_3repE0EEENS1_30default_config_static_selectorELNS0_4arch9wavefront6targetE1EEEvT1_
; %bb.0:
	.section	.rodata,"a",@progbits
	.p2align	6, 0x0
	.amdhsa_kernel _ZN7rocprim17ROCPRIM_400000_NS6detail17trampoline_kernelINS0_14default_configENS1_35adjacent_difference_config_selectorILb1EiEEZNS1_24adjacent_difference_implIS3_Lb1ELb0EPKiPiN6thrust23THRUST_200600_302600_NS4plusIiEEEE10hipError_tPvRmT2_T3_mT4_P12ihipStream_tbEUlT_E_NS1_11comp_targetILNS1_3genE8ELNS1_11target_archE1030ELNS1_3gpuE2ELNS1_3repE0EEENS1_30default_config_static_selectorELNS0_4arch9wavefront6targetE1EEEvT1_
		.amdhsa_group_segment_fixed_size 0
		.amdhsa_private_segment_fixed_size 0
		.amdhsa_kernarg_size 56
		.amdhsa_user_sgpr_count 6
		.amdhsa_user_sgpr_private_segment_buffer 1
		.amdhsa_user_sgpr_dispatch_ptr 0
		.amdhsa_user_sgpr_queue_ptr 0
		.amdhsa_user_sgpr_kernarg_segment_ptr 1
		.amdhsa_user_sgpr_dispatch_id 0
		.amdhsa_user_sgpr_flat_scratch_init 0
		.amdhsa_user_sgpr_private_segment_size 0
		.amdhsa_uses_dynamic_stack 0
		.amdhsa_system_sgpr_private_segment_wavefront_offset 0
		.amdhsa_system_sgpr_workgroup_id_x 1
		.amdhsa_system_sgpr_workgroup_id_y 0
		.amdhsa_system_sgpr_workgroup_id_z 0
		.amdhsa_system_sgpr_workgroup_info 0
		.amdhsa_system_vgpr_workitem_id 0
		.amdhsa_next_free_vgpr 1
		.amdhsa_next_free_sgpr 0
		.amdhsa_reserve_vcc 0
		.amdhsa_reserve_flat_scratch 0
		.amdhsa_float_round_mode_32 0
		.amdhsa_float_round_mode_16_64 0
		.amdhsa_float_denorm_mode_32 3
		.amdhsa_float_denorm_mode_16_64 3
		.amdhsa_dx10_clamp 1
		.amdhsa_ieee_mode 1
		.amdhsa_fp16_overflow 0
		.amdhsa_exception_fp_ieee_invalid_op 0
		.amdhsa_exception_fp_denorm_src 0
		.amdhsa_exception_fp_ieee_div_zero 0
		.amdhsa_exception_fp_ieee_overflow 0
		.amdhsa_exception_fp_ieee_underflow 0
		.amdhsa_exception_fp_ieee_inexact 0
		.amdhsa_exception_int_div_zero 0
	.end_amdhsa_kernel
	.section	.text._ZN7rocprim17ROCPRIM_400000_NS6detail17trampoline_kernelINS0_14default_configENS1_35adjacent_difference_config_selectorILb1EiEEZNS1_24adjacent_difference_implIS3_Lb1ELb0EPKiPiN6thrust23THRUST_200600_302600_NS4plusIiEEEE10hipError_tPvRmT2_T3_mT4_P12ihipStream_tbEUlT_E_NS1_11comp_targetILNS1_3genE8ELNS1_11target_archE1030ELNS1_3gpuE2ELNS1_3repE0EEENS1_30default_config_static_selectorELNS0_4arch9wavefront6targetE1EEEvT1_,"axG",@progbits,_ZN7rocprim17ROCPRIM_400000_NS6detail17trampoline_kernelINS0_14default_configENS1_35adjacent_difference_config_selectorILb1EiEEZNS1_24adjacent_difference_implIS3_Lb1ELb0EPKiPiN6thrust23THRUST_200600_302600_NS4plusIiEEEE10hipError_tPvRmT2_T3_mT4_P12ihipStream_tbEUlT_E_NS1_11comp_targetILNS1_3genE8ELNS1_11target_archE1030ELNS1_3gpuE2ELNS1_3repE0EEENS1_30default_config_static_selectorELNS0_4arch9wavefront6targetE1EEEvT1_,comdat
.Lfunc_end747:
	.size	_ZN7rocprim17ROCPRIM_400000_NS6detail17trampoline_kernelINS0_14default_configENS1_35adjacent_difference_config_selectorILb1EiEEZNS1_24adjacent_difference_implIS3_Lb1ELb0EPKiPiN6thrust23THRUST_200600_302600_NS4plusIiEEEE10hipError_tPvRmT2_T3_mT4_P12ihipStream_tbEUlT_E_NS1_11comp_targetILNS1_3genE8ELNS1_11target_archE1030ELNS1_3gpuE2ELNS1_3repE0EEENS1_30default_config_static_selectorELNS0_4arch9wavefront6targetE1EEEvT1_, .Lfunc_end747-_ZN7rocprim17ROCPRIM_400000_NS6detail17trampoline_kernelINS0_14default_configENS1_35adjacent_difference_config_selectorILb1EiEEZNS1_24adjacent_difference_implIS3_Lb1ELb0EPKiPiN6thrust23THRUST_200600_302600_NS4plusIiEEEE10hipError_tPvRmT2_T3_mT4_P12ihipStream_tbEUlT_E_NS1_11comp_targetILNS1_3genE8ELNS1_11target_archE1030ELNS1_3gpuE2ELNS1_3repE0EEENS1_30default_config_static_selectorELNS0_4arch9wavefront6targetE1EEEvT1_
                                        ; -- End function
	.set _ZN7rocprim17ROCPRIM_400000_NS6detail17trampoline_kernelINS0_14default_configENS1_35adjacent_difference_config_selectorILb1EiEEZNS1_24adjacent_difference_implIS3_Lb1ELb0EPKiPiN6thrust23THRUST_200600_302600_NS4plusIiEEEE10hipError_tPvRmT2_T3_mT4_P12ihipStream_tbEUlT_E_NS1_11comp_targetILNS1_3genE8ELNS1_11target_archE1030ELNS1_3gpuE2ELNS1_3repE0EEENS1_30default_config_static_selectorELNS0_4arch9wavefront6targetE1EEEvT1_.num_vgpr, 0
	.set _ZN7rocprim17ROCPRIM_400000_NS6detail17trampoline_kernelINS0_14default_configENS1_35adjacent_difference_config_selectorILb1EiEEZNS1_24adjacent_difference_implIS3_Lb1ELb0EPKiPiN6thrust23THRUST_200600_302600_NS4plusIiEEEE10hipError_tPvRmT2_T3_mT4_P12ihipStream_tbEUlT_E_NS1_11comp_targetILNS1_3genE8ELNS1_11target_archE1030ELNS1_3gpuE2ELNS1_3repE0EEENS1_30default_config_static_selectorELNS0_4arch9wavefront6targetE1EEEvT1_.num_agpr, 0
	.set _ZN7rocprim17ROCPRIM_400000_NS6detail17trampoline_kernelINS0_14default_configENS1_35adjacent_difference_config_selectorILb1EiEEZNS1_24adjacent_difference_implIS3_Lb1ELb0EPKiPiN6thrust23THRUST_200600_302600_NS4plusIiEEEE10hipError_tPvRmT2_T3_mT4_P12ihipStream_tbEUlT_E_NS1_11comp_targetILNS1_3genE8ELNS1_11target_archE1030ELNS1_3gpuE2ELNS1_3repE0EEENS1_30default_config_static_selectorELNS0_4arch9wavefront6targetE1EEEvT1_.numbered_sgpr, 0
	.set _ZN7rocprim17ROCPRIM_400000_NS6detail17trampoline_kernelINS0_14default_configENS1_35adjacent_difference_config_selectorILb1EiEEZNS1_24adjacent_difference_implIS3_Lb1ELb0EPKiPiN6thrust23THRUST_200600_302600_NS4plusIiEEEE10hipError_tPvRmT2_T3_mT4_P12ihipStream_tbEUlT_E_NS1_11comp_targetILNS1_3genE8ELNS1_11target_archE1030ELNS1_3gpuE2ELNS1_3repE0EEENS1_30default_config_static_selectorELNS0_4arch9wavefront6targetE1EEEvT1_.num_named_barrier, 0
	.set _ZN7rocprim17ROCPRIM_400000_NS6detail17trampoline_kernelINS0_14default_configENS1_35adjacent_difference_config_selectorILb1EiEEZNS1_24adjacent_difference_implIS3_Lb1ELb0EPKiPiN6thrust23THRUST_200600_302600_NS4plusIiEEEE10hipError_tPvRmT2_T3_mT4_P12ihipStream_tbEUlT_E_NS1_11comp_targetILNS1_3genE8ELNS1_11target_archE1030ELNS1_3gpuE2ELNS1_3repE0EEENS1_30default_config_static_selectorELNS0_4arch9wavefront6targetE1EEEvT1_.private_seg_size, 0
	.set _ZN7rocprim17ROCPRIM_400000_NS6detail17trampoline_kernelINS0_14default_configENS1_35adjacent_difference_config_selectorILb1EiEEZNS1_24adjacent_difference_implIS3_Lb1ELb0EPKiPiN6thrust23THRUST_200600_302600_NS4plusIiEEEE10hipError_tPvRmT2_T3_mT4_P12ihipStream_tbEUlT_E_NS1_11comp_targetILNS1_3genE8ELNS1_11target_archE1030ELNS1_3gpuE2ELNS1_3repE0EEENS1_30default_config_static_selectorELNS0_4arch9wavefront6targetE1EEEvT1_.uses_vcc, 0
	.set _ZN7rocprim17ROCPRIM_400000_NS6detail17trampoline_kernelINS0_14default_configENS1_35adjacent_difference_config_selectorILb1EiEEZNS1_24adjacent_difference_implIS3_Lb1ELb0EPKiPiN6thrust23THRUST_200600_302600_NS4plusIiEEEE10hipError_tPvRmT2_T3_mT4_P12ihipStream_tbEUlT_E_NS1_11comp_targetILNS1_3genE8ELNS1_11target_archE1030ELNS1_3gpuE2ELNS1_3repE0EEENS1_30default_config_static_selectorELNS0_4arch9wavefront6targetE1EEEvT1_.uses_flat_scratch, 0
	.set _ZN7rocprim17ROCPRIM_400000_NS6detail17trampoline_kernelINS0_14default_configENS1_35adjacent_difference_config_selectorILb1EiEEZNS1_24adjacent_difference_implIS3_Lb1ELb0EPKiPiN6thrust23THRUST_200600_302600_NS4plusIiEEEE10hipError_tPvRmT2_T3_mT4_P12ihipStream_tbEUlT_E_NS1_11comp_targetILNS1_3genE8ELNS1_11target_archE1030ELNS1_3gpuE2ELNS1_3repE0EEENS1_30default_config_static_selectorELNS0_4arch9wavefront6targetE1EEEvT1_.has_dyn_sized_stack, 0
	.set _ZN7rocprim17ROCPRIM_400000_NS6detail17trampoline_kernelINS0_14default_configENS1_35adjacent_difference_config_selectorILb1EiEEZNS1_24adjacent_difference_implIS3_Lb1ELb0EPKiPiN6thrust23THRUST_200600_302600_NS4plusIiEEEE10hipError_tPvRmT2_T3_mT4_P12ihipStream_tbEUlT_E_NS1_11comp_targetILNS1_3genE8ELNS1_11target_archE1030ELNS1_3gpuE2ELNS1_3repE0EEENS1_30default_config_static_selectorELNS0_4arch9wavefront6targetE1EEEvT1_.has_recursion, 0
	.set _ZN7rocprim17ROCPRIM_400000_NS6detail17trampoline_kernelINS0_14default_configENS1_35adjacent_difference_config_selectorILb1EiEEZNS1_24adjacent_difference_implIS3_Lb1ELb0EPKiPiN6thrust23THRUST_200600_302600_NS4plusIiEEEE10hipError_tPvRmT2_T3_mT4_P12ihipStream_tbEUlT_E_NS1_11comp_targetILNS1_3genE8ELNS1_11target_archE1030ELNS1_3gpuE2ELNS1_3repE0EEENS1_30default_config_static_selectorELNS0_4arch9wavefront6targetE1EEEvT1_.has_indirect_call, 0
	.section	.AMDGPU.csdata,"",@progbits
; Kernel info:
; codeLenInByte = 0
; TotalNumSgprs: 4
; NumVgprs: 0
; ScratchSize: 0
; MemoryBound: 0
; FloatMode: 240
; IeeeMode: 1
; LDSByteSize: 0 bytes/workgroup (compile time only)
; SGPRBlocks: 0
; VGPRBlocks: 0
; NumSGPRsForWavesPerEU: 4
; NumVGPRsForWavesPerEU: 1
; Occupancy: 10
; WaveLimiterHint : 0
; COMPUTE_PGM_RSRC2:SCRATCH_EN: 0
; COMPUTE_PGM_RSRC2:USER_SGPR: 6
; COMPUTE_PGM_RSRC2:TRAP_HANDLER: 0
; COMPUTE_PGM_RSRC2:TGID_X_EN: 1
; COMPUTE_PGM_RSRC2:TGID_Y_EN: 0
; COMPUTE_PGM_RSRC2:TGID_Z_EN: 0
; COMPUTE_PGM_RSRC2:TIDIG_COMP_CNT: 0
	.section	.text._ZN7rocprim17ROCPRIM_400000_NS6detail17trampoline_kernelINS0_14default_configENS1_35adjacent_difference_config_selectorILb0EsEEZNS1_24adjacent_difference_implIS3_Lb0ELb0EPKsPsN6thrust23THRUST_200600_302600_NS4plusIsEEEE10hipError_tPvRmT2_T3_mT4_P12ihipStream_tbEUlT_E_NS1_11comp_targetILNS1_3genE0ELNS1_11target_archE4294967295ELNS1_3gpuE0ELNS1_3repE0EEENS1_30default_config_static_selectorELNS0_4arch9wavefront6targetE1EEEvT1_,"axG",@progbits,_ZN7rocprim17ROCPRIM_400000_NS6detail17trampoline_kernelINS0_14default_configENS1_35adjacent_difference_config_selectorILb0EsEEZNS1_24adjacent_difference_implIS3_Lb0ELb0EPKsPsN6thrust23THRUST_200600_302600_NS4plusIsEEEE10hipError_tPvRmT2_T3_mT4_P12ihipStream_tbEUlT_E_NS1_11comp_targetILNS1_3genE0ELNS1_11target_archE4294967295ELNS1_3gpuE0ELNS1_3repE0EEENS1_30default_config_static_selectorELNS0_4arch9wavefront6targetE1EEEvT1_,comdat
	.protected	_ZN7rocprim17ROCPRIM_400000_NS6detail17trampoline_kernelINS0_14default_configENS1_35adjacent_difference_config_selectorILb0EsEEZNS1_24adjacent_difference_implIS3_Lb0ELb0EPKsPsN6thrust23THRUST_200600_302600_NS4plusIsEEEE10hipError_tPvRmT2_T3_mT4_P12ihipStream_tbEUlT_E_NS1_11comp_targetILNS1_3genE0ELNS1_11target_archE4294967295ELNS1_3gpuE0ELNS1_3repE0EEENS1_30default_config_static_selectorELNS0_4arch9wavefront6targetE1EEEvT1_ ; -- Begin function _ZN7rocprim17ROCPRIM_400000_NS6detail17trampoline_kernelINS0_14default_configENS1_35adjacent_difference_config_selectorILb0EsEEZNS1_24adjacent_difference_implIS3_Lb0ELb0EPKsPsN6thrust23THRUST_200600_302600_NS4plusIsEEEE10hipError_tPvRmT2_T3_mT4_P12ihipStream_tbEUlT_E_NS1_11comp_targetILNS1_3genE0ELNS1_11target_archE4294967295ELNS1_3gpuE0ELNS1_3repE0EEENS1_30default_config_static_selectorELNS0_4arch9wavefront6targetE1EEEvT1_
	.globl	_ZN7rocprim17ROCPRIM_400000_NS6detail17trampoline_kernelINS0_14default_configENS1_35adjacent_difference_config_selectorILb0EsEEZNS1_24adjacent_difference_implIS3_Lb0ELb0EPKsPsN6thrust23THRUST_200600_302600_NS4plusIsEEEE10hipError_tPvRmT2_T3_mT4_P12ihipStream_tbEUlT_E_NS1_11comp_targetILNS1_3genE0ELNS1_11target_archE4294967295ELNS1_3gpuE0ELNS1_3repE0EEENS1_30default_config_static_selectorELNS0_4arch9wavefront6targetE1EEEvT1_
	.p2align	8
	.type	_ZN7rocprim17ROCPRIM_400000_NS6detail17trampoline_kernelINS0_14default_configENS1_35adjacent_difference_config_selectorILb0EsEEZNS1_24adjacent_difference_implIS3_Lb0ELb0EPKsPsN6thrust23THRUST_200600_302600_NS4plusIsEEEE10hipError_tPvRmT2_T3_mT4_P12ihipStream_tbEUlT_E_NS1_11comp_targetILNS1_3genE0ELNS1_11target_archE4294967295ELNS1_3gpuE0ELNS1_3repE0EEENS1_30default_config_static_selectorELNS0_4arch9wavefront6targetE1EEEvT1_,@function
_ZN7rocprim17ROCPRIM_400000_NS6detail17trampoline_kernelINS0_14default_configENS1_35adjacent_difference_config_selectorILb0EsEEZNS1_24adjacent_difference_implIS3_Lb0ELb0EPKsPsN6thrust23THRUST_200600_302600_NS4plusIsEEEE10hipError_tPvRmT2_T3_mT4_P12ihipStream_tbEUlT_E_NS1_11comp_targetILNS1_3genE0ELNS1_11target_archE4294967295ELNS1_3gpuE0ELNS1_3repE0EEENS1_30default_config_static_selectorELNS0_4arch9wavefront6targetE1EEEvT1_: ; @_ZN7rocprim17ROCPRIM_400000_NS6detail17trampoline_kernelINS0_14default_configENS1_35adjacent_difference_config_selectorILb0EsEEZNS1_24adjacent_difference_implIS3_Lb0ELb0EPKsPsN6thrust23THRUST_200600_302600_NS4plusIsEEEE10hipError_tPvRmT2_T3_mT4_P12ihipStream_tbEUlT_E_NS1_11comp_targetILNS1_3genE0ELNS1_11target_archE4294967295ELNS1_3gpuE0ELNS1_3repE0EEENS1_30default_config_static_selectorELNS0_4arch9wavefront6targetE1EEEvT1_
; %bb.0:
	.section	.rodata,"a",@progbits
	.p2align	6, 0x0
	.amdhsa_kernel _ZN7rocprim17ROCPRIM_400000_NS6detail17trampoline_kernelINS0_14default_configENS1_35adjacent_difference_config_selectorILb0EsEEZNS1_24adjacent_difference_implIS3_Lb0ELb0EPKsPsN6thrust23THRUST_200600_302600_NS4plusIsEEEE10hipError_tPvRmT2_T3_mT4_P12ihipStream_tbEUlT_E_NS1_11comp_targetILNS1_3genE0ELNS1_11target_archE4294967295ELNS1_3gpuE0ELNS1_3repE0EEENS1_30default_config_static_selectorELNS0_4arch9wavefront6targetE1EEEvT1_
		.amdhsa_group_segment_fixed_size 0
		.amdhsa_private_segment_fixed_size 0
		.amdhsa_kernarg_size 56
		.amdhsa_user_sgpr_count 6
		.amdhsa_user_sgpr_private_segment_buffer 1
		.amdhsa_user_sgpr_dispatch_ptr 0
		.amdhsa_user_sgpr_queue_ptr 0
		.amdhsa_user_sgpr_kernarg_segment_ptr 1
		.amdhsa_user_sgpr_dispatch_id 0
		.amdhsa_user_sgpr_flat_scratch_init 0
		.amdhsa_user_sgpr_private_segment_size 0
		.amdhsa_uses_dynamic_stack 0
		.amdhsa_system_sgpr_private_segment_wavefront_offset 0
		.amdhsa_system_sgpr_workgroup_id_x 1
		.amdhsa_system_sgpr_workgroup_id_y 0
		.amdhsa_system_sgpr_workgroup_id_z 0
		.amdhsa_system_sgpr_workgroup_info 0
		.amdhsa_system_vgpr_workitem_id 0
		.amdhsa_next_free_vgpr 1
		.amdhsa_next_free_sgpr 0
		.amdhsa_reserve_vcc 0
		.amdhsa_reserve_flat_scratch 0
		.amdhsa_float_round_mode_32 0
		.amdhsa_float_round_mode_16_64 0
		.amdhsa_float_denorm_mode_32 3
		.amdhsa_float_denorm_mode_16_64 3
		.amdhsa_dx10_clamp 1
		.amdhsa_ieee_mode 1
		.amdhsa_fp16_overflow 0
		.amdhsa_exception_fp_ieee_invalid_op 0
		.amdhsa_exception_fp_denorm_src 0
		.amdhsa_exception_fp_ieee_div_zero 0
		.amdhsa_exception_fp_ieee_overflow 0
		.amdhsa_exception_fp_ieee_underflow 0
		.amdhsa_exception_fp_ieee_inexact 0
		.amdhsa_exception_int_div_zero 0
	.end_amdhsa_kernel
	.section	.text._ZN7rocprim17ROCPRIM_400000_NS6detail17trampoline_kernelINS0_14default_configENS1_35adjacent_difference_config_selectorILb0EsEEZNS1_24adjacent_difference_implIS3_Lb0ELb0EPKsPsN6thrust23THRUST_200600_302600_NS4plusIsEEEE10hipError_tPvRmT2_T3_mT4_P12ihipStream_tbEUlT_E_NS1_11comp_targetILNS1_3genE0ELNS1_11target_archE4294967295ELNS1_3gpuE0ELNS1_3repE0EEENS1_30default_config_static_selectorELNS0_4arch9wavefront6targetE1EEEvT1_,"axG",@progbits,_ZN7rocprim17ROCPRIM_400000_NS6detail17trampoline_kernelINS0_14default_configENS1_35adjacent_difference_config_selectorILb0EsEEZNS1_24adjacent_difference_implIS3_Lb0ELb0EPKsPsN6thrust23THRUST_200600_302600_NS4plusIsEEEE10hipError_tPvRmT2_T3_mT4_P12ihipStream_tbEUlT_E_NS1_11comp_targetILNS1_3genE0ELNS1_11target_archE4294967295ELNS1_3gpuE0ELNS1_3repE0EEENS1_30default_config_static_selectorELNS0_4arch9wavefront6targetE1EEEvT1_,comdat
.Lfunc_end748:
	.size	_ZN7rocprim17ROCPRIM_400000_NS6detail17trampoline_kernelINS0_14default_configENS1_35adjacent_difference_config_selectorILb0EsEEZNS1_24adjacent_difference_implIS3_Lb0ELb0EPKsPsN6thrust23THRUST_200600_302600_NS4plusIsEEEE10hipError_tPvRmT2_T3_mT4_P12ihipStream_tbEUlT_E_NS1_11comp_targetILNS1_3genE0ELNS1_11target_archE4294967295ELNS1_3gpuE0ELNS1_3repE0EEENS1_30default_config_static_selectorELNS0_4arch9wavefront6targetE1EEEvT1_, .Lfunc_end748-_ZN7rocprim17ROCPRIM_400000_NS6detail17trampoline_kernelINS0_14default_configENS1_35adjacent_difference_config_selectorILb0EsEEZNS1_24adjacent_difference_implIS3_Lb0ELb0EPKsPsN6thrust23THRUST_200600_302600_NS4plusIsEEEE10hipError_tPvRmT2_T3_mT4_P12ihipStream_tbEUlT_E_NS1_11comp_targetILNS1_3genE0ELNS1_11target_archE4294967295ELNS1_3gpuE0ELNS1_3repE0EEENS1_30default_config_static_selectorELNS0_4arch9wavefront6targetE1EEEvT1_
                                        ; -- End function
	.set _ZN7rocprim17ROCPRIM_400000_NS6detail17trampoline_kernelINS0_14default_configENS1_35adjacent_difference_config_selectorILb0EsEEZNS1_24adjacent_difference_implIS3_Lb0ELb0EPKsPsN6thrust23THRUST_200600_302600_NS4plusIsEEEE10hipError_tPvRmT2_T3_mT4_P12ihipStream_tbEUlT_E_NS1_11comp_targetILNS1_3genE0ELNS1_11target_archE4294967295ELNS1_3gpuE0ELNS1_3repE0EEENS1_30default_config_static_selectorELNS0_4arch9wavefront6targetE1EEEvT1_.num_vgpr, 0
	.set _ZN7rocprim17ROCPRIM_400000_NS6detail17trampoline_kernelINS0_14default_configENS1_35adjacent_difference_config_selectorILb0EsEEZNS1_24adjacent_difference_implIS3_Lb0ELb0EPKsPsN6thrust23THRUST_200600_302600_NS4plusIsEEEE10hipError_tPvRmT2_T3_mT4_P12ihipStream_tbEUlT_E_NS1_11comp_targetILNS1_3genE0ELNS1_11target_archE4294967295ELNS1_3gpuE0ELNS1_3repE0EEENS1_30default_config_static_selectorELNS0_4arch9wavefront6targetE1EEEvT1_.num_agpr, 0
	.set _ZN7rocprim17ROCPRIM_400000_NS6detail17trampoline_kernelINS0_14default_configENS1_35adjacent_difference_config_selectorILb0EsEEZNS1_24adjacent_difference_implIS3_Lb0ELb0EPKsPsN6thrust23THRUST_200600_302600_NS4plusIsEEEE10hipError_tPvRmT2_T3_mT4_P12ihipStream_tbEUlT_E_NS1_11comp_targetILNS1_3genE0ELNS1_11target_archE4294967295ELNS1_3gpuE0ELNS1_3repE0EEENS1_30default_config_static_selectorELNS0_4arch9wavefront6targetE1EEEvT1_.numbered_sgpr, 0
	.set _ZN7rocprim17ROCPRIM_400000_NS6detail17trampoline_kernelINS0_14default_configENS1_35adjacent_difference_config_selectorILb0EsEEZNS1_24adjacent_difference_implIS3_Lb0ELb0EPKsPsN6thrust23THRUST_200600_302600_NS4plusIsEEEE10hipError_tPvRmT2_T3_mT4_P12ihipStream_tbEUlT_E_NS1_11comp_targetILNS1_3genE0ELNS1_11target_archE4294967295ELNS1_3gpuE0ELNS1_3repE0EEENS1_30default_config_static_selectorELNS0_4arch9wavefront6targetE1EEEvT1_.num_named_barrier, 0
	.set _ZN7rocprim17ROCPRIM_400000_NS6detail17trampoline_kernelINS0_14default_configENS1_35adjacent_difference_config_selectorILb0EsEEZNS1_24adjacent_difference_implIS3_Lb0ELb0EPKsPsN6thrust23THRUST_200600_302600_NS4plusIsEEEE10hipError_tPvRmT2_T3_mT4_P12ihipStream_tbEUlT_E_NS1_11comp_targetILNS1_3genE0ELNS1_11target_archE4294967295ELNS1_3gpuE0ELNS1_3repE0EEENS1_30default_config_static_selectorELNS0_4arch9wavefront6targetE1EEEvT1_.private_seg_size, 0
	.set _ZN7rocprim17ROCPRIM_400000_NS6detail17trampoline_kernelINS0_14default_configENS1_35adjacent_difference_config_selectorILb0EsEEZNS1_24adjacent_difference_implIS3_Lb0ELb0EPKsPsN6thrust23THRUST_200600_302600_NS4plusIsEEEE10hipError_tPvRmT2_T3_mT4_P12ihipStream_tbEUlT_E_NS1_11comp_targetILNS1_3genE0ELNS1_11target_archE4294967295ELNS1_3gpuE0ELNS1_3repE0EEENS1_30default_config_static_selectorELNS0_4arch9wavefront6targetE1EEEvT1_.uses_vcc, 0
	.set _ZN7rocprim17ROCPRIM_400000_NS6detail17trampoline_kernelINS0_14default_configENS1_35adjacent_difference_config_selectorILb0EsEEZNS1_24adjacent_difference_implIS3_Lb0ELb0EPKsPsN6thrust23THRUST_200600_302600_NS4plusIsEEEE10hipError_tPvRmT2_T3_mT4_P12ihipStream_tbEUlT_E_NS1_11comp_targetILNS1_3genE0ELNS1_11target_archE4294967295ELNS1_3gpuE0ELNS1_3repE0EEENS1_30default_config_static_selectorELNS0_4arch9wavefront6targetE1EEEvT1_.uses_flat_scratch, 0
	.set _ZN7rocprim17ROCPRIM_400000_NS6detail17trampoline_kernelINS0_14default_configENS1_35adjacent_difference_config_selectorILb0EsEEZNS1_24adjacent_difference_implIS3_Lb0ELb0EPKsPsN6thrust23THRUST_200600_302600_NS4plusIsEEEE10hipError_tPvRmT2_T3_mT4_P12ihipStream_tbEUlT_E_NS1_11comp_targetILNS1_3genE0ELNS1_11target_archE4294967295ELNS1_3gpuE0ELNS1_3repE0EEENS1_30default_config_static_selectorELNS0_4arch9wavefront6targetE1EEEvT1_.has_dyn_sized_stack, 0
	.set _ZN7rocprim17ROCPRIM_400000_NS6detail17trampoline_kernelINS0_14default_configENS1_35adjacent_difference_config_selectorILb0EsEEZNS1_24adjacent_difference_implIS3_Lb0ELb0EPKsPsN6thrust23THRUST_200600_302600_NS4plusIsEEEE10hipError_tPvRmT2_T3_mT4_P12ihipStream_tbEUlT_E_NS1_11comp_targetILNS1_3genE0ELNS1_11target_archE4294967295ELNS1_3gpuE0ELNS1_3repE0EEENS1_30default_config_static_selectorELNS0_4arch9wavefront6targetE1EEEvT1_.has_recursion, 0
	.set _ZN7rocprim17ROCPRIM_400000_NS6detail17trampoline_kernelINS0_14default_configENS1_35adjacent_difference_config_selectorILb0EsEEZNS1_24adjacent_difference_implIS3_Lb0ELb0EPKsPsN6thrust23THRUST_200600_302600_NS4plusIsEEEE10hipError_tPvRmT2_T3_mT4_P12ihipStream_tbEUlT_E_NS1_11comp_targetILNS1_3genE0ELNS1_11target_archE4294967295ELNS1_3gpuE0ELNS1_3repE0EEENS1_30default_config_static_selectorELNS0_4arch9wavefront6targetE1EEEvT1_.has_indirect_call, 0
	.section	.AMDGPU.csdata,"",@progbits
; Kernel info:
; codeLenInByte = 0
; TotalNumSgprs: 4
; NumVgprs: 0
; ScratchSize: 0
; MemoryBound: 0
; FloatMode: 240
; IeeeMode: 1
; LDSByteSize: 0 bytes/workgroup (compile time only)
; SGPRBlocks: 0
; VGPRBlocks: 0
; NumSGPRsForWavesPerEU: 4
; NumVGPRsForWavesPerEU: 1
; Occupancy: 10
; WaveLimiterHint : 0
; COMPUTE_PGM_RSRC2:SCRATCH_EN: 0
; COMPUTE_PGM_RSRC2:USER_SGPR: 6
; COMPUTE_PGM_RSRC2:TRAP_HANDLER: 0
; COMPUTE_PGM_RSRC2:TGID_X_EN: 1
; COMPUTE_PGM_RSRC2:TGID_Y_EN: 0
; COMPUTE_PGM_RSRC2:TGID_Z_EN: 0
; COMPUTE_PGM_RSRC2:TIDIG_COMP_CNT: 0
	.section	.text._ZN7rocprim17ROCPRIM_400000_NS6detail17trampoline_kernelINS0_14default_configENS1_35adjacent_difference_config_selectorILb0EsEEZNS1_24adjacent_difference_implIS3_Lb0ELb0EPKsPsN6thrust23THRUST_200600_302600_NS4plusIsEEEE10hipError_tPvRmT2_T3_mT4_P12ihipStream_tbEUlT_E_NS1_11comp_targetILNS1_3genE10ELNS1_11target_archE1201ELNS1_3gpuE5ELNS1_3repE0EEENS1_30default_config_static_selectorELNS0_4arch9wavefront6targetE1EEEvT1_,"axG",@progbits,_ZN7rocprim17ROCPRIM_400000_NS6detail17trampoline_kernelINS0_14default_configENS1_35adjacent_difference_config_selectorILb0EsEEZNS1_24adjacent_difference_implIS3_Lb0ELb0EPKsPsN6thrust23THRUST_200600_302600_NS4plusIsEEEE10hipError_tPvRmT2_T3_mT4_P12ihipStream_tbEUlT_E_NS1_11comp_targetILNS1_3genE10ELNS1_11target_archE1201ELNS1_3gpuE5ELNS1_3repE0EEENS1_30default_config_static_selectorELNS0_4arch9wavefront6targetE1EEEvT1_,comdat
	.protected	_ZN7rocprim17ROCPRIM_400000_NS6detail17trampoline_kernelINS0_14default_configENS1_35adjacent_difference_config_selectorILb0EsEEZNS1_24adjacent_difference_implIS3_Lb0ELb0EPKsPsN6thrust23THRUST_200600_302600_NS4plusIsEEEE10hipError_tPvRmT2_T3_mT4_P12ihipStream_tbEUlT_E_NS1_11comp_targetILNS1_3genE10ELNS1_11target_archE1201ELNS1_3gpuE5ELNS1_3repE0EEENS1_30default_config_static_selectorELNS0_4arch9wavefront6targetE1EEEvT1_ ; -- Begin function _ZN7rocprim17ROCPRIM_400000_NS6detail17trampoline_kernelINS0_14default_configENS1_35adjacent_difference_config_selectorILb0EsEEZNS1_24adjacent_difference_implIS3_Lb0ELb0EPKsPsN6thrust23THRUST_200600_302600_NS4plusIsEEEE10hipError_tPvRmT2_T3_mT4_P12ihipStream_tbEUlT_E_NS1_11comp_targetILNS1_3genE10ELNS1_11target_archE1201ELNS1_3gpuE5ELNS1_3repE0EEENS1_30default_config_static_selectorELNS0_4arch9wavefront6targetE1EEEvT1_
	.globl	_ZN7rocprim17ROCPRIM_400000_NS6detail17trampoline_kernelINS0_14default_configENS1_35adjacent_difference_config_selectorILb0EsEEZNS1_24adjacent_difference_implIS3_Lb0ELb0EPKsPsN6thrust23THRUST_200600_302600_NS4plusIsEEEE10hipError_tPvRmT2_T3_mT4_P12ihipStream_tbEUlT_E_NS1_11comp_targetILNS1_3genE10ELNS1_11target_archE1201ELNS1_3gpuE5ELNS1_3repE0EEENS1_30default_config_static_selectorELNS0_4arch9wavefront6targetE1EEEvT1_
	.p2align	8
	.type	_ZN7rocprim17ROCPRIM_400000_NS6detail17trampoline_kernelINS0_14default_configENS1_35adjacent_difference_config_selectorILb0EsEEZNS1_24adjacent_difference_implIS3_Lb0ELb0EPKsPsN6thrust23THRUST_200600_302600_NS4plusIsEEEE10hipError_tPvRmT2_T3_mT4_P12ihipStream_tbEUlT_E_NS1_11comp_targetILNS1_3genE10ELNS1_11target_archE1201ELNS1_3gpuE5ELNS1_3repE0EEENS1_30default_config_static_selectorELNS0_4arch9wavefront6targetE1EEEvT1_,@function
_ZN7rocprim17ROCPRIM_400000_NS6detail17trampoline_kernelINS0_14default_configENS1_35adjacent_difference_config_selectorILb0EsEEZNS1_24adjacent_difference_implIS3_Lb0ELb0EPKsPsN6thrust23THRUST_200600_302600_NS4plusIsEEEE10hipError_tPvRmT2_T3_mT4_P12ihipStream_tbEUlT_E_NS1_11comp_targetILNS1_3genE10ELNS1_11target_archE1201ELNS1_3gpuE5ELNS1_3repE0EEENS1_30default_config_static_selectorELNS0_4arch9wavefront6targetE1EEEvT1_: ; @_ZN7rocprim17ROCPRIM_400000_NS6detail17trampoline_kernelINS0_14default_configENS1_35adjacent_difference_config_selectorILb0EsEEZNS1_24adjacent_difference_implIS3_Lb0ELb0EPKsPsN6thrust23THRUST_200600_302600_NS4plusIsEEEE10hipError_tPvRmT2_T3_mT4_P12ihipStream_tbEUlT_E_NS1_11comp_targetILNS1_3genE10ELNS1_11target_archE1201ELNS1_3gpuE5ELNS1_3repE0EEENS1_30default_config_static_selectorELNS0_4arch9wavefront6targetE1EEEvT1_
; %bb.0:
	.section	.rodata,"a",@progbits
	.p2align	6, 0x0
	.amdhsa_kernel _ZN7rocprim17ROCPRIM_400000_NS6detail17trampoline_kernelINS0_14default_configENS1_35adjacent_difference_config_selectorILb0EsEEZNS1_24adjacent_difference_implIS3_Lb0ELb0EPKsPsN6thrust23THRUST_200600_302600_NS4plusIsEEEE10hipError_tPvRmT2_T3_mT4_P12ihipStream_tbEUlT_E_NS1_11comp_targetILNS1_3genE10ELNS1_11target_archE1201ELNS1_3gpuE5ELNS1_3repE0EEENS1_30default_config_static_selectorELNS0_4arch9wavefront6targetE1EEEvT1_
		.amdhsa_group_segment_fixed_size 0
		.amdhsa_private_segment_fixed_size 0
		.amdhsa_kernarg_size 56
		.amdhsa_user_sgpr_count 6
		.amdhsa_user_sgpr_private_segment_buffer 1
		.amdhsa_user_sgpr_dispatch_ptr 0
		.amdhsa_user_sgpr_queue_ptr 0
		.amdhsa_user_sgpr_kernarg_segment_ptr 1
		.amdhsa_user_sgpr_dispatch_id 0
		.amdhsa_user_sgpr_flat_scratch_init 0
		.amdhsa_user_sgpr_private_segment_size 0
		.amdhsa_uses_dynamic_stack 0
		.amdhsa_system_sgpr_private_segment_wavefront_offset 0
		.amdhsa_system_sgpr_workgroup_id_x 1
		.amdhsa_system_sgpr_workgroup_id_y 0
		.amdhsa_system_sgpr_workgroup_id_z 0
		.amdhsa_system_sgpr_workgroup_info 0
		.amdhsa_system_vgpr_workitem_id 0
		.amdhsa_next_free_vgpr 1
		.amdhsa_next_free_sgpr 0
		.amdhsa_reserve_vcc 0
		.amdhsa_reserve_flat_scratch 0
		.amdhsa_float_round_mode_32 0
		.amdhsa_float_round_mode_16_64 0
		.amdhsa_float_denorm_mode_32 3
		.amdhsa_float_denorm_mode_16_64 3
		.amdhsa_dx10_clamp 1
		.amdhsa_ieee_mode 1
		.amdhsa_fp16_overflow 0
		.amdhsa_exception_fp_ieee_invalid_op 0
		.amdhsa_exception_fp_denorm_src 0
		.amdhsa_exception_fp_ieee_div_zero 0
		.amdhsa_exception_fp_ieee_overflow 0
		.amdhsa_exception_fp_ieee_underflow 0
		.amdhsa_exception_fp_ieee_inexact 0
		.amdhsa_exception_int_div_zero 0
	.end_amdhsa_kernel
	.section	.text._ZN7rocprim17ROCPRIM_400000_NS6detail17trampoline_kernelINS0_14default_configENS1_35adjacent_difference_config_selectorILb0EsEEZNS1_24adjacent_difference_implIS3_Lb0ELb0EPKsPsN6thrust23THRUST_200600_302600_NS4plusIsEEEE10hipError_tPvRmT2_T3_mT4_P12ihipStream_tbEUlT_E_NS1_11comp_targetILNS1_3genE10ELNS1_11target_archE1201ELNS1_3gpuE5ELNS1_3repE0EEENS1_30default_config_static_selectorELNS0_4arch9wavefront6targetE1EEEvT1_,"axG",@progbits,_ZN7rocprim17ROCPRIM_400000_NS6detail17trampoline_kernelINS0_14default_configENS1_35adjacent_difference_config_selectorILb0EsEEZNS1_24adjacent_difference_implIS3_Lb0ELb0EPKsPsN6thrust23THRUST_200600_302600_NS4plusIsEEEE10hipError_tPvRmT2_T3_mT4_P12ihipStream_tbEUlT_E_NS1_11comp_targetILNS1_3genE10ELNS1_11target_archE1201ELNS1_3gpuE5ELNS1_3repE0EEENS1_30default_config_static_selectorELNS0_4arch9wavefront6targetE1EEEvT1_,comdat
.Lfunc_end749:
	.size	_ZN7rocprim17ROCPRIM_400000_NS6detail17trampoline_kernelINS0_14default_configENS1_35adjacent_difference_config_selectorILb0EsEEZNS1_24adjacent_difference_implIS3_Lb0ELb0EPKsPsN6thrust23THRUST_200600_302600_NS4plusIsEEEE10hipError_tPvRmT2_T3_mT4_P12ihipStream_tbEUlT_E_NS1_11comp_targetILNS1_3genE10ELNS1_11target_archE1201ELNS1_3gpuE5ELNS1_3repE0EEENS1_30default_config_static_selectorELNS0_4arch9wavefront6targetE1EEEvT1_, .Lfunc_end749-_ZN7rocprim17ROCPRIM_400000_NS6detail17trampoline_kernelINS0_14default_configENS1_35adjacent_difference_config_selectorILb0EsEEZNS1_24adjacent_difference_implIS3_Lb0ELb0EPKsPsN6thrust23THRUST_200600_302600_NS4plusIsEEEE10hipError_tPvRmT2_T3_mT4_P12ihipStream_tbEUlT_E_NS1_11comp_targetILNS1_3genE10ELNS1_11target_archE1201ELNS1_3gpuE5ELNS1_3repE0EEENS1_30default_config_static_selectorELNS0_4arch9wavefront6targetE1EEEvT1_
                                        ; -- End function
	.set _ZN7rocprim17ROCPRIM_400000_NS6detail17trampoline_kernelINS0_14default_configENS1_35adjacent_difference_config_selectorILb0EsEEZNS1_24adjacent_difference_implIS3_Lb0ELb0EPKsPsN6thrust23THRUST_200600_302600_NS4plusIsEEEE10hipError_tPvRmT2_T3_mT4_P12ihipStream_tbEUlT_E_NS1_11comp_targetILNS1_3genE10ELNS1_11target_archE1201ELNS1_3gpuE5ELNS1_3repE0EEENS1_30default_config_static_selectorELNS0_4arch9wavefront6targetE1EEEvT1_.num_vgpr, 0
	.set _ZN7rocprim17ROCPRIM_400000_NS6detail17trampoline_kernelINS0_14default_configENS1_35adjacent_difference_config_selectorILb0EsEEZNS1_24adjacent_difference_implIS3_Lb0ELb0EPKsPsN6thrust23THRUST_200600_302600_NS4plusIsEEEE10hipError_tPvRmT2_T3_mT4_P12ihipStream_tbEUlT_E_NS1_11comp_targetILNS1_3genE10ELNS1_11target_archE1201ELNS1_3gpuE5ELNS1_3repE0EEENS1_30default_config_static_selectorELNS0_4arch9wavefront6targetE1EEEvT1_.num_agpr, 0
	.set _ZN7rocprim17ROCPRIM_400000_NS6detail17trampoline_kernelINS0_14default_configENS1_35adjacent_difference_config_selectorILb0EsEEZNS1_24adjacent_difference_implIS3_Lb0ELb0EPKsPsN6thrust23THRUST_200600_302600_NS4plusIsEEEE10hipError_tPvRmT2_T3_mT4_P12ihipStream_tbEUlT_E_NS1_11comp_targetILNS1_3genE10ELNS1_11target_archE1201ELNS1_3gpuE5ELNS1_3repE0EEENS1_30default_config_static_selectorELNS0_4arch9wavefront6targetE1EEEvT1_.numbered_sgpr, 0
	.set _ZN7rocprim17ROCPRIM_400000_NS6detail17trampoline_kernelINS0_14default_configENS1_35adjacent_difference_config_selectorILb0EsEEZNS1_24adjacent_difference_implIS3_Lb0ELb0EPKsPsN6thrust23THRUST_200600_302600_NS4plusIsEEEE10hipError_tPvRmT2_T3_mT4_P12ihipStream_tbEUlT_E_NS1_11comp_targetILNS1_3genE10ELNS1_11target_archE1201ELNS1_3gpuE5ELNS1_3repE0EEENS1_30default_config_static_selectorELNS0_4arch9wavefront6targetE1EEEvT1_.num_named_barrier, 0
	.set _ZN7rocprim17ROCPRIM_400000_NS6detail17trampoline_kernelINS0_14default_configENS1_35adjacent_difference_config_selectorILb0EsEEZNS1_24adjacent_difference_implIS3_Lb0ELb0EPKsPsN6thrust23THRUST_200600_302600_NS4plusIsEEEE10hipError_tPvRmT2_T3_mT4_P12ihipStream_tbEUlT_E_NS1_11comp_targetILNS1_3genE10ELNS1_11target_archE1201ELNS1_3gpuE5ELNS1_3repE0EEENS1_30default_config_static_selectorELNS0_4arch9wavefront6targetE1EEEvT1_.private_seg_size, 0
	.set _ZN7rocprim17ROCPRIM_400000_NS6detail17trampoline_kernelINS0_14default_configENS1_35adjacent_difference_config_selectorILb0EsEEZNS1_24adjacent_difference_implIS3_Lb0ELb0EPKsPsN6thrust23THRUST_200600_302600_NS4plusIsEEEE10hipError_tPvRmT2_T3_mT4_P12ihipStream_tbEUlT_E_NS1_11comp_targetILNS1_3genE10ELNS1_11target_archE1201ELNS1_3gpuE5ELNS1_3repE0EEENS1_30default_config_static_selectorELNS0_4arch9wavefront6targetE1EEEvT1_.uses_vcc, 0
	.set _ZN7rocprim17ROCPRIM_400000_NS6detail17trampoline_kernelINS0_14default_configENS1_35adjacent_difference_config_selectorILb0EsEEZNS1_24adjacent_difference_implIS3_Lb0ELb0EPKsPsN6thrust23THRUST_200600_302600_NS4plusIsEEEE10hipError_tPvRmT2_T3_mT4_P12ihipStream_tbEUlT_E_NS1_11comp_targetILNS1_3genE10ELNS1_11target_archE1201ELNS1_3gpuE5ELNS1_3repE0EEENS1_30default_config_static_selectorELNS0_4arch9wavefront6targetE1EEEvT1_.uses_flat_scratch, 0
	.set _ZN7rocprim17ROCPRIM_400000_NS6detail17trampoline_kernelINS0_14default_configENS1_35adjacent_difference_config_selectorILb0EsEEZNS1_24adjacent_difference_implIS3_Lb0ELb0EPKsPsN6thrust23THRUST_200600_302600_NS4plusIsEEEE10hipError_tPvRmT2_T3_mT4_P12ihipStream_tbEUlT_E_NS1_11comp_targetILNS1_3genE10ELNS1_11target_archE1201ELNS1_3gpuE5ELNS1_3repE0EEENS1_30default_config_static_selectorELNS0_4arch9wavefront6targetE1EEEvT1_.has_dyn_sized_stack, 0
	.set _ZN7rocprim17ROCPRIM_400000_NS6detail17trampoline_kernelINS0_14default_configENS1_35adjacent_difference_config_selectorILb0EsEEZNS1_24adjacent_difference_implIS3_Lb0ELb0EPKsPsN6thrust23THRUST_200600_302600_NS4plusIsEEEE10hipError_tPvRmT2_T3_mT4_P12ihipStream_tbEUlT_E_NS1_11comp_targetILNS1_3genE10ELNS1_11target_archE1201ELNS1_3gpuE5ELNS1_3repE0EEENS1_30default_config_static_selectorELNS0_4arch9wavefront6targetE1EEEvT1_.has_recursion, 0
	.set _ZN7rocprim17ROCPRIM_400000_NS6detail17trampoline_kernelINS0_14default_configENS1_35adjacent_difference_config_selectorILb0EsEEZNS1_24adjacent_difference_implIS3_Lb0ELb0EPKsPsN6thrust23THRUST_200600_302600_NS4plusIsEEEE10hipError_tPvRmT2_T3_mT4_P12ihipStream_tbEUlT_E_NS1_11comp_targetILNS1_3genE10ELNS1_11target_archE1201ELNS1_3gpuE5ELNS1_3repE0EEENS1_30default_config_static_selectorELNS0_4arch9wavefront6targetE1EEEvT1_.has_indirect_call, 0
	.section	.AMDGPU.csdata,"",@progbits
; Kernel info:
; codeLenInByte = 0
; TotalNumSgprs: 4
; NumVgprs: 0
; ScratchSize: 0
; MemoryBound: 0
; FloatMode: 240
; IeeeMode: 1
; LDSByteSize: 0 bytes/workgroup (compile time only)
; SGPRBlocks: 0
; VGPRBlocks: 0
; NumSGPRsForWavesPerEU: 4
; NumVGPRsForWavesPerEU: 1
; Occupancy: 10
; WaveLimiterHint : 0
; COMPUTE_PGM_RSRC2:SCRATCH_EN: 0
; COMPUTE_PGM_RSRC2:USER_SGPR: 6
; COMPUTE_PGM_RSRC2:TRAP_HANDLER: 0
; COMPUTE_PGM_RSRC2:TGID_X_EN: 1
; COMPUTE_PGM_RSRC2:TGID_Y_EN: 0
; COMPUTE_PGM_RSRC2:TGID_Z_EN: 0
; COMPUTE_PGM_RSRC2:TIDIG_COMP_CNT: 0
	.section	.text._ZN7rocprim17ROCPRIM_400000_NS6detail17trampoline_kernelINS0_14default_configENS1_35adjacent_difference_config_selectorILb0EsEEZNS1_24adjacent_difference_implIS3_Lb0ELb0EPKsPsN6thrust23THRUST_200600_302600_NS4plusIsEEEE10hipError_tPvRmT2_T3_mT4_P12ihipStream_tbEUlT_E_NS1_11comp_targetILNS1_3genE5ELNS1_11target_archE942ELNS1_3gpuE9ELNS1_3repE0EEENS1_30default_config_static_selectorELNS0_4arch9wavefront6targetE1EEEvT1_,"axG",@progbits,_ZN7rocprim17ROCPRIM_400000_NS6detail17trampoline_kernelINS0_14default_configENS1_35adjacent_difference_config_selectorILb0EsEEZNS1_24adjacent_difference_implIS3_Lb0ELb0EPKsPsN6thrust23THRUST_200600_302600_NS4plusIsEEEE10hipError_tPvRmT2_T3_mT4_P12ihipStream_tbEUlT_E_NS1_11comp_targetILNS1_3genE5ELNS1_11target_archE942ELNS1_3gpuE9ELNS1_3repE0EEENS1_30default_config_static_selectorELNS0_4arch9wavefront6targetE1EEEvT1_,comdat
	.protected	_ZN7rocprim17ROCPRIM_400000_NS6detail17trampoline_kernelINS0_14default_configENS1_35adjacent_difference_config_selectorILb0EsEEZNS1_24adjacent_difference_implIS3_Lb0ELb0EPKsPsN6thrust23THRUST_200600_302600_NS4plusIsEEEE10hipError_tPvRmT2_T3_mT4_P12ihipStream_tbEUlT_E_NS1_11comp_targetILNS1_3genE5ELNS1_11target_archE942ELNS1_3gpuE9ELNS1_3repE0EEENS1_30default_config_static_selectorELNS0_4arch9wavefront6targetE1EEEvT1_ ; -- Begin function _ZN7rocprim17ROCPRIM_400000_NS6detail17trampoline_kernelINS0_14default_configENS1_35adjacent_difference_config_selectorILb0EsEEZNS1_24adjacent_difference_implIS3_Lb0ELb0EPKsPsN6thrust23THRUST_200600_302600_NS4plusIsEEEE10hipError_tPvRmT2_T3_mT4_P12ihipStream_tbEUlT_E_NS1_11comp_targetILNS1_3genE5ELNS1_11target_archE942ELNS1_3gpuE9ELNS1_3repE0EEENS1_30default_config_static_selectorELNS0_4arch9wavefront6targetE1EEEvT1_
	.globl	_ZN7rocprim17ROCPRIM_400000_NS6detail17trampoline_kernelINS0_14default_configENS1_35adjacent_difference_config_selectorILb0EsEEZNS1_24adjacent_difference_implIS3_Lb0ELb0EPKsPsN6thrust23THRUST_200600_302600_NS4plusIsEEEE10hipError_tPvRmT2_T3_mT4_P12ihipStream_tbEUlT_E_NS1_11comp_targetILNS1_3genE5ELNS1_11target_archE942ELNS1_3gpuE9ELNS1_3repE0EEENS1_30default_config_static_selectorELNS0_4arch9wavefront6targetE1EEEvT1_
	.p2align	8
	.type	_ZN7rocprim17ROCPRIM_400000_NS6detail17trampoline_kernelINS0_14default_configENS1_35adjacent_difference_config_selectorILb0EsEEZNS1_24adjacent_difference_implIS3_Lb0ELb0EPKsPsN6thrust23THRUST_200600_302600_NS4plusIsEEEE10hipError_tPvRmT2_T3_mT4_P12ihipStream_tbEUlT_E_NS1_11comp_targetILNS1_3genE5ELNS1_11target_archE942ELNS1_3gpuE9ELNS1_3repE0EEENS1_30default_config_static_selectorELNS0_4arch9wavefront6targetE1EEEvT1_,@function
_ZN7rocprim17ROCPRIM_400000_NS6detail17trampoline_kernelINS0_14default_configENS1_35adjacent_difference_config_selectorILb0EsEEZNS1_24adjacent_difference_implIS3_Lb0ELb0EPKsPsN6thrust23THRUST_200600_302600_NS4plusIsEEEE10hipError_tPvRmT2_T3_mT4_P12ihipStream_tbEUlT_E_NS1_11comp_targetILNS1_3genE5ELNS1_11target_archE942ELNS1_3gpuE9ELNS1_3repE0EEENS1_30default_config_static_selectorELNS0_4arch9wavefront6targetE1EEEvT1_: ; @_ZN7rocprim17ROCPRIM_400000_NS6detail17trampoline_kernelINS0_14default_configENS1_35adjacent_difference_config_selectorILb0EsEEZNS1_24adjacent_difference_implIS3_Lb0ELb0EPKsPsN6thrust23THRUST_200600_302600_NS4plusIsEEEE10hipError_tPvRmT2_T3_mT4_P12ihipStream_tbEUlT_E_NS1_11comp_targetILNS1_3genE5ELNS1_11target_archE942ELNS1_3gpuE9ELNS1_3repE0EEENS1_30default_config_static_selectorELNS0_4arch9wavefront6targetE1EEEvT1_
; %bb.0:
	.section	.rodata,"a",@progbits
	.p2align	6, 0x0
	.amdhsa_kernel _ZN7rocprim17ROCPRIM_400000_NS6detail17trampoline_kernelINS0_14default_configENS1_35adjacent_difference_config_selectorILb0EsEEZNS1_24adjacent_difference_implIS3_Lb0ELb0EPKsPsN6thrust23THRUST_200600_302600_NS4plusIsEEEE10hipError_tPvRmT2_T3_mT4_P12ihipStream_tbEUlT_E_NS1_11comp_targetILNS1_3genE5ELNS1_11target_archE942ELNS1_3gpuE9ELNS1_3repE0EEENS1_30default_config_static_selectorELNS0_4arch9wavefront6targetE1EEEvT1_
		.amdhsa_group_segment_fixed_size 0
		.amdhsa_private_segment_fixed_size 0
		.amdhsa_kernarg_size 56
		.amdhsa_user_sgpr_count 6
		.amdhsa_user_sgpr_private_segment_buffer 1
		.amdhsa_user_sgpr_dispatch_ptr 0
		.amdhsa_user_sgpr_queue_ptr 0
		.amdhsa_user_sgpr_kernarg_segment_ptr 1
		.amdhsa_user_sgpr_dispatch_id 0
		.amdhsa_user_sgpr_flat_scratch_init 0
		.amdhsa_user_sgpr_private_segment_size 0
		.amdhsa_uses_dynamic_stack 0
		.amdhsa_system_sgpr_private_segment_wavefront_offset 0
		.amdhsa_system_sgpr_workgroup_id_x 1
		.amdhsa_system_sgpr_workgroup_id_y 0
		.amdhsa_system_sgpr_workgroup_id_z 0
		.amdhsa_system_sgpr_workgroup_info 0
		.amdhsa_system_vgpr_workitem_id 0
		.amdhsa_next_free_vgpr 1
		.amdhsa_next_free_sgpr 0
		.amdhsa_reserve_vcc 0
		.amdhsa_reserve_flat_scratch 0
		.amdhsa_float_round_mode_32 0
		.amdhsa_float_round_mode_16_64 0
		.amdhsa_float_denorm_mode_32 3
		.amdhsa_float_denorm_mode_16_64 3
		.amdhsa_dx10_clamp 1
		.amdhsa_ieee_mode 1
		.amdhsa_fp16_overflow 0
		.amdhsa_exception_fp_ieee_invalid_op 0
		.amdhsa_exception_fp_denorm_src 0
		.amdhsa_exception_fp_ieee_div_zero 0
		.amdhsa_exception_fp_ieee_overflow 0
		.amdhsa_exception_fp_ieee_underflow 0
		.amdhsa_exception_fp_ieee_inexact 0
		.amdhsa_exception_int_div_zero 0
	.end_amdhsa_kernel
	.section	.text._ZN7rocprim17ROCPRIM_400000_NS6detail17trampoline_kernelINS0_14default_configENS1_35adjacent_difference_config_selectorILb0EsEEZNS1_24adjacent_difference_implIS3_Lb0ELb0EPKsPsN6thrust23THRUST_200600_302600_NS4plusIsEEEE10hipError_tPvRmT2_T3_mT4_P12ihipStream_tbEUlT_E_NS1_11comp_targetILNS1_3genE5ELNS1_11target_archE942ELNS1_3gpuE9ELNS1_3repE0EEENS1_30default_config_static_selectorELNS0_4arch9wavefront6targetE1EEEvT1_,"axG",@progbits,_ZN7rocprim17ROCPRIM_400000_NS6detail17trampoline_kernelINS0_14default_configENS1_35adjacent_difference_config_selectorILb0EsEEZNS1_24adjacent_difference_implIS3_Lb0ELb0EPKsPsN6thrust23THRUST_200600_302600_NS4plusIsEEEE10hipError_tPvRmT2_T3_mT4_P12ihipStream_tbEUlT_E_NS1_11comp_targetILNS1_3genE5ELNS1_11target_archE942ELNS1_3gpuE9ELNS1_3repE0EEENS1_30default_config_static_selectorELNS0_4arch9wavefront6targetE1EEEvT1_,comdat
.Lfunc_end750:
	.size	_ZN7rocprim17ROCPRIM_400000_NS6detail17trampoline_kernelINS0_14default_configENS1_35adjacent_difference_config_selectorILb0EsEEZNS1_24adjacent_difference_implIS3_Lb0ELb0EPKsPsN6thrust23THRUST_200600_302600_NS4plusIsEEEE10hipError_tPvRmT2_T3_mT4_P12ihipStream_tbEUlT_E_NS1_11comp_targetILNS1_3genE5ELNS1_11target_archE942ELNS1_3gpuE9ELNS1_3repE0EEENS1_30default_config_static_selectorELNS0_4arch9wavefront6targetE1EEEvT1_, .Lfunc_end750-_ZN7rocprim17ROCPRIM_400000_NS6detail17trampoline_kernelINS0_14default_configENS1_35adjacent_difference_config_selectorILb0EsEEZNS1_24adjacent_difference_implIS3_Lb0ELb0EPKsPsN6thrust23THRUST_200600_302600_NS4plusIsEEEE10hipError_tPvRmT2_T3_mT4_P12ihipStream_tbEUlT_E_NS1_11comp_targetILNS1_3genE5ELNS1_11target_archE942ELNS1_3gpuE9ELNS1_3repE0EEENS1_30default_config_static_selectorELNS0_4arch9wavefront6targetE1EEEvT1_
                                        ; -- End function
	.set _ZN7rocprim17ROCPRIM_400000_NS6detail17trampoline_kernelINS0_14default_configENS1_35adjacent_difference_config_selectorILb0EsEEZNS1_24adjacent_difference_implIS3_Lb0ELb0EPKsPsN6thrust23THRUST_200600_302600_NS4plusIsEEEE10hipError_tPvRmT2_T3_mT4_P12ihipStream_tbEUlT_E_NS1_11comp_targetILNS1_3genE5ELNS1_11target_archE942ELNS1_3gpuE9ELNS1_3repE0EEENS1_30default_config_static_selectorELNS0_4arch9wavefront6targetE1EEEvT1_.num_vgpr, 0
	.set _ZN7rocprim17ROCPRIM_400000_NS6detail17trampoline_kernelINS0_14default_configENS1_35adjacent_difference_config_selectorILb0EsEEZNS1_24adjacent_difference_implIS3_Lb0ELb0EPKsPsN6thrust23THRUST_200600_302600_NS4plusIsEEEE10hipError_tPvRmT2_T3_mT4_P12ihipStream_tbEUlT_E_NS1_11comp_targetILNS1_3genE5ELNS1_11target_archE942ELNS1_3gpuE9ELNS1_3repE0EEENS1_30default_config_static_selectorELNS0_4arch9wavefront6targetE1EEEvT1_.num_agpr, 0
	.set _ZN7rocprim17ROCPRIM_400000_NS6detail17trampoline_kernelINS0_14default_configENS1_35adjacent_difference_config_selectorILb0EsEEZNS1_24adjacent_difference_implIS3_Lb0ELb0EPKsPsN6thrust23THRUST_200600_302600_NS4plusIsEEEE10hipError_tPvRmT2_T3_mT4_P12ihipStream_tbEUlT_E_NS1_11comp_targetILNS1_3genE5ELNS1_11target_archE942ELNS1_3gpuE9ELNS1_3repE0EEENS1_30default_config_static_selectorELNS0_4arch9wavefront6targetE1EEEvT1_.numbered_sgpr, 0
	.set _ZN7rocprim17ROCPRIM_400000_NS6detail17trampoline_kernelINS0_14default_configENS1_35adjacent_difference_config_selectorILb0EsEEZNS1_24adjacent_difference_implIS3_Lb0ELb0EPKsPsN6thrust23THRUST_200600_302600_NS4plusIsEEEE10hipError_tPvRmT2_T3_mT4_P12ihipStream_tbEUlT_E_NS1_11comp_targetILNS1_3genE5ELNS1_11target_archE942ELNS1_3gpuE9ELNS1_3repE0EEENS1_30default_config_static_selectorELNS0_4arch9wavefront6targetE1EEEvT1_.num_named_barrier, 0
	.set _ZN7rocprim17ROCPRIM_400000_NS6detail17trampoline_kernelINS0_14default_configENS1_35adjacent_difference_config_selectorILb0EsEEZNS1_24adjacent_difference_implIS3_Lb0ELb0EPKsPsN6thrust23THRUST_200600_302600_NS4plusIsEEEE10hipError_tPvRmT2_T3_mT4_P12ihipStream_tbEUlT_E_NS1_11comp_targetILNS1_3genE5ELNS1_11target_archE942ELNS1_3gpuE9ELNS1_3repE0EEENS1_30default_config_static_selectorELNS0_4arch9wavefront6targetE1EEEvT1_.private_seg_size, 0
	.set _ZN7rocprim17ROCPRIM_400000_NS6detail17trampoline_kernelINS0_14default_configENS1_35adjacent_difference_config_selectorILb0EsEEZNS1_24adjacent_difference_implIS3_Lb0ELb0EPKsPsN6thrust23THRUST_200600_302600_NS4plusIsEEEE10hipError_tPvRmT2_T3_mT4_P12ihipStream_tbEUlT_E_NS1_11comp_targetILNS1_3genE5ELNS1_11target_archE942ELNS1_3gpuE9ELNS1_3repE0EEENS1_30default_config_static_selectorELNS0_4arch9wavefront6targetE1EEEvT1_.uses_vcc, 0
	.set _ZN7rocprim17ROCPRIM_400000_NS6detail17trampoline_kernelINS0_14default_configENS1_35adjacent_difference_config_selectorILb0EsEEZNS1_24adjacent_difference_implIS3_Lb0ELb0EPKsPsN6thrust23THRUST_200600_302600_NS4plusIsEEEE10hipError_tPvRmT2_T3_mT4_P12ihipStream_tbEUlT_E_NS1_11comp_targetILNS1_3genE5ELNS1_11target_archE942ELNS1_3gpuE9ELNS1_3repE0EEENS1_30default_config_static_selectorELNS0_4arch9wavefront6targetE1EEEvT1_.uses_flat_scratch, 0
	.set _ZN7rocprim17ROCPRIM_400000_NS6detail17trampoline_kernelINS0_14default_configENS1_35adjacent_difference_config_selectorILb0EsEEZNS1_24adjacent_difference_implIS3_Lb0ELb0EPKsPsN6thrust23THRUST_200600_302600_NS4plusIsEEEE10hipError_tPvRmT2_T3_mT4_P12ihipStream_tbEUlT_E_NS1_11comp_targetILNS1_3genE5ELNS1_11target_archE942ELNS1_3gpuE9ELNS1_3repE0EEENS1_30default_config_static_selectorELNS0_4arch9wavefront6targetE1EEEvT1_.has_dyn_sized_stack, 0
	.set _ZN7rocprim17ROCPRIM_400000_NS6detail17trampoline_kernelINS0_14default_configENS1_35adjacent_difference_config_selectorILb0EsEEZNS1_24adjacent_difference_implIS3_Lb0ELb0EPKsPsN6thrust23THRUST_200600_302600_NS4plusIsEEEE10hipError_tPvRmT2_T3_mT4_P12ihipStream_tbEUlT_E_NS1_11comp_targetILNS1_3genE5ELNS1_11target_archE942ELNS1_3gpuE9ELNS1_3repE0EEENS1_30default_config_static_selectorELNS0_4arch9wavefront6targetE1EEEvT1_.has_recursion, 0
	.set _ZN7rocprim17ROCPRIM_400000_NS6detail17trampoline_kernelINS0_14default_configENS1_35adjacent_difference_config_selectorILb0EsEEZNS1_24adjacent_difference_implIS3_Lb0ELb0EPKsPsN6thrust23THRUST_200600_302600_NS4plusIsEEEE10hipError_tPvRmT2_T3_mT4_P12ihipStream_tbEUlT_E_NS1_11comp_targetILNS1_3genE5ELNS1_11target_archE942ELNS1_3gpuE9ELNS1_3repE0EEENS1_30default_config_static_selectorELNS0_4arch9wavefront6targetE1EEEvT1_.has_indirect_call, 0
	.section	.AMDGPU.csdata,"",@progbits
; Kernel info:
; codeLenInByte = 0
; TotalNumSgprs: 4
; NumVgprs: 0
; ScratchSize: 0
; MemoryBound: 0
; FloatMode: 240
; IeeeMode: 1
; LDSByteSize: 0 bytes/workgroup (compile time only)
; SGPRBlocks: 0
; VGPRBlocks: 0
; NumSGPRsForWavesPerEU: 4
; NumVGPRsForWavesPerEU: 1
; Occupancy: 10
; WaveLimiterHint : 0
; COMPUTE_PGM_RSRC2:SCRATCH_EN: 0
; COMPUTE_PGM_RSRC2:USER_SGPR: 6
; COMPUTE_PGM_RSRC2:TRAP_HANDLER: 0
; COMPUTE_PGM_RSRC2:TGID_X_EN: 1
; COMPUTE_PGM_RSRC2:TGID_Y_EN: 0
; COMPUTE_PGM_RSRC2:TGID_Z_EN: 0
; COMPUTE_PGM_RSRC2:TIDIG_COMP_CNT: 0
	.section	.text._ZN7rocprim17ROCPRIM_400000_NS6detail17trampoline_kernelINS0_14default_configENS1_35adjacent_difference_config_selectorILb0EsEEZNS1_24adjacent_difference_implIS3_Lb0ELb0EPKsPsN6thrust23THRUST_200600_302600_NS4plusIsEEEE10hipError_tPvRmT2_T3_mT4_P12ihipStream_tbEUlT_E_NS1_11comp_targetILNS1_3genE4ELNS1_11target_archE910ELNS1_3gpuE8ELNS1_3repE0EEENS1_30default_config_static_selectorELNS0_4arch9wavefront6targetE1EEEvT1_,"axG",@progbits,_ZN7rocprim17ROCPRIM_400000_NS6detail17trampoline_kernelINS0_14default_configENS1_35adjacent_difference_config_selectorILb0EsEEZNS1_24adjacent_difference_implIS3_Lb0ELb0EPKsPsN6thrust23THRUST_200600_302600_NS4plusIsEEEE10hipError_tPvRmT2_T3_mT4_P12ihipStream_tbEUlT_E_NS1_11comp_targetILNS1_3genE4ELNS1_11target_archE910ELNS1_3gpuE8ELNS1_3repE0EEENS1_30default_config_static_selectorELNS0_4arch9wavefront6targetE1EEEvT1_,comdat
	.protected	_ZN7rocprim17ROCPRIM_400000_NS6detail17trampoline_kernelINS0_14default_configENS1_35adjacent_difference_config_selectorILb0EsEEZNS1_24adjacent_difference_implIS3_Lb0ELb0EPKsPsN6thrust23THRUST_200600_302600_NS4plusIsEEEE10hipError_tPvRmT2_T3_mT4_P12ihipStream_tbEUlT_E_NS1_11comp_targetILNS1_3genE4ELNS1_11target_archE910ELNS1_3gpuE8ELNS1_3repE0EEENS1_30default_config_static_selectorELNS0_4arch9wavefront6targetE1EEEvT1_ ; -- Begin function _ZN7rocprim17ROCPRIM_400000_NS6detail17trampoline_kernelINS0_14default_configENS1_35adjacent_difference_config_selectorILb0EsEEZNS1_24adjacent_difference_implIS3_Lb0ELb0EPKsPsN6thrust23THRUST_200600_302600_NS4plusIsEEEE10hipError_tPvRmT2_T3_mT4_P12ihipStream_tbEUlT_E_NS1_11comp_targetILNS1_3genE4ELNS1_11target_archE910ELNS1_3gpuE8ELNS1_3repE0EEENS1_30default_config_static_selectorELNS0_4arch9wavefront6targetE1EEEvT1_
	.globl	_ZN7rocprim17ROCPRIM_400000_NS6detail17trampoline_kernelINS0_14default_configENS1_35adjacent_difference_config_selectorILb0EsEEZNS1_24adjacent_difference_implIS3_Lb0ELb0EPKsPsN6thrust23THRUST_200600_302600_NS4plusIsEEEE10hipError_tPvRmT2_T3_mT4_P12ihipStream_tbEUlT_E_NS1_11comp_targetILNS1_3genE4ELNS1_11target_archE910ELNS1_3gpuE8ELNS1_3repE0EEENS1_30default_config_static_selectorELNS0_4arch9wavefront6targetE1EEEvT1_
	.p2align	8
	.type	_ZN7rocprim17ROCPRIM_400000_NS6detail17trampoline_kernelINS0_14default_configENS1_35adjacent_difference_config_selectorILb0EsEEZNS1_24adjacent_difference_implIS3_Lb0ELb0EPKsPsN6thrust23THRUST_200600_302600_NS4plusIsEEEE10hipError_tPvRmT2_T3_mT4_P12ihipStream_tbEUlT_E_NS1_11comp_targetILNS1_3genE4ELNS1_11target_archE910ELNS1_3gpuE8ELNS1_3repE0EEENS1_30default_config_static_selectorELNS0_4arch9wavefront6targetE1EEEvT1_,@function
_ZN7rocprim17ROCPRIM_400000_NS6detail17trampoline_kernelINS0_14default_configENS1_35adjacent_difference_config_selectorILb0EsEEZNS1_24adjacent_difference_implIS3_Lb0ELb0EPKsPsN6thrust23THRUST_200600_302600_NS4plusIsEEEE10hipError_tPvRmT2_T3_mT4_P12ihipStream_tbEUlT_E_NS1_11comp_targetILNS1_3genE4ELNS1_11target_archE910ELNS1_3gpuE8ELNS1_3repE0EEENS1_30default_config_static_selectorELNS0_4arch9wavefront6targetE1EEEvT1_: ; @_ZN7rocprim17ROCPRIM_400000_NS6detail17trampoline_kernelINS0_14default_configENS1_35adjacent_difference_config_selectorILb0EsEEZNS1_24adjacent_difference_implIS3_Lb0ELb0EPKsPsN6thrust23THRUST_200600_302600_NS4plusIsEEEE10hipError_tPvRmT2_T3_mT4_P12ihipStream_tbEUlT_E_NS1_11comp_targetILNS1_3genE4ELNS1_11target_archE910ELNS1_3gpuE8ELNS1_3repE0EEENS1_30default_config_static_selectorELNS0_4arch9wavefront6targetE1EEEvT1_
; %bb.0:
	.section	.rodata,"a",@progbits
	.p2align	6, 0x0
	.amdhsa_kernel _ZN7rocprim17ROCPRIM_400000_NS6detail17trampoline_kernelINS0_14default_configENS1_35adjacent_difference_config_selectorILb0EsEEZNS1_24adjacent_difference_implIS3_Lb0ELb0EPKsPsN6thrust23THRUST_200600_302600_NS4plusIsEEEE10hipError_tPvRmT2_T3_mT4_P12ihipStream_tbEUlT_E_NS1_11comp_targetILNS1_3genE4ELNS1_11target_archE910ELNS1_3gpuE8ELNS1_3repE0EEENS1_30default_config_static_selectorELNS0_4arch9wavefront6targetE1EEEvT1_
		.amdhsa_group_segment_fixed_size 0
		.amdhsa_private_segment_fixed_size 0
		.amdhsa_kernarg_size 56
		.amdhsa_user_sgpr_count 6
		.amdhsa_user_sgpr_private_segment_buffer 1
		.amdhsa_user_sgpr_dispatch_ptr 0
		.amdhsa_user_sgpr_queue_ptr 0
		.amdhsa_user_sgpr_kernarg_segment_ptr 1
		.amdhsa_user_sgpr_dispatch_id 0
		.amdhsa_user_sgpr_flat_scratch_init 0
		.amdhsa_user_sgpr_private_segment_size 0
		.amdhsa_uses_dynamic_stack 0
		.amdhsa_system_sgpr_private_segment_wavefront_offset 0
		.amdhsa_system_sgpr_workgroup_id_x 1
		.amdhsa_system_sgpr_workgroup_id_y 0
		.amdhsa_system_sgpr_workgroup_id_z 0
		.amdhsa_system_sgpr_workgroup_info 0
		.amdhsa_system_vgpr_workitem_id 0
		.amdhsa_next_free_vgpr 1
		.amdhsa_next_free_sgpr 0
		.amdhsa_reserve_vcc 0
		.amdhsa_reserve_flat_scratch 0
		.amdhsa_float_round_mode_32 0
		.amdhsa_float_round_mode_16_64 0
		.amdhsa_float_denorm_mode_32 3
		.amdhsa_float_denorm_mode_16_64 3
		.amdhsa_dx10_clamp 1
		.amdhsa_ieee_mode 1
		.amdhsa_fp16_overflow 0
		.amdhsa_exception_fp_ieee_invalid_op 0
		.amdhsa_exception_fp_denorm_src 0
		.amdhsa_exception_fp_ieee_div_zero 0
		.amdhsa_exception_fp_ieee_overflow 0
		.amdhsa_exception_fp_ieee_underflow 0
		.amdhsa_exception_fp_ieee_inexact 0
		.amdhsa_exception_int_div_zero 0
	.end_amdhsa_kernel
	.section	.text._ZN7rocprim17ROCPRIM_400000_NS6detail17trampoline_kernelINS0_14default_configENS1_35adjacent_difference_config_selectorILb0EsEEZNS1_24adjacent_difference_implIS3_Lb0ELb0EPKsPsN6thrust23THRUST_200600_302600_NS4plusIsEEEE10hipError_tPvRmT2_T3_mT4_P12ihipStream_tbEUlT_E_NS1_11comp_targetILNS1_3genE4ELNS1_11target_archE910ELNS1_3gpuE8ELNS1_3repE0EEENS1_30default_config_static_selectorELNS0_4arch9wavefront6targetE1EEEvT1_,"axG",@progbits,_ZN7rocprim17ROCPRIM_400000_NS6detail17trampoline_kernelINS0_14default_configENS1_35adjacent_difference_config_selectorILb0EsEEZNS1_24adjacent_difference_implIS3_Lb0ELb0EPKsPsN6thrust23THRUST_200600_302600_NS4plusIsEEEE10hipError_tPvRmT2_T3_mT4_P12ihipStream_tbEUlT_E_NS1_11comp_targetILNS1_3genE4ELNS1_11target_archE910ELNS1_3gpuE8ELNS1_3repE0EEENS1_30default_config_static_selectorELNS0_4arch9wavefront6targetE1EEEvT1_,comdat
.Lfunc_end751:
	.size	_ZN7rocprim17ROCPRIM_400000_NS6detail17trampoline_kernelINS0_14default_configENS1_35adjacent_difference_config_selectorILb0EsEEZNS1_24adjacent_difference_implIS3_Lb0ELb0EPKsPsN6thrust23THRUST_200600_302600_NS4plusIsEEEE10hipError_tPvRmT2_T3_mT4_P12ihipStream_tbEUlT_E_NS1_11comp_targetILNS1_3genE4ELNS1_11target_archE910ELNS1_3gpuE8ELNS1_3repE0EEENS1_30default_config_static_selectorELNS0_4arch9wavefront6targetE1EEEvT1_, .Lfunc_end751-_ZN7rocprim17ROCPRIM_400000_NS6detail17trampoline_kernelINS0_14default_configENS1_35adjacent_difference_config_selectorILb0EsEEZNS1_24adjacent_difference_implIS3_Lb0ELb0EPKsPsN6thrust23THRUST_200600_302600_NS4plusIsEEEE10hipError_tPvRmT2_T3_mT4_P12ihipStream_tbEUlT_E_NS1_11comp_targetILNS1_3genE4ELNS1_11target_archE910ELNS1_3gpuE8ELNS1_3repE0EEENS1_30default_config_static_selectorELNS0_4arch9wavefront6targetE1EEEvT1_
                                        ; -- End function
	.set _ZN7rocprim17ROCPRIM_400000_NS6detail17trampoline_kernelINS0_14default_configENS1_35adjacent_difference_config_selectorILb0EsEEZNS1_24adjacent_difference_implIS3_Lb0ELb0EPKsPsN6thrust23THRUST_200600_302600_NS4plusIsEEEE10hipError_tPvRmT2_T3_mT4_P12ihipStream_tbEUlT_E_NS1_11comp_targetILNS1_3genE4ELNS1_11target_archE910ELNS1_3gpuE8ELNS1_3repE0EEENS1_30default_config_static_selectorELNS0_4arch9wavefront6targetE1EEEvT1_.num_vgpr, 0
	.set _ZN7rocprim17ROCPRIM_400000_NS6detail17trampoline_kernelINS0_14default_configENS1_35adjacent_difference_config_selectorILb0EsEEZNS1_24adjacent_difference_implIS3_Lb0ELb0EPKsPsN6thrust23THRUST_200600_302600_NS4plusIsEEEE10hipError_tPvRmT2_T3_mT4_P12ihipStream_tbEUlT_E_NS1_11comp_targetILNS1_3genE4ELNS1_11target_archE910ELNS1_3gpuE8ELNS1_3repE0EEENS1_30default_config_static_selectorELNS0_4arch9wavefront6targetE1EEEvT1_.num_agpr, 0
	.set _ZN7rocprim17ROCPRIM_400000_NS6detail17trampoline_kernelINS0_14default_configENS1_35adjacent_difference_config_selectorILb0EsEEZNS1_24adjacent_difference_implIS3_Lb0ELb0EPKsPsN6thrust23THRUST_200600_302600_NS4plusIsEEEE10hipError_tPvRmT2_T3_mT4_P12ihipStream_tbEUlT_E_NS1_11comp_targetILNS1_3genE4ELNS1_11target_archE910ELNS1_3gpuE8ELNS1_3repE0EEENS1_30default_config_static_selectorELNS0_4arch9wavefront6targetE1EEEvT1_.numbered_sgpr, 0
	.set _ZN7rocprim17ROCPRIM_400000_NS6detail17trampoline_kernelINS0_14default_configENS1_35adjacent_difference_config_selectorILb0EsEEZNS1_24adjacent_difference_implIS3_Lb0ELb0EPKsPsN6thrust23THRUST_200600_302600_NS4plusIsEEEE10hipError_tPvRmT2_T3_mT4_P12ihipStream_tbEUlT_E_NS1_11comp_targetILNS1_3genE4ELNS1_11target_archE910ELNS1_3gpuE8ELNS1_3repE0EEENS1_30default_config_static_selectorELNS0_4arch9wavefront6targetE1EEEvT1_.num_named_barrier, 0
	.set _ZN7rocprim17ROCPRIM_400000_NS6detail17trampoline_kernelINS0_14default_configENS1_35adjacent_difference_config_selectorILb0EsEEZNS1_24adjacent_difference_implIS3_Lb0ELb0EPKsPsN6thrust23THRUST_200600_302600_NS4plusIsEEEE10hipError_tPvRmT2_T3_mT4_P12ihipStream_tbEUlT_E_NS1_11comp_targetILNS1_3genE4ELNS1_11target_archE910ELNS1_3gpuE8ELNS1_3repE0EEENS1_30default_config_static_selectorELNS0_4arch9wavefront6targetE1EEEvT1_.private_seg_size, 0
	.set _ZN7rocprim17ROCPRIM_400000_NS6detail17trampoline_kernelINS0_14default_configENS1_35adjacent_difference_config_selectorILb0EsEEZNS1_24adjacent_difference_implIS3_Lb0ELb0EPKsPsN6thrust23THRUST_200600_302600_NS4plusIsEEEE10hipError_tPvRmT2_T3_mT4_P12ihipStream_tbEUlT_E_NS1_11comp_targetILNS1_3genE4ELNS1_11target_archE910ELNS1_3gpuE8ELNS1_3repE0EEENS1_30default_config_static_selectorELNS0_4arch9wavefront6targetE1EEEvT1_.uses_vcc, 0
	.set _ZN7rocprim17ROCPRIM_400000_NS6detail17trampoline_kernelINS0_14default_configENS1_35adjacent_difference_config_selectorILb0EsEEZNS1_24adjacent_difference_implIS3_Lb0ELb0EPKsPsN6thrust23THRUST_200600_302600_NS4plusIsEEEE10hipError_tPvRmT2_T3_mT4_P12ihipStream_tbEUlT_E_NS1_11comp_targetILNS1_3genE4ELNS1_11target_archE910ELNS1_3gpuE8ELNS1_3repE0EEENS1_30default_config_static_selectorELNS0_4arch9wavefront6targetE1EEEvT1_.uses_flat_scratch, 0
	.set _ZN7rocprim17ROCPRIM_400000_NS6detail17trampoline_kernelINS0_14default_configENS1_35adjacent_difference_config_selectorILb0EsEEZNS1_24adjacent_difference_implIS3_Lb0ELb0EPKsPsN6thrust23THRUST_200600_302600_NS4plusIsEEEE10hipError_tPvRmT2_T3_mT4_P12ihipStream_tbEUlT_E_NS1_11comp_targetILNS1_3genE4ELNS1_11target_archE910ELNS1_3gpuE8ELNS1_3repE0EEENS1_30default_config_static_selectorELNS0_4arch9wavefront6targetE1EEEvT1_.has_dyn_sized_stack, 0
	.set _ZN7rocprim17ROCPRIM_400000_NS6detail17trampoline_kernelINS0_14default_configENS1_35adjacent_difference_config_selectorILb0EsEEZNS1_24adjacent_difference_implIS3_Lb0ELb0EPKsPsN6thrust23THRUST_200600_302600_NS4plusIsEEEE10hipError_tPvRmT2_T3_mT4_P12ihipStream_tbEUlT_E_NS1_11comp_targetILNS1_3genE4ELNS1_11target_archE910ELNS1_3gpuE8ELNS1_3repE0EEENS1_30default_config_static_selectorELNS0_4arch9wavefront6targetE1EEEvT1_.has_recursion, 0
	.set _ZN7rocprim17ROCPRIM_400000_NS6detail17trampoline_kernelINS0_14default_configENS1_35adjacent_difference_config_selectorILb0EsEEZNS1_24adjacent_difference_implIS3_Lb0ELb0EPKsPsN6thrust23THRUST_200600_302600_NS4plusIsEEEE10hipError_tPvRmT2_T3_mT4_P12ihipStream_tbEUlT_E_NS1_11comp_targetILNS1_3genE4ELNS1_11target_archE910ELNS1_3gpuE8ELNS1_3repE0EEENS1_30default_config_static_selectorELNS0_4arch9wavefront6targetE1EEEvT1_.has_indirect_call, 0
	.section	.AMDGPU.csdata,"",@progbits
; Kernel info:
; codeLenInByte = 0
; TotalNumSgprs: 4
; NumVgprs: 0
; ScratchSize: 0
; MemoryBound: 0
; FloatMode: 240
; IeeeMode: 1
; LDSByteSize: 0 bytes/workgroup (compile time only)
; SGPRBlocks: 0
; VGPRBlocks: 0
; NumSGPRsForWavesPerEU: 4
; NumVGPRsForWavesPerEU: 1
; Occupancy: 10
; WaveLimiterHint : 0
; COMPUTE_PGM_RSRC2:SCRATCH_EN: 0
; COMPUTE_PGM_RSRC2:USER_SGPR: 6
; COMPUTE_PGM_RSRC2:TRAP_HANDLER: 0
; COMPUTE_PGM_RSRC2:TGID_X_EN: 1
; COMPUTE_PGM_RSRC2:TGID_Y_EN: 0
; COMPUTE_PGM_RSRC2:TGID_Z_EN: 0
; COMPUTE_PGM_RSRC2:TIDIG_COMP_CNT: 0
	.section	.text._ZN7rocprim17ROCPRIM_400000_NS6detail17trampoline_kernelINS0_14default_configENS1_35adjacent_difference_config_selectorILb0EsEEZNS1_24adjacent_difference_implIS3_Lb0ELb0EPKsPsN6thrust23THRUST_200600_302600_NS4plusIsEEEE10hipError_tPvRmT2_T3_mT4_P12ihipStream_tbEUlT_E_NS1_11comp_targetILNS1_3genE3ELNS1_11target_archE908ELNS1_3gpuE7ELNS1_3repE0EEENS1_30default_config_static_selectorELNS0_4arch9wavefront6targetE1EEEvT1_,"axG",@progbits,_ZN7rocprim17ROCPRIM_400000_NS6detail17trampoline_kernelINS0_14default_configENS1_35adjacent_difference_config_selectorILb0EsEEZNS1_24adjacent_difference_implIS3_Lb0ELb0EPKsPsN6thrust23THRUST_200600_302600_NS4plusIsEEEE10hipError_tPvRmT2_T3_mT4_P12ihipStream_tbEUlT_E_NS1_11comp_targetILNS1_3genE3ELNS1_11target_archE908ELNS1_3gpuE7ELNS1_3repE0EEENS1_30default_config_static_selectorELNS0_4arch9wavefront6targetE1EEEvT1_,comdat
	.protected	_ZN7rocprim17ROCPRIM_400000_NS6detail17trampoline_kernelINS0_14default_configENS1_35adjacent_difference_config_selectorILb0EsEEZNS1_24adjacent_difference_implIS3_Lb0ELb0EPKsPsN6thrust23THRUST_200600_302600_NS4plusIsEEEE10hipError_tPvRmT2_T3_mT4_P12ihipStream_tbEUlT_E_NS1_11comp_targetILNS1_3genE3ELNS1_11target_archE908ELNS1_3gpuE7ELNS1_3repE0EEENS1_30default_config_static_selectorELNS0_4arch9wavefront6targetE1EEEvT1_ ; -- Begin function _ZN7rocprim17ROCPRIM_400000_NS6detail17trampoline_kernelINS0_14default_configENS1_35adjacent_difference_config_selectorILb0EsEEZNS1_24adjacent_difference_implIS3_Lb0ELb0EPKsPsN6thrust23THRUST_200600_302600_NS4plusIsEEEE10hipError_tPvRmT2_T3_mT4_P12ihipStream_tbEUlT_E_NS1_11comp_targetILNS1_3genE3ELNS1_11target_archE908ELNS1_3gpuE7ELNS1_3repE0EEENS1_30default_config_static_selectorELNS0_4arch9wavefront6targetE1EEEvT1_
	.globl	_ZN7rocprim17ROCPRIM_400000_NS6detail17trampoline_kernelINS0_14default_configENS1_35adjacent_difference_config_selectorILb0EsEEZNS1_24adjacent_difference_implIS3_Lb0ELb0EPKsPsN6thrust23THRUST_200600_302600_NS4plusIsEEEE10hipError_tPvRmT2_T3_mT4_P12ihipStream_tbEUlT_E_NS1_11comp_targetILNS1_3genE3ELNS1_11target_archE908ELNS1_3gpuE7ELNS1_3repE0EEENS1_30default_config_static_selectorELNS0_4arch9wavefront6targetE1EEEvT1_
	.p2align	8
	.type	_ZN7rocprim17ROCPRIM_400000_NS6detail17trampoline_kernelINS0_14default_configENS1_35adjacent_difference_config_selectorILb0EsEEZNS1_24adjacent_difference_implIS3_Lb0ELb0EPKsPsN6thrust23THRUST_200600_302600_NS4plusIsEEEE10hipError_tPvRmT2_T3_mT4_P12ihipStream_tbEUlT_E_NS1_11comp_targetILNS1_3genE3ELNS1_11target_archE908ELNS1_3gpuE7ELNS1_3repE0EEENS1_30default_config_static_selectorELNS0_4arch9wavefront6targetE1EEEvT1_,@function
_ZN7rocprim17ROCPRIM_400000_NS6detail17trampoline_kernelINS0_14default_configENS1_35adjacent_difference_config_selectorILb0EsEEZNS1_24adjacent_difference_implIS3_Lb0ELb0EPKsPsN6thrust23THRUST_200600_302600_NS4plusIsEEEE10hipError_tPvRmT2_T3_mT4_P12ihipStream_tbEUlT_E_NS1_11comp_targetILNS1_3genE3ELNS1_11target_archE908ELNS1_3gpuE7ELNS1_3repE0EEENS1_30default_config_static_selectorELNS0_4arch9wavefront6targetE1EEEvT1_: ; @_ZN7rocprim17ROCPRIM_400000_NS6detail17trampoline_kernelINS0_14default_configENS1_35adjacent_difference_config_selectorILb0EsEEZNS1_24adjacent_difference_implIS3_Lb0ELb0EPKsPsN6thrust23THRUST_200600_302600_NS4plusIsEEEE10hipError_tPvRmT2_T3_mT4_P12ihipStream_tbEUlT_E_NS1_11comp_targetILNS1_3genE3ELNS1_11target_archE908ELNS1_3gpuE7ELNS1_3repE0EEENS1_30default_config_static_selectorELNS0_4arch9wavefront6targetE1EEEvT1_
; %bb.0:
	.section	.rodata,"a",@progbits
	.p2align	6, 0x0
	.amdhsa_kernel _ZN7rocprim17ROCPRIM_400000_NS6detail17trampoline_kernelINS0_14default_configENS1_35adjacent_difference_config_selectorILb0EsEEZNS1_24adjacent_difference_implIS3_Lb0ELb0EPKsPsN6thrust23THRUST_200600_302600_NS4plusIsEEEE10hipError_tPvRmT2_T3_mT4_P12ihipStream_tbEUlT_E_NS1_11comp_targetILNS1_3genE3ELNS1_11target_archE908ELNS1_3gpuE7ELNS1_3repE0EEENS1_30default_config_static_selectorELNS0_4arch9wavefront6targetE1EEEvT1_
		.amdhsa_group_segment_fixed_size 0
		.amdhsa_private_segment_fixed_size 0
		.amdhsa_kernarg_size 56
		.amdhsa_user_sgpr_count 6
		.amdhsa_user_sgpr_private_segment_buffer 1
		.amdhsa_user_sgpr_dispatch_ptr 0
		.amdhsa_user_sgpr_queue_ptr 0
		.amdhsa_user_sgpr_kernarg_segment_ptr 1
		.amdhsa_user_sgpr_dispatch_id 0
		.amdhsa_user_sgpr_flat_scratch_init 0
		.amdhsa_user_sgpr_private_segment_size 0
		.amdhsa_uses_dynamic_stack 0
		.amdhsa_system_sgpr_private_segment_wavefront_offset 0
		.amdhsa_system_sgpr_workgroup_id_x 1
		.amdhsa_system_sgpr_workgroup_id_y 0
		.amdhsa_system_sgpr_workgroup_id_z 0
		.amdhsa_system_sgpr_workgroup_info 0
		.amdhsa_system_vgpr_workitem_id 0
		.amdhsa_next_free_vgpr 1
		.amdhsa_next_free_sgpr 0
		.amdhsa_reserve_vcc 0
		.amdhsa_reserve_flat_scratch 0
		.amdhsa_float_round_mode_32 0
		.amdhsa_float_round_mode_16_64 0
		.amdhsa_float_denorm_mode_32 3
		.amdhsa_float_denorm_mode_16_64 3
		.amdhsa_dx10_clamp 1
		.amdhsa_ieee_mode 1
		.amdhsa_fp16_overflow 0
		.amdhsa_exception_fp_ieee_invalid_op 0
		.amdhsa_exception_fp_denorm_src 0
		.amdhsa_exception_fp_ieee_div_zero 0
		.amdhsa_exception_fp_ieee_overflow 0
		.amdhsa_exception_fp_ieee_underflow 0
		.amdhsa_exception_fp_ieee_inexact 0
		.amdhsa_exception_int_div_zero 0
	.end_amdhsa_kernel
	.section	.text._ZN7rocprim17ROCPRIM_400000_NS6detail17trampoline_kernelINS0_14default_configENS1_35adjacent_difference_config_selectorILb0EsEEZNS1_24adjacent_difference_implIS3_Lb0ELb0EPKsPsN6thrust23THRUST_200600_302600_NS4plusIsEEEE10hipError_tPvRmT2_T3_mT4_P12ihipStream_tbEUlT_E_NS1_11comp_targetILNS1_3genE3ELNS1_11target_archE908ELNS1_3gpuE7ELNS1_3repE0EEENS1_30default_config_static_selectorELNS0_4arch9wavefront6targetE1EEEvT1_,"axG",@progbits,_ZN7rocprim17ROCPRIM_400000_NS6detail17trampoline_kernelINS0_14default_configENS1_35adjacent_difference_config_selectorILb0EsEEZNS1_24adjacent_difference_implIS3_Lb0ELb0EPKsPsN6thrust23THRUST_200600_302600_NS4plusIsEEEE10hipError_tPvRmT2_T3_mT4_P12ihipStream_tbEUlT_E_NS1_11comp_targetILNS1_3genE3ELNS1_11target_archE908ELNS1_3gpuE7ELNS1_3repE0EEENS1_30default_config_static_selectorELNS0_4arch9wavefront6targetE1EEEvT1_,comdat
.Lfunc_end752:
	.size	_ZN7rocprim17ROCPRIM_400000_NS6detail17trampoline_kernelINS0_14default_configENS1_35adjacent_difference_config_selectorILb0EsEEZNS1_24adjacent_difference_implIS3_Lb0ELb0EPKsPsN6thrust23THRUST_200600_302600_NS4plusIsEEEE10hipError_tPvRmT2_T3_mT4_P12ihipStream_tbEUlT_E_NS1_11comp_targetILNS1_3genE3ELNS1_11target_archE908ELNS1_3gpuE7ELNS1_3repE0EEENS1_30default_config_static_selectorELNS0_4arch9wavefront6targetE1EEEvT1_, .Lfunc_end752-_ZN7rocprim17ROCPRIM_400000_NS6detail17trampoline_kernelINS0_14default_configENS1_35adjacent_difference_config_selectorILb0EsEEZNS1_24adjacent_difference_implIS3_Lb0ELb0EPKsPsN6thrust23THRUST_200600_302600_NS4plusIsEEEE10hipError_tPvRmT2_T3_mT4_P12ihipStream_tbEUlT_E_NS1_11comp_targetILNS1_3genE3ELNS1_11target_archE908ELNS1_3gpuE7ELNS1_3repE0EEENS1_30default_config_static_selectorELNS0_4arch9wavefront6targetE1EEEvT1_
                                        ; -- End function
	.set _ZN7rocprim17ROCPRIM_400000_NS6detail17trampoline_kernelINS0_14default_configENS1_35adjacent_difference_config_selectorILb0EsEEZNS1_24adjacent_difference_implIS3_Lb0ELb0EPKsPsN6thrust23THRUST_200600_302600_NS4plusIsEEEE10hipError_tPvRmT2_T3_mT4_P12ihipStream_tbEUlT_E_NS1_11comp_targetILNS1_3genE3ELNS1_11target_archE908ELNS1_3gpuE7ELNS1_3repE0EEENS1_30default_config_static_selectorELNS0_4arch9wavefront6targetE1EEEvT1_.num_vgpr, 0
	.set _ZN7rocprim17ROCPRIM_400000_NS6detail17trampoline_kernelINS0_14default_configENS1_35adjacent_difference_config_selectorILb0EsEEZNS1_24adjacent_difference_implIS3_Lb0ELb0EPKsPsN6thrust23THRUST_200600_302600_NS4plusIsEEEE10hipError_tPvRmT2_T3_mT4_P12ihipStream_tbEUlT_E_NS1_11comp_targetILNS1_3genE3ELNS1_11target_archE908ELNS1_3gpuE7ELNS1_3repE0EEENS1_30default_config_static_selectorELNS0_4arch9wavefront6targetE1EEEvT1_.num_agpr, 0
	.set _ZN7rocprim17ROCPRIM_400000_NS6detail17trampoline_kernelINS0_14default_configENS1_35adjacent_difference_config_selectorILb0EsEEZNS1_24adjacent_difference_implIS3_Lb0ELb0EPKsPsN6thrust23THRUST_200600_302600_NS4plusIsEEEE10hipError_tPvRmT2_T3_mT4_P12ihipStream_tbEUlT_E_NS1_11comp_targetILNS1_3genE3ELNS1_11target_archE908ELNS1_3gpuE7ELNS1_3repE0EEENS1_30default_config_static_selectorELNS0_4arch9wavefront6targetE1EEEvT1_.numbered_sgpr, 0
	.set _ZN7rocprim17ROCPRIM_400000_NS6detail17trampoline_kernelINS0_14default_configENS1_35adjacent_difference_config_selectorILb0EsEEZNS1_24adjacent_difference_implIS3_Lb0ELb0EPKsPsN6thrust23THRUST_200600_302600_NS4plusIsEEEE10hipError_tPvRmT2_T3_mT4_P12ihipStream_tbEUlT_E_NS1_11comp_targetILNS1_3genE3ELNS1_11target_archE908ELNS1_3gpuE7ELNS1_3repE0EEENS1_30default_config_static_selectorELNS0_4arch9wavefront6targetE1EEEvT1_.num_named_barrier, 0
	.set _ZN7rocprim17ROCPRIM_400000_NS6detail17trampoline_kernelINS0_14default_configENS1_35adjacent_difference_config_selectorILb0EsEEZNS1_24adjacent_difference_implIS3_Lb0ELb0EPKsPsN6thrust23THRUST_200600_302600_NS4plusIsEEEE10hipError_tPvRmT2_T3_mT4_P12ihipStream_tbEUlT_E_NS1_11comp_targetILNS1_3genE3ELNS1_11target_archE908ELNS1_3gpuE7ELNS1_3repE0EEENS1_30default_config_static_selectorELNS0_4arch9wavefront6targetE1EEEvT1_.private_seg_size, 0
	.set _ZN7rocprim17ROCPRIM_400000_NS6detail17trampoline_kernelINS0_14default_configENS1_35adjacent_difference_config_selectorILb0EsEEZNS1_24adjacent_difference_implIS3_Lb0ELb0EPKsPsN6thrust23THRUST_200600_302600_NS4plusIsEEEE10hipError_tPvRmT2_T3_mT4_P12ihipStream_tbEUlT_E_NS1_11comp_targetILNS1_3genE3ELNS1_11target_archE908ELNS1_3gpuE7ELNS1_3repE0EEENS1_30default_config_static_selectorELNS0_4arch9wavefront6targetE1EEEvT1_.uses_vcc, 0
	.set _ZN7rocprim17ROCPRIM_400000_NS6detail17trampoline_kernelINS0_14default_configENS1_35adjacent_difference_config_selectorILb0EsEEZNS1_24adjacent_difference_implIS3_Lb0ELb0EPKsPsN6thrust23THRUST_200600_302600_NS4plusIsEEEE10hipError_tPvRmT2_T3_mT4_P12ihipStream_tbEUlT_E_NS1_11comp_targetILNS1_3genE3ELNS1_11target_archE908ELNS1_3gpuE7ELNS1_3repE0EEENS1_30default_config_static_selectorELNS0_4arch9wavefront6targetE1EEEvT1_.uses_flat_scratch, 0
	.set _ZN7rocprim17ROCPRIM_400000_NS6detail17trampoline_kernelINS0_14default_configENS1_35adjacent_difference_config_selectorILb0EsEEZNS1_24adjacent_difference_implIS3_Lb0ELb0EPKsPsN6thrust23THRUST_200600_302600_NS4plusIsEEEE10hipError_tPvRmT2_T3_mT4_P12ihipStream_tbEUlT_E_NS1_11comp_targetILNS1_3genE3ELNS1_11target_archE908ELNS1_3gpuE7ELNS1_3repE0EEENS1_30default_config_static_selectorELNS0_4arch9wavefront6targetE1EEEvT1_.has_dyn_sized_stack, 0
	.set _ZN7rocprim17ROCPRIM_400000_NS6detail17trampoline_kernelINS0_14default_configENS1_35adjacent_difference_config_selectorILb0EsEEZNS1_24adjacent_difference_implIS3_Lb0ELb0EPKsPsN6thrust23THRUST_200600_302600_NS4plusIsEEEE10hipError_tPvRmT2_T3_mT4_P12ihipStream_tbEUlT_E_NS1_11comp_targetILNS1_3genE3ELNS1_11target_archE908ELNS1_3gpuE7ELNS1_3repE0EEENS1_30default_config_static_selectorELNS0_4arch9wavefront6targetE1EEEvT1_.has_recursion, 0
	.set _ZN7rocprim17ROCPRIM_400000_NS6detail17trampoline_kernelINS0_14default_configENS1_35adjacent_difference_config_selectorILb0EsEEZNS1_24adjacent_difference_implIS3_Lb0ELb0EPKsPsN6thrust23THRUST_200600_302600_NS4plusIsEEEE10hipError_tPvRmT2_T3_mT4_P12ihipStream_tbEUlT_E_NS1_11comp_targetILNS1_3genE3ELNS1_11target_archE908ELNS1_3gpuE7ELNS1_3repE0EEENS1_30default_config_static_selectorELNS0_4arch9wavefront6targetE1EEEvT1_.has_indirect_call, 0
	.section	.AMDGPU.csdata,"",@progbits
; Kernel info:
; codeLenInByte = 0
; TotalNumSgprs: 4
; NumVgprs: 0
; ScratchSize: 0
; MemoryBound: 0
; FloatMode: 240
; IeeeMode: 1
; LDSByteSize: 0 bytes/workgroup (compile time only)
; SGPRBlocks: 0
; VGPRBlocks: 0
; NumSGPRsForWavesPerEU: 4
; NumVGPRsForWavesPerEU: 1
; Occupancy: 10
; WaveLimiterHint : 0
; COMPUTE_PGM_RSRC2:SCRATCH_EN: 0
; COMPUTE_PGM_RSRC2:USER_SGPR: 6
; COMPUTE_PGM_RSRC2:TRAP_HANDLER: 0
; COMPUTE_PGM_RSRC2:TGID_X_EN: 1
; COMPUTE_PGM_RSRC2:TGID_Y_EN: 0
; COMPUTE_PGM_RSRC2:TGID_Z_EN: 0
; COMPUTE_PGM_RSRC2:TIDIG_COMP_CNT: 0
	.section	.text._ZN7rocprim17ROCPRIM_400000_NS6detail17trampoline_kernelINS0_14default_configENS1_35adjacent_difference_config_selectorILb0EsEEZNS1_24adjacent_difference_implIS3_Lb0ELb0EPKsPsN6thrust23THRUST_200600_302600_NS4plusIsEEEE10hipError_tPvRmT2_T3_mT4_P12ihipStream_tbEUlT_E_NS1_11comp_targetILNS1_3genE2ELNS1_11target_archE906ELNS1_3gpuE6ELNS1_3repE0EEENS1_30default_config_static_selectorELNS0_4arch9wavefront6targetE1EEEvT1_,"axG",@progbits,_ZN7rocprim17ROCPRIM_400000_NS6detail17trampoline_kernelINS0_14default_configENS1_35adjacent_difference_config_selectorILb0EsEEZNS1_24adjacent_difference_implIS3_Lb0ELb0EPKsPsN6thrust23THRUST_200600_302600_NS4plusIsEEEE10hipError_tPvRmT2_T3_mT4_P12ihipStream_tbEUlT_E_NS1_11comp_targetILNS1_3genE2ELNS1_11target_archE906ELNS1_3gpuE6ELNS1_3repE0EEENS1_30default_config_static_selectorELNS0_4arch9wavefront6targetE1EEEvT1_,comdat
	.protected	_ZN7rocprim17ROCPRIM_400000_NS6detail17trampoline_kernelINS0_14default_configENS1_35adjacent_difference_config_selectorILb0EsEEZNS1_24adjacent_difference_implIS3_Lb0ELb0EPKsPsN6thrust23THRUST_200600_302600_NS4plusIsEEEE10hipError_tPvRmT2_T3_mT4_P12ihipStream_tbEUlT_E_NS1_11comp_targetILNS1_3genE2ELNS1_11target_archE906ELNS1_3gpuE6ELNS1_3repE0EEENS1_30default_config_static_selectorELNS0_4arch9wavefront6targetE1EEEvT1_ ; -- Begin function _ZN7rocprim17ROCPRIM_400000_NS6detail17trampoline_kernelINS0_14default_configENS1_35adjacent_difference_config_selectorILb0EsEEZNS1_24adjacent_difference_implIS3_Lb0ELb0EPKsPsN6thrust23THRUST_200600_302600_NS4plusIsEEEE10hipError_tPvRmT2_T3_mT4_P12ihipStream_tbEUlT_E_NS1_11comp_targetILNS1_3genE2ELNS1_11target_archE906ELNS1_3gpuE6ELNS1_3repE0EEENS1_30default_config_static_selectorELNS0_4arch9wavefront6targetE1EEEvT1_
	.globl	_ZN7rocprim17ROCPRIM_400000_NS6detail17trampoline_kernelINS0_14default_configENS1_35adjacent_difference_config_selectorILb0EsEEZNS1_24adjacent_difference_implIS3_Lb0ELb0EPKsPsN6thrust23THRUST_200600_302600_NS4plusIsEEEE10hipError_tPvRmT2_T3_mT4_P12ihipStream_tbEUlT_E_NS1_11comp_targetILNS1_3genE2ELNS1_11target_archE906ELNS1_3gpuE6ELNS1_3repE0EEENS1_30default_config_static_selectorELNS0_4arch9wavefront6targetE1EEEvT1_
	.p2align	8
	.type	_ZN7rocprim17ROCPRIM_400000_NS6detail17trampoline_kernelINS0_14default_configENS1_35adjacent_difference_config_selectorILb0EsEEZNS1_24adjacent_difference_implIS3_Lb0ELb0EPKsPsN6thrust23THRUST_200600_302600_NS4plusIsEEEE10hipError_tPvRmT2_T3_mT4_P12ihipStream_tbEUlT_E_NS1_11comp_targetILNS1_3genE2ELNS1_11target_archE906ELNS1_3gpuE6ELNS1_3repE0EEENS1_30default_config_static_selectorELNS0_4arch9wavefront6targetE1EEEvT1_,@function
_ZN7rocprim17ROCPRIM_400000_NS6detail17trampoline_kernelINS0_14default_configENS1_35adjacent_difference_config_selectorILb0EsEEZNS1_24adjacent_difference_implIS3_Lb0ELb0EPKsPsN6thrust23THRUST_200600_302600_NS4plusIsEEEE10hipError_tPvRmT2_T3_mT4_P12ihipStream_tbEUlT_E_NS1_11comp_targetILNS1_3genE2ELNS1_11target_archE906ELNS1_3gpuE6ELNS1_3repE0EEENS1_30default_config_static_selectorELNS0_4arch9wavefront6targetE1EEEvT1_: ; @_ZN7rocprim17ROCPRIM_400000_NS6detail17trampoline_kernelINS0_14default_configENS1_35adjacent_difference_config_selectorILb0EsEEZNS1_24adjacent_difference_implIS3_Lb0ELb0EPKsPsN6thrust23THRUST_200600_302600_NS4plusIsEEEE10hipError_tPvRmT2_T3_mT4_P12ihipStream_tbEUlT_E_NS1_11comp_targetILNS1_3genE2ELNS1_11target_archE906ELNS1_3gpuE6ELNS1_3repE0EEENS1_30default_config_static_selectorELNS0_4arch9wavefront6targetE1EEEvT1_
; %bb.0:
	s_load_dwordx8 s[8:15], s[4:5], 0x0
	s_load_dwordx2 s[0:1], s[4:5], 0x30
	s_mul_i32 s16, s6, 0x1c0
	s_mov_b32 s17, 0
	s_waitcnt lgkmcnt(0)
	s_lshl_b64 s[10:11], s[10:11], 1
	s_add_u32 s20, s8, s10
	s_addc_u32 s21, s9, s11
	s_lshr_b64 s[2:3], s[14:15], 6
	s_lshr_b32 s5, s15, 6
	s_mul_hi_u32 s3, s2, 0x24924924
	s_mul_i32 s4, s2, 0x24924924
	s_mul_i32 s8, s5, 0x92492493
	s_mul_hi_u32 s2, s2, 0x92492493
	s_mul_hi_u32 s7, s5, 0x92492493
	s_add_u32 s2, s8, s2
	s_addc_u32 s7, s7, 0
	s_add_u32 s2, s4, s2
	s_addc_u32 s2, s3, 0
	;; [unrolled: 2-line block ×3, first 2 shown]
	s_mul_hi_u32 s4, s5, 0x24924924
	s_mul_i32 s5, s5, 0x24924924
	s_add_u32 s5, s5, s2
	s_addc_u32 s4, s4, s3
	s_mul_i32 s2, s4, 0x1c0
	s_mul_hi_u32 s3, s5, 0x1c0
	s_add_i32 s3, s3, s2
	s_mul_i32 s2, s5, 0x1c0
	s_sub_u32 s2, s14, s2
	s_subb_u32 s3, s15, s3
	s_cmp_lg_u64 s[2:3], 0
	s_cselect_b64 s[2:3], -1, 0
	v_cndmask_b32_e64 v1, 0, 1, s[2:3]
	v_readfirstlane_b32 s2, v1
	s_add_u32 s2, s5, s2
	s_addc_u32 s3, s4, 0
	s_add_u32 s4, s0, s6
	s_addc_u32 s5, s1, 0
	s_add_u32 s6, s2, -1
	s_addc_u32 s7, s3, -1
	v_mov_b32_e32 v1, s6
	v_mov_b32_e32 v2, s7
	v_cmp_ge_u64_e64 s[0:1], s[4:5], v[1:2]
	s_mov_b64 s[8:9], -1
	s_and_b64 vcc, exec, s[0:1]
	s_mul_i32 s15, s6, 0xfffffe40
	s_cbranch_vccz .LBB753_16
; %bb.1:
	s_add_i32 s22, s15, s14
	s_lshl_b64 s[8:9], s[16:17], 1
	s_add_u32 s8, s20, s8
	v_mov_b32_e32 v1, 0
	s_addc_u32 s9, s21, s9
	v_cmp_gt_u32_e32 vcc, s22, v0
	v_mov_b32_e32 v2, v1
	v_mov_b32_e32 v3, v1
	;; [unrolled: 1-line block ×3, first 2 shown]
	s_and_saveexec_b64 s[18:19], vcc
	s_cbranch_execz .LBB753_3
; %bb.2:
	v_lshlrev_b32_e32 v2, 1, v0
	global_load_ushort v2, v2, s[8:9]
	v_mov_b32_e32 v3, v1
	v_mov_b32_e32 v4, v1
	;; [unrolled: 1-line block ×3, first 2 shown]
	s_waitcnt vmcnt(0)
	v_and_b32_e32 v2, 0xffff, v2
	v_mov_b32_e32 v1, v2
	v_mov_b32_e32 v2, v3
	;; [unrolled: 1-line block ×4, first 2 shown]
.LBB753_3:
	s_or_b64 exec, exec, s[18:19]
	v_or_b32_e32 v5, 64, v0
	v_cmp_gt_u32_e32 vcc, s22, v5
	s_and_saveexec_b64 s[18:19], vcc
	s_cbranch_execz .LBB753_5
; %bb.4:
	v_lshlrev_b32_e32 v5, 1, v0
	global_load_ushort v5, v5, s[8:9] offset:128
	s_mov_b32 s17, 0x5040100
	s_waitcnt vmcnt(0)
	v_perm_b32 v1, v5, v1, s17
.LBB753_5:
	s_or_b64 exec, exec, s[18:19]
	v_or_b32_e32 v5, 0x80, v0
	v_cmp_gt_u32_e32 vcc, s22, v5
	s_and_saveexec_b64 s[18:19], vcc
	s_cbranch_execz .LBB753_7
; %bb.6:
	v_lshlrev_b32_e32 v5, 1, v0
	global_load_ushort v5, v5, s[8:9] offset:256
	s_mov_b32 s17, 0xffff
	s_waitcnt vmcnt(0)
	v_bfi_b32 v2, s17, v5, v2
.LBB753_7:
	s_or_b64 exec, exec, s[18:19]
	v_or_b32_e32 v5, 0xc0, v0
	v_cmp_gt_u32_e32 vcc, s22, v5
	s_and_saveexec_b64 s[18:19], vcc
	s_cbranch_execz .LBB753_9
; %bb.8:
	v_lshlrev_b32_e32 v5, 1, v0
	global_load_ushort v5, v5, s[8:9] offset:384
	s_mov_b32 s17, 0x5040100
	s_waitcnt vmcnt(0)
	v_perm_b32 v2, v5, v2, s17
.LBB753_9:
	s_or_b64 exec, exec, s[18:19]
	v_or_b32_e32 v5, 0x100, v0
	v_cmp_gt_u32_e32 vcc, s22, v5
	s_and_saveexec_b64 s[18:19], vcc
	s_cbranch_execz .LBB753_11
; %bb.10:
	v_lshlrev_b32_e32 v5, 1, v0
	global_load_ushort v5, v5, s[8:9] offset:512
	s_mov_b32 s17, 0xffff
	s_waitcnt vmcnt(0)
	v_bfi_b32 v3, s17, v5, v3
.LBB753_11:
	s_or_b64 exec, exec, s[18:19]
	v_or_b32_e32 v5, 0x140, v0
	v_cmp_gt_u32_e32 vcc, s22, v5
	s_and_saveexec_b64 s[18:19], vcc
	s_cbranch_execz .LBB753_13
; %bb.12:
	v_lshlrev_b32_e32 v5, 1, v0
	global_load_ushort v5, v5, s[8:9] offset:640
	s_mov_b32 s17, 0x5040100
	s_waitcnt vmcnt(0)
	v_perm_b32 v3, v5, v3, s17
.LBB753_13:
	s_or_b64 exec, exec, s[18:19]
	v_or_b32_e32 v5, 0x180, v0
	v_cmp_gt_u32_e32 vcc, s22, v5
	s_and_saveexec_b64 s[18:19], vcc
	s_cbranch_execz .LBB753_15
; %bb.14:
	v_lshlrev_b32_e32 v4, 1, v0
	global_load_ushort v4, v4, s[8:9] offset:768
.LBB753_15:
	s_or_b64 exec, exec, s[18:19]
	v_lshlrev_b32_e32 v5, 1, v0
	s_mov_b64 s[8:9], 0
	ds_write_b16 v5, v1
	ds_write_b16_d16_hi v5, v1 offset:128
	ds_write_b16 v5, v2 offset:256
	ds_write_b16_d16_hi v5, v2 offset:384
	ds_write_b16 v5, v3 offset:512
	ds_write_b16_d16_hi v5, v3 offset:640
	s_waitcnt vmcnt(0)
	ds_write_b16 v5, v4 offset:768
	s_waitcnt lgkmcnt(0)
	; wave barrier
.LBB753_16:
	s_and_b64 vcc, exec, s[8:9]
	v_lshlrev_b32_e32 v7, 1, v0
	s_cbranch_vccz .LBB753_18
; %bb.17:
	s_mov_b32 s17, 0
	s_lshl_b64 s[8:9], s[16:17], 1
	s_add_u32 s8, s20, s8
	s_addc_u32 s9, s21, s9
	global_load_ushort v1, v7, s[8:9]
	global_load_ushort v2, v7, s[8:9] offset:128
	global_load_ushort v3, v7, s[8:9] offset:256
	;; [unrolled: 1-line block ×6, first 2 shown]
	s_waitcnt vmcnt(6)
	ds_write_b16 v7, v1
	s_waitcnt vmcnt(5)
	ds_write_b16 v7, v2 offset:128
	s_waitcnt vmcnt(4)
	ds_write_b16 v7, v3 offset:256
	;; [unrolled: 2-line block ×6, first 2 shown]
	s_waitcnt lgkmcnt(0)
	; wave barrier
.LBB753_18:
	v_mul_u32_u24_e32 v8, 14, v0
	ds_read_b96 v[4:6], v8 offset:2
	ds_read_b32 v9, v8
	s_cmp_eq_u64 s[4:5], 0
	s_waitcnt lgkmcnt(0)
	; wave barrier
	v_lshrrev_b32_e32 v11, 16, v4
	v_lshrrev_b32_e32 v12, 16, v5
	;; [unrolled: 1-line block ×3, first 2 shown]
	s_cbranch_scc1 .LBB753_23
; %bb.19:
	s_mov_b32 s17, 0
	s_lshl_b64 s[8:9], s[16:17], 1
	s_add_u32 s8, s20, s8
	s_addc_u32 s9, s21, s9
	v_mov_b32_e32 v1, 0
	global_load_ushort v15, v1, s[8:9] offset:-2
	s_cmp_eq_u64 s[4:5], s[6:7]
	s_cbranch_scc1 .LBB753_24
; %bb.20:
	v_alignbit_b32 v1, v6, v5, 16
	v_pk_add_u16 v10, v6, v1
	v_alignbit_b32 v1, v5, v4, 16
	s_mov_b32 s5, 0xffff
	v_pk_add_u16 v3, v5, v1
	v_bfi_b32 v1, s5, v9, v4
	v_pk_add_u16 v2, v4, v1 op_sel_hi:[0,1]
	v_cmp_ne_u32_e32 vcc, 0, v0
	s_waitcnt vmcnt(0)
	v_mov_b32_e32 v14, v15
	ds_write_b16 v7, v13
	s_waitcnt lgkmcnt(0)
	; wave barrier
	s_and_saveexec_b64 s[6:7], vcc
; %bb.21:
	v_add_u32_e32 v1, -2, v7
	ds_read_u16 v14, v1
; %bb.22:
	s_or_b64 exec, exec, s[6:7]
	v_lshlrev_b32_e32 v1, 16, v2
	v_alignbit_b32 v2, v3, v2, 16
	v_alignbit_b32 v3, v10, v3, 16
	v_lshrrev_b32_e32 v10, 16, v10
	s_cbranch_execz .LBB753_25
	s_branch .LBB753_28
.LBB753_23:
	s_mov_b64 s[18:19], 0
                                        ; implicit-def: $vgpr3
                                        ; implicit-def: $vgpr14
                                        ; implicit-def: $vgpr10
	s_branch .LBB753_29
.LBB753_24:
                                        ; implicit-def: $vgpr10
                                        ; implicit-def: $vgpr3
                                        ; implicit-def: $vgpr14
.LBB753_25:
	s_waitcnt lgkmcnt(0)
	v_mul_u32_u24_e32 v14, 7, v0
	v_cmp_ne_u32_e32 vcc, 0, v0
	ds_write_b16 v7, v13
	s_waitcnt lgkmcnt(0)
	; wave barrier
	s_and_saveexec_b64 s[6:7], vcc
	s_cbranch_execz .LBB753_27
; %bb.26:
	v_add_u32_e32 v1, -2, v7
	s_waitcnt vmcnt(0)
	ds_read_u16 v15, v1
.LBB753_27:
	s_or_b64 exec, exec, s[6:7]
	s_mulk_i32 s4, 0xfe40
	s_add_i32 s4, s4, s14
	v_add_u32_e32 v1, 6, v14
	v_alignbit_b32 v3, s0, v6, 16
	v_alignbit_b32 v2, s0, v6, 16
	v_pk_add_u16 v3, v3, v6
	v_cmp_gt_u32_e32 vcc, s4, v1
	v_cndmask_b32_e32 v10, v2, v3, vcc
	v_alignbit_b32 v3, s0, v5, 16
	v_add_u32_e32 v1, 5, v14
	v_pk_add_u16 v16, v6, v3
	v_lshlrev_b32_e32 v2, 16, v6
	v_lshlrev_b32_e32 v16, 16, v16
	v_cmp_gt_u32_e32 vcc, s4, v1
	v_cndmask_b32_e32 v1, v2, v16, vcc
	v_add_u32_e32 v2, 4, v14
	s_mov_b32 s5, 0xffff
	v_pk_add_u16 v3, v3, v5
	v_bfi_b32 v16, s5, v12, v1
	v_bfi_b32 v1, s5, v3, v1
	v_cmp_gt_u32_e32 vcc, s4, v2
	v_cndmask_b32_e32 v3, v16, v1, vcc
	v_alignbit_b32 v16, s0, v4, 16
	v_add_u32_e32 v1, 3, v14
	v_pk_add_u16 v17, v5, v16
	v_lshlrev_b32_e32 v2, 16, v5
	v_lshlrev_b32_e32 v17, 16, v17
	v_cmp_gt_u32_e32 vcc, s4, v1
	v_cndmask_b32_e32 v1, v2, v17, vcc
	v_add_u32_e32 v2, 2, v14
	v_pk_add_u16 v16, v16, v4
	v_bfi_b32 v17, s5, v11, v1
	v_bfi_b32 v1, s5, v16, v1
	v_cmp_gt_u32_e32 vcc, s4, v2
	v_cndmask_b32_e32 v2, v17, v1, vcc
	v_add_u32_e32 v1, 1, v14
	s_mov_b32 s5, 0x5040100
	v_pk_add_u16 v17, v4, v9
	v_perm_b32 v16, v4, 0, s5
	v_perm_b32 v17, v17, 0, s5
	v_cmp_gt_u32_e32 vcc, s4, v1
	v_cndmask_b32_e32 v1, v16, v17, vcc
	v_cmp_gt_u32_e32 vcc, s4, v14
	s_waitcnt vmcnt(0) lgkmcnt(0)
	v_cndmask_b32_e32 v14, 0, v15, vcc
.LBB753_28:
	s_mov_b64 s[18:19], -1
	s_cbranch_execnz .LBB753_37
.LBB753_29:
	s_cmp_lg_u64 s[2:3], 1
	s_waitcnt vmcnt(0)
	v_pk_add_u16 v15, v4, v9
	v_cmp_ne_u32_e32 vcc, 0, v0
	s_cbranch_scc0 .LBB753_33
; %bb.30:
	v_alignbit_b32 v1, v6, v5, 16
	v_pk_add_u16 v10, v6, v1
	v_alignbit_b32 v1, v5, v4, 16
	v_pk_add_u16 v3, v5, v1
	s_mov_b32 s4, 0x5040100
	ds_write_b16 v7, v13
	s_waitcnt lgkmcnt(0)
	; wave barrier
                                        ; implicit-def: $vgpr14
	s_and_saveexec_b64 s[2:3], vcc
; %bb.31:
	v_add_u32_e32 v1, -2, v7
	ds_read_u16 v14, v1
	s_or_b64 s[18:19], s[18:19], exec
; %bb.32:
	s_or_b64 exec, exec, s[2:3]
	v_perm_b32 v1, v15, v9, s4
	v_alignbit_b32 v2, v3, v15, 16
	v_alignbit_b32 v3, v10, v3, 16
	v_lshrrev_b32_e32 v10, 16, v10
	s_branch .LBB753_37
.LBB753_33:
                                        ; implicit-def: $vgpr10
                                        ; implicit-def: $vgpr3
                                        ; implicit-def: $vgpr14
	s_cbranch_execz .LBB753_37
; %bb.34:
	v_mul_u32_u24_e32 v10, 7, v0
	v_add_u32_e32 v2, 6, v10
	v_cmp_gt_u32_e32 vcc, s14, v2
	v_alignbit_b32 v2, s0, v6, 16
	s_waitcnt lgkmcnt(0)
	v_alignbit_b32 v14, s0, v5, 16
	ds_write_b16 v7, v13
	v_alignbit_b32 v1, s0, v6, 16
	v_pk_add_u16 v2, v2, v6
	v_add_u32_e32 v3, 5, v10
	v_lshlrev_b32_e32 v13, 16, v6
	v_pk_add_u16 v6, v6, v14
	v_lshlrev_b32_e32 v6, 16, v6
	v_cmp_gt_u32_e64 s[2:3], s14, v3
	v_cndmask_b32_e64 v6, v13, v6, s[2:3]
	s_mov_b32 s17, 0xffff
	v_add_u32_e32 v13, 4, v10
	v_bfi_b32 v3, s17, v12, v6
	v_pk_add_u16 v12, v14, v5
	v_alignbit_b32 v14, s0, v4, 16
	v_cmp_gt_u32_e64 s[2:3], s14, v13
	v_bfi_b32 v6, s17, v12, v6
	v_add_u32_e32 v12, 3, v10
	v_lshlrev_b32_e32 v13, 16, v5
	v_pk_add_u16 v5, v5, v14
	v_lshlrev_b32_e32 v5, 16, v5
	v_cmp_gt_u32_e64 s[4:5], s14, v12
	v_cndmask_b32_e64 v12, v13, v5, s[4:5]
	v_bfi_b32 v5, s17, v11, v12
	v_pk_add_u16 v11, v14, v4
	v_add_u32_e32 v13, 2, v10
	v_bfi_b32 v11, s17, v11, v12
	v_add_u32_e32 v12, 1, v10
	s_mov_b32 s6, 0x5040100
	v_cmp_gt_u32_e64 s[4:5], s14, v13
	v_perm_b32 v4, v4, 0, s6
	v_lshlrev_b32_e32 v13, 16, v15
	v_cmp_gt_u32_e64 s[6:7], s14, v12
	v_cndmask_b32_e64 v4, v4, v13, s[6:7]
	v_cmp_ne_u32_e64 s[6:7], 0, v0
	v_cmp_gt_u32_e64 s[8:9], s14, v10
	s_and_b64 s[8:9], s[6:7], s[8:9]
	s_waitcnt lgkmcnt(0)
	; wave barrier
                                        ; implicit-def: $vgpr14
	s_and_saveexec_b64 s[6:7], s[8:9]
; %bb.35:
	v_add_u32_e32 v10, -2, v7
	ds_read_u16 v14, v10
	s_or_b64 s[18:19], s[18:19], exec
; %bb.36:
	s_or_b64 exec, exec, s[6:7]
	v_cndmask_b32_e32 v10, v1, v2, vcc
	v_cndmask_b32_e64 v3, v3, v6, s[2:3]
	v_cndmask_b32_e64 v2, v5, v11, s[4:5]
	v_bfi_b32 v1, s17, v9, v4
.LBB753_37:
	s_and_saveexec_b64 s[2:3], s[18:19]
	s_cbranch_execz .LBB753_39
; %bb.38:
	s_waitcnt lgkmcnt(0)
	v_add_u16_e32 v4, v14, v9
	s_mov_b32 s4, 0xffff
	v_bfi_b32 v1, s4, v4, v1
.LBB753_39:
	s_or_b64 exec, exec, s[2:3]
	s_add_u32 s4, s12, s10
	s_addc_u32 s5, s13, s11
	s_and_b64 vcc, exec, s[0:1]
	v_mul_i32_i24_e32 v6, -12, v0
	s_waitcnt lgkmcnt(0)
	; wave barrier
	s_cbranch_vccz .LBB753_53
; %bb.40:
	v_mad_u32_u24 v4, v0, 14, v6
	ds_write_b96 v8, v[1:3]
	ds_write_b16 v8, v10 offset:12
	s_waitcnt vmcnt(0) lgkmcnt(0)
	; wave barrier
	ds_read_u16 v15, v4 offset:128
	ds_read_u16 v14, v4 offset:256
	ds_read_u16 v13, v4 offset:384
	ds_read_u16 v12, v4 offset:512
	ds_read_u16 v11, v4 offset:640
	ds_read_u16 v9, v4 offset:768
	s_mov_b32 s17, 0
	s_add_i32 s15, s15, s14
	s_lshl_b64 s[0:1], s[16:17], 1
	s_add_u32 s0, s4, s0
	s_addc_u32 s1, s5, s1
	v_mov_b32_e32 v5, s1
	v_add_co_u32_e32 v4, vcc, s0, v7
	v_addc_co_u32_e32 v5, vcc, 0, v5, vcc
	v_cmp_gt_u32_e32 vcc, s15, v0
	s_and_saveexec_b64 s[0:1], vcc
	s_cbranch_execz .LBB753_42
; %bb.41:
	v_add_u32_e32 v16, v8, v6
	ds_read_u16 v16, v16
	s_waitcnt lgkmcnt(0)
	global_store_short v[4:5], v16, off
.LBB753_42:
	s_or_b64 exec, exec, s[0:1]
	v_or_b32_e32 v16, 64, v0
	v_cmp_gt_u32_e32 vcc, s15, v16
	s_and_saveexec_b64 s[0:1], vcc
	s_cbranch_execz .LBB753_44
; %bb.43:
	s_waitcnt lgkmcnt(5)
	global_store_short v[4:5], v15, off offset:128
.LBB753_44:
	s_or_b64 exec, exec, s[0:1]
	s_waitcnt lgkmcnt(5)
	v_or_b32_e32 v15, 0x80, v0
	v_cmp_gt_u32_e32 vcc, s15, v15
	s_and_saveexec_b64 s[0:1], vcc
	s_cbranch_execz .LBB753_46
; %bb.45:
	s_waitcnt lgkmcnt(4)
	global_store_short v[4:5], v14, off offset:256
.LBB753_46:
	s_or_b64 exec, exec, s[0:1]
	s_waitcnt lgkmcnt(4)
	;; [unrolled: 10-line block ×5, first 2 shown]
	v_or_b32_e32 v11, 0x180, v0
	v_cmp_gt_u32_e64 s[0:1], s15, v11
	s_branch .LBB753_55
.LBB753_53:
	s_mov_b64 s[0:1], 0
                                        ; implicit-def: $vgpr9
                                        ; implicit-def: $vgpr4_vgpr5
	s_cbranch_execz .LBB753_55
; %bb.54:
	s_mov_b32 s17, 0
	s_lshl_b64 s[2:3], s[16:17], 1
	v_mad_u32_u24 v0, v0, 14, v6
	s_add_u32 s2, s4, s2
	ds_write_b96 v8, v[1:3]
	ds_write_b16 v8, v10 offset:12
	s_waitcnt lgkmcnt(0)
	; wave barrier
	ds_read_u16 v1, v0
	ds_read_u16 v2, v0 offset:128
	ds_read_u16 v3, v0 offset:256
	ds_read_u16 v6, v0 offset:384
	ds_read_u16 v8, v0 offset:512
	ds_read_u16 v10, v0 offset:640
	ds_read_u16 v9, v0 offset:768
	s_addc_u32 s3, s5, s3
	v_mov_b32_e32 v0, s3
	v_add_co_u32_e32 v4, vcc, s2, v7
	v_addc_co_u32_e32 v5, vcc, 0, v0, vcc
	s_or_b64 s[0:1], s[0:1], exec
	s_waitcnt lgkmcnt(6)
	global_store_short v7, v1, s[2:3]
	s_waitcnt lgkmcnt(5)
	global_store_short v7, v2, s[2:3] offset:128
	s_waitcnt lgkmcnt(4)
	global_store_short v7, v3, s[2:3] offset:256
	;; [unrolled: 2-line block ×5, first 2 shown]
.LBB753_55:
	s_and_saveexec_b64 s[2:3], s[0:1]
	s_cbranch_execnz .LBB753_57
; %bb.56:
	s_endpgm
.LBB753_57:
	s_waitcnt lgkmcnt(0)
	global_store_short v[4:5], v9, off offset:768
	s_endpgm
	.section	.rodata,"a",@progbits
	.p2align	6, 0x0
	.amdhsa_kernel _ZN7rocprim17ROCPRIM_400000_NS6detail17trampoline_kernelINS0_14default_configENS1_35adjacent_difference_config_selectorILb0EsEEZNS1_24adjacent_difference_implIS3_Lb0ELb0EPKsPsN6thrust23THRUST_200600_302600_NS4plusIsEEEE10hipError_tPvRmT2_T3_mT4_P12ihipStream_tbEUlT_E_NS1_11comp_targetILNS1_3genE2ELNS1_11target_archE906ELNS1_3gpuE6ELNS1_3repE0EEENS1_30default_config_static_selectorELNS0_4arch9wavefront6targetE1EEEvT1_
		.amdhsa_group_segment_fixed_size 896
		.amdhsa_private_segment_fixed_size 0
		.amdhsa_kernarg_size 56
		.amdhsa_user_sgpr_count 6
		.amdhsa_user_sgpr_private_segment_buffer 1
		.amdhsa_user_sgpr_dispatch_ptr 0
		.amdhsa_user_sgpr_queue_ptr 0
		.amdhsa_user_sgpr_kernarg_segment_ptr 1
		.amdhsa_user_sgpr_dispatch_id 0
		.amdhsa_user_sgpr_flat_scratch_init 0
		.amdhsa_user_sgpr_private_segment_size 0
		.amdhsa_uses_dynamic_stack 0
		.amdhsa_system_sgpr_private_segment_wavefront_offset 0
		.amdhsa_system_sgpr_workgroup_id_x 1
		.amdhsa_system_sgpr_workgroup_id_y 0
		.amdhsa_system_sgpr_workgroup_id_z 0
		.amdhsa_system_sgpr_workgroup_info 0
		.amdhsa_system_vgpr_workitem_id 0
		.amdhsa_next_free_vgpr 18
		.amdhsa_next_free_sgpr 23
		.amdhsa_reserve_vcc 1
		.amdhsa_reserve_flat_scratch 0
		.amdhsa_float_round_mode_32 0
		.amdhsa_float_round_mode_16_64 0
		.amdhsa_float_denorm_mode_32 3
		.amdhsa_float_denorm_mode_16_64 3
		.amdhsa_dx10_clamp 1
		.amdhsa_ieee_mode 1
		.amdhsa_fp16_overflow 0
		.amdhsa_exception_fp_ieee_invalid_op 0
		.amdhsa_exception_fp_denorm_src 0
		.amdhsa_exception_fp_ieee_div_zero 0
		.amdhsa_exception_fp_ieee_overflow 0
		.amdhsa_exception_fp_ieee_underflow 0
		.amdhsa_exception_fp_ieee_inexact 0
		.amdhsa_exception_int_div_zero 0
	.end_amdhsa_kernel
	.section	.text._ZN7rocprim17ROCPRIM_400000_NS6detail17trampoline_kernelINS0_14default_configENS1_35adjacent_difference_config_selectorILb0EsEEZNS1_24adjacent_difference_implIS3_Lb0ELb0EPKsPsN6thrust23THRUST_200600_302600_NS4plusIsEEEE10hipError_tPvRmT2_T3_mT4_P12ihipStream_tbEUlT_E_NS1_11comp_targetILNS1_3genE2ELNS1_11target_archE906ELNS1_3gpuE6ELNS1_3repE0EEENS1_30default_config_static_selectorELNS0_4arch9wavefront6targetE1EEEvT1_,"axG",@progbits,_ZN7rocprim17ROCPRIM_400000_NS6detail17trampoline_kernelINS0_14default_configENS1_35adjacent_difference_config_selectorILb0EsEEZNS1_24adjacent_difference_implIS3_Lb0ELb0EPKsPsN6thrust23THRUST_200600_302600_NS4plusIsEEEE10hipError_tPvRmT2_T3_mT4_P12ihipStream_tbEUlT_E_NS1_11comp_targetILNS1_3genE2ELNS1_11target_archE906ELNS1_3gpuE6ELNS1_3repE0EEENS1_30default_config_static_selectorELNS0_4arch9wavefront6targetE1EEEvT1_,comdat
.Lfunc_end753:
	.size	_ZN7rocprim17ROCPRIM_400000_NS6detail17trampoline_kernelINS0_14default_configENS1_35adjacent_difference_config_selectorILb0EsEEZNS1_24adjacent_difference_implIS3_Lb0ELb0EPKsPsN6thrust23THRUST_200600_302600_NS4plusIsEEEE10hipError_tPvRmT2_T3_mT4_P12ihipStream_tbEUlT_E_NS1_11comp_targetILNS1_3genE2ELNS1_11target_archE906ELNS1_3gpuE6ELNS1_3repE0EEENS1_30default_config_static_selectorELNS0_4arch9wavefront6targetE1EEEvT1_, .Lfunc_end753-_ZN7rocprim17ROCPRIM_400000_NS6detail17trampoline_kernelINS0_14default_configENS1_35adjacent_difference_config_selectorILb0EsEEZNS1_24adjacent_difference_implIS3_Lb0ELb0EPKsPsN6thrust23THRUST_200600_302600_NS4plusIsEEEE10hipError_tPvRmT2_T3_mT4_P12ihipStream_tbEUlT_E_NS1_11comp_targetILNS1_3genE2ELNS1_11target_archE906ELNS1_3gpuE6ELNS1_3repE0EEENS1_30default_config_static_selectorELNS0_4arch9wavefront6targetE1EEEvT1_
                                        ; -- End function
	.set _ZN7rocprim17ROCPRIM_400000_NS6detail17trampoline_kernelINS0_14default_configENS1_35adjacent_difference_config_selectorILb0EsEEZNS1_24adjacent_difference_implIS3_Lb0ELb0EPKsPsN6thrust23THRUST_200600_302600_NS4plusIsEEEE10hipError_tPvRmT2_T3_mT4_P12ihipStream_tbEUlT_E_NS1_11comp_targetILNS1_3genE2ELNS1_11target_archE906ELNS1_3gpuE6ELNS1_3repE0EEENS1_30default_config_static_selectorELNS0_4arch9wavefront6targetE1EEEvT1_.num_vgpr, 18
	.set _ZN7rocprim17ROCPRIM_400000_NS6detail17trampoline_kernelINS0_14default_configENS1_35adjacent_difference_config_selectorILb0EsEEZNS1_24adjacent_difference_implIS3_Lb0ELb0EPKsPsN6thrust23THRUST_200600_302600_NS4plusIsEEEE10hipError_tPvRmT2_T3_mT4_P12ihipStream_tbEUlT_E_NS1_11comp_targetILNS1_3genE2ELNS1_11target_archE906ELNS1_3gpuE6ELNS1_3repE0EEENS1_30default_config_static_selectorELNS0_4arch9wavefront6targetE1EEEvT1_.num_agpr, 0
	.set _ZN7rocprim17ROCPRIM_400000_NS6detail17trampoline_kernelINS0_14default_configENS1_35adjacent_difference_config_selectorILb0EsEEZNS1_24adjacent_difference_implIS3_Lb0ELb0EPKsPsN6thrust23THRUST_200600_302600_NS4plusIsEEEE10hipError_tPvRmT2_T3_mT4_P12ihipStream_tbEUlT_E_NS1_11comp_targetILNS1_3genE2ELNS1_11target_archE906ELNS1_3gpuE6ELNS1_3repE0EEENS1_30default_config_static_selectorELNS0_4arch9wavefront6targetE1EEEvT1_.numbered_sgpr, 23
	.set _ZN7rocprim17ROCPRIM_400000_NS6detail17trampoline_kernelINS0_14default_configENS1_35adjacent_difference_config_selectorILb0EsEEZNS1_24adjacent_difference_implIS3_Lb0ELb0EPKsPsN6thrust23THRUST_200600_302600_NS4plusIsEEEE10hipError_tPvRmT2_T3_mT4_P12ihipStream_tbEUlT_E_NS1_11comp_targetILNS1_3genE2ELNS1_11target_archE906ELNS1_3gpuE6ELNS1_3repE0EEENS1_30default_config_static_selectorELNS0_4arch9wavefront6targetE1EEEvT1_.num_named_barrier, 0
	.set _ZN7rocprim17ROCPRIM_400000_NS6detail17trampoline_kernelINS0_14default_configENS1_35adjacent_difference_config_selectorILb0EsEEZNS1_24adjacent_difference_implIS3_Lb0ELb0EPKsPsN6thrust23THRUST_200600_302600_NS4plusIsEEEE10hipError_tPvRmT2_T3_mT4_P12ihipStream_tbEUlT_E_NS1_11comp_targetILNS1_3genE2ELNS1_11target_archE906ELNS1_3gpuE6ELNS1_3repE0EEENS1_30default_config_static_selectorELNS0_4arch9wavefront6targetE1EEEvT1_.private_seg_size, 0
	.set _ZN7rocprim17ROCPRIM_400000_NS6detail17trampoline_kernelINS0_14default_configENS1_35adjacent_difference_config_selectorILb0EsEEZNS1_24adjacent_difference_implIS3_Lb0ELb0EPKsPsN6thrust23THRUST_200600_302600_NS4plusIsEEEE10hipError_tPvRmT2_T3_mT4_P12ihipStream_tbEUlT_E_NS1_11comp_targetILNS1_3genE2ELNS1_11target_archE906ELNS1_3gpuE6ELNS1_3repE0EEENS1_30default_config_static_selectorELNS0_4arch9wavefront6targetE1EEEvT1_.uses_vcc, 1
	.set _ZN7rocprim17ROCPRIM_400000_NS6detail17trampoline_kernelINS0_14default_configENS1_35adjacent_difference_config_selectorILb0EsEEZNS1_24adjacent_difference_implIS3_Lb0ELb0EPKsPsN6thrust23THRUST_200600_302600_NS4plusIsEEEE10hipError_tPvRmT2_T3_mT4_P12ihipStream_tbEUlT_E_NS1_11comp_targetILNS1_3genE2ELNS1_11target_archE906ELNS1_3gpuE6ELNS1_3repE0EEENS1_30default_config_static_selectorELNS0_4arch9wavefront6targetE1EEEvT1_.uses_flat_scratch, 0
	.set _ZN7rocprim17ROCPRIM_400000_NS6detail17trampoline_kernelINS0_14default_configENS1_35adjacent_difference_config_selectorILb0EsEEZNS1_24adjacent_difference_implIS3_Lb0ELb0EPKsPsN6thrust23THRUST_200600_302600_NS4plusIsEEEE10hipError_tPvRmT2_T3_mT4_P12ihipStream_tbEUlT_E_NS1_11comp_targetILNS1_3genE2ELNS1_11target_archE906ELNS1_3gpuE6ELNS1_3repE0EEENS1_30default_config_static_selectorELNS0_4arch9wavefront6targetE1EEEvT1_.has_dyn_sized_stack, 0
	.set _ZN7rocprim17ROCPRIM_400000_NS6detail17trampoline_kernelINS0_14default_configENS1_35adjacent_difference_config_selectorILb0EsEEZNS1_24adjacent_difference_implIS3_Lb0ELb0EPKsPsN6thrust23THRUST_200600_302600_NS4plusIsEEEE10hipError_tPvRmT2_T3_mT4_P12ihipStream_tbEUlT_E_NS1_11comp_targetILNS1_3genE2ELNS1_11target_archE906ELNS1_3gpuE6ELNS1_3repE0EEENS1_30default_config_static_selectorELNS0_4arch9wavefront6targetE1EEEvT1_.has_recursion, 0
	.set _ZN7rocprim17ROCPRIM_400000_NS6detail17trampoline_kernelINS0_14default_configENS1_35adjacent_difference_config_selectorILb0EsEEZNS1_24adjacent_difference_implIS3_Lb0ELb0EPKsPsN6thrust23THRUST_200600_302600_NS4plusIsEEEE10hipError_tPvRmT2_T3_mT4_P12ihipStream_tbEUlT_E_NS1_11comp_targetILNS1_3genE2ELNS1_11target_archE906ELNS1_3gpuE6ELNS1_3repE0EEENS1_30default_config_static_selectorELNS0_4arch9wavefront6targetE1EEEvT1_.has_indirect_call, 0
	.section	.AMDGPU.csdata,"",@progbits
; Kernel info:
; codeLenInByte = 2560
; TotalNumSgprs: 27
; NumVgprs: 18
; ScratchSize: 0
; MemoryBound: 0
; FloatMode: 240
; IeeeMode: 1
; LDSByteSize: 896 bytes/workgroup (compile time only)
; SGPRBlocks: 3
; VGPRBlocks: 4
; NumSGPRsForWavesPerEU: 27
; NumVGPRsForWavesPerEU: 18
; Occupancy: 10
; WaveLimiterHint : 1
; COMPUTE_PGM_RSRC2:SCRATCH_EN: 0
; COMPUTE_PGM_RSRC2:USER_SGPR: 6
; COMPUTE_PGM_RSRC2:TRAP_HANDLER: 0
; COMPUTE_PGM_RSRC2:TGID_X_EN: 1
; COMPUTE_PGM_RSRC2:TGID_Y_EN: 0
; COMPUTE_PGM_RSRC2:TGID_Z_EN: 0
; COMPUTE_PGM_RSRC2:TIDIG_COMP_CNT: 0
	.section	.text._ZN7rocprim17ROCPRIM_400000_NS6detail17trampoline_kernelINS0_14default_configENS1_35adjacent_difference_config_selectorILb0EsEEZNS1_24adjacent_difference_implIS3_Lb0ELb0EPKsPsN6thrust23THRUST_200600_302600_NS4plusIsEEEE10hipError_tPvRmT2_T3_mT4_P12ihipStream_tbEUlT_E_NS1_11comp_targetILNS1_3genE9ELNS1_11target_archE1100ELNS1_3gpuE3ELNS1_3repE0EEENS1_30default_config_static_selectorELNS0_4arch9wavefront6targetE1EEEvT1_,"axG",@progbits,_ZN7rocprim17ROCPRIM_400000_NS6detail17trampoline_kernelINS0_14default_configENS1_35adjacent_difference_config_selectorILb0EsEEZNS1_24adjacent_difference_implIS3_Lb0ELb0EPKsPsN6thrust23THRUST_200600_302600_NS4plusIsEEEE10hipError_tPvRmT2_T3_mT4_P12ihipStream_tbEUlT_E_NS1_11comp_targetILNS1_3genE9ELNS1_11target_archE1100ELNS1_3gpuE3ELNS1_3repE0EEENS1_30default_config_static_selectorELNS0_4arch9wavefront6targetE1EEEvT1_,comdat
	.protected	_ZN7rocprim17ROCPRIM_400000_NS6detail17trampoline_kernelINS0_14default_configENS1_35adjacent_difference_config_selectorILb0EsEEZNS1_24adjacent_difference_implIS3_Lb0ELb0EPKsPsN6thrust23THRUST_200600_302600_NS4plusIsEEEE10hipError_tPvRmT2_T3_mT4_P12ihipStream_tbEUlT_E_NS1_11comp_targetILNS1_3genE9ELNS1_11target_archE1100ELNS1_3gpuE3ELNS1_3repE0EEENS1_30default_config_static_selectorELNS0_4arch9wavefront6targetE1EEEvT1_ ; -- Begin function _ZN7rocprim17ROCPRIM_400000_NS6detail17trampoline_kernelINS0_14default_configENS1_35adjacent_difference_config_selectorILb0EsEEZNS1_24adjacent_difference_implIS3_Lb0ELb0EPKsPsN6thrust23THRUST_200600_302600_NS4plusIsEEEE10hipError_tPvRmT2_T3_mT4_P12ihipStream_tbEUlT_E_NS1_11comp_targetILNS1_3genE9ELNS1_11target_archE1100ELNS1_3gpuE3ELNS1_3repE0EEENS1_30default_config_static_selectorELNS0_4arch9wavefront6targetE1EEEvT1_
	.globl	_ZN7rocprim17ROCPRIM_400000_NS6detail17trampoline_kernelINS0_14default_configENS1_35adjacent_difference_config_selectorILb0EsEEZNS1_24adjacent_difference_implIS3_Lb0ELb0EPKsPsN6thrust23THRUST_200600_302600_NS4plusIsEEEE10hipError_tPvRmT2_T3_mT4_P12ihipStream_tbEUlT_E_NS1_11comp_targetILNS1_3genE9ELNS1_11target_archE1100ELNS1_3gpuE3ELNS1_3repE0EEENS1_30default_config_static_selectorELNS0_4arch9wavefront6targetE1EEEvT1_
	.p2align	8
	.type	_ZN7rocprim17ROCPRIM_400000_NS6detail17trampoline_kernelINS0_14default_configENS1_35adjacent_difference_config_selectorILb0EsEEZNS1_24adjacent_difference_implIS3_Lb0ELb0EPKsPsN6thrust23THRUST_200600_302600_NS4plusIsEEEE10hipError_tPvRmT2_T3_mT4_P12ihipStream_tbEUlT_E_NS1_11comp_targetILNS1_3genE9ELNS1_11target_archE1100ELNS1_3gpuE3ELNS1_3repE0EEENS1_30default_config_static_selectorELNS0_4arch9wavefront6targetE1EEEvT1_,@function
_ZN7rocprim17ROCPRIM_400000_NS6detail17trampoline_kernelINS0_14default_configENS1_35adjacent_difference_config_selectorILb0EsEEZNS1_24adjacent_difference_implIS3_Lb0ELb0EPKsPsN6thrust23THRUST_200600_302600_NS4plusIsEEEE10hipError_tPvRmT2_T3_mT4_P12ihipStream_tbEUlT_E_NS1_11comp_targetILNS1_3genE9ELNS1_11target_archE1100ELNS1_3gpuE3ELNS1_3repE0EEENS1_30default_config_static_selectorELNS0_4arch9wavefront6targetE1EEEvT1_: ; @_ZN7rocprim17ROCPRIM_400000_NS6detail17trampoline_kernelINS0_14default_configENS1_35adjacent_difference_config_selectorILb0EsEEZNS1_24adjacent_difference_implIS3_Lb0ELb0EPKsPsN6thrust23THRUST_200600_302600_NS4plusIsEEEE10hipError_tPvRmT2_T3_mT4_P12ihipStream_tbEUlT_E_NS1_11comp_targetILNS1_3genE9ELNS1_11target_archE1100ELNS1_3gpuE3ELNS1_3repE0EEENS1_30default_config_static_selectorELNS0_4arch9wavefront6targetE1EEEvT1_
; %bb.0:
	.section	.rodata,"a",@progbits
	.p2align	6, 0x0
	.amdhsa_kernel _ZN7rocprim17ROCPRIM_400000_NS6detail17trampoline_kernelINS0_14default_configENS1_35adjacent_difference_config_selectorILb0EsEEZNS1_24adjacent_difference_implIS3_Lb0ELb0EPKsPsN6thrust23THRUST_200600_302600_NS4plusIsEEEE10hipError_tPvRmT2_T3_mT4_P12ihipStream_tbEUlT_E_NS1_11comp_targetILNS1_3genE9ELNS1_11target_archE1100ELNS1_3gpuE3ELNS1_3repE0EEENS1_30default_config_static_selectorELNS0_4arch9wavefront6targetE1EEEvT1_
		.amdhsa_group_segment_fixed_size 0
		.amdhsa_private_segment_fixed_size 0
		.amdhsa_kernarg_size 56
		.amdhsa_user_sgpr_count 6
		.amdhsa_user_sgpr_private_segment_buffer 1
		.amdhsa_user_sgpr_dispatch_ptr 0
		.amdhsa_user_sgpr_queue_ptr 0
		.amdhsa_user_sgpr_kernarg_segment_ptr 1
		.amdhsa_user_sgpr_dispatch_id 0
		.amdhsa_user_sgpr_flat_scratch_init 0
		.amdhsa_user_sgpr_private_segment_size 0
		.amdhsa_uses_dynamic_stack 0
		.amdhsa_system_sgpr_private_segment_wavefront_offset 0
		.amdhsa_system_sgpr_workgroup_id_x 1
		.amdhsa_system_sgpr_workgroup_id_y 0
		.amdhsa_system_sgpr_workgroup_id_z 0
		.amdhsa_system_sgpr_workgroup_info 0
		.amdhsa_system_vgpr_workitem_id 0
		.amdhsa_next_free_vgpr 1
		.amdhsa_next_free_sgpr 0
		.amdhsa_reserve_vcc 0
		.amdhsa_reserve_flat_scratch 0
		.amdhsa_float_round_mode_32 0
		.amdhsa_float_round_mode_16_64 0
		.amdhsa_float_denorm_mode_32 3
		.amdhsa_float_denorm_mode_16_64 3
		.amdhsa_dx10_clamp 1
		.amdhsa_ieee_mode 1
		.amdhsa_fp16_overflow 0
		.amdhsa_exception_fp_ieee_invalid_op 0
		.amdhsa_exception_fp_denorm_src 0
		.amdhsa_exception_fp_ieee_div_zero 0
		.amdhsa_exception_fp_ieee_overflow 0
		.amdhsa_exception_fp_ieee_underflow 0
		.amdhsa_exception_fp_ieee_inexact 0
		.amdhsa_exception_int_div_zero 0
	.end_amdhsa_kernel
	.section	.text._ZN7rocprim17ROCPRIM_400000_NS6detail17trampoline_kernelINS0_14default_configENS1_35adjacent_difference_config_selectorILb0EsEEZNS1_24adjacent_difference_implIS3_Lb0ELb0EPKsPsN6thrust23THRUST_200600_302600_NS4plusIsEEEE10hipError_tPvRmT2_T3_mT4_P12ihipStream_tbEUlT_E_NS1_11comp_targetILNS1_3genE9ELNS1_11target_archE1100ELNS1_3gpuE3ELNS1_3repE0EEENS1_30default_config_static_selectorELNS0_4arch9wavefront6targetE1EEEvT1_,"axG",@progbits,_ZN7rocprim17ROCPRIM_400000_NS6detail17trampoline_kernelINS0_14default_configENS1_35adjacent_difference_config_selectorILb0EsEEZNS1_24adjacent_difference_implIS3_Lb0ELb0EPKsPsN6thrust23THRUST_200600_302600_NS4plusIsEEEE10hipError_tPvRmT2_T3_mT4_P12ihipStream_tbEUlT_E_NS1_11comp_targetILNS1_3genE9ELNS1_11target_archE1100ELNS1_3gpuE3ELNS1_3repE0EEENS1_30default_config_static_selectorELNS0_4arch9wavefront6targetE1EEEvT1_,comdat
.Lfunc_end754:
	.size	_ZN7rocprim17ROCPRIM_400000_NS6detail17trampoline_kernelINS0_14default_configENS1_35adjacent_difference_config_selectorILb0EsEEZNS1_24adjacent_difference_implIS3_Lb0ELb0EPKsPsN6thrust23THRUST_200600_302600_NS4plusIsEEEE10hipError_tPvRmT2_T3_mT4_P12ihipStream_tbEUlT_E_NS1_11comp_targetILNS1_3genE9ELNS1_11target_archE1100ELNS1_3gpuE3ELNS1_3repE0EEENS1_30default_config_static_selectorELNS0_4arch9wavefront6targetE1EEEvT1_, .Lfunc_end754-_ZN7rocprim17ROCPRIM_400000_NS6detail17trampoline_kernelINS0_14default_configENS1_35adjacent_difference_config_selectorILb0EsEEZNS1_24adjacent_difference_implIS3_Lb0ELb0EPKsPsN6thrust23THRUST_200600_302600_NS4plusIsEEEE10hipError_tPvRmT2_T3_mT4_P12ihipStream_tbEUlT_E_NS1_11comp_targetILNS1_3genE9ELNS1_11target_archE1100ELNS1_3gpuE3ELNS1_3repE0EEENS1_30default_config_static_selectorELNS0_4arch9wavefront6targetE1EEEvT1_
                                        ; -- End function
	.set _ZN7rocprim17ROCPRIM_400000_NS6detail17trampoline_kernelINS0_14default_configENS1_35adjacent_difference_config_selectorILb0EsEEZNS1_24adjacent_difference_implIS3_Lb0ELb0EPKsPsN6thrust23THRUST_200600_302600_NS4plusIsEEEE10hipError_tPvRmT2_T3_mT4_P12ihipStream_tbEUlT_E_NS1_11comp_targetILNS1_3genE9ELNS1_11target_archE1100ELNS1_3gpuE3ELNS1_3repE0EEENS1_30default_config_static_selectorELNS0_4arch9wavefront6targetE1EEEvT1_.num_vgpr, 0
	.set _ZN7rocprim17ROCPRIM_400000_NS6detail17trampoline_kernelINS0_14default_configENS1_35adjacent_difference_config_selectorILb0EsEEZNS1_24adjacent_difference_implIS3_Lb0ELb0EPKsPsN6thrust23THRUST_200600_302600_NS4plusIsEEEE10hipError_tPvRmT2_T3_mT4_P12ihipStream_tbEUlT_E_NS1_11comp_targetILNS1_3genE9ELNS1_11target_archE1100ELNS1_3gpuE3ELNS1_3repE0EEENS1_30default_config_static_selectorELNS0_4arch9wavefront6targetE1EEEvT1_.num_agpr, 0
	.set _ZN7rocprim17ROCPRIM_400000_NS6detail17trampoline_kernelINS0_14default_configENS1_35adjacent_difference_config_selectorILb0EsEEZNS1_24adjacent_difference_implIS3_Lb0ELb0EPKsPsN6thrust23THRUST_200600_302600_NS4plusIsEEEE10hipError_tPvRmT2_T3_mT4_P12ihipStream_tbEUlT_E_NS1_11comp_targetILNS1_3genE9ELNS1_11target_archE1100ELNS1_3gpuE3ELNS1_3repE0EEENS1_30default_config_static_selectorELNS0_4arch9wavefront6targetE1EEEvT1_.numbered_sgpr, 0
	.set _ZN7rocprim17ROCPRIM_400000_NS6detail17trampoline_kernelINS0_14default_configENS1_35adjacent_difference_config_selectorILb0EsEEZNS1_24adjacent_difference_implIS3_Lb0ELb0EPKsPsN6thrust23THRUST_200600_302600_NS4plusIsEEEE10hipError_tPvRmT2_T3_mT4_P12ihipStream_tbEUlT_E_NS1_11comp_targetILNS1_3genE9ELNS1_11target_archE1100ELNS1_3gpuE3ELNS1_3repE0EEENS1_30default_config_static_selectorELNS0_4arch9wavefront6targetE1EEEvT1_.num_named_barrier, 0
	.set _ZN7rocprim17ROCPRIM_400000_NS6detail17trampoline_kernelINS0_14default_configENS1_35adjacent_difference_config_selectorILb0EsEEZNS1_24adjacent_difference_implIS3_Lb0ELb0EPKsPsN6thrust23THRUST_200600_302600_NS4plusIsEEEE10hipError_tPvRmT2_T3_mT4_P12ihipStream_tbEUlT_E_NS1_11comp_targetILNS1_3genE9ELNS1_11target_archE1100ELNS1_3gpuE3ELNS1_3repE0EEENS1_30default_config_static_selectorELNS0_4arch9wavefront6targetE1EEEvT1_.private_seg_size, 0
	.set _ZN7rocprim17ROCPRIM_400000_NS6detail17trampoline_kernelINS0_14default_configENS1_35adjacent_difference_config_selectorILb0EsEEZNS1_24adjacent_difference_implIS3_Lb0ELb0EPKsPsN6thrust23THRUST_200600_302600_NS4plusIsEEEE10hipError_tPvRmT2_T3_mT4_P12ihipStream_tbEUlT_E_NS1_11comp_targetILNS1_3genE9ELNS1_11target_archE1100ELNS1_3gpuE3ELNS1_3repE0EEENS1_30default_config_static_selectorELNS0_4arch9wavefront6targetE1EEEvT1_.uses_vcc, 0
	.set _ZN7rocprim17ROCPRIM_400000_NS6detail17trampoline_kernelINS0_14default_configENS1_35adjacent_difference_config_selectorILb0EsEEZNS1_24adjacent_difference_implIS3_Lb0ELb0EPKsPsN6thrust23THRUST_200600_302600_NS4plusIsEEEE10hipError_tPvRmT2_T3_mT4_P12ihipStream_tbEUlT_E_NS1_11comp_targetILNS1_3genE9ELNS1_11target_archE1100ELNS1_3gpuE3ELNS1_3repE0EEENS1_30default_config_static_selectorELNS0_4arch9wavefront6targetE1EEEvT1_.uses_flat_scratch, 0
	.set _ZN7rocprim17ROCPRIM_400000_NS6detail17trampoline_kernelINS0_14default_configENS1_35adjacent_difference_config_selectorILb0EsEEZNS1_24adjacent_difference_implIS3_Lb0ELb0EPKsPsN6thrust23THRUST_200600_302600_NS4plusIsEEEE10hipError_tPvRmT2_T3_mT4_P12ihipStream_tbEUlT_E_NS1_11comp_targetILNS1_3genE9ELNS1_11target_archE1100ELNS1_3gpuE3ELNS1_3repE0EEENS1_30default_config_static_selectorELNS0_4arch9wavefront6targetE1EEEvT1_.has_dyn_sized_stack, 0
	.set _ZN7rocprim17ROCPRIM_400000_NS6detail17trampoline_kernelINS0_14default_configENS1_35adjacent_difference_config_selectorILb0EsEEZNS1_24adjacent_difference_implIS3_Lb0ELb0EPKsPsN6thrust23THRUST_200600_302600_NS4plusIsEEEE10hipError_tPvRmT2_T3_mT4_P12ihipStream_tbEUlT_E_NS1_11comp_targetILNS1_3genE9ELNS1_11target_archE1100ELNS1_3gpuE3ELNS1_3repE0EEENS1_30default_config_static_selectorELNS0_4arch9wavefront6targetE1EEEvT1_.has_recursion, 0
	.set _ZN7rocprim17ROCPRIM_400000_NS6detail17trampoline_kernelINS0_14default_configENS1_35adjacent_difference_config_selectorILb0EsEEZNS1_24adjacent_difference_implIS3_Lb0ELb0EPKsPsN6thrust23THRUST_200600_302600_NS4plusIsEEEE10hipError_tPvRmT2_T3_mT4_P12ihipStream_tbEUlT_E_NS1_11comp_targetILNS1_3genE9ELNS1_11target_archE1100ELNS1_3gpuE3ELNS1_3repE0EEENS1_30default_config_static_selectorELNS0_4arch9wavefront6targetE1EEEvT1_.has_indirect_call, 0
	.section	.AMDGPU.csdata,"",@progbits
; Kernel info:
; codeLenInByte = 0
; TotalNumSgprs: 4
; NumVgprs: 0
; ScratchSize: 0
; MemoryBound: 0
; FloatMode: 240
; IeeeMode: 1
; LDSByteSize: 0 bytes/workgroup (compile time only)
; SGPRBlocks: 0
; VGPRBlocks: 0
; NumSGPRsForWavesPerEU: 4
; NumVGPRsForWavesPerEU: 1
; Occupancy: 10
; WaveLimiterHint : 0
; COMPUTE_PGM_RSRC2:SCRATCH_EN: 0
; COMPUTE_PGM_RSRC2:USER_SGPR: 6
; COMPUTE_PGM_RSRC2:TRAP_HANDLER: 0
; COMPUTE_PGM_RSRC2:TGID_X_EN: 1
; COMPUTE_PGM_RSRC2:TGID_Y_EN: 0
; COMPUTE_PGM_RSRC2:TGID_Z_EN: 0
; COMPUTE_PGM_RSRC2:TIDIG_COMP_CNT: 0
	.section	.text._ZN7rocprim17ROCPRIM_400000_NS6detail17trampoline_kernelINS0_14default_configENS1_35adjacent_difference_config_selectorILb0EsEEZNS1_24adjacent_difference_implIS3_Lb0ELb0EPKsPsN6thrust23THRUST_200600_302600_NS4plusIsEEEE10hipError_tPvRmT2_T3_mT4_P12ihipStream_tbEUlT_E_NS1_11comp_targetILNS1_3genE8ELNS1_11target_archE1030ELNS1_3gpuE2ELNS1_3repE0EEENS1_30default_config_static_selectorELNS0_4arch9wavefront6targetE1EEEvT1_,"axG",@progbits,_ZN7rocprim17ROCPRIM_400000_NS6detail17trampoline_kernelINS0_14default_configENS1_35adjacent_difference_config_selectorILb0EsEEZNS1_24adjacent_difference_implIS3_Lb0ELb0EPKsPsN6thrust23THRUST_200600_302600_NS4plusIsEEEE10hipError_tPvRmT2_T3_mT4_P12ihipStream_tbEUlT_E_NS1_11comp_targetILNS1_3genE8ELNS1_11target_archE1030ELNS1_3gpuE2ELNS1_3repE0EEENS1_30default_config_static_selectorELNS0_4arch9wavefront6targetE1EEEvT1_,comdat
	.protected	_ZN7rocprim17ROCPRIM_400000_NS6detail17trampoline_kernelINS0_14default_configENS1_35adjacent_difference_config_selectorILb0EsEEZNS1_24adjacent_difference_implIS3_Lb0ELb0EPKsPsN6thrust23THRUST_200600_302600_NS4plusIsEEEE10hipError_tPvRmT2_T3_mT4_P12ihipStream_tbEUlT_E_NS1_11comp_targetILNS1_3genE8ELNS1_11target_archE1030ELNS1_3gpuE2ELNS1_3repE0EEENS1_30default_config_static_selectorELNS0_4arch9wavefront6targetE1EEEvT1_ ; -- Begin function _ZN7rocprim17ROCPRIM_400000_NS6detail17trampoline_kernelINS0_14default_configENS1_35adjacent_difference_config_selectorILb0EsEEZNS1_24adjacent_difference_implIS3_Lb0ELb0EPKsPsN6thrust23THRUST_200600_302600_NS4plusIsEEEE10hipError_tPvRmT2_T3_mT4_P12ihipStream_tbEUlT_E_NS1_11comp_targetILNS1_3genE8ELNS1_11target_archE1030ELNS1_3gpuE2ELNS1_3repE0EEENS1_30default_config_static_selectorELNS0_4arch9wavefront6targetE1EEEvT1_
	.globl	_ZN7rocprim17ROCPRIM_400000_NS6detail17trampoline_kernelINS0_14default_configENS1_35adjacent_difference_config_selectorILb0EsEEZNS1_24adjacent_difference_implIS3_Lb0ELb0EPKsPsN6thrust23THRUST_200600_302600_NS4plusIsEEEE10hipError_tPvRmT2_T3_mT4_P12ihipStream_tbEUlT_E_NS1_11comp_targetILNS1_3genE8ELNS1_11target_archE1030ELNS1_3gpuE2ELNS1_3repE0EEENS1_30default_config_static_selectorELNS0_4arch9wavefront6targetE1EEEvT1_
	.p2align	8
	.type	_ZN7rocprim17ROCPRIM_400000_NS6detail17trampoline_kernelINS0_14default_configENS1_35adjacent_difference_config_selectorILb0EsEEZNS1_24adjacent_difference_implIS3_Lb0ELb0EPKsPsN6thrust23THRUST_200600_302600_NS4plusIsEEEE10hipError_tPvRmT2_T3_mT4_P12ihipStream_tbEUlT_E_NS1_11comp_targetILNS1_3genE8ELNS1_11target_archE1030ELNS1_3gpuE2ELNS1_3repE0EEENS1_30default_config_static_selectorELNS0_4arch9wavefront6targetE1EEEvT1_,@function
_ZN7rocprim17ROCPRIM_400000_NS6detail17trampoline_kernelINS0_14default_configENS1_35adjacent_difference_config_selectorILb0EsEEZNS1_24adjacent_difference_implIS3_Lb0ELb0EPKsPsN6thrust23THRUST_200600_302600_NS4plusIsEEEE10hipError_tPvRmT2_T3_mT4_P12ihipStream_tbEUlT_E_NS1_11comp_targetILNS1_3genE8ELNS1_11target_archE1030ELNS1_3gpuE2ELNS1_3repE0EEENS1_30default_config_static_selectorELNS0_4arch9wavefront6targetE1EEEvT1_: ; @_ZN7rocprim17ROCPRIM_400000_NS6detail17trampoline_kernelINS0_14default_configENS1_35adjacent_difference_config_selectorILb0EsEEZNS1_24adjacent_difference_implIS3_Lb0ELb0EPKsPsN6thrust23THRUST_200600_302600_NS4plusIsEEEE10hipError_tPvRmT2_T3_mT4_P12ihipStream_tbEUlT_E_NS1_11comp_targetILNS1_3genE8ELNS1_11target_archE1030ELNS1_3gpuE2ELNS1_3repE0EEENS1_30default_config_static_selectorELNS0_4arch9wavefront6targetE1EEEvT1_
; %bb.0:
	.section	.rodata,"a",@progbits
	.p2align	6, 0x0
	.amdhsa_kernel _ZN7rocprim17ROCPRIM_400000_NS6detail17trampoline_kernelINS0_14default_configENS1_35adjacent_difference_config_selectorILb0EsEEZNS1_24adjacent_difference_implIS3_Lb0ELb0EPKsPsN6thrust23THRUST_200600_302600_NS4plusIsEEEE10hipError_tPvRmT2_T3_mT4_P12ihipStream_tbEUlT_E_NS1_11comp_targetILNS1_3genE8ELNS1_11target_archE1030ELNS1_3gpuE2ELNS1_3repE0EEENS1_30default_config_static_selectorELNS0_4arch9wavefront6targetE1EEEvT1_
		.amdhsa_group_segment_fixed_size 0
		.amdhsa_private_segment_fixed_size 0
		.amdhsa_kernarg_size 56
		.amdhsa_user_sgpr_count 6
		.amdhsa_user_sgpr_private_segment_buffer 1
		.amdhsa_user_sgpr_dispatch_ptr 0
		.amdhsa_user_sgpr_queue_ptr 0
		.amdhsa_user_sgpr_kernarg_segment_ptr 1
		.amdhsa_user_sgpr_dispatch_id 0
		.amdhsa_user_sgpr_flat_scratch_init 0
		.amdhsa_user_sgpr_private_segment_size 0
		.amdhsa_uses_dynamic_stack 0
		.amdhsa_system_sgpr_private_segment_wavefront_offset 0
		.amdhsa_system_sgpr_workgroup_id_x 1
		.amdhsa_system_sgpr_workgroup_id_y 0
		.amdhsa_system_sgpr_workgroup_id_z 0
		.amdhsa_system_sgpr_workgroup_info 0
		.amdhsa_system_vgpr_workitem_id 0
		.amdhsa_next_free_vgpr 1
		.amdhsa_next_free_sgpr 0
		.amdhsa_reserve_vcc 0
		.amdhsa_reserve_flat_scratch 0
		.amdhsa_float_round_mode_32 0
		.amdhsa_float_round_mode_16_64 0
		.amdhsa_float_denorm_mode_32 3
		.amdhsa_float_denorm_mode_16_64 3
		.amdhsa_dx10_clamp 1
		.amdhsa_ieee_mode 1
		.amdhsa_fp16_overflow 0
		.amdhsa_exception_fp_ieee_invalid_op 0
		.amdhsa_exception_fp_denorm_src 0
		.amdhsa_exception_fp_ieee_div_zero 0
		.amdhsa_exception_fp_ieee_overflow 0
		.amdhsa_exception_fp_ieee_underflow 0
		.amdhsa_exception_fp_ieee_inexact 0
		.amdhsa_exception_int_div_zero 0
	.end_amdhsa_kernel
	.section	.text._ZN7rocprim17ROCPRIM_400000_NS6detail17trampoline_kernelINS0_14default_configENS1_35adjacent_difference_config_selectorILb0EsEEZNS1_24adjacent_difference_implIS3_Lb0ELb0EPKsPsN6thrust23THRUST_200600_302600_NS4plusIsEEEE10hipError_tPvRmT2_T3_mT4_P12ihipStream_tbEUlT_E_NS1_11comp_targetILNS1_3genE8ELNS1_11target_archE1030ELNS1_3gpuE2ELNS1_3repE0EEENS1_30default_config_static_selectorELNS0_4arch9wavefront6targetE1EEEvT1_,"axG",@progbits,_ZN7rocprim17ROCPRIM_400000_NS6detail17trampoline_kernelINS0_14default_configENS1_35adjacent_difference_config_selectorILb0EsEEZNS1_24adjacent_difference_implIS3_Lb0ELb0EPKsPsN6thrust23THRUST_200600_302600_NS4plusIsEEEE10hipError_tPvRmT2_T3_mT4_P12ihipStream_tbEUlT_E_NS1_11comp_targetILNS1_3genE8ELNS1_11target_archE1030ELNS1_3gpuE2ELNS1_3repE0EEENS1_30default_config_static_selectorELNS0_4arch9wavefront6targetE1EEEvT1_,comdat
.Lfunc_end755:
	.size	_ZN7rocprim17ROCPRIM_400000_NS6detail17trampoline_kernelINS0_14default_configENS1_35adjacent_difference_config_selectorILb0EsEEZNS1_24adjacent_difference_implIS3_Lb0ELb0EPKsPsN6thrust23THRUST_200600_302600_NS4plusIsEEEE10hipError_tPvRmT2_T3_mT4_P12ihipStream_tbEUlT_E_NS1_11comp_targetILNS1_3genE8ELNS1_11target_archE1030ELNS1_3gpuE2ELNS1_3repE0EEENS1_30default_config_static_selectorELNS0_4arch9wavefront6targetE1EEEvT1_, .Lfunc_end755-_ZN7rocprim17ROCPRIM_400000_NS6detail17trampoline_kernelINS0_14default_configENS1_35adjacent_difference_config_selectorILb0EsEEZNS1_24adjacent_difference_implIS3_Lb0ELb0EPKsPsN6thrust23THRUST_200600_302600_NS4plusIsEEEE10hipError_tPvRmT2_T3_mT4_P12ihipStream_tbEUlT_E_NS1_11comp_targetILNS1_3genE8ELNS1_11target_archE1030ELNS1_3gpuE2ELNS1_3repE0EEENS1_30default_config_static_selectorELNS0_4arch9wavefront6targetE1EEEvT1_
                                        ; -- End function
	.set _ZN7rocprim17ROCPRIM_400000_NS6detail17trampoline_kernelINS0_14default_configENS1_35adjacent_difference_config_selectorILb0EsEEZNS1_24adjacent_difference_implIS3_Lb0ELb0EPKsPsN6thrust23THRUST_200600_302600_NS4plusIsEEEE10hipError_tPvRmT2_T3_mT4_P12ihipStream_tbEUlT_E_NS1_11comp_targetILNS1_3genE8ELNS1_11target_archE1030ELNS1_3gpuE2ELNS1_3repE0EEENS1_30default_config_static_selectorELNS0_4arch9wavefront6targetE1EEEvT1_.num_vgpr, 0
	.set _ZN7rocprim17ROCPRIM_400000_NS6detail17trampoline_kernelINS0_14default_configENS1_35adjacent_difference_config_selectorILb0EsEEZNS1_24adjacent_difference_implIS3_Lb0ELb0EPKsPsN6thrust23THRUST_200600_302600_NS4plusIsEEEE10hipError_tPvRmT2_T3_mT4_P12ihipStream_tbEUlT_E_NS1_11comp_targetILNS1_3genE8ELNS1_11target_archE1030ELNS1_3gpuE2ELNS1_3repE0EEENS1_30default_config_static_selectorELNS0_4arch9wavefront6targetE1EEEvT1_.num_agpr, 0
	.set _ZN7rocprim17ROCPRIM_400000_NS6detail17trampoline_kernelINS0_14default_configENS1_35adjacent_difference_config_selectorILb0EsEEZNS1_24adjacent_difference_implIS3_Lb0ELb0EPKsPsN6thrust23THRUST_200600_302600_NS4plusIsEEEE10hipError_tPvRmT2_T3_mT4_P12ihipStream_tbEUlT_E_NS1_11comp_targetILNS1_3genE8ELNS1_11target_archE1030ELNS1_3gpuE2ELNS1_3repE0EEENS1_30default_config_static_selectorELNS0_4arch9wavefront6targetE1EEEvT1_.numbered_sgpr, 0
	.set _ZN7rocprim17ROCPRIM_400000_NS6detail17trampoline_kernelINS0_14default_configENS1_35adjacent_difference_config_selectorILb0EsEEZNS1_24adjacent_difference_implIS3_Lb0ELb0EPKsPsN6thrust23THRUST_200600_302600_NS4plusIsEEEE10hipError_tPvRmT2_T3_mT4_P12ihipStream_tbEUlT_E_NS1_11comp_targetILNS1_3genE8ELNS1_11target_archE1030ELNS1_3gpuE2ELNS1_3repE0EEENS1_30default_config_static_selectorELNS0_4arch9wavefront6targetE1EEEvT1_.num_named_barrier, 0
	.set _ZN7rocprim17ROCPRIM_400000_NS6detail17trampoline_kernelINS0_14default_configENS1_35adjacent_difference_config_selectorILb0EsEEZNS1_24adjacent_difference_implIS3_Lb0ELb0EPKsPsN6thrust23THRUST_200600_302600_NS4plusIsEEEE10hipError_tPvRmT2_T3_mT4_P12ihipStream_tbEUlT_E_NS1_11comp_targetILNS1_3genE8ELNS1_11target_archE1030ELNS1_3gpuE2ELNS1_3repE0EEENS1_30default_config_static_selectorELNS0_4arch9wavefront6targetE1EEEvT1_.private_seg_size, 0
	.set _ZN7rocprim17ROCPRIM_400000_NS6detail17trampoline_kernelINS0_14default_configENS1_35adjacent_difference_config_selectorILb0EsEEZNS1_24adjacent_difference_implIS3_Lb0ELb0EPKsPsN6thrust23THRUST_200600_302600_NS4plusIsEEEE10hipError_tPvRmT2_T3_mT4_P12ihipStream_tbEUlT_E_NS1_11comp_targetILNS1_3genE8ELNS1_11target_archE1030ELNS1_3gpuE2ELNS1_3repE0EEENS1_30default_config_static_selectorELNS0_4arch9wavefront6targetE1EEEvT1_.uses_vcc, 0
	.set _ZN7rocprim17ROCPRIM_400000_NS6detail17trampoline_kernelINS0_14default_configENS1_35adjacent_difference_config_selectorILb0EsEEZNS1_24adjacent_difference_implIS3_Lb0ELb0EPKsPsN6thrust23THRUST_200600_302600_NS4plusIsEEEE10hipError_tPvRmT2_T3_mT4_P12ihipStream_tbEUlT_E_NS1_11comp_targetILNS1_3genE8ELNS1_11target_archE1030ELNS1_3gpuE2ELNS1_3repE0EEENS1_30default_config_static_selectorELNS0_4arch9wavefront6targetE1EEEvT1_.uses_flat_scratch, 0
	.set _ZN7rocprim17ROCPRIM_400000_NS6detail17trampoline_kernelINS0_14default_configENS1_35adjacent_difference_config_selectorILb0EsEEZNS1_24adjacent_difference_implIS3_Lb0ELb0EPKsPsN6thrust23THRUST_200600_302600_NS4plusIsEEEE10hipError_tPvRmT2_T3_mT4_P12ihipStream_tbEUlT_E_NS1_11comp_targetILNS1_3genE8ELNS1_11target_archE1030ELNS1_3gpuE2ELNS1_3repE0EEENS1_30default_config_static_selectorELNS0_4arch9wavefront6targetE1EEEvT1_.has_dyn_sized_stack, 0
	.set _ZN7rocprim17ROCPRIM_400000_NS6detail17trampoline_kernelINS0_14default_configENS1_35adjacent_difference_config_selectorILb0EsEEZNS1_24adjacent_difference_implIS3_Lb0ELb0EPKsPsN6thrust23THRUST_200600_302600_NS4plusIsEEEE10hipError_tPvRmT2_T3_mT4_P12ihipStream_tbEUlT_E_NS1_11comp_targetILNS1_3genE8ELNS1_11target_archE1030ELNS1_3gpuE2ELNS1_3repE0EEENS1_30default_config_static_selectorELNS0_4arch9wavefront6targetE1EEEvT1_.has_recursion, 0
	.set _ZN7rocprim17ROCPRIM_400000_NS6detail17trampoline_kernelINS0_14default_configENS1_35adjacent_difference_config_selectorILb0EsEEZNS1_24adjacent_difference_implIS3_Lb0ELb0EPKsPsN6thrust23THRUST_200600_302600_NS4plusIsEEEE10hipError_tPvRmT2_T3_mT4_P12ihipStream_tbEUlT_E_NS1_11comp_targetILNS1_3genE8ELNS1_11target_archE1030ELNS1_3gpuE2ELNS1_3repE0EEENS1_30default_config_static_selectorELNS0_4arch9wavefront6targetE1EEEvT1_.has_indirect_call, 0
	.section	.AMDGPU.csdata,"",@progbits
; Kernel info:
; codeLenInByte = 0
; TotalNumSgprs: 4
; NumVgprs: 0
; ScratchSize: 0
; MemoryBound: 0
; FloatMode: 240
; IeeeMode: 1
; LDSByteSize: 0 bytes/workgroup (compile time only)
; SGPRBlocks: 0
; VGPRBlocks: 0
; NumSGPRsForWavesPerEU: 4
; NumVGPRsForWavesPerEU: 1
; Occupancy: 10
; WaveLimiterHint : 0
; COMPUTE_PGM_RSRC2:SCRATCH_EN: 0
; COMPUTE_PGM_RSRC2:USER_SGPR: 6
; COMPUTE_PGM_RSRC2:TRAP_HANDLER: 0
; COMPUTE_PGM_RSRC2:TGID_X_EN: 1
; COMPUTE_PGM_RSRC2:TGID_Y_EN: 0
; COMPUTE_PGM_RSRC2:TGID_Z_EN: 0
; COMPUTE_PGM_RSRC2:TIDIG_COMP_CNT: 0
	.section	.text._ZN7rocprim17ROCPRIM_400000_NS6detail17trampoline_kernelINS0_14default_configENS1_25transform_config_selectorIsLb0EEEZNS1_14transform_implILb0ES3_S5_NS0_18transform_iteratorINS0_17counting_iteratorImlEEZNS1_24adjacent_difference_implIS3_Lb1ELb0EPKsPsN6thrust23THRUST_200600_302600_NS4plusIsEEEE10hipError_tPvRmT2_T3_mT4_P12ihipStream_tbEUlmE_sEESD_NS0_8identityIvEEEESI_SL_SM_mSN_SP_bEUlT_E_NS1_11comp_targetILNS1_3genE0ELNS1_11target_archE4294967295ELNS1_3gpuE0ELNS1_3repE0EEENS1_30default_config_static_selectorELNS0_4arch9wavefront6targetE1EEEvT1_,"axG",@progbits,_ZN7rocprim17ROCPRIM_400000_NS6detail17trampoline_kernelINS0_14default_configENS1_25transform_config_selectorIsLb0EEEZNS1_14transform_implILb0ES3_S5_NS0_18transform_iteratorINS0_17counting_iteratorImlEEZNS1_24adjacent_difference_implIS3_Lb1ELb0EPKsPsN6thrust23THRUST_200600_302600_NS4plusIsEEEE10hipError_tPvRmT2_T3_mT4_P12ihipStream_tbEUlmE_sEESD_NS0_8identityIvEEEESI_SL_SM_mSN_SP_bEUlT_E_NS1_11comp_targetILNS1_3genE0ELNS1_11target_archE4294967295ELNS1_3gpuE0ELNS1_3repE0EEENS1_30default_config_static_selectorELNS0_4arch9wavefront6targetE1EEEvT1_,comdat
	.protected	_ZN7rocprim17ROCPRIM_400000_NS6detail17trampoline_kernelINS0_14default_configENS1_25transform_config_selectorIsLb0EEEZNS1_14transform_implILb0ES3_S5_NS0_18transform_iteratorINS0_17counting_iteratorImlEEZNS1_24adjacent_difference_implIS3_Lb1ELb0EPKsPsN6thrust23THRUST_200600_302600_NS4plusIsEEEE10hipError_tPvRmT2_T3_mT4_P12ihipStream_tbEUlmE_sEESD_NS0_8identityIvEEEESI_SL_SM_mSN_SP_bEUlT_E_NS1_11comp_targetILNS1_3genE0ELNS1_11target_archE4294967295ELNS1_3gpuE0ELNS1_3repE0EEENS1_30default_config_static_selectorELNS0_4arch9wavefront6targetE1EEEvT1_ ; -- Begin function _ZN7rocprim17ROCPRIM_400000_NS6detail17trampoline_kernelINS0_14default_configENS1_25transform_config_selectorIsLb0EEEZNS1_14transform_implILb0ES3_S5_NS0_18transform_iteratorINS0_17counting_iteratorImlEEZNS1_24adjacent_difference_implIS3_Lb1ELb0EPKsPsN6thrust23THRUST_200600_302600_NS4plusIsEEEE10hipError_tPvRmT2_T3_mT4_P12ihipStream_tbEUlmE_sEESD_NS0_8identityIvEEEESI_SL_SM_mSN_SP_bEUlT_E_NS1_11comp_targetILNS1_3genE0ELNS1_11target_archE4294967295ELNS1_3gpuE0ELNS1_3repE0EEENS1_30default_config_static_selectorELNS0_4arch9wavefront6targetE1EEEvT1_
	.globl	_ZN7rocprim17ROCPRIM_400000_NS6detail17trampoline_kernelINS0_14default_configENS1_25transform_config_selectorIsLb0EEEZNS1_14transform_implILb0ES3_S5_NS0_18transform_iteratorINS0_17counting_iteratorImlEEZNS1_24adjacent_difference_implIS3_Lb1ELb0EPKsPsN6thrust23THRUST_200600_302600_NS4plusIsEEEE10hipError_tPvRmT2_T3_mT4_P12ihipStream_tbEUlmE_sEESD_NS0_8identityIvEEEESI_SL_SM_mSN_SP_bEUlT_E_NS1_11comp_targetILNS1_3genE0ELNS1_11target_archE4294967295ELNS1_3gpuE0ELNS1_3repE0EEENS1_30default_config_static_selectorELNS0_4arch9wavefront6targetE1EEEvT1_
	.p2align	8
	.type	_ZN7rocprim17ROCPRIM_400000_NS6detail17trampoline_kernelINS0_14default_configENS1_25transform_config_selectorIsLb0EEEZNS1_14transform_implILb0ES3_S5_NS0_18transform_iteratorINS0_17counting_iteratorImlEEZNS1_24adjacent_difference_implIS3_Lb1ELb0EPKsPsN6thrust23THRUST_200600_302600_NS4plusIsEEEE10hipError_tPvRmT2_T3_mT4_P12ihipStream_tbEUlmE_sEESD_NS0_8identityIvEEEESI_SL_SM_mSN_SP_bEUlT_E_NS1_11comp_targetILNS1_3genE0ELNS1_11target_archE4294967295ELNS1_3gpuE0ELNS1_3repE0EEENS1_30default_config_static_selectorELNS0_4arch9wavefront6targetE1EEEvT1_,@function
_ZN7rocprim17ROCPRIM_400000_NS6detail17trampoline_kernelINS0_14default_configENS1_25transform_config_selectorIsLb0EEEZNS1_14transform_implILb0ES3_S5_NS0_18transform_iteratorINS0_17counting_iteratorImlEEZNS1_24adjacent_difference_implIS3_Lb1ELb0EPKsPsN6thrust23THRUST_200600_302600_NS4plusIsEEEE10hipError_tPvRmT2_T3_mT4_P12ihipStream_tbEUlmE_sEESD_NS0_8identityIvEEEESI_SL_SM_mSN_SP_bEUlT_E_NS1_11comp_targetILNS1_3genE0ELNS1_11target_archE4294967295ELNS1_3gpuE0ELNS1_3repE0EEENS1_30default_config_static_selectorELNS0_4arch9wavefront6targetE1EEEvT1_: ; @_ZN7rocprim17ROCPRIM_400000_NS6detail17trampoline_kernelINS0_14default_configENS1_25transform_config_selectorIsLb0EEEZNS1_14transform_implILb0ES3_S5_NS0_18transform_iteratorINS0_17counting_iteratorImlEEZNS1_24adjacent_difference_implIS3_Lb1ELb0EPKsPsN6thrust23THRUST_200600_302600_NS4plusIsEEEE10hipError_tPvRmT2_T3_mT4_P12ihipStream_tbEUlmE_sEESD_NS0_8identityIvEEEESI_SL_SM_mSN_SP_bEUlT_E_NS1_11comp_targetILNS1_3genE0ELNS1_11target_archE4294967295ELNS1_3gpuE0ELNS1_3repE0EEENS1_30default_config_static_selectorELNS0_4arch9wavefront6targetE1EEEvT1_
; %bb.0:
	.section	.rodata,"a",@progbits
	.p2align	6, 0x0
	.amdhsa_kernel _ZN7rocprim17ROCPRIM_400000_NS6detail17trampoline_kernelINS0_14default_configENS1_25transform_config_selectorIsLb0EEEZNS1_14transform_implILb0ES3_S5_NS0_18transform_iteratorINS0_17counting_iteratorImlEEZNS1_24adjacent_difference_implIS3_Lb1ELb0EPKsPsN6thrust23THRUST_200600_302600_NS4plusIsEEEE10hipError_tPvRmT2_T3_mT4_P12ihipStream_tbEUlmE_sEESD_NS0_8identityIvEEEESI_SL_SM_mSN_SP_bEUlT_E_NS1_11comp_targetILNS1_3genE0ELNS1_11target_archE4294967295ELNS1_3gpuE0ELNS1_3repE0EEENS1_30default_config_static_selectorELNS0_4arch9wavefront6targetE1EEEvT1_
		.amdhsa_group_segment_fixed_size 0
		.amdhsa_private_segment_fixed_size 0
		.amdhsa_kernarg_size 56
		.amdhsa_user_sgpr_count 6
		.amdhsa_user_sgpr_private_segment_buffer 1
		.amdhsa_user_sgpr_dispatch_ptr 0
		.amdhsa_user_sgpr_queue_ptr 0
		.amdhsa_user_sgpr_kernarg_segment_ptr 1
		.amdhsa_user_sgpr_dispatch_id 0
		.amdhsa_user_sgpr_flat_scratch_init 0
		.amdhsa_user_sgpr_private_segment_size 0
		.amdhsa_uses_dynamic_stack 0
		.amdhsa_system_sgpr_private_segment_wavefront_offset 0
		.amdhsa_system_sgpr_workgroup_id_x 1
		.amdhsa_system_sgpr_workgroup_id_y 0
		.amdhsa_system_sgpr_workgroup_id_z 0
		.amdhsa_system_sgpr_workgroup_info 0
		.amdhsa_system_vgpr_workitem_id 0
		.amdhsa_next_free_vgpr 1
		.amdhsa_next_free_sgpr 0
		.amdhsa_reserve_vcc 0
		.amdhsa_reserve_flat_scratch 0
		.amdhsa_float_round_mode_32 0
		.amdhsa_float_round_mode_16_64 0
		.amdhsa_float_denorm_mode_32 3
		.amdhsa_float_denorm_mode_16_64 3
		.amdhsa_dx10_clamp 1
		.amdhsa_ieee_mode 1
		.amdhsa_fp16_overflow 0
		.amdhsa_exception_fp_ieee_invalid_op 0
		.amdhsa_exception_fp_denorm_src 0
		.amdhsa_exception_fp_ieee_div_zero 0
		.amdhsa_exception_fp_ieee_overflow 0
		.amdhsa_exception_fp_ieee_underflow 0
		.amdhsa_exception_fp_ieee_inexact 0
		.amdhsa_exception_int_div_zero 0
	.end_amdhsa_kernel
	.section	.text._ZN7rocprim17ROCPRIM_400000_NS6detail17trampoline_kernelINS0_14default_configENS1_25transform_config_selectorIsLb0EEEZNS1_14transform_implILb0ES3_S5_NS0_18transform_iteratorINS0_17counting_iteratorImlEEZNS1_24adjacent_difference_implIS3_Lb1ELb0EPKsPsN6thrust23THRUST_200600_302600_NS4plusIsEEEE10hipError_tPvRmT2_T3_mT4_P12ihipStream_tbEUlmE_sEESD_NS0_8identityIvEEEESI_SL_SM_mSN_SP_bEUlT_E_NS1_11comp_targetILNS1_3genE0ELNS1_11target_archE4294967295ELNS1_3gpuE0ELNS1_3repE0EEENS1_30default_config_static_selectorELNS0_4arch9wavefront6targetE1EEEvT1_,"axG",@progbits,_ZN7rocprim17ROCPRIM_400000_NS6detail17trampoline_kernelINS0_14default_configENS1_25transform_config_selectorIsLb0EEEZNS1_14transform_implILb0ES3_S5_NS0_18transform_iteratorINS0_17counting_iteratorImlEEZNS1_24adjacent_difference_implIS3_Lb1ELb0EPKsPsN6thrust23THRUST_200600_302600_NS4plusIsEEEE10hipError_tPvRmT2_T3_mT4_P12ihipStream_tbEUlmE_sEESD_NS0_8identityIvEEEESI_SL_SM_mSN_SP_bEUlT_E_NS1_11comp_targetILNS1_3genE0ELNS1_11target_archE4294967295ELNS1_3gpuE0ELNS1_3repE0EEENS1_30default_config_static_selectorELNS0_4arch9wavefront6targetE1EEEvT1_,comdat
.Lfunc_end756:
	.size	_ZN7rocprim17ROCPRIM_400000_NS6detail17trampoline_kernelINS0_14default_configENS1_25transform_config_selectorIsLb0EEEZNS1_14transform_implILb0ES3_S5_NS0_18transform_iteratorINS0_17counting_iteratorImlEEZNS1_24adjacent_difference_implIS3_Lb1ELb0EPKsPsN6thrust23THRUST_200600_302600_NS4plusIsEEEE10hipError_tPvRmT2_T3_mT4_P12ihipStream_tbEUlmE_sEESD_NS0_8identityIvEEEESI_SL_SM_mSN_SP_bEUlT_E_NS1_11comp_targetILNS1_3genE0ELNS1_11target_archE4294967295ELNS1_3gpuE0ELNS1_3repE0EEENS1_30default_config_static_selectorELNS0_4arch9wavefront6targetE1EEEvT1_, .Lfunc_end756-_ZN7rocprim17ROCPRIM_400000_NS6detail17trampoline_kernelINS0_14default_configENS1_25transform_config_selectorIsLb0EEEZNS1_14transform_implILb0ES3_S5_NS0_18transform_iteratorINS0_17counting_iteratorImlEEZNS1_24adjacent_difference_implIS3_Lb1ELb0EPKsPsN6thrust23THRUST_200600_302600_NS4plusIsEEEE10hipError_tPvRmT2_T3_mT4_P12ihipStream_tbEUlmE_sEESD_NS0_8identityIvEEEESI_SL_SM_mSN_SP_bEUlT_E_NS1_11comp_targetILNS1_3genE0ELNS1_11target_archE4294967295ELNS1_3gpuE0ELNS1_3repE0EEENS1_30default_config_static_selectorELNS0_4arch9wavefront6targetE1EEEvT1_
                                        ; -- End function
	.set _ZN7rocprim17ROCPRIM_400000_NS6detail17trampoline_kernelINS0_14default_configENS1_25transform_config_selectorIsLb0EEEZNS1_14transform_implILb0ES3_S5_NS0_18transform_iteratorINS0_17counting_iteratorImlEEZNS1_24adjacent_difference_implIS3_Lb1ELb0EPKsPsN6thrust23THRUST_200600_302600_NS4plusIsEEEE10hipError_tPvRmT2_T3_mT4_P12ihipStream_tbEUlmE_sEESD_NS0_8identityIvEEEESI_SL_SM_mSN_SP_bEUlT_E_NS1_11comp_targetILNS1_3genE0ELNS1_11target_archE4294967295ELNS1_3gpuE0ELNS1_3repE0EEENS1_30default_config_static_selectorELNS0_4arch9wavefront6targetE1EEEvT1_.num_vgpr, 0
	.set _ZN7rocprim17ROCPRIM_400000_NS6detail17trampoline_kernelINS0_14default_configENS1_25transform_config_selectorIsLb0EEEZNS1_14transform_implILb0ES3_S5_NS0_18transform_iteratorINS0_17counting_iteratorImlEEZNS1_24adjacent_difference_implIS3_Lb1ELb0EPKsPsN6thrust23THRUST_200600_302600_NS4plusIsEEEE10hipError_tPvRmT2_T3_mT4_P12ihipStream_tbEUlmE_sEESD_NS0_8identityIvEEEESI_SL_SM_mSN_SP_bEUlT_E_NS1_11comp_targetILNS1_3genE0ELNS1_11target_archE4294967295ELNS1_3gpuE0ELNS1_3repE0EEENS1_30default_config_static_selectorELNS0_4arch9wavefront6targetE1EEEvT1_.num_agpr, 0
	.set _ZN7rocprim17ROCPRIM_400000_NS6detail17trampoline_kernelINS0_14default_configENS1_25transform_config_selectorIsLb0EEEZNS1_14transform_implILb0ES3_S5_NS0_18transform_iteratorINS0_17counting_iteratorImlEEZNS1_24adjacent_difference_implIS3_Lb1ELb0EPKsPsN6thrust23THRUST_200600_302600_NS4plusIsEEEE10hipError_tPvRmT2_T3_mT4_P12ihipStream_tbEUlmE_sEESD_NS0_8identityIvEEEESI_SL_SM_mSN_SP_bEUlT_E_NS1_11comp_targetILNS1_3genE0ELNS1_11target_archE4294967295ELNS1_3gpuE0ELNS1_3repE0EEENS1_30default_config_static_selectorELNS0_4arch9wavefront6targetE1EEEvT1_.numbered_sgpr, 0
	.set _ZN7rocprim17ROCPRIM_400000_NS6detail17trampoline_kernelINS0_14default_configENS1_25transform_config_selectorIsLb0EEEZNS1_14transform_implILb0ES3_S5_NS0_18transform_iteratorINS0_17counting_iteratorImlEEZNS1_24adjacent_difference_implIS3_Lb1ELb0EPKsPsN6thrust23THRUST_200600_302600_NS4plusIsEEEE10hipError_tPvRmT2_T3_mT4_P12ihipStream_tbEUlmE_sEESD_NS0_8identityIvEEEESI_SL_SM_mSN_SP_bEUlT_E_NS1_11comp_targetILNS1_3genE0ELNS1_11target_archE4294967295ELNS1_3gpuE0ELNS1_3repE0EEENS1_30default_config_static_selectorELNS0_4arch9wavefront6targetE1EEEvT1_.num_named_barrier, 0
	.set _ZN7rocprim17ROCPRIM_400000_NS6detail17trampoline_kernelINS0_14default_configENS1_25transform_config_selectorIsLb0EEEZNS1_14transform_implILb0ES3_S5_NS0_18transform_iteratorINS0_17counting_iteratorImlEEZNS1_24adjacent_difference_implIS3_Lb1ELb0EPKsPsN6thrust23THRUST_200600_302600_NS4plusIsEEEE10hipError_tPvRmT2_T3_mT4_P12ihipStream_tbEUlmE_sEESD_NS0_8identityIvEEEESI_SL_SM_mSN_SP_bEUlT_E_NS1_11comp_targetILNS1_3genE0ELNS1_11target_archE4294967295ELNS1_3gpuE0ELNS1_3repE0EEENS1_30default_config_static_selectorELNS0_4arch9wavefront6targetE1EEEvT1_.private_seg_size, 0
	.set _ZN7rocprim17ROCPRIM_400000_NS6detail17trampoline_kernelINS0_14default_configENS1_25transform_config_selectorIsLb0EEEZNS1_14transform_implILb0ES3_S5_NS0_18transform_iteratorINS0_17counting_iteratorImlEEZNS1_24adjacent_difference_implIS3_Lb1ELb0EPKsPsN6thrust23THRUST_200600_302600_NS4plusIsEEEE10hipError_tPvRmT2_T3_mT4_P12ihipStream_tbEUlmE_sEESD_NS0_8identityIvEEEESI_SL_SM_mSN_SP_bEUlT_E_NS1_11comp_targetILNS1_3genE0ELNS1_11target_archE4294967295ELNS1_3gpuE0ELNS1_3repE0EEENS1_30default_config_static_selectorELNS0_4arch9wavefront6targetE1EEEvT1_.uses_vcc, 0
	.set _ZN7rocprim17ROCPRIM_400000_NS6detail17trampoline_kernelINS0_14default_configENS1_25transform_config_selectorIsLb0EEEZNS1_14transform_implILb0ES3_S5_NS0_18transform_iteratorINS0_17counting_iteratorImlEEZNS1_24adjacent_difference_implIS3_Lb1ELb0EPKsPsN6thrust23THRUST_200600_302600_NS4plusIsEEEE10hipError_tPvRmT2_T3_mT4_P12ihipStream_tbEUlmE_sEESD_NS0_8identityIvEEEESI_SL_SM_mSN_SP_bEUlT_E_NS1_11comp_targetILNS1_3genE0ELNS1_11target_archE4294967295ELNS1_3gpuE0ELNS1_3repE0EEENS1_30default_config_static_selectorELNS0_4arch9wavefront6targetE1EEEvT1_.uses_flat_scratch, 0
	.set _ZN7rocprim17ROCPRIM_400000_NS6detail17trampoline_kernelINS0_14default_configENS1_25transform_config_selectorIsLb0EEEZNS1_14transform_implILb0ES3_S5_NS0_18transform_iteratorINS0_17counting_iteratorImlEEZNS1_24adjacent_difference_implIS3_Lb1ELb0EPKsPsN6thrust23THRUST_200600_302600_NS4plusIsEEEE10hipError_tPvRmT2_T3_mT4_P12ihipStream_tbEUlmE_sEESD_NS0_8identityIvEEEESI_SL_SM_mSN_SP_bEUlT_E_NS1_11comp_targetILNS1_3genE0ELNS1_11target_archE4294967295ELNS1_3gpuE0ELNS1_3repE0EEENS1_30default_config_static_selectorELNS0_4arch9wavefront6targetE1EEEvT1_.has_dyn_sized_stack, 0
	.set _ZN7rocprim17ROCPRIM_400000_NS6detail17trampoline_kernelINS0_14default_configENS1_25transform_config_selectorIsLb0EEEZNS1_14transform_implILb0ES3_S5_NS0_18transform_iteratorINS0_17counting_iteratorImlEEZNS1_24adjacent_difference_implIS3_Lb1ELb0EPKsPsN6thrust23THRUST_200600_302600_NS4plusIsEEEE10hipError_tPvRmT2_T3_mT4_P12ihipStream_tbEUlmE_sEESD_NS0_8identityIvEEEESI_SL_SM_mSN_SP_bEUlT_E_NS1_11comp_targetILNS1_3genE0ELNS1_11target_archE4294967295ELNS1_3gpuE0ELNS1_3repE0EEENS1_30default_config_static_selectorELNS0_4arch9wavefront6targetE1EEEvT1_.has_recursion, 0
	.set _ZN7rocprim17ROCPRIM_400000_NS6detail17trampoline_kernelINS0_14default_configENS1_25transform_config_selectorIsLb0EEEZNS1_14transform_implILb0ES3_S5_NS0_18transform_iteratorINS0_17counting_iteratorImlEEZNS1_24adjacent_difference_implIS3_Lb1ELb0EPKsPsN6thrust23THRUST_200600_302600_NS4plusIsEEEE10hipError_tPvRmT2_T3_mT4_P12ihipStream_tbEUlmE_sEESD_NS0_8identityIvEEEESI_SL_SM_mSN_SP_bEUlT_E_NS1_11comp_targetILNS1_3genE0ELNS1_11target_archE4294967295ELNS1_3gpuE0ELNS1_3repE0EEENS1_30default_config_static_selectorELNS0_4arch9wavefront6targetE1EEEvT1_.has_indirect_call, 0
	.section	.AMDGPU.csdata,"",@progbits
; Kernel info:
; codeLenInByte = 0
; TotalNumSgprs: 4
; NumVgprs: 0
; ScratchSize: 0
; MemoryBound: 0
; FloatMode: 240
; IeeeMode: 1
; LDSByteSize: 0 bytes/workgroup (compile time only)
; SGPRBlocks: 0
; VGPRBlocks: 0
; NumSGPRsForWavesPerEU: 4
; NumVGPRsForWavesPerEU: 1
; Occupancy: 10
; WaveLimiterHint : 0
; COMPUTE_PGM_RSRC2:SCRATCH_EN: 0
; COMPUTE_PGM_RSRC2:USER_SGPR: 6
; COMPUTE_PGM_RSRC2:TRAP_HANDLER: 0
; COMPUTE_PGM_RSRC2:TGID_X_EN: 1
; COMPUTE_PGM_RSRC2:TGID_Y_EN: 0
; COMPUTE_PGM_RSRC2:TGID_Z_EN: 0
; COMPUTE_PGM_RSRC2:TIDIG_COMP_CNT: 0
	.section	.text._ZN7rocprim17ROCPRIM_400000_NS6detail17trampoline_kernelINS0_14default_configENS1_25transform_config_selectorIsLb0EEEZNS1_14transform_implILb0ES3_S5_NS0_18transform_iteratorINS0_17counting_iteratorImlEEZNS1_24adjacent_difference_implIS3_Lb1ELb0EPKsPsN6thrust23THRUST_200600_302600_NS4plusIsEEEE10hipError_tPvRmT2_T3_mT4_P12ihipStream_tbEUlmE_sEESD_NS0_8identityIvEEEESI_SL_SM_mSN_SP_bEUlT_E_NS1_11comp_targetILNS1_3genE5ELNS1_11target_archE942ELNS1_3gpuE9ELNS1_3repE0EEENS1_30default_config_static_selectorELNS0_4arch9wavefront6targetE1EEEvT1_,"axG",@progbits,_ZN7rocprim17ROCPRIM_400000_NS6detail17trampoline_kernelINS0_14default_configENS1_25transform_config_selectorIsLb0EEEZNS1_14transform_implILb0ES3_S5_NS0_18transform_iteratorINS0_17counting_iteratorImlEEZNS1_24adjacent_difference_implIS3_Lb1ELb0EPKsPsN6thrust23THRUST_200600_302600_NS4plusIsEEEE10hipError_tPvRmT2_T3_mT4_P12ihipStream_tbEUlmE_sEESD_NS0_8identityIvEEEESI_SL_SM_mSN_SP_bEUlT_E_NS1_11comp_targetILNS1_3genE5ELNS1_11target_archE942ELNS1_3gpuE9ELNS1_3repE0EEENS1_30default_config_static_selectorELNS0_4arch9wavefront6targetE1EEEvT1_,comdat
	.protected	_ZN7rocprim17ROCPRIM_400000_NS6detail17trampoline_kernelINS0_14default_configENS1_25transform_config_selectorIsLb0EEEZNS1_14transform_implILb0ES3_S5_NS0_18transform_iteratorINS0_17counting_iteratorImlEEZNS1_24adjacent_difference_implIS3_Lb1ELb0EPKsPsN6thrust23THRUST_200600_302600_NS4plusIsEEEE10hipError_tPvRmT2_T3_mT4_P12ihipStream_tbEUlmE_sEESD_NS0_8identityIvEEEESI_SL_SM_mSN_SP_bEUlT_E_NS1_11comp_targetILNS1_3genE5ELNS1_11target_archE942ELNS1_3gpuE9ELNS1_3repE0EEENS1_30default_config_static_selectorELNS0_4arch9wavefront6targetE1EEEvT1_ ; -- Begin function _ZN7rocprim17ROCPRIM_400000_NS6detail17trampoline_kernelINS0_14default_configENS1_25transform_config_selectorIsLb0EEEZNS1_14transform_implILb0ES3_S5_NS0_18transform_iteratorINS0_17counting_iteratorImlEEZNS1_24adjacent_difference_implIS3_Lb1ELb0EPKsPsN6thrust23THRUST_200600_302600_NS4plusIsEEEE10hipError_tPvRmT2_T3_mT4_P12ihipStream_tbEUlmE_sEESD_NS0_8identityIvEEEESI_SL_SM_mSN_SP_bEUlT_E_NS1_11comp_targetILNS1_3genE5ELNS1_11target_archE942ELNS1_3gpuE9ELNS1_3repE0EEENS1_30default_config_static_selectorELNS0_4arch9wavefront6targetE1EEEvT1_
	.globl	_ZN7rocprim17ROCPRIM_400000_NS6detail17trampoline_kernelINS0_14default_configENS1_25transform_config_selectorIsLb0EEEZNS1_14transform_implILb0ES3_S5_NS0_18transform_iteratorINS0_17counting_iteratorImlEEZNS1_24adjacent_difference_implIS3_Lb1ELb0EPKsPsN6thrust23THRUST_200600_302600_NS4plusIsEEEE10hipError_tPvRmT2_T3_mT4_P12ihipStream_tbEUlmE_sEESD_NS0_8identityIvEEEESI_SL_SM_mSN_SP_bEUlT_E_NS1_11comp_targetILNS1_3genE5ELNS1_11target_archE942ELNS1_3gpuE9ELNS1_3repE0EEENS1_30default_config_static_selectorELNS0_4arch9wavefront6targetE1EEEvT1_
	.p2align	8
	.type	_ZN7rocprim17ROCPRIM_400000_NS6detail17trampoline_kernelINS0_14default_configENS1_25transform_config_selectorIsLb0EEEZNS1_14transform_implILb0ES3_S5_NS0_18transform_iteratorINS0_17counting_iteratorImlEEZNS1_24adjacent_difference_implIS3_Lb1ELb0EPKsPsN6thrust23THRUST_200600_302600_NS4plusIsEEEE10hipError_tPvRmT2_T3_mT4_P12ihipStream_tbEUlmE_sEESD_NS0_8identityIvEEEESI_SL_SM_mSN_SP_bEUlT_E_NS1_11comp_targetILNS1_3genE5ELNS1_11target_archE942ELNS1_3gpuE9ELNS1_3repE0EEENS1_30default_config_static_selectorELNS0_4arch9wavefront6targetE1EEEvT1_,@function
_ZN7rocprim17ROCPRIM_400000_NS6detail17trampoline_kernelINS0_14default_configENS1_25transform_config_selectorIsLb0EEEZNS1_14transform_implILb0ES3_S5_NS0_18transform_iteratorINS0_17counting_iteratorImlEEZNS1_24adjacent_difference_implIS3_Lb1ELb0EPKsPsN6thrust23THRUST_200600_302600_NS4plusIsEEEE10hipError_tPvRmT2_T3_mT4_P12ihipStream_tbEUlmE_sEESD_NS0_8identityIvEEEESI_SL_SM_mSN_SP_bEUlT_E_NS1_11comp_targetILNS1_3genE5ELNS1_11target_archE942ELNS1_3gpuE9ELNS1_3repE0EEENS1_30default_config_static_selectorELNS0_4arch9wavefront6targetE1EEEvT1_: ; @_ZN7rocprim17ROCPRIM_400000_NS6detail17trampoline_kernelINS0_14default_configENS1_25transform_config_selectorIsLb0EEEZNS1_14transform_implILb0ES3_S5_NS0_18transform_iteratorINS0_17counting_iteratorImlEEZNS1_24adjacent_difference_implIS3_Lb1ELb0EPKsPsN6thrust23THRUST_200600_302600_NS4plusIsEEEE10hipError_tPvRmT2_T3_mT4_P12ihipStream_tbEUlmE_sEESD_NS0_8identityIvEEEESI_SL_SM_mSN_SP_bEUlT_E_NS1_11comp_targetILNS1_3genE5ELNS1_11target_archE942ELNS1_3gpuE9ELNS1_3repE0EEENS1_30default_config_static_selectorELNS0_4arch9wavefront6targetE1EEEvT1_
; %bb.0:
	.section	.rodata,"a",@progbits
	.p2align	6, 0x0
	.amdhsa_kernel _ZN7rocprim17ROCPRIM_400000_NS6detail17trampoline_kernelINS0_14default_configENS1_25transform_config_selectorIsLb0EEEZNS1_14transform_implILb0ES3_S5_NS0_18transform_iteratorINS0_17counting_iteratorImlEEZNS1_24adjacent_difference_implIS3_Lb1ELb0EPKsPsN6thrust23THRUST_200600_302600_NS4plusIsEEEE10hipError_tPvRmT2_T3_mT4_P12ihipStream_tbEUlmE_sEESD_NS0_8identityIvEEEESI_SL_SM_mSN_SP_bEUlT_E_NS1_11comp_targetILNS1_3genE5ELNS1_11target_archE942ELNS1_3gpuE9ELNS1_3repE0EEENS1_30default_config_static_selectorELNS0_4arch9wavefront6targetE1EEEvT1_
		.amdhsa_group_segment_fixed_size 0
		.amdhsa_private_segment_fixed_size 0
		.amdhsa_kernarg_size 56
		.amdhsa_user_sgpr_count 6
		.amdhsa_user_sgpr_private_segment_buffer 1
		.amdhsa_user_sgpr_dispatch_ptr 0
		.amdhsa_user_sgpr_queue_ptr 0
		.amdhsa_user_sgpr_kernarg_segment_ptr 1
		.amdhsa_user_sgpr_dispatch_id 0
		.amdhsa_user_sgpr_flat_scratch_init 0
		.amdhsa_user_sgpr_private_segment_size 0
		.amdhsa_uses_dynamic_stack 0
		.amdhsa_system_sgpr_private_segment_wavefront_offset 0
		.amdhsa_system_sgpr_workgroup_id_x 1
		.amdhsa_system_sgpr_workgroup_id_y 0
		.amdhsa_system_sgpr_workgroup_id_z 0
		.amdhsa_system_sgpr_workgroup_info 0
		.amdhsa_system_vgpr_workitem_id 0
		.amdhsa_next_free_vgpr 1
		.amdhsa_next_free_sgpr 0
		.amdhsa_reserve_vcc 0
		.amdhsa_reserve_flat_scratch 0
		.amdhsa_float_round_mode_32 0
		.amdhsa_float_round_mode_16_64 0
		.amdhsa_float_denorm_mode_32 3
		.amdhsa_float_denorm_mode_16_64 3
		.amdhsa_dx10_clamp 1
		.amdhsa_ieee_mode 1
		.amdhsa_fp16_overflow 0
		.amdhsa_exception_fp_ieee_invalid_op 0
		.amdhsa_exception_fp_denorm_src 0
		.amdhsa_exception_fp_ieee_div_zero 0
		.amdhsa_exception_fp_ieee_overflow 0
		.amdhsa_exception_fp_ieee_underflow 0
		.amdhsa_exception_fp_ieee_inexact 0
		.amdhsa_exception_int_div_zero 0
	.end_amdhsa_kernel
	.section	.text._ZN7rocprim17ROCPRIM_400000_NS6detail17trampoline_kernelINS0_14default_configENS1_25transform_config_selectorIsLb0EEEZNS1_14transform_implILb0ES3_S5_NS0_18transform_iteratorINS0_17counting_iteratorImlEEZNS1_24adjacent_difference_implIS3_Lb1ELb0EPKsPsN6thrust23THRUST_200600_302600_NS4plusIsEEEE10hipError_tPvRmT2_T3_mT4_P12ihipStream_tbEUlmE_sEESD_NS0_8identityIvEEEESI_SL_SM_mSN_SP_bEUlT_E_NS1_11comp_targetILNS1_3genE5ELNS1_11target_archE942ELNS1_3gpuE9ELNS1_3repE0EEENS1_30default_config_static_selectorELNS0_4arch9wavefront6targetE1EEEvT1_,"axG",@progbits,_ZN7rocprim17ROCPRIM_400000_NS6detail17trampoline_kernelINS0_14default_configENS1_25transform_config_selectorIsLb0EEEZNS1_14transform_implILb0ES3_S5_NS0_18transform_iteratorINS0_17counting_iteratorImlEEZNS1_24adjacent_difference_implIS3_Lb1ELb0EPKsPsN6thrust23THRUST_200600_302600_NS4plusIsEEEE10hipError_tPvRmT2_T3_mT4_P12ihipStream_tbEUlmE_sEESD_NS0_8identityIvEEEESI_SL_SM_mSN_SP_bEUlT_E_NS1_11comp_targetILNS1_3genE5ELNS1_11target_archE942ELNS1_3gpuE9ELNS1_3repE0EEENS1_30default_config_static_selectorELNS0_4arch9wavefront6targetE1EEEvT1_,comdat
.Lfunc_end757:
	.size	_ZN7rocprim17ROCPRIM_400000_NS6detail17trampoline_kernelINS0_14default_configENS1_25transform_config_selectorIsLb0EEEZNS1_14transform_implILb0ES3_S5_NS0_18transform_iteratorINS0_17counting_iteratorImlEEZNS1_24adjacent_difference_implIS3_Lb1ELb0EPKsPsN6thrust23THRUST_200600_302600_NS4plusIsEEEE10hipError_tPvRmT2_T3_mT4_P12ihipStream_tbEUlmE_sEESD_NS0_8identityIvEEEESI_SL_SM_mSN_SP_bEUlT_E_NS1_11comp_targetILNS1_3genE5ELNS1_11target_archE942ELNS1_3gpuE9ELNS1_3repE0EEENS1_30default_config_static_selectorELNS0_4arch9wavefront6targetE1EEEvT1_, .Lfunc_end757-_ZN7rocprim17ROCPRIM_400000_NS6detail17trampoline_kernelINS0_14default_configENS1_25transform_config_selectorIsLb0EEEZNS1_14transform_implILb0ES3_S5_NS0_18transform_iteratorINS0_17counting_iteratorImlEEZNS1_24adjacent_difference_implIS3_Lb1ELb0EPKsPsN6thrust23THRUST_200600_302600_NS4plusIsEEEE10hipError_tPvRmT2_T3_mT4_P12ihipStream_tbEUlmE_sEESD_NS0_8identityIvEEEESI_SL_SM_mSN_SP_bEUlT_E_NS1_11comp_targetILNS1_3genE5ELNS1_11target_archE942ELNS1_3gpuE9ELNS1_3repE0EEENS1_30default_config_static_selectorELNS0_4arch9wavefront6targetE1EEEvT1_
                                        ; -- End function
	.set _ZN7rocprim17ROCPRIM_400000_NS6detail17trampoline_kernelINS0_14default_configENS1_25transform_config_selectorIsLb0EEEZNS1_14transform_implILb0ES3_S5_NS0_18transform_iteratorINS0_17counting_iteratorImlEEZNS1_24adjacent_difference_implIS3_Lb1ELb0EPKsPsN6thrust23THRUST_200600_302600_NS4plusIsEEEE10hipError_tPvRmT2_T3_mT4_P12ihipStream_tbEUlmE_sEESD_NS0_8identityIvEEEESI_SL_SM_mSN_SP_bEUlT_E_NS1_11comp_targetILNS1_3genE5ELNS1_11target_archE942ELNS1_3gpuE9ELNS1_3repE0EEENS1_30default_config_static_selectorELNS0_4arch9wavefront6targetE1EEEvT1_.num_vgpr, 0
	.set _ZN7rocprim17ROCPRIM_400000_NS6detail17trampoline_kernelINS0_14default_configENS1_25transform_config_selectorIsLb0EEEZNS1_14transform_implILb0ES3_S5_NS0_18transform_iteratorINS0_17counting_iteratorImlEEZNS1_24adjacent_difference_implIS3_Lb1ELb0EPKsPsN6thrust23THRUST_200600_302600_NS4plusIsEEEE10hipError_tPvRmT2_T3_mT4_P12ihipStream_tbEUlmE_sEESD_NS0_8identityIvEEEESI_SL_SM_mSN_SP_bEUlT_E_NS1_11comp_targetILNS1_3genE5ELNS1_11target_archE942ELNS1_3gpuE9ELNS1_3repE0EEENS1_30default_config_static_selectorELNS0_4arch9wavefront6targetE1EEEvT1_.num_agpr, 0
	.set _ZN7rocprim17ROCPRIM_400000_NS6detail17trampoline_kernelINS0_14default_configENS1_25transform_config_selectorIsLb0EEEZNS1_14transform_implILb0ES3_S5_NS0_18transform_iteratorINS0_17counting_iteratorImlEEZNS1_24adjacent_difference_implIS3_Lb1ELb0EPKsPsN6thrust23THRUST_200600_302600_NS4plusIsEEEE10hipError_tPvRmT2_T3_mT4_P12ihipStream_tbEUlmE_sEESD_NS0_8identityIvEEEESI_SL_SM_mSN_SP_bEUlT_E_NS1_11comp_targetILNS1_3genE5ELNS1_11target_archE942ELNS1_3gpuE9ELNS1_3repE0EEENS1_30default_config_static_selectorELNS0_4arch9wavefront6targetE1EEEvT1_.numbered_sgpr, 0
	.set _ZN7rocprim17ROCPRIM_400000_NS6detail17trampoline_kernelINS0_14default_configENS1_25transform_config_selectorIsLb0EEEZNS1_14transform_implILb0ES3_S5_NS0_18transform_iteratorINS0_17counting_iteratorImlEEZNS1_24adjacent_difference_implIS3_Lb1ELb0EPKsPsN6thrust23THRUST_200600_302600_NS4plusIsEEEE10hipError_tPvRmT2_T3_mT4_P12ihipStream_tbEUlmE_sEESD_NS0_8identityIvEEEESI_SL_SM_mSN_SP_bEUlT_E_NS1_11comp_targetILNS1_3genE5ELNS1_11target_archE942ELNS1_3gpuE9ELNS1_3repE0EEENS1_30default_config_static_selectorELNS0_4arch9wavefront6targetE1EEEvT1_.num_named_barrier, 0
	.set _ZN7rocprim17ROCPRIM_400000_NS6detail17trampoline_kernelINS0_14default_configENS1_25transform_config_selectorIsLb0EEEZNS1_14transform_implILb0ES3_S5_NS0_18transform_iteratorINS0_17counting_iteratorImlEEZNS1_24adjacent_difference_implIS3_Lb1ELb0EPKsPsN6thrust23THRUST_200600_302600_NS4plusIsEEEE10hipError_tPvRmT2_T3_mT4_P12ihipStream_tbEUlmE_sEESD_NS0_8identityIvEEEESI_SL_SM_mSN_SP_bEUlT_E_NS1_11comp_targetILNS1_3genE5ELNS1_11target_archE942ELNS1_3gpuE9ELNS1_3repE0EEENS1_30default_config_static_selectorELNS0_4arch9wavefront6targetE1EEEvT1_.private_seg_size, 0
	.set _ZN7rocprim17ROCPRIM_400000_NS6detail17trampoline_kernelINS0_14default_configENS1_25transform_config_selectorIsLb0EEEZNS1_14transform_implILb0ES3_S5_NS0_18transform_iteratorINS0_17counting_iteratorImlEEZNS1_24adjacent_difference_implIS3_Lb1ELb0EPKsPsN6thrust23THRUST_200600_302600_NS4plusIsEEEE10hipError_tPvRmT2_T3_mT4_P12ihipStream_tbEUlmE_sEESD_NS0_8identityIvEEEESI_SL_SM_mSN_SP_bEUlT_E_NS1_11comp_targetILNS1_3genE5ELNS1_11target_archE942ELNS1_3gpuE9ELNS1_3repE0EEENS1_30default_config_static_selectorELNS0_4arch9wavefront6targetE1EEEvT1_.uses_vcc, 0
	.set _ZN7rocprim17ROCPRIM_400000_NS6detail17trampoline_kernelINS0_14default_configENS1_25transform_config_selectorIsLb0EEEZNS1_14transform_implILb0ES3_S5_NS0_18transform_iteratorINS0_17counting_iteratorImlEEZNS1_24adjacent_difference_implIS3_Lb1ELb0EPKsPsN6thrust23THRUST_200600_302600_NS4plusIsEEEE10hipError_tPvRmT2_T3_mT4_P12ihipStream_tbEUlmE_sEESD_NS0_8identityIvEEEESI_SL_SM_mSN_SP_bEUlT_E_NS1_11comp_targetILNS1_3genE5ELNS1_11target_archE942ELNS1_3gpuE9ELNS1_3repE0EEENS1_30default_config_static_selectorELNS0_4arch9wavefront6targetE1EEEvT1_.uses_flat_scratch, 0
	.set _ZN7rocprim17ROCPRIM_400000_NS6detail17trampoline_kernelINS0_14default_configENS1_25transform_config_selectorIsLb0EEEZNS1_14transform_implILb0ES3_S5_NS0_18transform_iteratorINS0_17counting_iteratorImlEEZNS1_24adjacent_difference_implIS3_Lb1ELb0EPKsPsN6thrust23THRUST_200600_302600_NS4plusIsEEEE10hipError_tPvRmT2_T3_mT4_P12ihipStream_tbEUlmE_sEESD_NS0_8identityIvEEEESI_SL_SM_mSN_SP_bEUlT_E_NS1_11comp_targetILNS1_3genE5ELNS1_11target_archE942ELNS1_3gpuE9ELNS1_3repE0EEENS1_30default_config_static_selectorELNS0_4arch9wavefront6targetE1EEEvT1_.has_dyn_sized_stack, 0
	.set _ZN7rocprim17ROCPRIM_400000_NS6detail17trampoline_kernelINS0_14default_configENS1_25transform_config_selectorIsLb0EEEZNS1_14transform_implILb0ES3_S5_NS0_18transform_iteratorINS0_17counting_iteratorImlEEZNS1_24adjacent_difference_implIS3_Lb1ELb0EPKsPsN6thrust23THRUST_200600_302600_NS4plusIsEEEE10hipError_tPvRmT2_T3_mT4_P12ihipStream_tbEUlmE_sEESD_NS0_8identityIvEEEESI_SL_SM_mSN_SP_bEUlT_E_NS1_11comp_targetILNS1_3genE5ELNS1_11target_archE942ELNS1_3gpuE9ELNS1_3repE0EEENS1_30default_config_static_selectorELNS0_4arch9wavefront6targetE1EEEvT1_.has_recursion, 0
	.set _ZN7rocprim17ROCPRIM_400000_NS6detail17trampoline_kernelINS0_14default_configENS1_25transform_config_selectorIsLb0EEEZNS1_14transform_implILb0ES3_S5_NS0_18transform_iteratorINS0_17counting_iteratorImlEEZNS1_24adjacent_difference_implIS3_Lb1ELb0EPKsPsN6thrust23THRUST_200600_302600_NS4plusIsEEEE10hipError_tPvRmT2_T3_mT4_P12ihipStream_tbEUlmE_sEESD_NS0_8identityIvEEEESI_SL_SM_mSN_SP_bEUlT_E_NS1_11comp_targetILNS1_3genE5ELNS1_11target_archE942ELNS1_3gpuE9ELNS1_3repE0EEENS1_30default_config_static_selectorELNS0_4arch9wavefront6targetE1EEEvT1_.has_indirect_call, 0
	.section	.AMDGPU.csdata,"",@progbits
; Kernel info:
; codeLenInByte = 0
; TotalNumSgprs: 4
; NumVgprs: 0
; ScratchSize: 0
; MemoryBound: 0
; FloatMode: 240
; IeeeMode: 1
; LDSByteSize: 0 bytes/workgroup (compile time only)
; SGPRBlocks: 0
; VGPRBlocks: 0
; NumSGPRsForWavesPerEU: 4
; NumVGPRsForWavesPerEU: 1
; Occupancy: 10
; WaveLimiterHint : 0
; COMPUTE_PGM_RSRC2:SCRATCH_EN: 0
; COMPUTE_PGM_RSRC2:USER_SGPR: 6
; COMPUTE_PGM_RSRC2:TRAP_HANDLER: 0
; COMPUTE_PGM_RSRC2:TGID_X_EN: 1
; COMPUTE_PGM_RSRC2:TGID_Y_EN: 0
; COMPUTE_PGM_RSRC2:TGID_Z_EN: 0
; COMPUTE_PGM_RSRC2:TIDIG_COMP_CNT: 0
	.section	.text._ZN7rocprim17ROCPRIM_400000_NS6detail17trampoline_kernelINS0_14default_configENS1_25transform_config_selectorIsLb0EEEZNS1_14transform_implILb0ES3_S5_NS0_18transform_iteratorINS0_17counting_iteratorImlEEZNS1_24adjacent_difference_implIS3_Lb1ELb0EPKsPsN6thrust23THRUST_200600_302600_NS4plusIsEEEE10hipError_tPvRmT2_T3_mT4_P12ihipStream_tbEUlmE_sEESD_NS0_8identityIvEEEESI_SL_SM_mSN_SP_bEUlT_E_NS1_11comp_targetILNS1_3genE4ELNS1_11target_archE910ELNS1_3gpuE8ELNS1_3repE0EEENS1_30default_config_static_selectorELNS0_4arch9wavefront6targetE1EEEvT1_,"axG",@progbits,_ZN7rocprim17ROCPRIM_400000_NS6detail17trampoline_kernelINS0_14default_configENS1_25transform_config_selectorIsLb0EEEZNS1_14transform_implILb0ES3_S5_NS0_18transform_iteratorINS0_17counting_iteratorImlEEZNS1_24adjacent_difference_implIS3_Lb1ELb0EPKsPsN6thrust23THRUST_200600_302600_NS4plusIsEEEE10hipError_tPvRmT2_T3_mT4_P12ihipStream_tbEUlmE_sEESD_NS0_8identityIvEEEESI_SL_SM_mSN_SP_bEUlT_E_NS1_11comp_targetILNS1_3genE4ELNS1_11target_archE910ELNS1_3gpuE8ELNS1_3repE0EEENS1_30default_config_static_selectorELNS0_4arch9wavefront6targetE1EEEvT1_,comdat
	.protected	_ZN7rocprim17ROCPRIM_400000_NS6detail17trampoline_kernelINS0_14default_configENS1_25transform_config_selectorIsLb0EEEZNS1_14transform_implILb0ES3_S5_NS0_18transform_iteratorINS0_17counting_iteratorImlEEZNS1_24adjacent_difference_implIS3_Lb1ELb0EPKsPsN6thrust23THRUST_200600_302600_NS4plusIsEEEE10hipError_tPvRmT2_T3_mT4_P12ihipStream_tbEUlmE_sEESD_NS0_8identityIvEEEESI_SL_SM_mSN_SP_bEUlT_E_NS1_11comp_targetILNS1_3genE4ELNS1_11target_archE910ELNS1_3gpuE8ELNS1_3repE0EEENS1_30default_config_static_selectorELNS0_4arch9wavefront6targetE1EEEvT1_ ; -- Begin function _ZN7rocprim17ROCPRIM_400000_NS6detail17trampoline_kernelINS0_14default_configENS1_25transform_config_selectorIsLb0EEEZNS1_14transform_implILb0ES3_S5_NS0_18transform_iteratorINS0_17counting_iteratorImlEEZNS1_24adjacent_difference_implIS3_Lb1ELb0EPKsPsN6thrust23THRUST_200600_302600_NS4plusIsEEEE10hipError_tPvRmT2_T3_mT4_P12ihipStream_tbEUlmE_sEESD_NS0_8identityIvEEEESI_SL_SM_mSN_SP_bEUlT_E_NS1_11comp_targetILNS1_3genE4ELNS1_11target_archE910ELNS1_3gpuE8ELNS1_3repE0EEENS1_30default_config_static_selectorELNS0_4arch9wavefront6targetE1EEEvT1_
	.globl	_ZN7rocprim17ROCPRIM_400000_NS6detail17trampoline_kernelINS0_14default_configENS1_25transform_config_selectorIsLb0EEEZNS1_14transform_implILb0ES3_S5_NS0_18transform_iteratorINS0_17counting_iteratorImlEEZNS1_24adjacent_difference_implIS3_Lb1ELb0EPKsPsN6thrust23THRUST_200600_302600_NS4plusIsEEEE10hipError_tPvRmT2_T3_mT4_P12ihipStream_tbEUlmE_sEESD_NS0_8identityIvEEEESI_SL_SM_mSN_SP_bEUlT_E_NS1_11comp_targetILNS1_3genE4ELNS1_11target_archE910ELNS1_3gpuE8ELNS1_3repE0EEENS1_30default_config_static_selectorELNS0_4arch9wavefront6targetE1EEEvT1_
	.p2align	8
	.type	_ZN7rocprim17ROCPRIM_400000_NS6detail17trampoline_kernelINS0_14default_configENS1_25transform_config_selectorIsLb0EEEZNS1_14transform_implILb0ES3_S5_NS0_18transform_iteratorINS0_17counting_iteratorImlEEZNS1_24adjacent_difference_implIS3_Lb1ELb0EPKsPsN6thrust23THRUST_200600_302600_NS4plusIsEEEE10hipError_tPvRmT2_T3_mT4_P12ihipStream_tbEUlmE_sEESD_NS0_8identityIvEEEESI_SL_SM_mSN_SP_bEUlT_E_NS1_11comp_targetILNS1_3genE4ELNS1_11target_archE910ELNS1_3gpuE8ELNS1_3repE0EEENS1_30default_config_static_selectorELNS0_4arch9wavefront6targetE1EEEvT1_,@function
_ZN7rocprim17ROCPRIM_400000_NS6detail17trampoline_kernelINS0_14default_configENS1_25transform_config_selectorIsLb0EEEZNS1_14transform_implILb0ES3_S5_NS0_18transform_iteratorINS0_17counting_iteratorImlEEZNS1_24adjacent_difference_implIS3_Lb1ELb0EPKsPsN6thrust23THRUST_200600_302600_NS4plusIsEEEE10hipError_tPvRmT2_T3_mT4_P12ihipStream_tbEUlmE_sEESD_NS0_8identityIvEEEESI_SL_SM_mSN_SP_bEUlT_E_NS1_11comp_targetILNS1_3genE4ELNS1_11target_archE910ELNS1_3gpuE8ELNS1_3repE0EEENS1_30default_config_static_selectorELNS0_4arch9wavefront6targetE1EEEvT1_: ; @_ZN7rocprim17ROCPRIM_400000_NS6detail17trampoline_kernelINS0_14default_configENS1_25transform_config_selectorIsLb0EEEZNS1_14transform_implILb0ES3_S5_NS0_18transform_iteratorINS0_17counting_iteratorImlEEZNS1_24adjacent_difference_implIS3_Lb1ELb0EPKsPsN6thrust23THRUST_200600_302600_NS4plusIsEEEE10hipError_tPvRmT2_T3_mT4_P12ihipStream_tbEUlmE_sEESD_NS0_8identityIvEEEESI_SL_SM_mSN_SP_bEUlT_E_NS1_11comp_targetILNS1_3genE4ELNS1_11target_archE910ELNS1_3gpuE8ELNS1_3repE0EEENS1_30default_config_static_selectorELNS0_4arch9wavefront6targetE1EEEvT1_
; %bb.0:
	.section	.rodata,"a",@progbits
	.p2align	6, 0x0
	.amdhsa_kernel _ZN7rocprim17ROCPRIM_400000_NS6detail17trampoline_kernelINS0_14default_configENS1_25transform_config_selectorIsLb0EEEZNS1_14transform_implILb0ES3_S5_NS0_18transform_iteratorINS0_17counting_iteratorImlEEZNS1_24adjacent_difference_implIS3_Lb1ELb0EPKsPsN6thrust23THRUST_200600_302600_NS4plusIsEEEE10hipError_tPvRmT2_T3_mT4_P12ihipStream_tbEUlmE_sEESD_NS0_8identityIvEEEESI_SL_SM_mSN_SP_bEUlT_E_NS1_11comp_targetILNS1_3genE4ELNS1_11target_archE910ELNS1_3gpuE8ELNS1_3repE0EEENS1_30default_config_static_selectorELNS0_4arch9wavefront6targetE1EEEvT1_
		.amdhsa_group_segment_fixed_size 0
		.amdhsa_private_segment_fixed_size 0
		.amdhsa_kernarg_size 56
		.amdhsa_user_sgpr_count 6
		.amdhsa_user_sgpr_private_segment_buffer 1
		.amdhsa_user_sgpr_dispatch_ptr 0
		.amdhsa_user_sgpr_queue_ptr 0
		.amdhsa_user_sgpr_kernarg_segment_ptr 1
		.amdhsa_user_sgpr_dispatch_id 0
		.amdhsa_user_sgpr_flat_scratch_init 0
		.amdhsa_user_sgpr_private_segment_size 0
		.amdhsa_uses_dynamic_stack 0
		.amdhsa_system_sgpr_private_segment_wavefront_offset 0
		.amdhsa_system_sgpr_workgroup_id_x 1
		.amdhsa_system_sgpr_workgroup_id_y 0
		.amdhsa_system_sgpr_workgroup_id_z 0
		.amdhsa_system_sgpr_workgroup_info 0
		.amdhsa_system_vgpr_workitem_id 0
		.amdhsa_next_free_vgpr 1
		.amdhsa_next_free_sgpr 0
		.amdhsa_reserve_vcc 0
		.amdhsa_reserve_flat_scratch 0
		.amdhsa_float_round_mode_32 0
		.amdhsa_float_round_mode_16_64 0
		.amdhsa_float_denorm_mode_32 3
		.amdhsa_float_denorm_mode_16_64 3
		.amdhsa_dx10_clamp 1
		.amdhsa_ieee_mode 1
		.amdhsa_fp16_overflow 0
		.amdhsa_exception_fp_ieee_invalid_op 0
		.amdhsa_exception_fp_denorm_src 0
		.amdhsa_exception_fp_ieee_div_zero 0
		.amdhsa_exception_fp_ieee_overflow 0
		.amdhsa_exception_fp_ieee_underflow 0
		.amdhsa_exception_fp_ieee_inexact 0
		.amdhsa_exception_int_div_zero 0
	.end_amdhsa_kernel
	.section	.text._ZN7rocprim17ROCPRIM_400000_NS6detail17trampoline_kernelINS0_14default_configENS1_25transform_config_selectorIsLb0EEEZNS1_14transform_implILb0ES3_S5_NS0_18transform_iteratorINS0_17counting_iteratorImlEEZNS1_24adjacent_difference_implIS3_Lb1ELb0EPKsPsN6thrust23THRUST_200600_302600_NS4plusIsEEEE10hipError_tPvRmT2_T3_mT4_P12ihipStream_tbEUlmE_sEESD_NS0_8identityIvEEEESI_SL_SM_mSN_SP_bEUlT_E_NS1_11comp_targetILNS1_3genE4ELNS1_11target_archE910ELNS1_3gpuE8ELNS1_3repE0EEENS1_30default_config_static_selectorELNS0_4arch9wavefront6targetE1EEEvT1_,"axG",@progbits,_ZN7rocprim17ROCPRIM_400000_NS6detail17trampoline_kernelINS0_14default_configENS1_25transform_config_selectorIsLb0EEEZNS1_14transform_implILb0ES3_S5_NS0_18transform_iteratorINS0_17counting_iteratorImlEEZNS1_24adjacent_difference_implIS3_Lb1ELb0EPKsPsN6thrust23THRUST_200600_302600_NS4plusIsEEEE10hipError_tPvRmT2_T3_mT4_P12ihipStream_tbEUlmE_sEESD_NS0_8identityIvEEEESI_SL_SM_mSN_SP_bEUlT_E_NS1_11comp_targetILNS1_3genE4ELNS1_11target_archE910ELNS1_3gpuE8ELNS1_3repE0EEENS1_30default_config_static_selectorELNS0_4arch9wavefront6targetE1EEEvT1_,comdat
.Lfunc_end758:
	.size	_ZN7rocprim17ROCPRIM_400000_NS6detail17trampoline_kernelINS0_14default_configENS1_25transform_config_selectorIsLb0EEEZNS1_14transform_implILb0ES3_S5_NS0_18transform_iteratorINS0_17counting_iteratorImlEEZNS1_24adjacent_difference_implIS3_Lb1ELb0EPKsPsN6thrust23THRUST_200600_302600_NS4plusIsEEEE10hipError_tPvRmT2_T3_mT4_P12ihipStream_tbEUlmE_sEESD_NS0_8identityIvEEEESI_SL_SM_mSN_SP_bEUlT_E_NS1_11comp_targetILNS1_3genE4ELNS1_11target_archE910ELNS1_3gpuE8ELNS1_3repE0EEENS1_30default_config_static_selectorELNS0_4arch9wavefront6targetE1EEEvT1_, .Lfunc_end758-_ZN7rocprim17ROCPRIM_400000_NS6detail17trampoline_kernelINS0_14default_configENS1_25transform_config_selectorIsLb0EEEZNS1_14transform_implILb0ES3_S5_NS0_18transform_iteratorINS0_17counting_iteratorImlEEZNS1_24adjacent_difference_implIS3_Lb1ELb0EPKsPsN6thrust23THRUST_200600_302600_NS4plusIsEEEE10hipError_tPvRmT2_T3_mT4_P12ihipStream_tbEUlmE_sEESD_NS0_8identityIvEEEESI_SL_SM_mSN_SP_bEUlT_E_NS1_11comp_targetILNS1_3genE4ELNS1_11target_archE910ELNS1_3gpuE8ELNS1_3repE0EEENS1_30default_config_static_selectorELNS0_4arch9wavefront6targetE1EEEvT1_
                                        ; -- End function
	.set _ZN7rocprim17ROCPRIM_400000_NS6detail17trampoline_kernelINS0_14default_configENS1_25transform_config_selectorIsLb0EEEZNS1_14transform_implILb0ES3_S5_NS0_18transform_iteratorINS0_17counting_iteratorImlEEZNS1_24adjacent_difference_implIS3_Lb1ELb0EPKsPsN6thrust23THRUST_200600_302600_NS4plusIsEEEE10hipError_tPvRmT2_T3_mT4_P12ihipStream_tbEUlmE_sEESD_NS0_8identityIvEEEESI_SL_SM_mSN_SP_bEUlT_E_NS1_11comp_targetILNS1_3genE4ELNS1_11target_archE910ELNS1_3gpuE8ELNS1_3repE0EEENS1_30default_config_static_selectorELNS0_4arch9wavefront6targetE1EEEvT1_.num_vgpr, 0
	.set _ZN7rocprim17ROCPRIM_400000_NS6detail17trampoline_kernelINS0_14default_configENS1_25transform_config_selectorIsLb0EEEZNS1_14transform_implILb0ES3_S5_NS0_18transform_iteratorINS0_17counting_iteratorImlEEZNS1_24adjacent_difference_implIS3_Lb1ELb0EPKsPsN6thrust23THRUST_200600_302600_NS4plusIsEEEE10hipError_tPvRmT2_T3_mT4_P12ihipStream_tbEUlmE_sEESD_NS0_8identityIvEEEESI_SL_SM_mSN_SP_bEUlT_E_NS1_11comp_targetILNS1_3genE4ELNS1_11target_archE910ELNS1_3gpuE8ELNS1_3repE0EEENS1_30default_config_static_selectorELNS0_4arch9wavefront6targetE1EEEvT1_.num_agpr, 0
	.set _ZN7rocprim17ROCPRIM_400000_NS6detail17trampoline_kernelINS0_14default_configENS1_25transform_config_selectorIsLb0EEEZNS1_14transform_implILb0ES3_S5_NS0_18transform_iteratorINS0_17counting_iteratorImlEEZNS1_24adjacent_difference_implIS3_Lb1ELb0EPKsPsN6thrust23THRUST_200600_302600_NS4plusIsEEEE10hipError_tPvRmT2_T3_mT4_P12ihipStream_tbEUlmE_sEESD_NS0_8identityIvEEEESI_SL_SM_mSN_SP_bEUlT_E_NS1_11comp_targetILNS1_3genE4ELNS1_11target_archE910ELNS1_3gpuE8ELNS1_3repE0EEENS1_30default_config_static_selectorELNS0_4arch9wavefront6targetE1EEEvT1_.numbered_sgpr, 0
	.set _ZN7rocprim17ROCPRIM_400000_NS6detail17trampoline_kernelINS0_14default_configENS1_25transform_config_selectorIsLb0EEEZNS1_14transform_implILb0ES3_S5_NS0_18transform_iteratorINS0_17counting_iteratorImlEEZNS1_24adjacent_difference_implIS3_Lb1ELb0EPKsPsN6thrust23THRUST_200600_302600_NS4plusIsEEEE10hipError_tPvRmT2_T3_mT4_P12ihipStream_tbEUlmE_sEESD_NS0_8identityIvEEEESI_SL_SM_mSN_SP_bEUlT_E_NS1_11comp_targetILNS1_3genE4ELNS1_11target_archE910ELNS1_3gpuE8ELNS1_3repE0EEENS1_30default_config_static_selectorELNS0_4arch9wavefront6targetE1EEEvT1_.num_named_barrier, 0
	.set _ZN7rocprim17ROCPRIM_400000_NS6detail17trampoline_kernelINS0_14default_configENS1_25transform_config_selectorIsLb0EEEZNS1_14transform_implILb0ES3_S5_NS0_18transform_iteratorINS0_17counting_iteratorImlEEZNS1_24adjacent_difference_implIS3_Lb1ELb0EPKsPsN6thrust23THRUST_200600_302600_NS4plusIsEEEE10hipError_tPvRmT2_T3_mT4_P12ihipStream_tbEUlmE_sEESD_NS0_8identityIvEEEESI_SL_SM_mSN_SP_bEUlT_E_NS1_11comp_targetILNS1_3genE4ELNS1_11target_archE910ELNS1_3gpuE8ELNS1_3repE0EEENS1_30default_config_static_selectorELNS0_4arch9wavefront6targetE1EEEvT1_.private_seg_size, 0
	.set _ZN7rocprim17ROCPRIM_400000_NS6detail17trampoline_kernelINS0_14default_configENS1_25transform_config_selectorIsLb0EEEZNS1_14transform_implILb0ES3_S5_NS0_18transform_iteratorINS0_17counting_iteratorImlEEZNS1_24adjacent_difference_implIS3_Lb1ELb0EPKsPsN6thrust23THRUST_200600_302600_NS4plusIsEEEE10hipError_tPvRmT2_T3_mT4_P12ihipStream_tbEUlmE_sEESD_NS0_8identityIvEEEESI_SL_SM_mSN_SP_bEUlT_E_NS1_11comp_targetILNS1_3genE4ELNS1_11target_archE910ELNS1_3gpuE8ELNS1_3repE0EEENS1_30default_config_static_selectorELNS0_4arch9wavefront6targetE1EEEvT1_.uses_vcc, 0
	.set _ZN7rocprim17ROCPRIM_400000_NS6detail17trampoline_kernelINS0_14default_configENS1_25transform_config_selectorIsLb0EEEZNS1_14transform_implILb0ES3_S5_NS0_18transform_iteratorINS0_17counting_iteratorImlEEZNS1_24adjacent_difference_implIS3_Lb1ELb0EPKsPsN6thrust23THRUST_200600_302600_NS4plusIsEEEE10hipError_tPvRmT2_T3_mT4_P12ihipStream_tbEUlmE_sEESD_NS0_8identityIvEEEESI_SL_SM_mSN_SP_bEUlT_E_NS1_11comp_targetILNS1_3genE4ELNS1_11target_archE910ELNS1_3gpuE8ELNS1_3repE0EEENS1_30default_config_static_selectorELNS0_4arch9wavefront6targetE1EEEvT1_.uses_flat_scratch, 0
	.set _ZN7rocprim17ROCPRIM_400000_NS6detail17trampoline_kernelINS0_14default_configENS1_25transform_config_selectorIsLb0EEEZNS1_14transform_implILb0ES3_S5_NS0_18transform_iteratorINS0_17counting_iteratorImlEEZNS1_24adjacent_difference_implIS3_Lb1ELb0EPKsPsN6thrust23THRUST_200600_302600_NS4plusIsEEEE10hipError_tPvRmT2_T3_mT4_P12ihipStream_tbEUlmE_sEESD_NS0_8identityIvEEEESI_SL_SM_mSN_SP_bEUlT_E_NS1_11comp_targetILNS1_3genE4ELNS1_11target_archE910ELNS1_3gpuE8ELNS1_3repE0EEENS1_30default_config_static_selectorELNS0_4arch9wavefront6targetE1EEEvT1_.has_dyn_sized_stack, 0
	.set _ZN7rocprim17ROCPRIM_400000_NS6detail17trampoline_kernelINS0_14default_configENS1_25transform_config_selectorIsLb0EEEZNS1_14transform_implILb0ES3_S5_NS0_18transform_iteratorINS0_17counting_iteratorImlEEZNS1_24adjacent_difference_implIS3_Lb1ELb0EPKsPsN6thrust23THRUST_200600_302600_NS4plusIsEEEE10hipError_tPvRmT2_T3_mT4_P12ihipStream_tbEUlmE_sEESD_NS0_8identityIvEEEESI_SL_SM_mSN_SP_bEUlT_E_NS1_11comp_targetILNS1_3genE4ELNS1_11target_archE910ELNS1_3gpuE8ELNS1_3repE0EEENS1_30default_config_static_selectorELNS0_4arch9wavefront6targetE1EEEvT1_.has_recursion, 0
	.set _ZN7rocprim17ROCPRIM_400000_NS6detail17trampoline_kernelINS0_14default_configENS1_25transform_config_selectorIsLb0EEEZNS1_14transform_implILb0ES3_S5_NS0_18transform_iteratorINS0_17counting_iteratorImlEEZNS1_24adjacent_difference_implIS3_Lb1ELb0EPKsPsN6thrust23THRUST_200600_302600_NS4plusIsEEEE10hipError_tPvRmT2_T3_mT4_P12ihipStream_tbEUlmE_sEESD_NS0_8identityIvEEEESI_SL_SM_mSN_SP_bEUlT_E_NS1_11comp_targetILNS1_3genE4ELNS1_11target_archE910ELNS1_3gpuE8ELNS1_3repE0EEENS1_30default_config_static_selectorELNS0_4arch9wavefront6targetE1EEEvT1_.has_indirect_call, 0
	.section	.AMDGPU.csdata,"",@progbits
; Kernel info:
; codeLenInByte = 0
; TotalNumSgprs: 4
; NumVgprs: 0
; ScratchSize: 0
; MemoryBound: 0
; FloatMode: 240
; IeeeMode: 1
; LDSByteSize: 0 bytes/workgroup (compile time only)
; SGPRBlocks: 0
; VGPRBlocks: 0
; NumSGPRsForWavesPerEU: 4
; NumVGPRsForWavesPerEU: 1
; Occupancy: 10
; WaveLimiterHint : 0
; COMPUTE_PGM_RSRC2:SCRATCH_EN: 0
; COMPUTE_PGM_RSRC2:USER_SGPR: 6
; COMPUTE_PGM_RSRC2:TRAP_HANDLER: 0
; COMPUTE_PGM_RSRC2:TGID_X_EN: 1
; COMPUTE_PGM_RSRC2:TGID_Y_EN: 0
; COMPUTE_PGM_RSRC2:TGID_Z_EN: 0
; COMPUTE_PGM_RSRC2:TIDIG_COMP_CNT: 0
	.section	.text._ZN7rocprim17ROCPRIM_400000_NS6detail17trampoline_kernelINS0_14default_configENS1_25transform_config_selectorIsLb0EEEZNS1_14transform_implILb0ES3_S5_NS0_18transform_iteratorINS0_17counting_iteratorImlEEZNS1_24adjacent_difference_implIS3_Lb1ELb0EPKsPsN6thrust23THRUST_200600_302600_NS4plusIsEEEE10hipError_tPvRmT2_T3_mT4_P12ihipStream_tbEUlmE_sEESD_NS0_8identityIvEEEESI_SL_SM_mSN_SP_bEUlT_E_NS1_11comp_targetILNS1_3genE3ELNS1_11target_archE908ELNS1_3gpuE7ELNS1_3repE0EEENS1_30default_config_static_selectorELNS0_4arch9wavefront6targetE1EEEvT1_,"axG",@progbits,_ZN7rocprim17ROCPRIM_400000_NS6detail17trampoline_kernelINS0_14default_configENS1_25transform_config_selectorIsLb0EEEZNS1_14transform_implILb0ES3_S5_NS0_18transform_iteratorINS0_17counting_iteratorImlEEZNS1_24adjacent_difference_implIS3_Lb1ELb0EPKsPsN6thrust23THRUST_200600_302600_NS4plusIsEEEE10hipError_tPvRmT2_T3_mT4_P12ihipStream_tbEUlmE_sEESD_NS0_8identityIvEEEESI_SL_SM_mSN_SP_bEUlT_E_NS1_11comp_targetILNS1_3genE3ELNS1_11target_archE908ELNS1_3gpuE7ELNS1_3repE0EEENS1_30default_config_static_selectorELNS0_4arch9wavefront6targetE1EEEvT1_,comdat
	.protected	_ZN7rocprim17ROCPRIM_400000_NS6detail17trampoline_kernelINS0_14default_configENS1_25transform_config_selectorIsLb0EEEZNS1_14transform_implILb0ES3_S5_NS0_18transform_iteratorINS0_17counting_iteratorImlEEZNS1_24adjacent_difference_implIS3_Lb1ELb0EPKsPsN6thrust23THRUST_200600_302600_NS4plusIsEEEE10hipError_tPvRmT2_T3_mT4_P12ihipStream_tbEUlmE_sEESD_NS0_8identityIvEEEESI_SL_SM_mSN_SP_bEUlT_E_NS1_11comp_targetILNS1_3genE3ELNS1_11target_archE908ELNS1_3gpuE7ELNS1_3repE0EEENS1_30default_config_static_selectorELNS0_4arch9wavefront6targetE1EEEvT1_ ; -- Begin function _ZN7rocprim17ROCPRIM_400000_NS6detail17trampoline_kernelINS0_14default_configENS1_25transform_config_selectorIsLb0EEEZNS1_14transform_implILb0ES3_S5_NS0_18transform_iteratorINS0_17counting_iteratorImlEEZNS1_24adjacent_difference_implIS3_Lb1ELb0EPKsPsN6thrust23THRUST_200600_302600_NS4plusIsEEEE10hipError_tPvRmT2_T3_mT4_P12ihipStream_tbEUlmE_sEESD_NS0_8identityIvEEEESI_SL_SM_mSN_SP_bEUlT_E_NS1_11comp_targetILNS1_3genE3ELNS1_11target_archE908ELNS1_3gpuE7ELNS1_3repE0EEENS1_30default_config_static_selectorELNS0_4arch9wavefront6targetE1EEEvT1_
	.globl	_ZN7rocprim17ROCPRIM_400000_NS6detail17trampoline_kernelINS0_14default_configENS1_25transform_config_selectorIsLb0EEEZNS1_14transform_implILb0ES3_S5_NS0_18transform_iteratorINS0_17counting_iteratorImlEEZNS1_24adjacent_difference_implIS3_Lb1ELb0EPKsPsN6thrust23THRUST_200600_302600_NS4plusIsEEEE10hipError_tPvRmT2_T3_mT4_P12ihipStream_tbEUlmE_sEESD_NS0_8identityIvEEEESI_SL_SM_mSN_SP_bEUlT_E_NS1_11comp_targetILNS1_3genE3ELNS1_11target_archE908ELNS1_3gpuE7ELNS1_3repE0EEENS1_30default_config_static_selectorELNS0_4arch9wavefront6targetE1EEEvT1_
	.p2align	8
	.type	_ZN7rocprim17ROCPRIM_400000_NS6detail17trampoline_kernelINS0_14default_configENS1_25transform_config_selectorIsLb0EEEZNS1_14transform_implILb0ES3_S5_NS0_18transform_iteratorINS0_17counting_iteratorImlEEZNS1_24adjacent_difference_implIS3_Lb1ELb0EPKsPsN6thrust23THRUST_200600_302600_NS4plusIsEEEE10hipError_tPvRmT2_T3_mT4_P12ihipStream_tbEUlmE_sEESD_NS0_8identityIvEEEESI_SL_SM_mSN_SP_bEUlT_E_NS1_11comp_targetILNS1_3genE3ELNS1_11target_archE908ELNS1_3gpuE7ELNS1_3repE0EEENS1_30default_config_static_selectorELNS0_4arch9wavefront6targetE1EEEvT1_,@function
_ZN7rocprim17ROCPRIM_400000_NS6detail17trampoline_kernelINS0_14default_configENS1_25transform_config_selectorIsLb0EEEZNS1_14transform_implILb0ES3_S5_NS0_18transform_iteratorINS0_17counting_iteratorImlEEZNS1_24adjacent_difference_implIS3_Lb1ELb0EPKsPsN6thrust23THRUST_200600_302600_NS4plusIsEEEE10hipError_tPvRmT2_T3_mT4_P12ihipStream_tbEUlmE_sEESD_NS0_8identityIvEEEESI_SL_SM_mSN_SP_bEUlT_E_NS1_11comp_targetILNS1_3genE3ELNS1_11target_archE908ELNS1_3gpuE7ELNS1_3repE0EEENS1_30default_config_static_selectorELNS0_4arch9wavefront6targetE1EEEvT1_: ; @_ZN7rocprim17ROCPRIM_400000_NS6detail17trampoline_kernelINS0_14default_configENS1_25transform_config_selectorIsLb0EEEZNS1_14transform_implILb0ES3_S5_NS0_18transform_iteratorINS0_17counting_iteratorImlEEZNS1_24adjacent_difference_implIS3_Lb1ELb0EPKsPsN6thrust23THRUST_200600_302600_NS4plusIsEEEE10hipError_tPvRmT2_T3_mT4_P12ihipStream_tbEUlmE_sEESD_NS0_8identityIvEEEESI_SL_SM_mSN_SP_bEUlT_E_NS1_11comp_targetILNS1_3genE3ELNS1_11target_archE908ELNS1_3gpuE7ELNS1_3repE0EEENS1_30default_config_static_selectorELNS0_4arch9wavefront6targetE1EEEvT1_
; %bb.0:
	.section	.rodata,"a",@progbits
	.p2align	6, 0x0
	.amdhsa_kernel _ZN7rocprim17ROCPRIM_400000_NS6detail17trampoline_kernelINS0_14default_configENS1_25transform_config_selectorIsLb0EEEZNS1_14transform_implILb0ES3_S5_NS0_18transform_iteratorINS0_17counting_iteratorImlEEZNS1_24adjacent_difference_implIS3_Lb1ELb0EPKsPsN6thrust23THRUST_200600_302600_NS4plusIsEEEE10hipError_tPvRmT2_T3_mT4_P12ihipStream_tbEUlmE_sEESD_NS0_8identityIvEEEESI_SL_SM_mSN_SP_bEUlT_E_NS1_11comp_targetILNS1_3genE3ELNS1_11target_archE908ELNS1_3gpuE7ELNS1_3repE0EEENS1_30default_config_static_selectorELNS0_4arch9wavefront6targetE1EEEvT1_
		.amdhsa_group_segment_fixed_size 0
		.amdhsa_private_segment_fixed_size 0
		.amdhsa_kernarg_size 56
		.amdhsa_user_sgpr_count 6
		.amdhsa_user_sgpr_private_segment_buffer 1
		.amdhsa_user_sgpr_dispatch_ptr 0
		.amdhsa_user_sgpr_queue_ptr 0
		.amdhsa_user_sgpr_kernarg_segment_ptr 1
		.amdhsa_user_sgpr_dispatch_id 0
		.amdhsa_user_sgpr_flat_scratch_init 0
		.amdhsa_user_sgpr_private_segment_size 0
		.amdhsa_uses_dynamic_stack 0
		.amdhsa_system_sgpr_private_segment_wavefront_offset 0
		.amdhsa_system_sgpr_workgroup_id_x 1
		.amdhsa_system_sgpr_workgroup_id_y 0
		.amdhsa_system_sgpr_workgroup_id_z 0
		.amdhsa_system_sgpr_workgroup_info 0
		.amdhsa_system_vgpr_workitem_id 0
		.amdhsa_next_free_vgpr 1
		.amdhsa_next_free_sgpr 0
		.amdhsa_reserve_vcc 0
		.amdhsa_reserve_flat_scratch 0
		.amdhsa_float_round_mode_32 0
		.amdhsa_float_round_mode_16_64 0
		.amdhsa_float_denorm_mode_32 3
		.amdhsa_float_denorm_mode_16_64 3
		.amdhsa_dx10_clamp 1
		.amdhsa_ieee_mode 1
		.amdhsa_fp16_overflow 0
		.amdhsa_exception_fp_ieee_invalid_op 0
		.amdhsa_exception_fp_denorm_src 0
		.amdhsa_exception_fp_ieee_div_zero 0
		.amdhsa_exception_fp_ieee_overflow 0
		.amdhsa_exception_fp_ieee_underflow 0
		.amdhsa_exception_fp_ieee_inexact 0
		.amdhsa_exception_int_div_zero 0
	.end_amdhsa_kernel
	.section	.text._ZN7rocprim17ROCPRIM_400000_NS6detail17trampoline_kernelINS0_14default_configENS1_25transform_config_selectorIsLb0EEEZNS1_14transform_implILb0ES3_S5_NS0_18transform_iteratorINS0_17counting_iteratorImlEEZNS1_24adjacent_difference_implIS3_Lb1ELb0EPKsPsN6thrust23THRUST_200600_302600_NS4plusIsEEEE10hipError_tPvRmT2_T3_mT4_P12ihipStream_tbEUlmE_sEESD_NS0_8identityIvEEEESI_SL_SM_mSN_SP_bEUlT_E_NS1_11comp_targetILNS1_3genE3ELNS1_11target_archE908ELNS1_3gpuE7ELNS1_3repE0EEENS1_30default_config_static_selectorELNS0_4arch9wavefront6targetE1EEEvT1_,"axG",@progbits,_ZN7rocprim17ROCPRIM_400000_NS6detail17trampoline_kernelINS0_14default_configENS1_25transform_config_selectorIsLb0EEEZNS1_14transform_implILb0ES3_S5_NS0_18transform_iteratorINS0_17counting_iteratorImlEEZNS1_24adjacent_difference_implIS3_Lb1ELb0EPKsPsN6thrust23THRUST_200600_302600_NS4plusIsEEEE10hipError_tPvRmT2_T3_mT4_P12ihipStream_tbEUlmE_sEESD_NS0_8identityIvEEEESI_SL_SM_mSN_SP_bEUlT_E_NS1_11comp_targetILNS1_3genE3ELNS1_11target_archE908ELNS1_3gpuE7ELNS1_3repE0EEENS1_30default_config_static_selectorELNS0_4arch9wavefront6targetE1EEEvT1_,comdat
.Lfunc_end759:
	.size	_ZN7rocprim17ROCPRIM_400000_NS6detail17trampoline_kernelINS0_14default_configENS1_25transform_config_selectorIsLb0EEEZNS1_14transform_implILb0ES3_S5_NS0_18transform_iteratorINS0_17counting_iteratorImlEEZNS1_24adjacent_difference_implIS3_Lb1ELb0EPKsPsN6thrust23THRUST_200600_302600_NS4plusIsEEEE10hipError_tPvRmT2_T3_mT4_P12ihipStream_tbEUlmE_sEESD_NS0_8identityIvEEEESI_SL_SM_mSN_SP_bEUlT_E_NS1_11comp_targetILNS1_3genE3ELNS1_11target_archE908ELNS1_3gpuE7ELNS1_3repE0EEENS1_30default_config_static_selectorELNS0_4arch9wavefront6targetE1EEEvT1_, .Lfunc_end759-_ZN7rocprim17ROCPRIM_400000_NS6detail17trampoline_kernelINS0_14default_configENS1_25transform_config_selectorIsLb0EEEZNS1_14transform_implILb0ES3_S5_NS0_18transform_iteratorINS0_17counting_iteratorImlEEZNS1_24adjacent_difference_implIS3_Lb1ELb0EPKsPsN6thrust23THRUST_200600_302600_NS4plusIsEEEE10hipError_tPvRmT2_T3_mT4_P12ihipStream_tbEUlmE_sEESD_NS0_8identityIvEEEESI_SL_SM_mSN_SP_bEUlT_E_NS1_11comp_targetILNS1_3genE3ELNS1_11target_archE908ELNS1_3gpuE7ELNS1_3repE0EEENS1_30default_config_static_selectorELNS0_4arch9wavefront6targetE1EEEvT1_
                                        ; -- End function
	.set _ZN7rocprim17ROCPRIM_400000_NS6detail17trampoline_kernelINS0_14default_configENS1_25transform_config_selectorIsLb0EEEZNS1_14transform_implILb0ES3_S5_NS0_18transform_iteratorINS0_17counting_iteratorImlEEZNS1_24adjacent_difference_implIS3_Lb1ELb0EPKsPsN6thrust23THRUST_200600_302600_NS4plusIsEEEE10hipError_tPvRmT2_T3_mT4_P12ihipStream_tbEUlmE_sEESD_NS0_8identityIvEEEESI_SL_SM_mSN_SP_bEUlT_E_NS1_11comp_targetILNS1_3genE3ELNS1_11target_archE908ELNS1_3gpuE7ELNS1_3repE0EEENS1_30default_config_static_selectorELNS0_4arch9wavefront6targetE1EEEvT1_.num_vgpr, 0
	.set _ZN7rocprim17ROCPRIM_400000_NS6detail17trampoline_kernelINS0_14default_configENS1_25transform_config_selectorIsLb0EEEZNS1_14transform_implILb0ES3_S5_NS0_18transform_iteratorINS0_17counting_iteratorImlEEZNS1_24adjacent_difference_implIS3_Lb1ELb0EPKsPsN6thrust23THRUST_200600_302600_NS4plusIsEEEE10hipError_tPvRmT2_T3_mT4_P12ihipStream_tbEUlmE_sEESD_NS0_8identityIvEEEESI_SL_SM_mSN_SP_bEUlT_E_NS1_11comp_targetILNS1_3genE3ELNS1_11target_archE908ELNS1_3gpuE7ELNS1_3repE0EEENS1_30default_config_static_selectorELNS0_4arch9wavefront6targetE1EEEvT1_.num_agpr, 0
	.set _ZN7rocprim17ROCPRIM_400000_NS6detail17trampoline_kernelINS0_14default_configENS1_25transform_config_selectorIsLb0EEEZNS1_14transform_implILb0ES3_S5_NS0_18transform_iteratorINS0_17counting_iteratorImlEEZNS1_24adjacent_difference_implIS3_Lb1ELb0EPKsPsN6thrust23THRUST_200600_302600_NS4plusIsEEEE10hipError_tPvRmT2_T3_mT4_P12ihipStream_tbEUlmE_sEESD_NS0_8identityIvEEEESI_SL_SM_mSN_SP_bEUlT_E_NS1_11comp_targetILNS1_3genE3ELNS1_11target_archE908ELNS1_3gpuE7ELNS1_3repE0EEENS1_30default_config_static_selectorELNS0_4arch9wavefront6targetE1EEEvT1_.numbered_sgpr, 0
	.set _ZN7rocprim17ROCPRIM_400000_NS6detail17trampoline_kernelINS0_14default_configENS1_25transform_config_selectorIsLb0EEEZNS1_14transform_implILb0ES3_S5_NS0_18transform_iteratorINS0_17counting_iteratorImlEEZNS1_24adjacent_difference_implIS3_Lb1ELb0EPKsPsN6thrust23THRUST_200600_302600_NS4plusIsEEEE10hipError_tPvRmT2_T3_mT4_P12ihipStream_tbEUlmE_sEESD_NS0_8identityIvEEEESI_SL_SM_mSN_SP_bEUlT_E_NS1_11comp_targetILNS1_3genE3ELNS1_11target_archE908ELNS1_3gpuE7ELNS1_3repE0EEENS1_30default_config_static_selectorELNS0_4arch9wavefront6targetE1EEEvT1_.num_named_barrier, 0
	.set _ZN7rocprim17ROCPRIM_400000_NS6detail17trampoline_kernelINS0_14default_configENS1_25transform_config_selectorIsLb0EEEZNS1_14transform_implILb0ES3_S5_NS0_18transform_iteratorINS0_17counting_iteratorImlEEZNS1_24adjacent_difference_implIS3_Lb1ELb0EPKsPsN6thrust23THRUST_200600_302600_NS4plusIsEEEE10hipError_tPvRmT2_T3_mT4_P12ihipStream_tbEUlmE_sEESD_NS0_8identityIvEEEESI_SL_SM_mSN_SP_bEUlT_E_NS1_11comp_targetILNS1_3genE3ELNS1_11target_archE908ELNS1_3gpuE7ELNS1_3repE0EEENS1_30default_config_static_selectorELNS0_4arch9wavefront6targetE1EEEvT1_.private_seg_size, 0
	.set _ZN7rocprim17ROCPRIM_400000_NS6detail17trampoline_kernelINS0_14default_configENS1_25transform_config_selectorIsLb0EEEZNS1_14transform_implILb0ES3_S5_NS0_18transform_iteratorINS0_17counting_iteratorImlEEZNS1_24adjacent_difference_implIS3_Lb1ELb0EPKsPsN6thrust23THRUST_200600_302600_NS4plusIsEEEE10hipError_tPvRmT2_T3_mT4_P12ihipStream_tbEUlmE_sEESD_NS0_8identityIvEEEESI_SL_SM_mSN_SP_bEUlT_E_NS1_11comp_targetILNS1_3genE3ELNS1_11target_archE908ELNS1_3gpuE7ELNS1_3repE0EEENS1_30default_config_static_selectorELNS0_4arch9wavefront6targetE1EEEvT1_.uses_vcc, 0
	.set _ZN7rocprim17ROCPRIM_400000_NS6detail17trampoline_kernelINS0_14default_configENS1_25transform_config_selectorIsLb0EEEZNS1_14transform_implILb0ES3_S5_NS0_18transform_iteratorINS0_17counting_iteratorImlEEZNS1_24adjacent_difference_implIS3_Lb1ELb0EPKsPsN6thrust23THRUST_200600_302600_NS4plusIsEEEE10hipError_tPvRmT2_T3_mT4_P12ihipStream_tbEUlmE_sEESD_NS0_8identityIvEEEESI_SL_SM_mSN_SP_bEUlT_E_NS1_11comp_targetILNS1_3genE3ELNS1_11target_archE908ELNS1_3gpuE7ELNS1_3repE0EEENS1_30default_config_static_selectorELNS0_4arch9wavefront6targetE1EEEvT1_.uses_flat_scratch, 0
	.set _ZN7rocprim17ROCPRIM_400000_NS6detail17trampoline_kernelINS0_14default_configENS1_25transform_config_selectorIsLb0EEEZNS1_14transform_implILb0ES3_S5_NS0_18transform_iteratorINS0_17counting_iteratorImlEEZNS1_24adjacent_difference_implIS3_Lb1ELb0EPKsPsN6thrust23THRUST_200600_302600_NS4plusIsEEEE10hipError_tPvRmT2_T3_mT4_P12ihipStream_tbEUlmE_sEESD_NS0_8identityIvEEEESI_SL_SM_mSN_SP_bEUlT_E_NS1_11comp_targetILNS1_3genE3ELNS1_11target_archE908ELNS1_3gpuE7ELNS1_3repE0EEENS1_30default_config_static_selectorELNS0_4arch9wavefront6targetE1EEEvT1_.has_dyn_sized_stack, 0
	.set _ZN7rocprim17ROCPRIM_400000_NS6detail17trampoline_kernelINS0_14default_configENS1_25transform_config_selectorIsLb0EEEZNS1_14transform_implILb0ES3_S5_NS0_18transform_iteratorINS0_17counting_iteratorImlEEZNS1_24adjacent_difference_implIS3_Lb1ELb0EPKsPsN6thrust23THRUST_200600_302600_NS4plusIsEEEE10hipError_tPvRmT2_T3_mT4_P12ihipStream_tbEUlmE_sEESD_NS0_8identityIvEEEESI_SL_SM_mSN_SP_bEUlT_E_NS1_11comp_targetILNS1_3genE3ELNS1_11target_archE908ELNS1_3gpuE7ELNS1_3repE0EEENS1_30default_config_static_selectorELNS0_4arch9wavefront6targetE1EEEvT1_.has_recursion, 0
	.set _ZN7rocprim17ROCPRIM_400000_NS6detail17trampoline_kernelINS0_14default_configENS1_25transform_config_selectorIsLb0EEEZNS1_14transform_implILb0ES3_S5_NS0_18transform_iteratorINS0_17counting_iteratorImlEEZNS1_24adjacent_difference_implIS3_Lb1ELb0EPKsPsN6thrust23THRUST_200600_302600_NS4plusIsEEEE10hipError_tPvRmT2_T3_mT4_P12ihipStream_tbEUlmE_sEESD_NS0_8identityIvEEEESI_SL_SM_mSN_SP_bEUlT_E_NS1_11comp_targetILNS1_3genE3ELNS1_11target_archE908ELNS1_3gpuE7ELNS1_3repE0EEENS1_30default_config_static_selectorELNS0_4arch9wavefront6targetE1EEEvT1_.has_indirect_call, 0
	.section	.AMDGPU.csdata,"",@progbits
; Kernel info:
; codeLenInByte = 0
; TotalNumSgprs: 4
; NumVgprs: 0
; ScratchSize: 0
; MemoryBound: 0
; FloatMode: 240
; IeeeMode: 1
; LDSByteSize: 0 bytes/workgroup (compile time only)
; SGPRBlocks: 0
; VGPRBlocks: 0
; NumSGPRsForWavesPerEU: 4
; NumVGPRsForWavesPerEU: 1
; Occupancy: 10
; WaveLimiterHint : 0
; COMPUTE_PGM_RSRC2:SCRATCH_EN: 0
; COMPUTE_PGM_RSRC2:USER_SGPR: 6
; COMPUTE_PGM_RSRC2:TRAP_HANDLER: 0
; COMPUTE_PGM_RSRC2:TGID_X_EN: 1
; COMPUTE_PGM_RSRC2:TGID_Y_EN: 0
; COMPUTE_PGM_RSRC2:TGID_Z_EN: 0
; COMPUTE_PGM_RSRC2:TIDIG_COMP_CNT: 0
	.section	.text._ZN7rocprim17ROCPRIM_400000_NS6detail17trampoline_kernelINS0_14default_configENS1_25transform_config_selectorIsLb0EEEZNS1_14transform_implILb0ES3_S5_NS0_18transform_iteratorINS0_17counting_iteratorImlEEZNS1_24adjacent_difference_implIS3_Lb1ELb0EPKsPsN6thrust23THRUST_200600_302600_NS4plusIsEEEE10hipError_tPvRmT2_T3_mT4_P12ihipStream_tbEUlmE_sEESD_NS0_8identityIvEEEESI_SL_SM_mSN_SP_bEUlT_E_NS1_11comp_targetILNS1_3genE2ELNS1_11target_archE906ELNS1_3gpuE6ELNS1_3repE0EEENS1_30default_config_static_selectorELNS0_4arch9wavefront6targetE1EEEvT1_,"axG",@progbits,_ZN7rocprim17ROCPRIM_400000_NS6detail17trampoline_kernelINS0_14default_configENS1_25transform_config_selectorIsLb0EEEZNS1_14transform_implILb0ES3_S5_NS0_18transform_iteratorINS0_17counting_iteratorImlEEZNS1_24adjacent_difference_implIS3_Lb1ELb0EPKsPsN6thrust23THRUST_200600_302600_NS4plusIsEEEE10hipError_tPvRmT2_T3_mT4_P12ihipStream_tbEUlmE_sEESD_NS0_8identityIvEEEESI_SL_SM_mSN_SP_bEUlT_E_NS1_11comp_targetILNS1_3genE2ELNS1_11target_archE906ELNS1_3gpuE6ELNS1_3repE0EEENS1_30default_config_static_selectorELNS0_4arch9wavefront6targetE1EEEvT1_,comdat
	.protected	_ZN7rocprim17ROCPRIM_400000_NS6detail17trampoline_kernelINS0_14default_configENS1_25transform_config_selectorIsLb0EEEZNS1_14transform_implILb0ES3_S5_NS0_18transform_iteratorINS0_17counting_iteratorImlEEZNS1_24adjacent_difference_implIS3_Lb1ELb0EPKsPsN6thrust23THRUST_200600_302600_NS4plusIsEEEE10hipError_tPvRmT2_T3_mT4_P12ihipStream_tbEUlmE_sEESD_NS0_8identityIvEEEESI_SL_SM_mSN_SP_bEUlT_E_NS1_11comp_targetILNS1_3genE2ELNS1_11target_archE906ELNS1_3gpuE6ELNS1_3repE0EEENS1_30default_config_static_selectorELNS0_4arch9wavefront6targetE1EEEvT1_ ; -- Begin function _ZN7rocprim17ROCPRIM_400000_NS6detail17trampoline_kernelINS0_14default_configENS1_25transform_config_selectorIsLb0EEEZNS1_14transform_implILb0ES3_S5_NS0_18transform_iteratorINS0_17counting_iteratorImlEEZNS1_24adjacent_difference_implIS3_Lb1ELb0EPKsPsN6thrust23THRUST_200600_302600_NS4plusIsEEEE10hipError_tPvRmT2_T3_mT4_P12ihipStream_tbEUlmE_sEESD_NS0_8identityIvEEEESI_SL_SM_mSN_SP_bEUlT_E_NS1_11comp_targetILNS1_3genE2ELNS1_11target_archE906ELNS1_3gpuE6ELNS1_3repE0EEENS1_30default_config_static_selectorELNS0_4arch9wavefront6targetE1EEEvT1_
	.globl	_ZN7rocprim17ROCPRIM_400000_NS6detail17trampoline_kernelINS0_14default_configENS1_25transform_config_selectorIsLb0EEEZNS1_14transform_implILb0ES3_S5_NS0_18transform_iteratorINS0_17counting_iteratorImlEEZNS1_24adjacent_difference_implIS3_Lb1ELb0EPKsPsN6thrust23THRUST_200600_302600_NS4plusIsEEEE10hipError_tPvRmT2_T3_mT4_P12ihipStream_tbEUlmE_sEESD_NS0_8identityIvEEEESI_SL_SM_mSN_SP_bEUlT_E_NS1_11comp_targetILNS1_3genE2ELNS1_11target_archE906ELNS1_3gpuE6ELNS1_3repE0EEENS1_30default_config_static_selectorELNS0_4arch9wavefront6targetE1EEEvT1_
	.p2align	8
	.type	_ZN7rocprim17ROCPRIM_400000_NS6detail17trampoline_kernelINS0_14default_configENS1_25transform_config_selectorIsLb0EEEZNS1_14transform_implILb0ES3_S5_NS0_18transform_iteratorINS0_17counting_iteratorImlEEZNS1_24adjacent_difference_implIS3_Lb1ELb0EPKsPsN6thrust23THRUST_200600_302600_NS4plusIsEEEE10hipError_tPvRmT2_T3_mT4_P12ihipStream_tbEUlmE_sEESD_NS0_8identityIvEEEESI_SL_SM_mSN_SP_bEUlT_E_NS1_11comp_targetILNS1_3genE2ELNS1_11target_archE906ELNS1_3gpuE6ELNS1_3repE0EEENS1_30default_config_static_selectorELNS0_4arch9wavefront6targetE1EEEvT1_,@function
_ZN7rocprim17ROCPRIM_400000_NS6detail17trampoline_kernelINS0_14default_configENS1_25transform_config_selectorIsLb0EEEZNS1_14transform_implILb0ES3_S5_NS0_18transform_iteratorINS0_17counting_iteratorImlEEZNS1_24adjacent_difference_implIS3_Lb1ELb0EPKsPsN6thrust23THRUST_200600_302600_NS4plusIsEEEE10hipError_tPvRmT2_T3_mT4_P12ihipStream_tbEUlmE_sEESD_NS0_8identityIvEEEESI_SL_SM_mSN_SP_bEUlT_E_NS1_11comp_targetILNS1_3genE2ELNS1_11target_archE906ELNS1_3gpuE6ELNS1_3repE0EEENS1_30default_config_static_selectorELNS0_4arch9wavefront6targetE1EEEvT1_: ; @_ZN7rocprim17ROCPRIM_400000_NS6detail17trampoline_kernelINS0_14default_configENS1_25transform_config_selectorIsLb0EEEZNS1_14transform_implILb0ES3_S5_NS0_18transform_iteratorINS0_17counting_iteratorImlEEZNS1_24adjacent_difference_implIS3_Lb1ELb0EPKsPsN6thrust23THRUST_200600_302600_NS4plusIsEEEE10hipError_tPvRmT2_T3_mT4_P12ihipStream_tbEUlmE_sEESD_NS0_8identityIvEEEESI_SL_SM_mSN_SP_bEUlT_E_NS1_11comp_targetILNS1_3genE2ELNS1_11target_archE906ELNS1_3gpuE6ELNS1_3repE0EEENS1_30default_config_static_selectorELNS0_4arch9wavefront6targetE1EEEvT1_
; %bb.0:
	s_load_dwordx4 s[0:3], s[4:5], 0x18
	s_load_dwordx2 s[12:13], s[4:5], 0x28
	s_load_dwordx4 s[8:11], s[4:5], 0x0
	s_load_dword s14, s[4:5], 0x10
	s_waitcnt lgkmcnt(0)
	s_load_dword s3, s[4:5], 0x38
                                        ; kill: killed $sgpr4_sgpr5
	s_lshl_b64 s[4:5], s[0:1], 1
	s_add_u32 s18, s12, s4
	s_addc_u32 s19, s13, s5
	s_lshl_b32 s12, s6, 11
	s_waitcnt lgkmcnt(0)
	s_add_i32 s3, s3, -1
	s_add_u32 s4, s8, s12
	s_addc_u32 s5, s9, 0
	s_add_u32 s20, s4, s0
	s_addc_u32 s21, s5, s1
	s_mov_b32 s13, 0
	s_cmp_lg_u32 s6, s3
	v_lshlrev_b32_e32 v5, 1, v0
	s_cbranch_scc0 .LBB760_2
; %bb.1:
	v_mov_b32_e32 v1, s21
	v_add_co_u32_e32 v2, vcc, s20, v0
	v_addc_co_u32_e32 v3, vcc, 0, v1, vcc
	v_mad_u64_u32 v[1:2], s[0:1], v2, s14, 0
	s_mov_b32 s15, s13
	s_lshl_b64 s[4:5], s[12:13], 1
	v_mad_u64_u32 v[2:3], s[0:1], v3, s14, v[2:3]
	v_mov_b32_e32 v3, s11
	s_lshl_b64 s[0:1], s[14:15], 10
	v_lshlrev_b64 v[1:2], 1, v[1:2]
	v_mov_b32_e32 v8, s1
	v_add_co_u32_e32 v1, vcc, s10, v1
	v_addc_co_u32_e32 v2, vcc, v3, v2, vcc
	v_add_co_u32_e32 v3, vcc, s0, v1
	v_addc_co_u32_e32 v4, vcc, v2, v8, vcc
	;; [unrolled: 2-line block ×3, first 2 shown]
	global_load_ushort v9, v[1:2], off
	global_load_ushort v10, v[3:4], off
	;; [unrolled: 1-line block ×3, first 2 shown]
	v_add_co_u32_e32 v1, vcc, s0, v6
	v_addc_co_u32_e32 v2, vcc, v7, v8, vcc
	global_load_ushort v1, v[1:2], off
	s_add_u32 s4, s18, s4
	s_addc_u32 s5, s19, s5
	v_mov_b32_e32 v2, s5
	v_add_co_u32_e32 v3, vcc, s4, v5
	v_addc_co_u32_e32 v4, vcc, 0, v2, vcc
	s_mov_b64 s[8:9], -1
	s_waitcnt vmcnt(3)
	global_store_short v5, v9, s[4:5]
	s_waitcnt vmcnt(3)
	global_store_short v5, v10, s[4:5] offset:1024
	s_waitcnt vmcnt(3)
	global_store_short v5, v11, s[4:5] offset:2048
	s_cbranch_execz .LBB760_3
	s_branch .LBB760_17
.LBB760_2:
	s_mov_b64 s[8:9], 0
                                        ; implicit-def: $vgpr1
                                        ; implicit-def: $vgpr3_vgpr4
.LBB760_3:
	s_sub_i32 s15, s2, s12
	s_waitcnt vmcnt(3)
	v_mov_b32_e32 v1, 0
	v_cmp_gt_u32_e32 vcc, s15, v0
	v_mov_b32_e32 v2, v1
	s_and_saveexec_b64 s[2:3], vcc
	s_cbranch_execz .LBB760_5
; %bb.4:
	v_mov_b32_e32 v2, s21
	v_add_co_u32_e64 v3, s[0:1], s20, v0
	v_addc_co_u32_e64 v4, s[0:1], 0, v2, s[0:1]
	v_mad_u64_u32 v[2:3], s[0:1], v3, s14, 0
	v_mad_u64_u32 v[3:4], s[0:1], v4, s14, v[3:4]
	v_mov_b32_e32 v4, s11
	v_lshlrev_b64 v[2:3], 1, v[2:3]
	v_add_co_u32_e64 v2, s[0:1], s10, v2
	v_addc_co_u32_e64 v3, s[0:1], v4, v3, s[0:1]
	global_load_ushort v2, v[2:3], off
	v_mov_b32_e32 v3, v1
	s_waitcnt vmcnt(0)
	v_and_b32_e32 v2, 0xffff, v2
	v_mov_b32_e32 v1, v2
	v_mov_b32_e32 v2, v3
.LBB760_5:
	s_or_b64 exec, exec, s[2:3]
	v_or_b32_e32 v3, 0x200, v0
	v_cmp_gt_u32_e64 s[0:1], s15, v3
	s_and_saveexec_b64 s[4:5], s[0:1]
	s_cbranch_execz .LBB760_7
; %bb.6:
	v_mov_b32_e32 v4, s21
	v_add_co_u32_e64 v3, s[2:3], s20, v3
	v_addc_co_u32_e64 v6, s[2:3], 0, v4, s[2:3]
	v_mad_u64_u32 v[3:4], s[2:3], v3, s14, 0
	v_mad_u64_u32 v[6:7], s[2:3], v6, s14, v[4:5]
	v_mov_b32_e32 v4, v6
	v_lshlrev_b64 v[3:4], 1, v[3:4]
	v_mov_b32_e32 v6, s11
	v_add_co_u32_e64 v3, s[2:3], s10, v3
	v_addc_co_u32_e64 v4, s[2:3], v6, v4, s[2:3]
	global_load_ushort v3, v[3:4], off
	s_mov_b32 s2, 0x5040100
	s_waitcnt vmcnt(0)
	v_perm_b32 v1, v3, v1, s2
.LBB760_7:
	s_or_b64 exec, exec, s[4:5]
	v_or_b32_e32 v3, 0x400, v0
	v_cmp_gt_u32_e64 s[2:3], s15, v3
	s_and_saveexec_b64 s[6:7], s[2:3]
	s_cbranch_execz .LBB760_9
; %bb.8:
	v_mov_b32_e32 v4, s21
	v_add_co_u32_e64 v3, s[4:5], s20, v3
	v_addc_co_u32_e64 v6, s[4:5], 0, v4, s[4:5]
	v_mad_u64_u32 v[3:4], s[4:5], v3, s14, 0
	v_mad_u64_u32 v[6:7], s[4:5], v6, s14, v[4:5]
	v_mov_b32_e32 v4, v6
	v_lshlrev_b64 v[3:4], 1, v[3:4]
	v_mov_b32_e32 v6, s11
	v_add_co_u32_e64 v3, s[4:5], s10, v3
	v_addc_co_u32_e64 v4, s[4:5], v6, v4, s[4:5]
	global_load_ushort v3, v[3:4], off
	s_mov_b32 s4, 0xffff
	s_waitcnt vmcnt(0)
	v_bfi_b32 v2, s4, v3, v2
.LBB760_9:
	s_or_b64 exec, exec, s[6:7]
	v_or_b32_e32 v0, 0x600, v0
	v_cmp_gt_u32_e64 s[4:5], s15, v0
	s_and_saveexec_b64 s[16:17], s[4:5]
	s_cbranch_execz .LBB760_11
; %bb.10:
	v_mov_b32_e32 v3, s21
	v_add_co_u32_e64 v0, s[6:7], s20, v0
	v_addc_co_u32_e64 v6, s[6:7], 0, v3, s[6:7]
	v_mad_u64_u32 v[3:4], s[6:7], v0, s14, 0
	v_mov_b32_e32 v0, v4
	v_mad_u64_u32 v[6:7], s[6:7], v6, s14, v[0:1]
	v_mov_b32_e32 v0, s11
	v_mov_b32_e32 v4, v6
	v_lshlrev_b64 v[3:4], 1, v[3:4]
	v_add_co_u32_e64 v3, s[6:7], s10, v3
	v_addc_co_u32_e64 v4, s[6:7], v0, v4, s[6:7]
	global_load_ushort v0, v[3:4], off
	s_mov_b32 s6, 0x5040100
	s_waitcnt vmcnt(0)
	v_perm_b32 v2, v0, v2, s6
.LBB760_11:
	s_or_b64 exec, exec, s[16:17]
	s_lshl_b64 s[6:7], s[12:13], 1
	s_add_u32 s6, s18, s6
	s_addc_u32 s7, s19, s7
	v_mov_b32_e32 v0, 0
	v_mov_b32_e32 v4, s7
	v_add_co_u32_e64 v3, s[6:7], s6, v5
	v_cndmask_b32_sdwa v0, v0, v1, vcc dst_sel:DWORD dst_unused:UNUSED_PAD src0_sel:DWORD src1_sel:WORD_0
	v_addc_co_u32_e64 v4, s[6:7], 0, v4, s[6:7]
	s_and_saveexec_b64 s[6:7], vcc
	s_cbranch_execnz .LBB760_20
; %bb.12:
	s_or_b64 exec, exec, s[6:7]
	v_cndmask_b32_e64 v0, v0, v1, s[0:1]
	s_and_saveexec_b64 s[6:7], s[0:1]
	s_cbranch_execnz .LBB760_21
.LBB760_13:
	s_or_b64 exec, exec, s[6:7]
	s_and_saveexec_b64 s[0:1], s[2:3]
	s_cbranch_execnz .LBB760_22
.LBB760_14:
	s_or_b64 exec, exec, s[0:1]
                                        ; implicit-def: $vgpr1
	s_and_saveexec_b64 s[0:1], s[4:5]
.LBB760_15:
	v_cndmask_b32_e64 v0, 0, v2, s[4:5]
	v_lshrrev_b32_e32 v1, 16, v0
	s_or_b64 s[8:9], s[8:9], exec
.LBB760_16:
	s_or_b64 exec, exec, s[0:1]
.LBB760_17:
	s_and_saveexec_b64 s[0:1], s[8:9]
	s_cbranch_execnz .LBB760_19
; %bb.18:
	s_endpgm
.LBB760_19:
	s_waitcnt vmcnt(3)
	global_store_short v[3:4], v1, off offset:3072
	s_endpgm
.LBB760_20:
	global_store_short v[3:4], v0, off
	s_or_b64 exec, exec, s[6:7]
	v_cndmask_b32_e64 v0, v0, v1, s[0:1]
	s_and_saveexec_b64 s[6:7], s[0:1]
	s_cbranch_execz .LBB760_13
.LBB760_21:
	global_store_short_d16_hi v[3:4], v0, off offset:1024
	s_or_b64 exec, exec, s[6:7]
	s_and_saveexec_b64 s[0:1], s[2:3]
	s_cbranch_execz .LBB760_14
.LBB760_22:
	v_cndmask_b32_e64 v0, 0, v2, s[2:3]
	global_store_short v[3:4], v0, off offset:2048
	s_or_b64 exec, exec, s[0:1]
                                        ; implicit-def: $vgpr1
	s_and_saveexec_b64 s[0:1], s[4:5]
	s_cbranch_execnz .LBB760_15
	s_branch .LBB760_16
	.section	.rodata,"a",@progbits
	.p2align	6, 0x0
	.amdhsa_kernel _ZN7rocprim17ROCPRIM_400000_NS6detail17trampoline_kernelINS0_14default_configENS1_25transform_config_selectorIsLb0EEEZNS1_14transform_implILb0ES3_S5_NS0_18transform_iteratorINS0_17counting_iteratorImlEEZNS1_24adjacent_difference_implIS3_Lb1ELb0EPKsPsN6thrust23THRUST_200600_302600_NS4plusIsEEEE10hipError_tPvRmT2_T3_mT4_P12ihipStream_tbEUlmE_sEESD_NS0_8identityIvEEEESI_SL_SM_mSN_SP_bEUlT_E_NS1_11comp_targetILNS1_3genE2ELNS1_11target_archE906ELNS1_3gpuE6ELNS1_3repE0EEENS1_30default_config_static_selectorELNS0_4arch9wavefront6targetE1EEEvT1_
		.amdhsa_group_segment_fixed_size 0
		.amdhsa_private_segment_fixed_size 0
		.amdhsa_kernarg_size 312
		.amdhsa_user_sgpr_count 6
		.amdhsa_user_sgpr_private_segment_buffer 1
		.amdhsa_user_sgpr_dispatch_ptr 0
		.amdhsa_user_sgpr_queue_ptr 0
		.amdhsa_user_sgpr_kernarg_segment_ptr 1
		.amdhsa_user_sgpr_dispatch_id 0
		.amdhsa_user_sgpr_flat_scratch_init 0
		.amdhsa_user_sgpr_private_segment_size 0
		.amdhsa_uses_dynamic_stack 0
		.amdhsa_system_sgpr_private_segment_wavefront_offset 0
		.amdhsa_system_sgpr_workgroup_id_x 1
		.amdhsa_system_sgpr_workgroup_id_y 0
		.amdhsa_system_sgpr_workgroup_id_z 0
		.amdhsa_system_sgpr_workgroup_info 0
		.amdhsa_system_vgpr_workitem_id 0
		.amdhsa_next_free_vgpr 12
		.amdhsa_next_free_sgpr 22
		.amdhsa_reserve_vcc 1
		.amdhsa_reserve_flat_scratch 0
		.amdhsa_float_round_mode_32 0
		.amdhsa_float_round_mode_16_64 0
		.amdhsa_float_denorm_mode_32 3
		.amdhsa_float_denorm_mode_16_64 3
		.amdhsa_dx10_clamp 1
		.amdhsa_ieee_mode 1
		.amdhsa_fp16_overflow 0
		.amdhsa_exception_fp_ieee_invalid_op 0
		.amdhsa_exception_fp_denorm_src 0
		.amdhsa_exception_fp_ieee_div_zero 0
		.amdhsa_exception_fp_ieee_overflow 0
		.amdhsa_exception_fp_ieee_underflow 0
		.amdhsa_exception_fp_ieee_inexact 0
		.amdhsa_exception_int_div_zero 0
	.end_amdhsa_kernel
	.section	.text._ZN7rocprim17ROCPRIM_400000_NS6detail17trampoline_kernelINS0_14default_configENS1_25transform_config_selectorIsLb0EEEZNS1_14transform_implILb0ES3_S5_NS0_18transform_iteratorINS0_17counting_iteratorImlEEZNS1_24adjacent_difference_implIS3_Lb1ELb0EPKsPsN6thrust23THRUST_200600_302600_NS4plusIsEEEE10hipError_tPvRmT2_T3_mT4_P12ihipStream_tbEUlmE_sEESD_NS0_8identityIvEEEESI_SL_SM_mSN_SP_bEUlT_E_NS1_11comp_targetILNS1_3genE2ELNS1_11target_archE906ELNS1_3gpuE6ELNS1_3repE0EEENS1_30default_config_static_selectorELNS0_4arch9wavefront6targetE1EEEvT1_,"axG",@progbits,_ZN7rocprim17ROCPRIM_400000_NS6detail17trampoline_kernelINS0_14default_configENS1_25transform_config_selectorIsLb0EEEZNS1_14transform_implILb0ES3_S5_NS0_18transform_iteratorINS0_17counting_iteratorImlEEZNS1_24adjacent_difference_implIS3_Lb1ELb0EPKsPsN6thrust23THRUST_200600_302600_NS4plusIsEEEE10hipError_tPvRmT2_T3_mT4_P12ihipStream_tbEUlmE_sEESD_NS0_8identityIvEEEESI_SL_SM_mSN_SP_bEUlT_E_NS1_11comp_targetILNS1_3genE2ELNS1_11target_archE906ELNS1_3gpuE6ELNS1_3repE0EEENS1_30default_config_static_selectorELNS0_4arch9wavefront6targetE1EEEvT1_,comdat
.Lfunc_end760:
	.size	_ZN7rocprim17ROCPRIM_400000_NS6detail17trampoline_kernelINS0_14default_configENS1_25transform_config_selectorIsLb0EEEZNS1_14transform_implILb0ES3_S5_NS0_18transform_iteratorINS0_17counting_iteratorImlEEZNS1_24adjacent_difference_implIS3_Lb1ELb0EPKsPsN6thrust23THRUST_200600_302600_NS4plusIsEEEE10hipError_tPvRmT2_T3_mT4_P12ihipStream_tbEUlmE_sEESD_NS0_8identityIvEEEESI_SL_SM_mSN_SP_bEUlT_E_NS1_11comp_targetILNS1_3genE2ELNS1_11target_archE906ELNS1_3gpuE6ELNS1_3repE0EEENS1_30default_config_static_selectorELNS0_4arch9wavefront6targetE1EEEvT1_, .Lfunc_end760-_ZN7rocprim17ROCPRIM_400000_NS6detail17trampoline_kernelINS0_14default_configENS1_25transform_config_selectorIsLb0EEEZNS1_14transform_implILb0ES3_S5_NS0_18transform_iteratorINS0_17counting_iteratorImlEEZNS1_24adjacent_difference_implIS3_Lb1ELb0EPKsPsN6thrust23THRUST_200600_302600_NS4plusIsEEEE10hipError_tPvRmT2_T3_mT4_P12ihipStream_tbEUlmE_sEESD_NS0_8identityIvEEEESI_SL_SM_mSN_SP_bEUlT_E_NS1_11comp_targetILNS1_3genE2ELNS1_11target_archE906ELNS1_3gpuE6ELNS1_3repE0EEENS1_30default_config_static_selectorELNS0_4arch9wavefront6targetE1EEEvT1_
                                        ; -- End function
	.set _ZN7rocprim17ROCPRIM_400000_NS6detail17trampoline_kernelINS0_14default_configENS1_25transform_config_selectorIsLb0EEEZNS1_14transform_implILb0ES3_S5_NS0_18transform_iteratorINS0_17counting_iteratorImlEEZNS1_24adjacent_difference_implIS3_Lb1ELb0EPKsPsN6thrust23THRUST_200600_302600_NS4plusIsEEEE10hipError_tPvRmT2_T3_mT4_P12ihipStream_tbEUlmE_sEESD_NS0_8identityIvEEEESI_SL_SM_mSN_SP_bEUlT_E_NS1_11comp_targetILNS1_3genE2ELNS1_11target_archE906ELNS1_3gpuE6ELNS1_3repE0EEENS1_30default_config_static_selectorELNS0_4arch9wavefront6targetE1EEEvT1_.num_vgpr, 12
	.set _ZN7rocprim17ROCPRIM_400000_NS6detail17trampoline_kernelINS0_14default_configENS1_25transform_config_selectorIsLb0EEEZNS1_14transform_implILb0ES3_S5_NS0_18transform_iteratorINS0_17counting_iteratorImlEEZNS1_24adjacent_difference_implIS3_Lb1ELb0EPKsPsN6thrust23THRUST_200600_302600_NS4plusIsEEEE10hipError_tPvRmT2_T3_mT4_P12ihipStream_tbEUlmE_sEESD_NS0_8identityIvEEEESI_SL_SM_mSN_SP_bEUlT_E_NS1_11comp_targetILNS1_3genE2ELNS1_11target_archE906ELNS1_3gpuE6ELNS1_3repE0EEENS1_30default_config_static_selectorELNS0_4arch9wavefront6targetE1EEEvT1_.num_agpr, 0
	.set _ZN7rocprim17ROCPRIM_400000_NS6detail17trampoline_kernelINS0_14default_configENS1_25transform_config_selectorIsLb0EEEZNS1_14transform_implILb0ES3_S5_NS0_18transform_iteratorINS0_17counting_iteratorImlEEZNS1_24adjacent_difference_implIS3_Lb1ELb0EPKsPsN6thrust23THRUST_200600_302600_NS4plusIsEEEE10hipError_tPvRmT2_T3_mT4_P12ihipStream_tbEUlmE_sEESD_NS0_8identityIvEEEESI_SL_SM_mSN_SP_bEUlT_E_NS1_11comp_targetILNS1_3genE2ELNS1_11target_archE906ELNS1_3gpuE6ELNS1_3repE0EEENS1_30default_config_static_selectorELNS0_4arch9wavefront6targetE1EEEvT1_.numbered_sgpr, 22
	.set _ZN7rocprim17ROCPRIM_400000_NS6detail17trampoline_kernelINS0_14default_configENS1_25transform_config_selectorIsLb0EEEZNS1_14transform_implILb0ES3_S5_NS0_18transform_iteratorINS0_17counting_iteratorImlEEZNS1_24adjacent_difference_implIS3_Lb1ELb0EPKsPsN6thrust23THRUST_200600_302600_NS4plusIsEEEE10hipError_tPvRmT2_T3_mT4_P12ihipStream_tbEUlmE_sEESD_NS0_8identityIvEEEESI_SL_SM_mSN_SP_bEUlT_E_NS1_11comp_targetILNS1_3genE2ELNS1_11target_archE906ELNS1_3gpuE6ELNS1_3repE0EEENS1_30default_config_static_selectorELNS0_4arch9wavefront6targetE1EEEvT1_.num_named_barrier, 0
	.set _ZN7rocprim17ROCPRIM_400000_NS6detail17trampoline_kernelINS0_14default_configENS1_25transform_config_selectorIsLb0EEEZNS1_14transform_implILb0ES3_S5_NS0_18transform_iteratorINS0_17counting_iteratorImlEEZNS1_24adjacent_difference_implIS3_Lb1ELb0EPKsPsN6thrust23THRUST_200600_302600_NS4plusIsEEEE10hipError_tPvRmT2_T3_mT4_P12ihipStream_tbEUlmE_sEESD_NS0_8identityIvEEEESI_SL_SM_mSN_SP_bEUlT_E_NS1_11comp_targetILNS1_3genE2ELNS1_11target_archE906ELNS1_3gpuE6ELNS1_3repE0EEENS1_30default_config_static_selectorELNS0_4arch9wavefront6targetE1EEEvT1_.private_seg_size, 0
	.set _ZN7rocprim17ROCPRIM_400000_NS6detail17trampoline_kernelINS0_14default_configENS1_25transform_config_selectorIsLb0EEEZNS1_14transform_implILb0ES3_S5_NS0_18transform_iteratorINS0_17counting_iteratorImlEEZNS1_24adjacent_difference_implIS3_Lb1ELb0EPKsPsN6thrust23THRUST_200600_302600_NS4plusIsEEEE10hipError_tPvRmT2_T3_mT4_P12ihipStream_tbEUlmE_sEESD_NS0_8identityIvEEEESI_SL_SM_mSN_SP_bEUlT_E_NS1_11comp_targetILNS1_3genE2ELNS1_11target_archE906ELNS1_3gpuE6ELNS1_3repE0EEENS1_30default_config_static_selectorELNS0_4arch9wavefront6targetE1EEEvT1_.uses_vcc, 1
	.set _ZN7rocprim17ROCPRIM_400000_NS6detail17trampoline_kernelINS0_14default_configENS1_25transform_config_selectorIsLb0EEEZNS1_14transform_implILb0ES3_S5_NS0_18transform_iteratorINS0_17counting_iteratorImlEEZNS1_24adjacent_difference_implIS3_Lb1ELb0EPKsPsN6thrust23THRUST_200600_302600_NS4plusIsEEEE10hipError_tPvRmT2_T3_mT4_P12ihipStream_tbEUlmE_sEESD_NS0_8identityIvEEEESI_SL_SM_mSN_SP_bEUlT_E_NS1_11comp_targetILNS1_3genE2ELNS1_11target_archE906ELNS1_3gpuE6ELNS1_3repE0EEENS1_30default_config_static_selectorELNS0_4arch9wavefront6targetE1EEEvT1_.uses_flat_scratch, 0
	.set _ZN7rocprim17ROCPRIM_400000_NS6detail17trampoline_kernelINS0_14default_configENS1_25transform_config_selectorIsLb0EEEZNS1_14transform_implILb0ES3_S5_NS0_18transform_iteratorINS0_17counting_iteratorImlEEZNS1_24adjacent_difference_implIS3_Lb1ELb0EPKsPsN6thrust23THRUST_200600_302600_NS4plusIsEEEE10hipError_tPvRmT2_T3_mT4_P12ihipStream_tbEUlmE_sEESD_NS0_8identityIvEEEESI_SL_SM_mSN_SP_bEUlT_E_NS1_11comp_targetILNS1_3genE2ELNS1_11target_archE906ELNS1_3gpuE6ELNS1_3repE0EEENS1_30default_config_static_selectorELNS0_4arch9wavefront6targetE1EEEvT1_.has_dyn_sized_stack, 0
	.set _ZN7rocprim17ROCPRIM_400000_NS6detail17trampoline_kernelINS0_14default_configENS1_25transform_config_selectorIsLb0EEEZNS1_14transform_implILb0ES3_S5_NS0_18transform_iteratorINS0_17counting_iteratorImlEEZNS1_24adjacent_difference_implIS3_Lb1ELb0EPKsPsN6thrust23THRUST_200600_302600_NS4plusIsEEEE10hipError_tPvRmT2_T3_mT4_P12ihipStream_tbEUlmE_sEESD_NS0_8identityIvEEEESI_SL_SM_mSN_SP_bEUlT_E_NS1_11comp_targetILNS1_3genE2ELNS1_11target_archE906ELNS1_3gpuE6ELNS1_3repE0EEENS1_30default_config_static_selectorELNS0_4arch9wavefront6targetE1EEEvT1_.has_recursion, 0
	.set _ZN7rocprim17ROCPRIM_400000_NS6detail17trampoline_kernelINS0_14default_configENS1_25transform_config_selectorIsLb0EEEZNS1_14transform_implILb0ES3_S5_NS0_18transform_iteratorINS0_17counting_iteratorImlEEZNS1_24adjacent_difference_implIS3_Lb1ELb0EPKsPsN6thrust23THRUST_200600_302600_NS4plusIsEEEE10hipError_tPvRmT2_T3_mT4_P12ihipStream_tbEUlmE_sEESD_NS0_8identityIvEEEESI_SL_SM_mSN_SP_bEUlT_E_NS1_11comp_targetILNS1_3genE2ELNS1_11target_archE906ELNS1_3gpuE6ELNS1_3repE0EEENS1_30default_config_static_selectorELNS0_4arch9wavefront6targetE1EEEvT1_.has_indirect_call, 0
	.section	.AMDGPU.csdata,"",@progbits
; Kernel info:
; codeLenInByte = 1016
; TotalNumSgprs: 26
; NumVgprs: 12
; ScratchSize: 0
; MemoryBound: 0
; FloatMode: 240
; IeeeMode: 1
; LDSByteSize: 0 bytes/workgroup (compile time only)
; SGPRBlocks: 3
; VGPRBlocks: 2
; NumSGPRsForWavesPerEU: 26
; NumVGPRsForWavesPerEU: 12
; Occupancy: 10
; WaveLimiterHint : 1
; COMPUTE_PGM_RSRC2:SCRATCH_EN: 0
; COMPUTE_PGM_RSRC2:USER_SGPR: 6
; COMPUTE_PGM_RSRC2:TRAP_HANDLER: 0
; COMPUTE_PGM_RSRC2:TGID_X_EN: 1
; COMPUTE_PGM_RSRC2:TGID_Y_EN: 0
; COMPUTE_PGM_RSRC2:TGID_Z_EN: 0
; COMPUTE_PGM_RSRC2:TIDIG_COMP_CNT: 0
	.section	.text._ZN7rocprim17ROCPRIM_400000_NS6detail17trampoline_kernelINS0_14default_configENS1_25transform_config_selectorIsLb0EEEZNS1_14transform_implILb0ES3_S5_NS0_18transform_iteratorINS0_17counting_iteratorImlEEZNS1_24adjacent_difference_implIS3_Lb1ELb0EPKsPsN6thrust23THRUST_200600_302600_NS4plusIsEEEE10hipError_tPvRmT2_T3_mT4_P12ihipStream_tbEUlmE_sEESD_NS0_8identityIvEEEESI_SL_SM_mSN_SP_bEUlT_E_NS1_11comp_targetILNS1_3genE10ELNS1_11target_archE1201ELNS1_3gpuE5ELNS1_3repE0EEENS1_30default_config_static_selectorELNS0_4arch9wavefront6targetE1EEEvT1_,"axG",@progbits,_ZN7rocprim17ROCPRIM_400000_NS6detail17trampoline_kernelINS0_14default_configENS1_25transform_config_selectorIsLb0EEEZNS1_14transform_implILb0ES3_S5_NS0_18transform_iteratorINS0_17counting_iteratorImlEEZNS1_24adjacent_difference_implIS3_Lb1ELb0EPKsPsN6thrust23THRUST_200600_302600_NS4plusIsEEEE10hipError_tPvRmT2_T3_mT4_P12ihipStream_tbEUlmE_sEESD_NS0_8identityIvEEEESI_SL_SM_mSN_SP_bEUlT_E_NS1_11comp_targetILNS1_3genE10ELNS1_11target_archE1201ELNS1_3gpuE5ELNS1_3repE0EEENS1_30default_config_static_selectorELNS0_4arch9wavefront6targetE1EEEvT1_,comdat
	.protected	_ZN7rocprim17ROCPRIM_400000_NS6detail17trampoline_kernelINS0_14default_configENS1_25transform_config_selectorIsLb0EEEZNS1_14transform_implILb0ES3_S5_NS0_18transform_iteratorINS0_17counting_iteratorImlEEZNS1_24adjacent_difference_implIS3_Lb1ELb0EPKsPsN6thrust23THRUST_200600_302600_NS4plusIsEEEE10hipError_tPvRmT2_T3_mT4_P12ihipStream_tbEUlmE_sEESD_NS0_8identityIvEEEESI_SL_SM_mSN_SP_bEUlT_E_NS1_11comp_targetILNS1_3genE10ELNS1_11target_archE1201ELNS1_3gpuE5ELNS1_3repE0EEENS1_30default_config_static_selectorELNS0_4arch9wavefront6targetE1EEEvT1_ ; -- Begin function _ZN7rocprim17ROCPRIM_400000_NS6detail17trampoline_kernelINS0_14default_configENS1_25transform_config_selectorIsLb0EEEZNS1_14transform_implILb0ES3_S5_NS0_18transform_iteratorINS0_17counting_iteratorImlEEZNS1_24adjacent_difference_implIS3_Lb1ELb0EPKsPsN6thrust23THRUST_200600_302600_NS4plusIsEEEE10hipError_tPvRmT2_T3_mT4_P12ihipStream_tbEUlmE_sEESD_NS0_8identityIvEEEESI_SL_SM_mSN_SP_bEUlT_E_NS1_11comp_targetILNS1_3genE10ELNS1_11target_archE1201ELNS1_3gpuE5ELNS1_3repE0EEENS1_30default_config_static_selectorELNS0_4arch9wavefront6targetE1EEEvT1_
	.globl	_ZN7rocprim17ROCPRIM_400000_NS6detail17trampoline_kernelINS0_14default_configENS1_25transform_config_selectorIsLb0EEEZNS1_14transform_implILb0ES3_S5_NS0_18transform_iteratorINS0_17counting_iteratorImlEEZNS1_24adjacent_difference_implIS3_Lb1ELb0EPKsPsN6thrust23THRUST_200600_302600_NS4plusIsEEEE10hipError_tPvRmT2_T3_mT4_P12ihipStream_tbEUlmE_sEESD_NS0_8identityIvEEEESI_SL_SM_mSN_SP_bEUlT_E_NS1_11comp_targetILNS1_3genE10ELNS1_11target_archE1201ELNS1_3gpuE5ELNS1_3repE0EEENS1_30default_config_static_selectorELNS0_4arch9wavefront6targetE1EEEvT1_
	.p2align	8
	.type	_ZN7rocprim17ROCPRIM_400000_NS6detail17trampoline_kernelINS0_14default_configENS1_25transform_config_selectorIsLb0EEEZNS1_14transform_implILb0ES3_S5_NS0_18transform_iteratorINS0_17counting_iteratorImlEEZNS1_24adjacent_difference_implIS3_Lb1ELb0EPKsPsN6thrust23THRUST_200600_302600_NS4plusIsEEEE10hipError_tPvRmT2_T3_mT4_P12ihipStream_tbEUlmE_sEESD_NS0_8identityIvEEEESI_SL_SM_mSN_SP_bEUlT_E_NS1_11comp_targetILNS1_3genE10ELNS1_11target_archE1201ELNS1_3gpuE5ELNS1_3repE0EEENS1_30default_config_static_selectorELNS0_4arch9wavefront6targetE1EEEvT1_,@function
_ZN7rocprim17ROCPRIM_400000_NS6detail17trampoline_kernelINS0_14default_configENS1_25transform_config_selectorIsLb0EEEZNS1_14transform_implILb0ES3_S5_NS0_18transform_iteratorINS0_17counting_iteratorImlEEZNS1_24adjacent_difference_implIS3_Lb1ELb0EPKsPsN6thrust23THRUST_200600_302600_NS4plusIsEEEE10hipError_tPvRmT2_T3_mT4_P12ihipStream_tbEUlmE_sEESD_NS0_8identityIvEEEESI_SL_SM_mSN_SP_bEUlT_E_NS1_11comp_targetILNS1_3genE10ELNS1_11target_archE1201ELNS1_3gpuE5ELNS1_3repE0EEENS1_30default_config_static_selectorELNS0_4arch9wavefront6targetE1EEEvT1_: ; @_ZN7rocprim17ROCPRIM_400000_NS6detail17trampoline_kernelINS0_14default_configENS1_25transform_config_selectorIsLb0EEEZNS1_14transform_implILb0ES3_S5_NS0_18transform_iteratorINS0_17counting_iteratorImlEEZNS1_24adjacent_difference_implIS3_Lb1ELb0EPKsPsN6thrust23THRUST_200600_302600_NS4plusIsEEEE10hipError_tPvRmT2_T3_mT4_P12ihipStream_tbEUlmE_sEESD_NS0_8identityIvEEEESI_SL_SM_mSN_SP_bEUlT_E_NS1_11comp_targetILNS1_3genE10ELNS1_11target_archE1201ELNS1_3gpuE5ELNS1_3repE0EEENS1_30default_config_static_selectorELNS0_4arch9wavefront6targetE1EEEvT1_
; %bb.0:
	.section	.rodata,"a",@progbits
	.p2align	6, 0x0
	.amdhsa_kernel _ZN7rocprim17ROCPRIM_400000_NS6detail17trampoline_kernelINS0_14default_configENS1_25transform_config_selectorIsLb0EEEZNS1_14transform_implILb0ES3_S5_NS0_18transform_iteratorINS0_17counting_iteratorImlEEZNS1_24adjacent_difference_implIS3_Lb1ELb0EPKsPsN6thrust23THRUST_200600_302600_NS4plusIsEEEE10hipError_tPvRmT2_T3_mT4_P12ihipStream_tbEUlmE_sEESD_NS0_8identityIvEEEESI_SL_SM_mSN_SP_bEUlT_E_NS1_11comp_targetILNS1_3genE10ELNS1_11target_archE1201ELNS1_3gpuE5ELNS1_3repE0EEENS1_30default_config_static_selectorELNS0_4arch9wavefront6targetE1EEEvT1_
		.amdhsa_group_segment_fixed_size 0
		.amdhsa_private_segment_fixed_size 0
		.amdhsa_kernarg_size 56
		.amdhsa_user_sgpr_count 6
		.amdhsa_user_sgpr_private_segment_buffer 1
		.amdhsa_user_sgpr_dispatch_ptr 0
		.amdhsa_user_sgpr_queue_ptr 0
		.amdhsa_user_sgpr_kernarg_segment_ptr 1
		.amdhsa_user_sgpr_dispatch_id 0
		.amdhsa_user_sgpr_flat_scratch_init 0
		.amdhsa_user_sgpr_private_segment_size 0
		.amdhsa_uses_dynamic_stack 0
		.amdhsa_system_sgpr_private_segment_wavefront_offset 0
		.amdhsa_system_sgpr_workgroup_id_x 1
		.amdhsa_system_sgpr_workgroup_id_y 0
		.amdhsa_system_sgpr_workgroup_id_z 0
		.amdhsa_system_sgpr_workgroup_info 0
		.amdhsa_system_vgpr_workitem_id 0
		.amdhsa_next_free_vgpr 1
		.amdhsa_next_free_sgpr 0
		.amdhsa_reserve_vcc 0
		.amdhsa_reserve_flat_scratch 0
		.amdhsa_float_round_mode_32 0
		.amdhsa_float_round_mode_16_64 0
		.amdhsa_float_denorm_mode_32 3
		.amdhsa_float_denorm_mode_16_64 3
		.amdhsa_dx10_clamp 1
		.amdhsa_ieee_mode 1
		.amdhsa_fp16_overflow 0
		.amdhsa_exception_fp_ieee_invalid_op 0
		.amdhsa_exception_fp_denorm_src 0
		.amdhsa_exception_fp_ieee_div_zero 0
		.amdhsa_exception_fp_ieee_overflow 0
		.amdhsa_exception_fp_ieee_underflow 0
		.amdhsa_exception_fp_ieee_inexact 0
		.amdhsa_exception_int_div_zero 0
	.end_amdhsa_kernel
	.section	.text._ZN7rocprim17ROCPRIM_400000_NS6detail17trampoline_kernelINS0_14default_configENS1_25transform_config_selectorIsLb0EEEZNS1_14transform_implILb0ES3_S5_NS0_18transform_iteratorINS0_17counting_iteratorImlEEZNS1_24adjacent_difference_implIS3_Lb1ELb0EPKsPsN6thrust23THRUST_200600_302600_NS4plusIsEEEE10hipError_tPvRmT2_T3_mT4_P12ihipStream_tbEUlmE_sEESD_NS0_8identityIvEEEESI_SL_SM_mSN_SP_bEUlT_E_NS1_11comp_targetILNS1_3genE10ELNS1_11target_archE1201ELNS1_3gpuE5ELNS1_3repE0EEENS1_30default_config_static_selectorELNS0_4arch9wavefront6targetE1EEEvT1_,"axG",@progbits,_ZN7rocprim17ROCPRIM_400000_NS6detail17trampoline_kernelINS0_14default_configENS1_25transform_config_selectorIsLb0EEEZNS1_14transform_implILb0ES3_S5_NS0_18transform_iteratorINS0_17counting_iteratorImlEEZNS1_24adjacent_difference_implIS3_Lb1ELb0EPKsPsN6thrust23THRUST_200600_302600_NS4plusIsEEEE10hipError_tPvRmT2_T3_mT4_P12ihipStream_tbEUlmE_sEESD_NS0_8identityIvEEEESI_SL_SM_mSN_SP_bEUlT_E_NS1_11comp_targetILNS1_3genE10ELNS1_11target_archE1201ELNS1_3gpuE5ELNS1_3repE0EEENS1_30default_config_static_selectorELNS0_4arch9wavefront6targetE1EEEvT1_,comdat
.Lfunc_end761:
	.size	_ZN7rocprim17ROCPRIM_400000_NS6detail17trampoline_kernelINS0_14default_configENS1_25transform_config_selectorIsLb0EEEZNS1_14transform_implILb0ES3_S5_NS0_18transform_iteratorINS0_17counting_iteratorImlEEZNS1_24adjacent_difference_implIS3_Lb1ELb0EPKsPsN6thrust23THRUST_200600_302600_NS4plusIsEEEE10hipError_tPvRmT2_T3_mT4_P12ihipStream_tbEUlmE_sEESD_NS0_8identityIvEEEESI_SL_SM_mSN_SP_bEUlT_E_NS1_11comp_targetILNS1_3genE10ELNS1_11target_archE1201ELNS1_3gpuE5ELNS1_3repE0EEENS1_30default_config_static_selectorELNS0_4arch9wavefront6targetE1EEEvT1_, .Lfunc_end761-_ZN7rocprim17ROCPRIM_400000_NS6detail17trampoline_kernelINS0_14default_configENS1_25transform_config_selectorIsLb0EEEZNS1_14transform_implILb0ES3_S5_NS0_18transform_iteratorINS0_17counting_iteratorImlEEZNS1_24adjacent_difference_implIS3_Lb1ELb0EPKsPsN6thrust23THRUST_200600_302600_NS4plusIsEEEE10hipError_tPvRmT2_T3_mT4_P12ihipStream_tbEUlmE_sEESD_NS0_8identityIvEEEESI_SL_SM_mSN_SP_bEUlT_E_NS1_11comp_targetILNS1_3genE10ELNS1_11target_archE1201ELNS1_3gpuE5ELNS1_3repE0EEENS1_30default_config_static_selectorELNS0_4arch9wavefront6targetE1EEEvT1_
                                        ; -- End function
	.set _ZN7rocprim17ROCPRIM_400000_NS6detail17trampoline_kernelINS0_14default_configENS1_25transform_config_selectorIsLb0EEEZNS1_14transform_implILb0ES3_S5_NS0_18transform_iteratorINS0_17counting_iteratorImlEEZNS1_24adjacent_difference_implIS3_Lb1ELb0EPKsPsN6thrust23THRUST_200600_302600_NS4plusIsEEEE10hipError_tPvRmT2_T3_mT4_P12ihipStream_tbEUlmE_sEESD_NS0_8identityIvEEEESI_SL_SM_mSN_SP_bEUlT_E_NS1_11comp_targetILNS1_3genE10ELNS1_11target_archE1201ELNS1_3gpuE5ELNS1_3repE0EEENS1_30default_config_static_selectorELNS0_4arch9wavefront6targetE1EEEvT1_.num_vgpr, 0
	.set _ZN7rocprim17ROCPRIM_400000_NS6detail17trampoline_kernelINS0_14default_configENS1_25transform_config_selectorIsLb0EEEZNS1_14transform_implILb0ES3_S5_NS0_18transform_iteratorINS0_17counting_iteratorImlEEZNS1_24adjacent_difference_implIS3_Lb1ELb0EPKsPsN6thrust23THRUST_200600_302600_NS4plusIsEEEE10hipError_tPvRmT2_T3_mT4_P12ihipStream_tbEUlmE_sEESD_NS0_8identityIvEEEESI_SL_SM_mSN_SP_bEUlT_E_NS1_11comp_targetILNS1_3genE10ELNS1_11target_archE1201ELNS1_3gpuE5ELNS1_3repE0EEENS1_30default_config_static_selectorELNS0_4arch9wavefront6targetE1EEEvT1_.num_agpr, 0
	.set _ZN7rocprim17ROCPRIM_400000_NS6detail17trampoline_kernelINS0_14default_configENS1_25transform_config_selectorIsLb0EEEZNS1_14transform_implILb0ES3_S5_NS0_18transform_iteratorINS0_17counting_iteratorImlEEZNS1_24adjacent_difference_implIS3_Lb1ELb0EPKsPsN6thrust23THRUST_200600_302600_NS4plusIsEEEE10hipError_tPvRmT2_T3_mT4_P12ihipStream_tbEUlmE_sEESD_NS0_8identityIvEEEESI_SL_SM_mSN_SP_bEUlT_E_NS1_11comp_targetILNS1_3genE10ELNS1_11target_archE1201ELNS1_3gpuE5ELNS1_3repE0EEENS1_30default_config_static_selectorELNS0_4arch9wavefront6targetE1EEEvT1_.numbered_sgpr, 0
	.set _ZN7rocprim17ROCPRIM_400000_NS6detail17trampoline_kernelINS0_14default_configENS1_25transform_config_selectorIsLb0EEEZNS1_14transform_implILb0ES3_S5_NS0_18transform_iteratorINS0_17counting_iteratorImlEEZNS1_24adjacent_difference_implIS3_Lb1ELb0EPKsPsN6thrust23THRUST_200600_302600_NS4plusIsEEEE10hipError_tPvRmT2_T3_mT4_P12ihipStream_tbEUlmE_sEESD_NS0_8identityIvEEEESI_SL_SM_mSN_SP_bEUlT_E_NS1_11comp_targetILNS1_3genE10ELNS1_11target_archE1201ELNS1_3gpuE5ELNS1_3repE0EEENS1_30default_config_static_selectorELNS0_4arch9wavefront6targetE1EEEvT1_.num_named_barrier, 0
	.set _ZN7rocprim17ROCPRIM_400000_NS6detail17trampoline_kernelINS0_14default_configENS1_25transform_config_selectorIsLb0EEEZNS1_14transform_implILb0ES3_S5_NS0_18transform_iteratorINS0_17counting_iteratorImlEEZNS1_24adjacent_difference_implIS3_Lb1ELb0EPKsPsN6thrust23THRUST_200600_302600_NS4plusIsEEEE10hipError_tPvRmT2_T3_mT4_P12ihipStream_tbEUlmE_sEESD_NS0_8identityIvEEEESI_SL_SM_mSN_SP_bEUlT_E_NS1_11comp_targetILNS1_3genE10ELNS1_11target_archE1201ELNS1_3gpuE5ELNS1_3repE0EEENS1_30default_config_static_selectorELNS0_4arch9wavefront6targetE1EEEvT1_.private_seg_size, 0
	.set _ZN7rocprim17ROCPRIM_400000_NS6detail17trampoline_kernelINS0_14default_configENS1_25transform_config_selectorIsLb0EEEZNS1_14transform_implILb0ES3_S5_NS0_18transform_iteratorINS0_17counting_iteratorImlEEZNS1_24adjacent_difference_implIS3_Lb1ELb0EPKsPsN6thrust23THRUST_200600_302600_NS4plusIsEEEE10hipError_tPvRmT2_T3_mT4_P12ihipStream_tbEUlmE_sEESD_NS0_8identityIvEEEESI_SL_SM_mSN_SP_bEUlT_E_NS1_11comp_targetILNS1_3genE10ELNS1_11target_archE1201ELNS1_3gpuE5ELNS1_3repE0EEENS1_30default_config_static_selectorELNS0_4arch9wavefront6targetE1EEEvT1_.uses_vcc, 0
	.set _ZN7rocprim17ROCPRIM_400000_NS6detail17trampoline_kernelINS0_14default_configENS1_25transform_config_selectorIsLb0EEEZNS1_14transform_implILb0ES3_S5_NS0_18transform_iteratorINS0_17counting_iteratorImlEEZNS1_24adjacent_difference_implIS3_Lb1ELb0EPKsPsN6thrust23THRUST_200600_302600_NS4plusIsEEEE10hipError_tPvRmT2_T3_mT4_P12ihipStream_tbEUlmE_sEESD_NS0_8identityIvEEEESI_SL_SM_mSN_SP_bEUlT_E_NS1_11comp_targetILNS1_3genE10ELNS1_11target_archE1201ELNS1_3gpuE5ELNS1_3repE0EEENS1_30default_config_static_selectorELNS0_4arch9wavefront6targetE1EEEvT1_.uses_flat_scratch, 0
	.set _ZN7rocprim17ROCPRIM_400000_NS6detail17trampoline_kernelINS0_14default_configENS1_25transform_config_selectorIsLb0EEEZNS1_14transform_implILb0ES3_S5_NS0_18transform_iteratorINS0_17counting_iteratorImlEEZNS1_24adjacent_difference_implIS3_Lb1ELb0EPKsPsN6thrust23THRUST_200600_302600_NS4plusIsEEEE10hipError_tPvRmT2_T3_mT4_P12ihipStream_tbEUlmE_sEESD_NS0_8identityIvEEEESI_SL_SM_mSN_SP_bEUlT_E_NS1_11comp_targetILNS1_3genE10ELNS1_11target_archE1201ELNS1_3gpuE5ELNS1_3repE0EEENS1_30default_config_static_selectorELNS0_4arch9wavefront6targetE1EEEvT1_.has_dyn_sized_stack, 0
	.set _ZN7rocprim17ROCPRIM_400000_NS6detail17trampoline_kernelINS0_14default_configENS1_25transform_config_selectorIsLb0EEEZNS1_14transform_implILb0ES3_S5_NS0_18transform_iteratorINS0_17counting_iteratorImlEEZNS1_24adjacent_difference_implIS3_Lb1ELb0EPKsPsN6thrust23THRUST_200600_302600_NS4plusIsEEEE10hipError_tPvRmT2_T3_mT4_P12ihipStream_tbEUlmE_sEESD_NS0_8identityIvEEEESI_SL_SM_mSN_SP_bEUlT_E_NS1_11comp_targetILNS1_3genE10ELNS1_11target_archE1201ELNS1_3gpuE5ELNS1_3repE0EEENS1_30default_config_static_selectorELNS0_4arch9wavefront6targetE1EEEvT1_.has_recursion, 0
	.set _ZN7rocprim17ROCPRIM_400000_NS6detail17trampoline_kernelINS0_14default_configENS1_25transform_config_selectorIsLb0EEEZNS1_14transform_implILb0ES3_S5_NS0_18transform_iteratorINS0_17counting_iteratorImlEEZNS1_24adjacent_difference_implIS3_Lb1ELb0EPKsPsN6thrust23THRUST_200600_302600_NS4plusIsEEEE10hipError_tPvRmT2_T3_mT4_P12ihipStream_tbEUlmE_sEESD_NS0_8identityIvEEEESI_SL_SM_mSN_SP_bEUlT_E_NS1_11comp_targetILNS1_3genE10ELNS1_11target_archE1201ELNS1_3gpuE5ELNS1_3repE0EEENS1_30default_config_static_selectorELNS0_4arch9wavefront6targetE1EEEvT1_.has_indirect_call, 0
	.section	.AMDGPU.csdata,"",@progbits
; Kernel info:
; codeLenInByte = 0
; TotalNumSgprs: 4
; NumVgprs: 0
; ScratchSize: 0
; MemoryBound: 0
; FloatMode: 240
; IeeeMode: 1
; LDSByteSize: 0 bytes/workgroup (compile time only)
; SGPRBlocks: 0
; VGPRBlocks: 0
; NumSGPRsForWavesPerEU: 4
; NumVGPRsForWavesPerEU: 1
; Occupancy: 10
; WaveLimiterHint : 0
; COMPUTE_PGM_RSRC2:SCRATCH_EN: 0
; COMPUTE_PGM_RSRC2:USER_SGPR: 6
; COMPUTE_PGM_RSRC2:TRAP_HANDLER: 0
; COMPUTE_PGM_RSRC2:TGID_X_EN: 1
; COMPUTE_PGM_RSRC2:TGID_Y_EN: 0
; COMPUTE_PGM_RSRC2:TGID_Z_EN: 0
; COMPUTE_PGM_RSRC2:TIDIG_COMP_CNT: 0
	.section	.text._ZN7rocprim17ROCPRIM_400000_NS6detail17trampoline_kernelINS0_14default_configENS1_25transform_config_selectorIsLb0EEEZNS1_14transform_implILb0ES3_S5_NS0_18transform_iteratorINS0_17counting_iteratorImlEEZNS1_24adjacent_difference_implIS3_Lb1ELb0EPKsPsN6thrust23THRUST_200600_302600_NS4plusIsEEEE10hipError_tPvRmT2_T3_mT4_P12ihipStream_tbEUlmE_sEESD_NS0_8identityIvEEEESI_SL_SM_mSN_SP_bEUlT_E_NS1_11comp_targetILNS1_3genE10ELNS1_11target_archE1200ELNS1_3gpuE4ELNS1_3repE0EEENS1_30default_config_static_selectorELNS0_4arch9wavefront6targetE1EEEvT1_,"axG",@progbits,_ZN7rocprim17ROCPRIM_400000_NS6detail17trampoline_kernelINS0_14default_configENS1_25transform_config_selectorIsLb0EEEZNS1_14transform_implILb0ES3_S5_NS0_18transform_iteratorINS0_17counting_iteratorImlEEZNS1_24adjacent_difference_implIS3_Lb1ELb0EPKsPsN6thrust23THRUST_200600_302600_NS4plusIsEEEE10hipError_tPvRmT2_T3_mT4_P12ihipStream_tbEUlmE_sEESD_NS0_8identityIvEEEESI_SL_SM_mSN_SP_bEUlT_E_NS1_11comp_targetILNS1_3genE10ELNS1_11target_archE1200ELNS1_3gpuE4ELNS1_3repE0EEENS1_30default_config_static_selectorELNS0_4arch9wavefront6targetE1EEEvT1_,comdat
	.protected	_ZN7rocprim17ROCPRIM_400000_NS6detail17trampoline_kernelINS0_14default_configENS1_25transform_config_selectorIsLb0EEEZNS1_14transform_implILb0ES3_S5_NS0_18transform_iteratorINS0_17counting_iteratorImlEEZNS1_24adjacent_difference_implIS3_Lb1ELb0EPKsPsN6thrust23THRUST_200600_302600_NS4plusIsEEEE10hipError_tPvRmT2_T3_mT4_P12ihipStream_tbEUlmE_sEESD_NS0_8identityIvEEEESI_SL_SM_mSN_SP_bEUlT_E_NS1_11comp_targetILNS1_3genE10ELNS1_11target_archE1200ELNS1_3gpuE4ELNS1_3repE0EEENS1_30default_config_static_selectorELNS0_4arch9wavefront6targetE1EEEvT1_ ; -- Begin function _ZN7rocprim17ROCPRIM_400000_NS6detail17trampoline_kernelINS0_14default_configENS1_25transform_config_selectorIsLb0EEEZNS1_14transform_implILb0ES3_S5_NS0_18transform_iteratorINS0_17counting_iteratorImlEEZNS1_24adjacent_difference_implIS3_Lb1ELb0EPKsPsN6thrust23THRUST_200600_302600_NS4plusIsEEEE10hipError_tPvRmT2_T3_mT4_P12ihipStream_tbEUlmE_sEESD_NS0_8identityIvEEEESI_SL_SM_mSN_SP_bEUlT_E_NS1_11comp_targetILNS1_3genE10ELNS1_11target_archE1200ELNS1_3gpuE4ELNS1_3repE0EEENS1_30default_config_static_selectorELNS0_4arch9wavefront6targetE1EEEvT1_
	.globl	_ZN7rocprim17ROCPRIM_400000_NS6detail17trampoline_kernelINS0_14default_configENS1_25transform_config_selectorIsLb0EEEZNS1_14transform_implILb0ES3_S5_NS0_18transform_iteratorINS0_17counting_iteratorImlEEZNS1_24adjacent_difference_implIS3_Lb1ELb0EPKsPsN6thrust23THRUST_200600_302600_NS4plusIsEEEE10hipError_tPvRmT2_T3_mT4_P12ihipStream_tbEUlmE_sEESD_NS0_8identityIvEEEESI_SL_SM_mSN_SP_bEUlT_E_NS1_11comp_targetILNS1_3genE10ELNS1_11target_archE1200ELNS1_3gpuE4ELNS1_3repE0EEENS1_30default_config_static_selectorELNS0_4arch9wavefront6targetE1EEEvT1_
	.p2align	8
	.type	_ZN7rocprim17ROCPRIM_400000_NS6detail17trampoline_kernelINS0_14default_configENS1_25transform_config_selectorIsLb0EEEZNS1_14transform_implILb0ES3_S5_NS0_18transform_iteratorINS0_17counting_iteratorImlEEZNS1_24adjacent_difference_implIS3_Lb1ELb0EPKsPsN6thrust23THRUST_200600_302600_NS4plusIsEEEE10hipError_tPvRmT2_T3_mT4_P12ihipStream_tbEUlmE_sEESD_NS0_8identityIvEEEESI_SL_SM_mSN_SP_bEUlT_E_NS1_11comp_targetILNS1_3genE10ELNS1_11target_archE1200ELNS1_3gpuE4ELNS1_3repE0EEENS1_30default_config_static_selectorELNS0_4arch9wavefront6targetE1EEEvT1_,@function
_ZN7rocprim17ROCPRIM_400000_NS6detail17trampoline_kernelINS0_14default_configENS1_25transform_config_selectorIsLb0EEEZNS1_14transform_implILb0ES3_S5_NS0_18transform_iteratorINS0_17counting_iteratorImlEEZNS1_24adjacent_difference_implIS3_Lb1ELb0EPKsPsN6thrust23THRUST_200600_302600_NS4plusIsEEEE10hipError_tPvRmT2_T3_mT4_P12ihipStream_tbEUlmE_sEESD_NS0_8identityIvEEEESI_SL_SM_mSN_SP_bEUlT_E_NS1_11comp_targetILNS1_3genE10ELNS1_11target_archE1200ELNS1_3gpuE4ELNS1_3repE0EEENS1_30default_config_static_selectorELNS0_4arch9wavefront6targetE1EEEvT1_: ; @_ZN7rocprim17ROCPRIM_400000_NS6detail17trampoline_kernelINS0_14default_configENS1_25transform_config_selectorIsLb0EEEZNS1_14transform_implILb0ES3_S5_NS0_18transform_iteratorINS0_17counting_iteratorImlEEZNS1_24adjacent_difference_implIS3_Lb1ELb0EPKsPsN6thrust23THRUST_200600_302600_NS4plusIsEEEE10hipError_tPvRmT2_T3_mT4_P12ihipStream_tbEUlmE_sEESD_NS0_8identityIvEEEESI_SL_SM_mSN_SP_bEUlT_E_NS1_11comp_targetILNS1_3genE10ELNS1_11target_archE1200ELNS1_3gpuE4ELNS1_3repE0EEENS1_30default_config_static_selectorELNS0_4arch9wavefront6targetE1EEEvT1_
; %bb.0:
	.section	.rodata,"a",@progbits
	.p2align	6, 0x0
	.amdhsa_kernel _ZN7rocprim17ROCPRIM_400000_NS6detail17trampoline_kernelINS0_14default_configENS1_25transform_config_selectorIsLb0EEEZNS1_14transform_implILb0ES3_S5_NS0_18transform_iteratorINS0_17counting_iteratorImlEEZNS1_24adjacent_difference_implIS3_Lb1ELb0EPKsPsN6thrust23THRUST_200600_302600_NS4plusIsEEEE10hipError_tPvRmT2_T3_mT4_P12ihipStream_tbEUlmE_sEESD_NS0_8identityIvEEEESI_SL_SM_mSN_SP_bEUlT_E_NS1_11comp_targetILNS1_3genE10ELNS1_11target_archE1200ELNS1_3gpuE4ELNS1_3repE0EEENS1_30default_config_static_selectorELNS0_4arch9wavefront6targetE1EEEvT1_
		.amdhsa_group_segment_fixed_size 0
		.amdhsa_private_segment_fixed_size 0
		.amdhsa_kernarg_size 56
		.amdhsa_user_sgpr_count 6
		.amdhsa_user_sgpr_private_segment_buffer 1
		.amdhsa_user_sgpr_dispatch_ptr 0
		.amdhsa_user_sgpr_queue_ptr 0
		.amdhsa_user_sgpr_kernarg_segment_ptr 1
		.amdhsa_user_sgpr_dispatch_id 0
		.amdhsa_user_sgpr_flat_scratch_init 0
		.amdhsa_user_sgpr_private_segment_size 0
		.amdhsa_uses_dynamic_stack 0
		.amdhsa_system_sgpr_private_segment_wavefront_offset 0
		.amdhsa_system_sgpr_workgroup_id_x 1
		.amdhsa_system_sgpr_workgroup_id_y 0
		.amdhsa_system_sgpr_workgroup_id_z 0
		.amdhsa_system_sgpr_workgroup_info 0
		.amdhsa_system_vgpr_workitem_id 0
		.amdhsa_next_free_vgpr 1
		.amdhsa_next_free_sgpr 0
		.amdhsa_reserve_vcc 0
		.amdhsa_reserve_flat_scratch 0
		.amdhsa_float_round_mode_32 0
		.amdhsa_float_round_mode_16_64 0
		.amdhsa_float_denorm_mode_32 3
		.amdhsa_float_denorm_mode_16_64 3
		.amdhsa_dx10_clamp 1
		.amdhsa_ieee_mode 1
		.amdhsa_fp16_overflow 0
		.amdhsa_exception_fp_ieee_invalid_op 0
		.amdhsa_exception_fp_denorm_src 0
		.amdhsa_exception_fp_ieee_div_zero 0
		.amdhsa_exception_fp_ieee_overflow 0
		.amdhsa_exception_fp_ieee_underflow 0
		.amdhsa_exception_fp_ieee_inexact 0
		.amdhsa_exception_int_div_zero 0
	.end_amdhsa_kernel
	.section	.text._ZN7rocprim17ROCPRIM_400000_NS6detail17trampoline_kernelINS0_14default_configENS1_25transform_config_selectorIsLb0EEEZNS1_14transform_implILb0ES3_S5_NS0_18transform_iteratorINS0_17counting_iteratorImlEEZNS1_24adjacent_difference_implIS3_Lb1ELb0EPKsPsN6thrust23THRUST_200600_302600_NS4plusIsEEEE10hipError_tPvRmT2_T3_mT4_P12ihipStream_tbEUlmE_sEESD_NS0_8identityIvEEEESI_SL_SM_mSN_SP_bEUlT_E_NS1_11comp_targetILNS1_3genE10ELNS1_11target_archE1200ELNS1_3gpuE4ELNS1_3repE0EEENS1_30default_config_static_selectorELNS0_4arch9wavefront6targetE1EEEvT1_,"axG",@progbits,_ZN7rocprim17ROCPRIM_400000_NS6detail17trampoline_kernelINS0_14default_configENS1_25transform_config_selectorIsLb0EEEZNS1_14transform_implILb0ES3_S5_NS0_18transform_iteratorINS0_17counting_iteratorImlEEZNS1_24adjacent_difference_implIS3_Lb1ELb0EPKsPsN6thrust23THRUST_200600_302600_NS4plusIsEEEE10hipError_tPvRmT2_T3_mT4_P12ihipStream_tbEUlmE_sEESD_NS0_8identityIvEEEESI_SL_SM_mSN_SP_bEUlT_E_NS1_11comp_targetILNS1_3genE10ELNS1_11target_archE1200ELNS1_3gpuE4ELNS1_3repE0EEENS1_30default_config_static_selectorELNS0_4arch9wavefront6targetE1EEEvT1_,comdat
.Lfunc_end762:
	.size	_ZN7rocprim17ROCPRIM_400000_NS6detail17trampoline_kernelINS0_14default_configENS1_25transform_config_selectorIsLb0EEEZNS1_14transform_implILb0ES3_S5_NS0_18transform_iteratorINS0_17counting_iteratorImlEEZNS1_24adjacent_difference_implIS3_Lb1ELb0EPKsPsN6thrust23THRUST_200600_302600_NS4plusIsEEEE10hipError_tPvRmT2_T3_mT4_P12ihipStream_tbEUlmE_sEESD_NS0_8identityIvEEEESI_SL_SM_mSN_SP_bEUlT_E_NS1_11comp_targetILNS1_3genE10ELNS1_11target_archE1200ELNS1_3gpuE4ELNS1_3repE0EEENS1_30default_config_static_selectorELNS0_4arch9wavefront6targetE1EEEvT1_, .Lfunc_end762-_ZN7rocprim17ROCPRIM_400000_NS6detail17trampoline_kernelINS0_14default_configENS1_25transform_config_selectorIsLb0EEEZNS1_14transform_implILb0ES3_S5_NS0_18transform_iteratorINS0_17counting_iteratorImlEEZNS1_24adjacent_difference_implIS3_Lb1ELb0EPKsPsN6thrust23THRUST_200600_302600_NS4plusIsEEEE10hipError_tPvRmT2_T3_mT4_P12ihipStream_tbEUlmE_sEESD_NS0_8identityIvEEEESI_SL_SM_mSN_SP_bEUlT_E_NS1_11comp_targetILNS1_3genE10ELNS1_11target_archE1200ELNS1_3gpuE4ELNS1_3repE0EEENS1_30default_config_static_selectorELNS0_4arch9wavefront6targetE1EEEvT1_
                                        ; -- End function
	.set _ZN7rocprim17ROCPRIM_400000_NS6detail17trampoline_kernelINS0_14default_configENS1_25transform_config_selectorIsLb0EEEZNS1_14transform_implILb0ES3_S5_NS0_18transform_iteratorINS0_17counting_iteratorImlEEZNS1_24adjacent_difference_implIS3_Lb1ELb0EPKsPsN6thrust23THRUST_200600_302600_NS4plusIsEEEE10hipError_tPvRmT2_T3_mT4_P12ihipStream_tbEUlmE_sEESD_NS0_8identityIvEEEESI_SL_SM_mSN_SP_bEUlT_E_NS1_11comp_targetILNS1_3genE10ELNS1_11target_archE1200ELNS1_3gpuE4ELNS1_3repE0EEENS1_30default_config_static_selectorELNS0_4arch9wavefront6targetE1EEEvT1_.num_vgpr, 0
	.set _ZN7rocprim17ROCPRIM_400000_NS6detail17trampoline_kernelINS0_14default_configENS1_25transform_config_selectorIsLb0EEEZNS1_14transform_implILb0ES3_S5_NS0_18transform_iteratorINS0_17counting_iteratorImlEEZNS1_24adjacent_difference_implIS3_Lb1ELb0EPKsPsN6thrust23THRUST_200600_302600_NS4plusIsEEEE10hipError_tPvRmT2_T3_mT4_P12ihipStream_tbEUlmE_sEESD_NS0_8identityIvEEEESI_SL_SM_mSN_SP_bEUlT_E_NS1_11comp_targetILNS1_3genE10ELNS1_11target_archE1200ELNS1_3gpuE4ELNS1_3repE0EEENS1_30default_config_static_selectorELNS0_4arch9wavefront6targetE1EEEvT1_.num_agpr, 0
	.set _ZN7rocprim17ROCPRIM_400000_NS6detail17trampoline_kernelINS0_14default_configENS1_25transform_config_selectorIsLb0EEEZNS1_14transform_implILb0ES3_S5_NS0_18transform_iteratorINS0_17counting_iteratorImlEEZNS1_24adjacent_difference_implIS3_Lb1ELb0EPKsPsN6thrust23THRUST_200600_302600_NS4plusIsEEEE10hipError_tPvRmT2_T3_mT4_P12ihipStream_tbEUlmE_sEESD_NS0_8identityIvEEEESI_SL_SM_mSN_SP_bEUlT_E_NS1_11comp_targetILNS1_3genE10ELNS1_11target_archE1200ELNS1_3gpuE4ELNS1_3repE0EEENS1_30default_config_static_selectorELNS0_4arch9wavefront6targetE1EEEvT1_.numbered_sgpr, 0
	.set _ZN7rocprim17ROCPRIM_400000_NS6detail17trampoline_kernelINS0_14default_configENS1_25transform_config_selectorIsLb0EEEZNS1_14transform_implILb0ES3_S5_NS0_18transform_iteratorINS0_17counting_iteratorImlEEZNS1_24adjacent_difference_implIS3_Lb1ELb0EPKsPsN6thrust23THRUST_200600_302600_NS4plusIsEEEE10hipError_tPvRmT2_T3_mT4_P12ihipStream_tbEUlmE_sEESD_NS0_8identityIvEEEESI_SL_SM_mSN_SP_bEUlT_E_NS1_11comp_targetILNS1_3genE10ELNS1_11target_archE1200ELNS1_3gpuE4ELNS1_3repE0EEENS1_30default_config_static_selectorELNS0_4arch9wavefront6targetE1EEEvT1_.num_named_barrier, 0
	.set _ZN7rocprim17ROCPRIM_400000_NS6detail17trampoline_kernelINS0_14default_configENS1_25transform_config_selectorIsLb0EEEZNS1_14transform_implILb0ES3_S5_NS0_18transform_iteratorINS0_17counting_iteratorImlEEZNS1_24adjacent_difference_implIS3_Lb1ELb0EPKsPsN6thrust23THRUST_200600_302600_NS4plusIsEEEE10hipError_tPvRmT2_T3_mT4_P12ihipStream_tbEUlmE_sEESD_NS0_8identityIvEEEESI_SL_SM_mSN_SP_bEUlT_E_NS1_11comp_targetILNS1_3genE10ELNS1_11target_archE1200ELNS1_3gpuE4ELNS1_3repE0EEENS1_30default_config_static_selectorELNS0_4arch9wavefront6targetE1EEEvT1_.private_seg_size, 0
	.set _ZN7rocprim17ROCPRIM_400000_NS6detail17trampoline_kernelINS0_14default_configENS1_25transform_config_selectorIsLb0EEEZNS1_14transform_implILb0ES3_S5_NS0_18transform_iteratorINS0_17counting_iteratorImlEEZNS1_24adjacent_difference_implIS3_Lb1ELb0EPKsPsN6thrust23THRUST_200600_302600_NS4plusIsEEEE10hipError_tPvRmT2_T3_mT4_P12ihipStream_tbEUlmE_sEESD_NS0_8identityIvEEEESI_SL_SM_mSN_SP_bEUlT_E_NS1_11comp_targetILNS1_3genE10ELNS1_11target_archE1200ELNS1_3gpuE4ELNS1_3repE0EEENS1_30default_config_static_selectorELNS0_4arch9wavefront6targetE1EEEvT1_.uses_vcc, 0
	.set _ZN7rocprim17ROCPRIM_400000_NS6detail17trampoline_kernelINS0_14default_configENS1_25transform_config_selectorIsLb0EEEZNS1_14transform_implILb0ES3_S5_NS0_18transform_iteratorINS0_17counting_iteratorImlEEZNS1_24adjacent_difference_implIS3_Lb1ELb0EPKsPsN6thrust23THRUST_200600_302600_NS4plusIsEEEE10hipError_tPvRmT2_T3_mT4_P12ihipStream_tbEUlmE_sEESD_NS0_8identityIvEEEESI_SL_SM_mSN_SP_bEUlT_E_NS1_11comp_targetILNS1_3genE10ELNS1_11target_archE1200ELNS1_3gpuE4ELNS1_3repE0EEENS1_30default_config_static_selectorELNS0_4arch9wavefront6targetE1EEEvT1_.uses_flat_scratch, 0
	.set _ZN7rocprim17ROCPRIM_400000_NS6detail17trampoline_kernelINS0_14default_configENS1_25transform_config_selectorIsLb0EEEZNS1_14transform_implILb0ES3_S5_NS0_18transform_iteratorINS0_17counting_iteratorImlEEZNS1_24adjacent_difference_implIS3_Lb1ELb0EPKsPsN6thrust23THRUST_200600_302600_NS4plusIsEEEE10hipError_tPvRmT2_T3_mT4_P12ihipStream_tbEUlmE_sEESD_NS0_8identityIvEEEESI_SL_SM_mSN_SP_bEUlT_E_NS1_11comp_targetILNS1_3genE10ELNS1_11target_archE1200ELNS1_3gpuE4ELNS1_3repE0EEENS1_30default_config_static_selectorELNS0_4arch9wavefront6targetE1EEEvT1_.has_dyn_sized_stack, 0
	.set _ZN7rocprim17ROCPRIM_400000_NS6detail17trampoline_kernelINS0_14default_configENS1_25transform_config_selectorIsLb0EEEZNS1_14transform_implILb0ES3_S5_NS0_18transform_iteratorINS0_17counting_iteratorImlEEZNS1_24adjacent_difference_implIS3_Lb1ELb0EPKsPsN6thrust23THRUST_200600_302600_NS4plusIsEEEE10hipError_tPvRmT2_T3_mT4_P12ihipStream_tbEUlmE_sEESD_NS0_8identityIvEEEESI_SL_SM_mSN_SP_bEUlT_E_NS1_11comp_targetILNS1_3genE10ELNS1_11target_archE1200ELNS1_3gpuE4ELNS1_3repE0EEENS1_30default_config_static_selectorELNS0_4arch9wavefront6targetE1EEEvT1_.has_recursion, 0
	.set _ZN7rocprim17ROCPRIM_400000_NS6detail17trampoline_kernelINS0_14default_configENS1_25transform_config_selectorIsLb0EEEZNS1_14transform_implILb0ES3_S5_NS0_18transform_iteratorINS0_17counting_iteratorImlEEZNS1_24adjacent_difference_implIS3_Lb1ELb0EPKsPsN6thrust23THRUST_200600_302600_NS4plusIsEEEE10hipError_tPvRmT2_T3_mT4_P12ihipStream_tbEUlmE_sEESD_NS0_8identityIvEEEESI_SL_SM_mSN_SP_bEUlT_E_NS1_11comp_targetILNS1_3genE10ELNS1_11target_archE1200ELNS1_3gpuE4ELNS1_3repE0EEENS1_30default_config_static_selectorELNS0_4arch9wavefront6targetE1EEEvT1_.has_indirect_call, 0
	.section	.AMDGPU.csdata,"",@progbits
; Kernel info:
; codeLenInByte = 0
; TotalNumSgprs: 4
; NumVgprs: 0
; ScratchSize: 0
; MemoryBound: 0
; FloatMode: 240
; IeeeMode: 1
; LDSByteSize: 0 bytes/workgroup (compile time only)
; SGPRBlocks: 0
; VGPRBlocks: 0
; NumSGPRsForWavesPerEU: 4
; NumVGPRsForWavesPerEU: 1
; Occupancy: 10
; WaveLimiterHint : 0
; COMPUTE_PGM_RSRC2:SCRATCH_EN: 0
; COMPUTE_PGM_RSRC2:USER_SGPR: 6
; COMPUTE_PGM_RSRC2:TRAP_HANDLER: 0
; COMPUTE_PGM_RSRC2:TGID_X_EN: 1
; COMPUTE_PGM_RSRC2:TGID_Y_EN: 0
; COMPUTE_PGM_RSRC2:TGID_Z_EN: 0
; COMPUTE_PGM_RSRC2:TIDIG_COMP_CNT: 0
	.section	.text._ZN7rocprim17ROCPRIM_400000_NS6detail17trampoline_kernelINS0_14default_configENS1_25transform_config_selectorIsLb0EEEZNS1_14transform_implILb0ES3_S5_NS0_18transform_iteratorINS0_17counting_iteratorImlEEZNS1_24adjacent_difference_implIS3_Lb1ELb0EPKsPsN6thrust23THRUST_200600_302600_NS4plusIsEEEE10hipError_tPvRmT2_T3_mT4_P12ihipStream_tbEUlmE_sEESD_NS0_8identityIvEEEESI_SL_SM_mSN_SP_bEUlT_E_NS1_11comp_targetILNS1_3genE9ELNS1_11target_archE1100ELNS1_3gpuE3ELNS1_3repE0EEENS1_30default_config_static_selectorELNS0_4arch9wavefront6targetE1EEEvT1_,"axG",@progbits,_ZN7rocprim17ROCPRIM_400000_NS6detail17trampoline_kernelINS0_14default_configENS1_25transform_config_selectorIsLb0EEEZNS1_14transform_implILb0ES3_S5_NS0_18transform_iteratorINS0_17counting_iteratorImlEEZNS1_24adjacent_difference_implIS3_Lb1ELb0EPKsPsN6thrust23THRUST_200600_302600_NS4plusIsEEEE10hipError_tPvRmT2_T3_mT4_P12ihipStream_tbEUlmE_sEESD_NS0_8identityIvEEEESI_SL_SM_mSN_SP_bEUlT_E_NS1_11comp_targetILNS1_3genE9ELNS1_11target_archE1100ELNS1_3gpuE3ELNS1_3repE0EEENS1_30default_config_static_selectorELNS0_4arch9wavefront6targetE1EEEvT1_,comdat
	.protected	_ZN7rocprim17ROCPRIM_400000_NS6detail17trampoline_kernelINS0_14default_configENS1_25transform_config_selectorIsLb0EEEZNS1_14transform_implILb0ES3_S5_NS0_18transform_iteratorINS0_17counting_iteratorImlEEZNS1_24adjacent_difference_implIS3_Lb1ELb0EPKsPsN6thrust23THRUST_200600_302600_NS4plusIsEEEE10hipError_tPvRmT2_T3_mT4_P12ihipStream_tbEUlmE_sEESD_NS0_8identityIvEEEESI_SL_SM_mSN_SP_bEUlT_E_NS1_11comp_targetILNS1_3genE9ELNS1_11target_archE1100ELNS1_3gpuE3ELNS1_3repE0EEENS1_30default_config_static_selectorELNS0_4arch9wavefront6targetE1EEEvT1_ ; -- Begin function _ZN7rocprim17ROCPRIM_400000_NS6detail17trampoline_kernelINS0_14default_configENS1_25transform_config_selectorIsLb0EEEZNS1_14transform_implILb0ES3_S5_NS0_18transform_iteratorINS0_17counting_iteratorImlEEZNS1_24adjacent_difference_implIS3_Lb1ELb0EPKsPsN6thrust23THRUST_200600_302600_NS4plusIsEEEE10hipError_tPvRmT2_T3_mT4_P12ihipStream_tbEUlmE_sEESD_NS0_8identityIvEEEESI_SL_SM_mSN_SP_bEUlT_E_NS1_11comp_targetILNS1_3genE9ELNS1_11target_archE1100ELNS1_3gpuE3ELNS1_3repE0EEENS1_30default_config_static_selectorELNS0_4arch9wavefront6targetE1EEEvT1_
	.globl	_ZN7rocprim17ROCPRIM_400000_NS6detail17trampoline_kernelINS0_14default_configENS1_25transform_config_selectorIsLb0EEEZNS1_14transform_implILb0ES3_S5_NS0_18transform_iteratorINS0_17counting_iteratorImlEEZNS1_24adjacent_difference_implIS3_Lb1ELb0EPKsPsN6thrust23THRUST_200600_302600_NS4plusIsEEEE10hipError_tPvRmT2_T3_mT4_P12ihipStream_tbEUlmE_sEESD_NS0_8identityIvEEEESI_SL_SM_mSN_SP_bEUlT_E_NS1_11comp_targetILNS1_3genE9ELNS1_11target_archE1100ELNS1_3gpuE3ELNS1_3repE0EEENS1_30default_config_static_selectorELNS0_4arch9wavefront6targetE1EEEvT1_
	.p2align	8
	.type	_ZN7rocprim17ROCPRIM_400000_NS6detail17trampoline_kernelINS0_14default_configENS1_25transform_config_selectorIsLb0EEEZNS1_14transform_implILb0ES3_S5_NS0_18transform_iteratorINS0_17counting_iteratorImlEEZNS1_24adjacent_difference_implIS3_Lb1ELb0EPKsPsN6thrust23THRUST_200600_302600_NS4plusIsEEEE10hipError_tPvRmT2_T3_mT4_P12ihipStream_tbEUlmE_sEESD_NS0_8identityIvEEEESI_SL_SM_mSN_SP_bEUlT_E_NS1_11comp_targetILNS1_3genE9ELNS1_11target_archE1100ELNS1_3gpuE3ELNS1_3repE0EEENS1_30default_config_static_selectorELNS0_4arch9wavefront6targetE1EEEvT1_,@function
_ZN7rocprim17ROCPRIM_400000_NS6detail17trampoline_kernelINS0_14default_configENS1_25transform_config_selectorIsLb0EEEZNS1_14transform_implILb0ES3_S5_NS0_18transform_iteratorINS0_17counting_iteratorImlEEZNS1_24adjacent_difference_implIS3_Lb1ELb0EPKsPsN6thrust23THRUST_200600_302600_NS4plusIsEEEE10hipError_tPvRmT2_T3_mT4_P12ihipStream_tbEUlmE_sEESD_NS0_8identityIvEEEESI_SL_SM_mSN_SP_bEUlT_E_NS1_11comp_targetILNS1_3genE9ELNS1_11target_archE1100ELNS1_3gpuE3ELNS1_3repE0EEENS1_30default_config_static_selectorELNS0_4arch9wavefront6targetE1EEEvT1_: ; @_ZN7rocprim17ROCPRIM_400000_NS6detail17trampoline_kernelINS0_14default_configENS1_25transform_config_selectorIsLb0EEEZNS1_14transform_implILb0ES3_S5_NS0_18transform_iteratorINS0_17counting_iteratorImlEEZNS1_24adjacent_difference_implIS3_Lb1ELb0EPKsPsN6thrust23THRUST_200600_302600_NS4plusIsEEEE10hipError_tPvRmT2_T3_mT4_P12ihipStream_tbEUlmE_sEESD_NS0_8identityIvEEEESI_SL_SM_mSN_SP_bEUlT_E_NS1_11comp_targetILNS1_3genE9ELNS1_11target_archE1100ELNS1_3gpuE3ELNS1_3repE0EEENS1_30default_config_static_selectorELNS0_4arch9wavefront6targetE1EEEvT1_
; %bb.0:
	.section	.rodata,"a",@progbits
	.p2align	6, 0x0
	.amdhsa_kernel _ZN7rocprim17ROCPRIM_400000_NS6detail17trampoline_kernelINS0_14default_configENS1_25transform_config_selectorIsLb0EEEZNS1_14transform_implILb0ES3_S5_NS0_18transform_iteratorINS0_17counting_iteratorImlEEZNS1_24adjacent_difference_implIS3_Lb1ELb0EPKsPsN6thrust23THRUST_200600_302600_NS4plusIsEEEE10hipError_tPvRmT2_T3_mT4_P12ihipStream_tbEUlmE_sEESD_NS0_8identityIvEEEESI_SL_SM_mSN_SP_bEUlT_E_NS1_11comp_targetILNS1_3genE9ELNS1_11target_archE1100ELNS1_3gpuE3ELNS1_3repE0EEENS1_30default_config_static_selectorELNS0_4arch9wavefront6targetE1EEEvT1_
		.amdhsa_group_segment_fixed_size 0
		.amdhsa_private_segment_fixed_size 0
		.amdhsa_kernarg_size 56
		.amdhsa_user_sgpr_count 6
		.amdhsa_user_sgpr_private_segment_buffer 1
		.amdhsa_user_sgpr_dispatch_ptr 0
		.amdhsa_user_sgpr_queue_ptr 0
		.amdhsa_user_sgpr_kernarg_segment_ptr 1
		.amdhsa_user_sgpr_dispatch_id 0
		.amdhsa_user_sgpr_flat_scratch_init 0
		.amdhsa_user_sgpr_private_segment_size 0
		.amdhsa_uses_dynamic_stack 0
		.amdhsa_system_sgpr_private_segment_wavefront_offset 0
		.amdhsa_system_sgpr_workgroup_id_x 1
		.amdhsa_system_sgpr_workgroup_id_y 0
		.amdhsa_system_sgpr_workgroup_id_z 0
		.amdhsa_system_sgpr_workgroup_info 0
		.amdhsa_system_vgpr_workitem_id 0
		.amdhsa_next_free_vgpr 1
		.amdhsa_next_free_sgpr 0
		.amdhsa_reserve_vcc 0
		.amdhsa_reserve_flat_scratch 0
		.amdhsa_float_round_mode_32 0
		.amdhsa_float_round_mode_16_64 0
		.amdhsa_float_denorm_mode_32 3
		.amdhsa_float_denorm_mode_16_64 3
		.amdhsa_dx10_clamp 1
		.amdhsa_ieee_mode 1
		.amdhsa_fp16_overflow 0
		.amdhsa_exception_fp_ieee_invalid_op 0
		.amdhsa_exception_fp_denorm_src 0
		.amdhsa_exception_fp_ieee_div_zero 0
		.amdhsa_exception_fp_ieee_overflow 0
		.amdhsa_exception_fp_ieee_underflow 0
		.amdhsa_exception_fp_ieee_inexact 0
		.amdhsa_exception_int_div_zero 0
	.end_amdhsa_kernel
	.section	.text._ZN7rocprim17ROCPRIM_400000_NS6detail17trampoline_kernelINS0_14default_configENS1_25transform_config_selectorIsLb0EEEZNS1_14transform_implILb0ES3_S5_NS0_18transform_iteratorINS0_17counting_iteratorImlEEZNS1_24adjacent_difference_implIS3_Lb1ELb0EPKsPsN6thrust23THRUST_200600_302600_NS4plusIsEEEE10hipError_tPvRmT2_T3_mT4_P12ihipStream_tbEUlmE_sEESD_NS0_8identityIvEEEESI_SL_SM_mSN_SP_bEUlT_E_NS1_11comp_targetILNS1_3genE9ELNS1_11target_archE1100ELNS1_3gpuE3ELNS1_3repE0EEENS1_30default_config_static_selectorELNS0_4arch9wavefront6targetE1EEEvT1_,"axG",@progbits,_ZN7rocprim17ROCPRIM_400000_NS6detail17trampoline_kernelINS0_14default_configENS1_25transform_config_selectorIsLb0EEEZNS1_14transform_implILb0ES3_S5_NS0_18transform_iteratorINS0_17counting_iteratorImlEEZNS1_24adjacent_difference_implIS3_Lb1ELb0EPKsPsN6thrust23THRUST_200600_302600_NS4plusIsEEEE10hipError_tPvRmT2_T3_mT4_P12ihipStream_tbEUlmE_sEESD_NS0_8identityIvEEEESI_SL_SM_mSN_SP_bEUlT_E_NS1_11comp_targetILNS1_3genE9ELNS1_11target_archE1100ELNS1_3gpuE3ELNS1_3repE0EEENS1_30default_config_static_selectorELNS0_4arch9wavefront6targetE1EEEvT1_,comdat
.Lfunc_end763:
	.size	_ZN7rocprim17ROCPRIM_400000_NS6detail17trampoline_kernelINS0_14default_configENS1_25transform_config_selectorIsLb0EEEZNS1_14transform_implILb0ES3_S5_NS0_18transform_iteratorINS0_17counting_iteratorImlEEZNS1_24adjacent_difference_implIS3_Lb1ELb0EPKsPsN6thrust23THRUST_200600_302600_NS4plusIsEEEE10hipError_tPvRmT2_T3_mT4_P12ihipStream_tbEUlmE_sEESD_NS0_8identityIvEEEESI_SL_SM_mSN_SP_bEUlT_E_NS1_11comp_targetILNS1_3genE9ELNS1_11target_archE1100ELNS1_3gpuE3ELNS1_3repE0EEENS1_30default_config_static_selectorELNS0_4arch9wavefront6targetE1EEEvT1_, .Lfunc_end763-_ZN7rocprim17ROCPRIM_400000_NS6detail17trampoline_kernelINS0_14default_configENS1_25transform_config_selectorIsLb0EEEZNS1_14transform_implILb0ES3_S5_NS0_18transform_iteratorINS0_17counting_iteratorImlEEZNS1_24adjacent_difference_implIS3_Lb1ELb0EPKsPsN6thrust23THRUST_200600_302600_NS4plusIsEEEE10hipError_tPvRmT2_T3_mT4_P12ihipStream_tbEUlmE_sEESD_NS0_8identityIvEEEESI_SL_SM_mSN_SP_bEUlT_E_NS1_11comp_targetILNS1_3genE9ELNS1_11target_archE1100ELNS1_3gpuE3ELNS1_3repE0EEENS1_30default_config_static_selectorELNS0_4arch9wavefront6targetE1EEEvT1_
                                        ; -- End function
	.set _ZN7rocprim17ROCPRIM_400000_NS6detail17trampoline_kernelINS0_14default_configENS1_25transform_config_selectorIsLb0EEEZNS1_14transform_implILb0ES3_S5_NS0_18transform_iteratorINS0_17counting_iteratorImlEEZNS1_24adjacent_difference_implIS3_Lb1ELb0EPKsPsN6thrust23THRUST_200600_302600_NS4plusIsEEEE10hipError_tPvRmT2_T3_mT4_P12ihipStream_tbEUlmE_sEESD_NS0_8identityIvEEEESI_SL_SM_mSN_SP_bEUlT_E_NS1_11comp_targetILNS1_3genE9ELNS1_11target_archE1100ELNS1_3gpuE3ELNS1_3repE0EEENS1_30default_config_static_selectorELNS0_4arch9wavefront6targetE1EEEvT1_.num_vgpr, 0
	.set _ZN7rocprim17ROCPRIM_400000_NS6detail17trampoline_kernelINS0_14default_configENS1_25transform_config_selectorIsLb0EEEZNS1_14transform_implILb0ES3_S5_NS0_18transform_iteratorINS0_17counting_iteratorImlEEZNS1_24adjacent_difference_implIS3_Lb1ELb0EPKsPsN6thrust23THRUST_200600_302600_NS4plusIsEEEE10hipError_tPvRmT2_T3_mT4_P12ihipStream_tbEUlmE_sEESD_NS0_8identityIvEEEESI_SL_SM_mSN_SP_bEUlT_E_NS1_11comp_targetILNS1_3genE9ELNS1_11target_archE1100ELNS1_3gpuE3ELNS1_3repE0EEENS1_30default_config_static_selectorELNS0_4arch9wavefront6targetE1EEEvT1_.num_agpr, 0
	.set _ZN7rocprim17ROCPRIM_400000_NS6detail17trampoline_kernelINS0_14default_configENS1_25transform_config_selectorIsLb0EEEZNS1_14transform_implILb0ES3_S5_NS0_18transform_iteratorINS0_17counting_iteratorImlEEZNS1_24adjacent_difference_implIS3_Lb1ELb0EPKsPsN6thrust23THRUST_200600_302600_NS4plusIsEEEE10hipError_tPvRmT2_T3_mT4_P12ihipStream_tbEUlmE_sEESD_NS0_8identityIvEEEESI_SL_SM_mSN_SP_bEUlT_E_NS1_11comp_targetILNS1_3genE9ELNS1_11target_archE1100ELNS1_3gpuE3ELNS1_3repE0EEENS1_30default_config_static_selectorELNS0_4arch9wavefront6targetE1EEEvT1_.numbered_sgpr, 0
	.set _ZN7rocprim17ROCPRIM_400000_NS6detail17trampoline_kernelINS0_14default_configENS1_25transform_config_selectorIsLb0EEEZNS1_14transform_implILb0ES3_S5_NS0_18transform_iteratorINS0_17counting_iteratorImlEEZNS1_24adjacent_difference_implIS3_Lb1ELb0EPKsPsN6thrust23THRUST_200600_302600_NS4plusIsEEEE10hipError_tPvRmT2_T3_mT4_P12ihipStream_tbEUlmE_sEESD_NS0_8identityIvEEEESI_SL_SM_mSN_SP_bEUlT_E_NS1_11comp_targetILNS1_3genE9ELNS1_11target_archE1100ELNS1_3gpuE3ELNS1_3repE0EEENS1_30default_config_static_selectorELNS0_4arch9wavefront6targetE1EEEvT1_.num_named_barrier, 0
	.set _ZN7rocprim17ROCPRIM_400000_NS6detail17trampoline_kernelINS0_14default_configENS1_25transform_config_selectorIsLb0EEEZNS1_14transform_implILb0ES3_S5_NS0_18transform_iteratorINS0_17counting_iteratorImlEEZNS1_24adjacent_difference_implIS3_Lb1ELb0EPKsPsN6thrust23THRUST_200600_302600_NS4plusIsEEEE10hipError_tPvRmT2_T3_mT4_P12ihipStream_tbEUlmE_sEESD_NS0_8identityIvEEEESI_SL_SM_mSN_SP_bEUlT_E_NS1_11comp_targetILNS1_3genE9ELNS1_11target_archE1100ELNS1_3gpuE3ELNS1_3repE0EEENS1_30default_config_static_selectorELNS0_4arch9wavefront6targetE1EEEvT1_.private_seg_size, 0
	.set _ZN7rocprim17ROCPRIM_400000_NS6detail17trampoline_kernelINS0_14default_configENS1_25transform_config_selectorIsLb0EEEZNS1_14transform_implILb0ES3_S5_NS0_18transform_iteratorINS0_17counting_iteratorImlEEZNS1_24adjacent_difference_implIS3_Lb1ELb0EPKsPsN6thrust23THRUST_200600_302600_NS4plusIsEEEE10hipError_tPvRmT2_T3_mT4_P12ihipStream_tbEUlmE_sEESD_NS0_8identityIvEEEESI_SL_SM_mSN_SP_bEUlT_E_NS1_11comp_targetILNS1_3genE9ELNS1_11target_archE1100ELNS1_3gpuE3ELNS1_3repE0EEENS1_30default_config_static_selectorELNS0_4arch9wavefront6targetE1EEEvT1_.uses_vcc, 0
	.set _ZN7rocprim17ROCPRIM_400000_NS6detail17trampoline_kernelINS0_14default_configENS1_25transform_config_selectorIsLb0EEEZNS1_14transform_implILb0ES3_S5_NS0_18transform_iteratorINS0_17counting_iteratorImlEEZNS1_24adjacent_difference_implIS3_Lb1ELb0EPKsPsN6thrust23THRUST_200600_302600_NS4plusIsEEEE10hipError_tPvRmT2_T3_mT4_P12ihipStream_tbEUlmE_sEESD_NS0_8identityIvEEEESI_SL_SM_mSN_SP_bEUlT_E_NS1_11comp_targetILNS1_3genE9ELNS1_11target_archE1100ELNS1_3gpuE3ELNS1_3repE0EEENS1_30default_config_static_selectorELNS0_4arch9wavefront6targetE1EEEvT1_.uses_flat_scratch, 0
	.set _ZN7rocprim17ROCPRIM_400000_NS6detail17trampoline_kernelINS0_14default_configENS1_25transform_config_selectorIsLb0EEEZNS1_14transform_implILb0ES3_S5_NS0_18transform_iteratorINS0_17counting_iteratorImlEEZNS1_24adjacent_difference_implIS3_Lb1ELb0EPKsPsN6thrust23THRUST_200600_302600_NS4plusIsEEEE10hipError_tPvRmT2_T3_mT4_P12ihipStream_tbEUlmE_sEESD_NS0_8identityIvEEEESI_SL_SM_mSN_SP_bEUlT_E_NS1_11comp_targetILNS1_3genE9ELNS1_11target_archE1100ELNS1_3gpuE3ELNS1_3repE0EEENS1_30default_config_static_selectorELNS0_4arch9wavefront6targetE1EEEvT1_.has_dyn_sized_stack, 0
	.set _ZN7rocprim17ROCPRIM_400000_NS6detail17trampoline_kernelINS0_14default_configENS1_25transform_config_selectorIsLb0EEEZNS1_14transform_implILb0ES3_S5_NS0_18transform_iteratorINS0_17counting_iteratorImlEEZNS1_24adjacent_difference_implIS3_Lb1ELb0EPKsPsN6thrust23THRUST_200600_302600_NS4plusIsEEEE10hipError_tPvRmT2_T3_mT4_P12ihipStream_tbEUlmE_sEESD_NS0_8identityIvEEEESI_SL_SM_mSN_SP_bEUlT_E_NS1_11comp_targetILNS1_3genE9ELNS1_11target_archE1100ELNS1_3gpuE3ELNS1_3repE0EEENS1_30default_config_static_selectorELNS0_4arch9wavefront6targetE1EEEvT1_.has_recursion, 0
	.set _ZN7rocprim17ROCPRIM_400000_NS6detail17trampoline_kernelINS0_14default_configENS1_25transform_config_selectorIsLb0EEEZNS1_14transform_implILb0ES3_S5_NS0_18transform_iteratorINS0_17counting_iteratorImlEEZNS1_24adjacent_difference_implIS3_Lb1ELb0EPKsPsN6thrust23THRUST_200600_302600_NS4plusIsEEEE10hipError_tPvRmT2_T3_mT4_P12ihipStream_tbEUlmE_sEESD_NS0_8identityIvEEEESI_SL_SM_mSN_SP_bEUlT_E_NS1_11comp_targetILNS1_3genE9ELNS1_11target_archE1100ELNS1_3gpuE3ELNS1_3repE0EEENS1_30default_config_static_selectorELNS0_4arch9wavefront6targetE1EEEvT1_.has_indirect_call, 0
	.section	.AMDGPU.csdata,"",@progbits
; Kernel info:
; codeLenInByte = 0
; TotalNumSgprs: 4
; NumVgprs: 0
; ScratchSize: 0
; MemoryBound: 0
; FloatMode: 240
; IeeeMode: 1
; LDSByteSize: 0 bytes/workgroup (compile time only)
; SGPRBlocks: 0
; VGPRBlocks: 0
; NumSGPRsForWavesPerEU: 4
; NumVGPRsForWavesPerEU: 1
; Occupancy: 10
; WaveLimiterHint : 0
; COMPUTE_PGM_RSRC2:SCRATCH_EN: 0
; COMPUTE_PGM_RSRC2:USER_SGPR: 6
; COMPUTE_PGM_RSRC2:TRAP_HANDLER: 0
; COMPUTE_PGM_RSRC2:TGID_X_EN: 1
; COMPUTE_PGM_RSRC2:TGID_Y_EN: 0
; COMPUTE_PGM_RSRC2:TGID_Z_EN: 0
; COMPUTE_PGM_RSRC2:TIDIG_COMP_CNT: 0
	.section	.text._ZN7rocprim17ROCPRIM_400000_NS6detail17trampoline_kernelINS0_14default_configENS1_25transform_config_selectorIsLb0EEEZNS1_14transform_implILb0ES3_S5_NS0_18transform_iteratorINS0_17counting_iteratorImlEEZNS1_24adjacent_difference_implIS3_Lb1ELb0EPKsPsN6thrust23THRUST_200600_302600_NS4plusIsEEEE10hipError_tPvRmT2_T3_mT4_P12ihipStream_tbEUlmE_sEESD_NS0_8identityIvEEEESI_SL_SM_mSN_SP_bEUlT_E_NS1_11comp_targetILNS1_3genE8ELNS1_11target_archE1030ELNS1_3gpuE2ELNS1_3repE0EEENS1_30default_config_static_selectorELNS0_4arch9wavefront6targetE1EEEvT1_,"axG",@progbits,_ZN7rocprim17ROCPRIM_400000_NS6detail17trampoline_kernelINS0_14default_configENS1_25transform_config_selectorIsLb0EEEZNS1_14transform_implILb0ES3_S5_NS0_18transform_iteratorINS0_17counting_iteratorImlEEZNS1_24adjacent_difference_implIS3_Lb1ELb0EPKsPsN6thrust23THRUST_200600_302600_NS4plusIsEEEE10hipError_tPvRmT2_T3_mT4_P12ihipStream_tbEUlmE_sEESD_NS0_8identityIvEEEESI_SL_SM_mSN_SP_bEUlT_E_NS1_11comp_targetILNS1_3genE8ELNS1_11target_archE1030ELNS1_3gpuE2ELNS1_3repE0EEENS1_30default_config_static_selectorELNS0_4arch9wavefront6targetE1EEEvT1_,comdat
	.protected	_ZN7rocprim17ROCPRIM_400000_NS6detail17trampoline_kernelINS0_14default_configENS1_25transform_config_selectorIsLb0EEEZNS1_14transform_implILb0ES3_S5_NS0_18transform_iteratorINS0_17counting_iteratorImlEEZNS1_24adjacent_difference_implIS3_Lb1ELb0EPKsPsN6thrust23THRUST_200600_302600_NS4plusIsEEEE10hipError_tPvRmT2_T3_mT4_P12ihipStream_tbEUlmE_sEESD_NS0_8identityIvEEEESI_SL_SM_mSN_SP_bEUlT_E_NS1_11comp_targetILNS1_3genE8ELNS1_11target_archE1030ELNS1_3gpuE2ELNS1_3repE0EEENS1_30default_config_static_selectorELNS0_4arch9wavefront6targetE1EEEvT1_ ; -- Begin function _ZN7rocprim17ROCPRIM_400000_NS6detail17trampoline_kernelINS0_14default_configENS1_25transform_config_selectorIsLb0EEEZNS1_14transform_implILb0ES3_S5_NS0_18transform_iteratorINS0_17counting_iteratorImlEEZNS1_24adjacent_difference_implIS3_Lb1ELb0EPKsPsN6thrust23THRUST_200600_302600_NS4plusIsEEEE10hipError_tPvRmT2_T3_mT4_P12ihipStream_tbEUlmE_sEESD_NS0_8identityIvEEEESI_SL_SM_mSN_SP_bEUlT_E_NS1_11comp_targetILNS1_3genE8ELNS1_11target_archE1030ELNS1_3gpuE2ELNS1_3repE0EEENS1_30default_config_static_selectorELNS0_4arch9wavefront6targetE1EEEvT1_
	.globl	_ZN7rocprim17ROCPRIM_400000_NS6detail17trampoline_kernelINS0_14default_configENS1_25transform_config_selectorIsLb0EEEZNS1_14transform_implILb0ES3_S5_NS0_18transform_iteratorINS0_17counting_iteratorImlEEZNS1_24adjacent_difference_implIS3_Lb1ELb0EPKsPsN6thrust23THRUST_200600_302600_NS4plusIsEEEE10hipError_tPvRmT2_T3_mT4_P12ihipStream_tbEUlmE_sEESD_NS0_8identityIvEEEESI_SL_SM_mSN_SP_bEUlT_E_NS1_11comp_targetILNS1_3genE8ELNS1_11target_archE1030ELNS1_3gpuE2ELNS1_3repE0EEENS1_30default_config_static_selectorELNS0_4arch9wavefront6targetE1EEEvT1_
	.p2align	8
	.type	_ZN7rocprim17ROCPRIM_400000_NS6detail17trampoline_kernelINS0_14default_configENS1_25transform_config_selectorIsLb0EEEZNS1_14transform_implILb0ES3_S5_NS0_18transform_iteratorINS0_17counting_iteratorImlEEZNS1_24adjacent_difference_implIS3_Lb1ELb0EPKsPsN6thrust23THRUST_200600_302600_NS4plusIsEEEE10hipError_tPvRmT2_T3_mT4_P12ihipStream_tbEUlmE_sEESD_NS0_8identityIvEEEESI_SL_SM_mSN_SP_bEUlT_E_NS1_11comp_targetILNS1_3genE8ELNS1_11target_archE1030ELNS1_3gpuE2ELNS1_3repE0EEENS1_30default_config_static_selectorELNS0_4arch9wavefront6targetE1EEEvT1_,@function
_ZN7rocprim17ROCPRIM_400000_NS6detail17trampoline_kernelINS0_14default_configENS1_25transform_config_selectorIsLb0EEEZNS1_14transform_implILb0ES3_S5_NS0_18transform_iteratorINS0_17counting_iteratorImlEEZNS1_24adjacent_difference_implIS3_Lb1ELb0EPKsPsN6thrust23THRUST_200600_302600_NS4plusIsEEEE10hipError_tPvRmT2_T3_mT4_P12ihipStream_tbEUlmE_sEESD_NS0_8identityIvEEEESI_SL_SM_mSN_SP_bEUlT_E_NS1_11comp_targetILNS1_3genE8ELNS1_11target_archE1030ELNS1_3gpuE2ELNS1_3repE0EEENS1_30default_config_static_selectorELNS0_4arch9wavefront6targetE1EEEvT1_: ; @_ZN7rocprim17ROCPRIM_400000_NS6detail17trampoline_kernelINS0_14default_configENS1_25transform_config_selectorIsLb0EEEZNS1_14transform_implILb0ES3_S5_NS0_18transform_iteratorINS0_17counting_iteratorImlEEZNS1_24adjacent_difference_implIS3_Lb1ELb0EPKsPsN6thrust23THRUST_200600_302600_NS4plusIsEEEE10hipError_tPvRmT2_T3_mT4_P12ihipStream_tbEUlmE_sEESD_NS0_8identityIvEEEESI_SL_SM_mSN_SP_bEUlT_E_NS1_11comp_targetILNS1_3genE8ELNS1_11target_archE1030ELNS1_3gpuE2ELNS1_3repE0EEENS1_30default_config_static_selectorELNS0_4arch9wavefront6targetE1EEEvT1_
; %bb.0:
	.section	.rodata,"a",@progbits
	.p2align	6, 0x0
	.amdhsa_kernel _ZN7rocprim17ROCPRIM_400000_NS6detail17trampoline_kernelINS0_14default_configENS1_25transform_config_selectorIsLb0EEEZNS1_14transform_implILb0ES3_S5_NS0_18transform_iteratorINS0_17counting_iteratorImlEEZNS1_24adjacent_difference_implIS3_Lb1ELb0EPKsPsN6thrust23THRUST_200600_302600_NS4plusIsEEEE10hipError_tPvRmT2_T3_mT4_P12ihipStream_tbEUlmE_sEESD_NS0_8identityIvEEEESI_SL_SM_mSN_SP_bEUlT_E_NS1_11comp_targetILNS1_3genE8ELNS1_11target_archE1030ELNS1_3gpuE2ELNS1_3repE0EEENS1_30default_config_static_selectorELNS0_4arch9wavefront6targetE1EEEvT1_
		.amdhsa_group_segment_fixed_size 0
		.amdhsa_private_segment_fixed_size 0
		.amdhsa_kernarg_size 56
		.amdhsa_user_sgpr_count 6
		.amdhsa_user_sgpr_private_segment_buffer 1
		.amdhsa_user_sgpr_dispatch_ptr 0
		.amdhsa_user_sgpr_queue_ptr 0
		.amdhsa_user_sgpr_kernarg_segment_ptr 1
		.amdhsa_user_sgpr_dispatch_id 0
		.amdhsa_user_sgpr_flat_scratch_init 0
		.amdhsa_user_sgpr_private_segment_size 0
		.amdhsa_uses_dynamic_stack 0
		.amdhsa_system_sgpr_private_segment_wavefront_offset 0
		.amdhsa_system_sgpr_workgroup_id_x 1
		.amdhsa_system_sgpr_workgroup_id_y 0
		.amdhsa_system_sgpr_workgroup_id_z 0
		.amdhsa_system_sgpr_workgroup_info 0
		.amdhsa_system_vgpr_workitem_id 0
		.amdhsa_next_free_vgpr 1
		.amdhsa_next_free_sgpr 0
		.amdhsa_reserve_vcc 0
		.amdhsa_reserve_flat_scratch 0
		.amdhsa_float_round_mode_32 0
		.amdhsa_float_round_mode_16_64 0
		.amdhsa_float_denorm_mode_32 3
		.amdhsa_float_denorm_mode_16_64 3
		.amdhsa_dx10_clamp 1
		.amdhsa_ieee_mode 1
		.amdhsa_fp16_overflow 0
		.amdhsa_exception_fp_ieee_invalid_op 0
		.amdhsa_exception_fp_denorm_src 0
		.amdhsa_exception_fp_ieee_div_zero 0
		.amdhsa_exception_fp_ieee_overflow 0
		.amdhsa_exception_fp_ieee_underflow 0
		.amdhsa_exception_fp_ieee_inexact 0
		.amdhsa_exception_int_div_zero 0
	.end_amdhsa_kernel
	.section	.text._ZN7rocprim17ROCPRIM_400000_NS6detail17trampoline_kernelINS0_14default_configENS1_25transform_config_selectorIsLb0EEEZNS1_14transform_implILb0ES3_S5_NS0_18transform_iteratorINS0_17counting_iteratorImlEEZNS1_24adjacent_difference_implIS3_Lb1ELb0EPKsPsN6thrust23THRUST_200600_302600_NS4plusIsEEEE10hipError_tPvRmT2_T3_mT4_P12ihipStream_tbEUlmE_sEESD_NS0_8identityIvEEEESI_SL_SM_mSN_SP_bEUlT_E_NS1_11comp_targetILNS1_3genE8ELNS1_11target_archE1030ELNS1_3gpuE2ELNS1_3repE0EEENS1_30default_config_static_selectorELNS0_4arch9wavefront6targetE1EEEvT1_,"axG",@progbits,_ZN7rocprim17ROCPRIM_400000_NS6detail17trampoline_kernelINS0_14default_configENS1_25transform_config_selectorIsLb0EEEZNS1_14transform_implILb0ES3_S5_NS0_18transform_iteratorINS0_17counting_iteratorImlEEZNS1_24adjacent_difference_implIS3_Lb1ELb0EPKsPsN6thrust23THRUST_200600_302600_NS4plusIsEEEE10hipError_tPvRmT2_T3_mT4_P12ihipStream_tbEUlmE_sEESD_NS0_8identityIvEEEESI_SL_SM_mSN_SP_bEUlT_E_NS1_11comp_targetILNS1_3genE8ELNS1_11target_archE1030ELNS1_3gpuE2ELNS1_3repE0EEENS1_30default_config_static_selectorELNS0_4arch9wavefront6targetE1EEEvT1_,comdat
.Lfunc_end764:
	.size	_ZN7rocprim17ROCPRIM_400000_NS6detail17trampoline_kernelINS0_14default_configENS1_25transform_config_selectorIsLb0EEEZNS1_14transform_implILb0ES3_S5_NS0_18transform_iteratorINS0_17counting_iteratorImlEEZNS1_24adjacent_difference_implIS3_Lb1ELb0EPKsPsN6thrust23THRUST_200600_302600_NS4plusIsEEEE10hipError_tPvRmT2_T3_mT4_P12ihipStream_tbEUlmE_sEESD_NS0_8identityIvEEEESI_SL_SM_mSN_SP_bEUlT_E_NS1_11comp_targetILNS1_3genE8ELNS1_11target_archE1030ELNS1_3gpuE2ELNS1_3repE0EEENS1_30default_config_static_selectorELNS0_4arch9wavefront6targetE1EEEvT1_, .Lfunc_end764-_ZN7rocprim17ROCPRIM_400000_NS6detail17trampoline_kernelINS0_14default_configENS1_25transform_config_selectorIsLb0EEEZNS1_14transform_implILb0ES3_S5_NS0_18transform_iteratorINS0_17counting_iteratorImlEEZNS1_24adjacent_difference_implIS3_Lb1ELb0EPKsPsN6thrust23THRUST_200600_302600_NS4plusIsEEEE10hipError_tPvRmT2_T3_mT4_P12ihipStream_tbEUlmE_sEESD_NS0_8identityIvEEEESI_SL_SM_mSN_SP_bEUlT_E_NS1_11comp_targetILNS1_3genE8ELNS1_11target_archE1030ELNS1_3gpuE2ELNS1_3repE0EEENS1_30default_config_static_selectorELNS0_4arch9wavefront6targetE1EEEvT1_
                                        ; -- End function
	.set _ZN7rocprim17ROCPRIM_400000_NS6detail17trampoline_kernelINS0_14default_configENS1_25transform_config_selectorIsLb0EEEZNS1_14transform_implILb0ES3_S5_NS0_18transform_iteratorINS0_17counting_iteratorImlEEZNS1_24adjacent_difference_implIS3_Lb1ELb0EPKsPsN6thrust23THRUST_200600_302600_NS4plusIsEEEE10hipError_tPvRmT2_T3_mT4_P12ihipStream_tbEUlmE_sEESD_NS0_8identityIvEEEESI_SL_SM_mSN_SP_bEUlT_E_NS1_11comp_targetILNS1_3genE8ELNS1_11target_archE1030ELNS1_3gpuE2ELNS1_3repE0EEENS1_30default_config_static_selectorELNS0_4arch9wavefront6targetE1EEEvT1_.num_vgpr, 0
	.set _ZN7rocprim17ROCPRIM_400000_NS6detail17trampoline_kernelINS0_14default_configENS1_25transform_config_selectorIsLb0EEEZNS1_14transform_implILb0ES3_S5_NS0_18transform_iteratorINS0_17counting_iteratorImlEEZNS1_24adjacent_difference_implIS3_Lb1ELb0EPKsPsN6thrust23THRUST_200600_302600_NS4plusIsEEEE10hipError_tPvRmT2_T3_mT4_P12ihipStream_tbEUlmE_sEESD_NS0_8identityIvEEEESI_SL_SM_mSN_SP_bEUlT_E_NS1_11comp_targetILNS1_3genE8ELNS1_11target_archE1030ELNS1_3gpuE2ELNS1_3repE0EEENS1_30default_config_static_selectorELNS0_4arch9wavefront6targetE1EEEvT1_.num_agpr, 0
	.set _ZN7rocprim17ROCPRIM_400000_NS6detail17trampoline_kernelINS0_14default_configENS1_25transform_config_selectorIsLb0EEEZNS1_14transform_implILb0ES3_S5_NS0_18transform_iteratorINS0_17counting_iteratorImlEEZNS1_24adjacent_difference_implIS3_Lb1ELb0EPKsPsN6thrust23THRUST_200600_302600_NS4plusIsEEEE10hipError_tPvRmT2_T3_mT4_P12ihipStream_tbEUlmE_sEESD_NS0_8identityIvEEEESI_SL_SM_mSN_SP_bEUlT_E_NS1_11comp_targetILNS1_3genE8ELNS1_11target_archE1030ELNS1_3gpuE2ELNS1_3repE0EEENS1_30default_config_static_selectorELNS0_4arch9wavefront6targetE1EEEvT1_.numbered_sgpr, 0
	.set _ZN7rocprim17ROCPRIM_400000_NS6detail17trampoline_kernelINS0_14default_configENS1_25transform_config_selectorIsLb0EEEZNS1_14transform_implILb0ES3_S5_NS0_18transform_iteratorINS0_17counting_iteratorImlEEZNS1_24adjacent_difference_implIS3_Lb1ELb0EPKsPsN6thrust23THRUST_200600_302600_NS4plusIsEEEE10hipError_tPvRmT2_T3_mT4_P12ihipStream_tbEUlmE_sEESD_NS0_8identityIvEEEESI_SL_SM_mSN_SP_bEUlT_E_NS1_11comp_targetILNS1_3genE8ELNS1_11target_archE1030ELNS1_3gpuE2ELNS1_3repE0EEENS1_30default_config_static_selectorELNS0_4arch9wavefront6targetE1EEEvT1_.num_named_barrier, 0
	.set _ZN7rocprim17ROCPRIM_400000_NS6detail17trampoline_kernelINS0_14default_configENS1_25transform_config_selectorIsLb0EEEZNS1_14transform_implILb0ES3_S5_NS0_18transform_iteratorINS0_17counting_iteratorImlEEZNS1_24adjacent_difference_implIS3_Lb1ELb0EPKsPsN6thrust23THRUST_200600_302600_NS4plusIsEEEE10hipError_tPvRmT2_T3_mT4_P12ihipStream_tbEUlmE_sEESD_NS0_8identityIvEEEESI_SL_SM_mSN_SP_bEUlT_E_NS1_11comp_targetILNS1_3genE8ELNS1_11target_archE1030ELNS1_3gpuE2ELNS1_3repE0EEENS1_30default_config_static_selectorELNS0_4arch9wavefront6targetE1EEEvT1_.private_seg_size, 0
	.set _ZN7rocprim17ROCPRIM_400000_NS6detail17trampoline_kernelINS0_14default_configENS1_25transform_config_selectorIsLb0EEEZNS1_14transform_implILb0ES3_S5_NS0_18transform_iteratorINS0_17counting_iteratorImlEEZNS1_24adjacent_difference_implIS3_Lb1ELb0EPKsPsN6thrust23THRUST_200600_302600_NS4plusIsEEEE10hipError_tPvRmT2_T3_mT4_P12ihipStream_tbEUlmE_sEESD_NS0_8identityIvEEEESI_SL_SM_mSN_SP_bEUlT_E_NS1_11comp_targetILNS1_3genE8ELNS1_11target_archE1030ELNS1_3gpuE2ELNS1_3repE0EEENS1_30default_config_static_selectorELNS0_4arch9wavefront6targetE1EEEvT1_.uses_vcc, 0
	.set _ZN7rocprim17ROCPRIM_400000_NS6detail17trampoline_kernelINS0_14default_configENS1_25transform_config_selectorIsLb0EEEZNS1_14transform_implILb0ES3_S5_NS0_18transform_iteratorINS0_17counting_iteratorImlEEZNS1_24adjacent_difference_implIS3_Lb1ELb0EPKsPsN6thrust23THRUST_200600_302600_NS4plusIsEEEE10hipError_tPvRmT2_T3_mT4_P12ihipStream_tbEUlmE_sEESD_NS0_8identityIvEEEESI_SL_SM_mSN_SP_bEUlT_E_NS1_11comp_targetILNS1_3genE8ELNS1_11target_archE1030ELNS1_3gpuE2ELNS1_3repE0EEENS1_30default_config_static_selectorELNS0_4arch9wavefront6targetE1EEEvT1_.uses_flat_scratch, 0
	.set _ZN7rocprim17ROCPRIM_400000_NS6detail17trampoline_kernelINS0_14default_configENS1_25transform_config_selectorIsLb0EEEZNS1_14transform_implILb0ES3_S5_NS0_18transform_iteratorINS0_17counting_iteratorImlEEZNS1_24adjacent_difference_implIS3_Lb1ELb0EPKsPsN6thrust23THRUST_200600_302600_NS4plusIsEEEE10hipError_tPvRmT2_T3_mT4_P12ihipStream_tbEUlmE_sEESD_NS0_8identityIvEEEESI_SL_SM_mSN_SP_bEUlT_E_NS1_11comp_targetILNS1_3genE8ELNS1_11target_archE1030ELNS1_3gpuE2ELNS1_3repE0EEENS1_30default_config_static_selectorELNS0_4arch9wavefront6targetE1EEEvT1_.has_dyn_sized_stack, 0
	.set _ZN7rocprim17ROCPRIM_400000_NS6detail17trampoline_kernelINS0_14default_configENS1_25transform_config_selectorIsLb0EEEZNS1_14transform_implILb0ES3_S5_NS0_18transform_iteratorINS0_17counting_iteratorImlEEZNS1_24adjacent_difference_implIS3_Lb1ELb0EPKsPsN6thrust23THRUST_200600_302600_NS4plusIsEEEE10hipError_tPvRmT2_T3_mT4_P12ihipStream_tbEUlmE_sEESD_NS0_8identityIvEEEESI_SL_SM_mSN_SP_bEUlT_E_NS1_11comp_targetILNS1_3genE8ELNS1_11target_archE1030ELNS1_3gpuE2ELNS1_3repE0EEENS1_30default_config_static_selectorELNS0_4arch9wavefront6targetE1EEEvT1_.has_recursion, 0
	.set _ZN7rocprim17ROCPRIM_400000_NS6detail17trampoline_kernelINS0_14default_configENS1_25transform_config_selectorIsLb0EEEZNS1_14transform_implILb0ES3_S5_NS0_18transform_iteratorINS0_17counting_iteratorImlEEZNS1_24adjacent_difference_implIS3_Lb1ELb0EPKsPsN6thrust23THRUST_200600_302600_NS4plusIsEEEE10hipError_tPvRmT2_T3_mT4_P12ihipStream_tbEUlmE_sEESD_NS0_8identityIvEEEESI_SL_SM_mSN_SP_bEUlT_E_NS1_11comp_targetILNS1_3genE8ELNS1_11target_archE1030ELNS1_3gpuE2ELNS1_3repE0EEENS1_30default_config_static_selectorELNS0_4arch9wavefront6targetE1EEEvT1_.has_indirect_call, 0
	.section	.AMDGPU.csdata,"",@progbits
; Kernel info:
; codeLenInByte = 0
; TotalNumSgprs: 4
; NumVgprs: 0
; ScratchSize: 0
; MemoryBound: 0
; FloatMode: 240
; IeeeMode: 1
; LDSByteSize: 0 bytes/workgroup (compile time only)
; SGPRBlocks: 0
; VGPRBlocks: 0
; NumSGPRsForWavesPerEU: 4
; NumVGPRsForWavesPerEU: 1
; Occupancy: 10
; WaveLimiterHint : 0
; COMPUTE_PGM_RSRC2:SCRATCH_EN: 0
; COMPUTE_PGM_RSRC2:USER_SGPR: 6
; COMPUTE_PGM_RSRC2:TRAP_HANDLER: 0
; COMPUTE_PGM_RSRC2:TGID_X_EN: 1
; COMPUTE_PGM_RSRC2:TGID_Y_EN: 0
; COMPUTE_PGM_RSRC2:TGID_Z_EN: 0
; COMPUTE_PGM_RSRC2:TIDIG_COMP_CNT: 0
	.section	.text._ZN7rocprim17ROCPRIM_400000_NS6detail17trampoline_kernelINS0_14default_configENS1_35adjacent_difference_config_selectorILb1EsEEZNS1_24adjacent_difference_implIS3_Lb1ELb0EPKsPsN6thrust23THRUST_200600_302600_NS4plusIsEEEE10hipError_tPvRmT2_T3_mT4_P12ihipStream_tbEUlT_E_NS1_11comp_targetILNS1_3genE0ELNS1_11target_archE4294967295ELNS1_3gpuE0ELNS1_3repE0EEENS1_30default_config_static_selectorELNS0_4arch9wavefront6targetE1EEEvT1_,"axG",@progbits,_ZN7rocprim17ROCPRIM_400000_NS6detail17trampoline_kernelINS0_14default_configENS1_35adjacent_difference_config_selectorILb1EsEEZNS1_24adjacent_difference_implIS3_Lb1ELb0EPKsPsN6thrust23THRUST_200600_302600_NS4plusIsEEEE10hipError_tPvRmT2_T3_mT4_P12ihipStream_tbEUlT_E_NS1_11comp_targetILNS1_3genE0ELNS1_11target_archE4294967295ELNS1_3gpuE0ELNS1_3repE0EEENS1_30default_config_static_selectorELNS0_4arch9wavefront6targetE1EEEvT1_,comdat
	.protected	_ZN7rocprim17ROCPRIM_400000_NS6detail17trampoline_kernelINS0_14default_configENS1_35adjacent_difference_config_selectorILb1EsEEZNS1_24adjacent_difference_implIS3_Lb1ELb0EPKsPsN6thrust23THRUST_200600_302600_NS4plusIsEEEE10hipError_tPvRmT2_T3_mT4_P12ihipStream_tbEUlT_E_NS1_11comp_targetILNS1_3genE0ELNS1_11target_archE4294967295ELNS1_3gpuE0ELNS1_3repE0EEENS1_30default_config_static_selectorELNS0_4arch9wavefront6targetE1EEEvT1_ ; -- Begin function _ZN7rocprim17ROCPRIM_400000_NS6detail17trampoline_kernelINS0_14default_configENS1_35adjacent_difference_config_selectorILb1EsEEZNS1_24adjacent_difference_implIS3_Lb1ELb0EPKsPsN6thrust23THRUST_200600_302600_NS4plusIsEEEE10hipError_tPvRmT2_T3_mT4_P12ihipStream_tbEUlT_E_NS1_11comp_targetILNS1_3genE0ELNS1_11target_archE4294967295ELNS1_3gpuE0ELNS1_3repE0EEENS1_30default_config_static_selectorELNS0_4arch9wavefront6targetE1EEEvT1_
	.globl	_ZN7rocprim17ROCPRIM_400000_NS6detail17trampoline_kernelINS0_14default_configENS1_35adjacent_difference_config_selectorILb1EsEEZNS1_24adjacent_difference_implIS3_Lb1ELb0EPKsPsN6thrust23THRUST_200600_302600_NS4plusIsEEEE10hipError_tPvRmT2_T3_mT4_P12ihipStream_tbEUlT_E_NS1_11comp_targetILNS1_3genE0ELNS1_11target_archE4294967295ELNS1_3gpuE0ELNS1_3repE0EEENS1_30default_config_static_selectorELNS0_4arch9wavefront6targetE1EEEvT1_
	.p2align	8
	.type	_ZN7rocprim17ROCPRIM_400000_NS6detail17trampoline_kernelINS0_14default_configENS1_35adjacent_difference_config_selectorILb1EsEEZNS1_24adjacent_difference_implIS3_Lb1ELb0EPKsPsN6thrust23THRUST_200600_302600_NS4plusIsEEEE10hipError_tPvRmT2_T3_mT4_P12ihipStream_tbEUlT_E_NS1_11comp_targetILNS1_3genE0ELNS1_11target_archE4294967295ELNS1_3gpuE0ELNS1_3repE0EEENS1_30default_config_static_selectorELNS0_4arch9wavefront6targetE1EEEvT1_,@function
_ZN7rocprim17ROCPRIM_400000_NS6detail17trampoline_kernelINS0_14default_configENS1_35adjacent_difference_config_selectorILb1EsEEZNS1_24adjacent_difference_implIS3_Lb1ELb0EPKsPsN6thrust23THRUST_200600_302600_NS4plusIsEEEE10hipError_tPvRmT2_T3_mT4_P12ihipStream_tbEUlT_E_NS1_11comp_targetILNS1_3genE0ELNS1_11target_archE4294967295ELNS1_3gpuE0ELNS1_3repE0EEENS1_30default_config_static_selectorELNS0_4arch9wavefront6targetE1EEEvT1_: ; @_ZN7rocprim17ROCPRIM_400000_NS6detail17trampoline_kernelINS0_14default_configENS1_35adjacent_difference_config_selectorILb1EsEEZNS1_24adjacent_difference_implIS3_Lb1ELb0EPKsPsN6thrust23THRUST_200600_302600_NS4plusIsEEEE10hipError_tPvRmT2_T3_mT4_P12ihipStream_tbEUlT_E_NS1_11comp_targetILNS1_3genE0ELNS1_11target_archE4294967295ELNS1_3gpuE0ELNS1_3repE0EEENS1_30default_config_static_selectorELNS0_4arch9wavefront6targetE1EEEvT1_
; %bb.0:
	.section	.rodata,"a",@progbits
	.p2align	6, 0x0
	.amdhsa_kernel _ZN7rocprim17ROCPRIM_400000_NS6detail17trampoline_kernelINS0_14default_configENS1_35adjacent_difference_config_selectorILb1EsEEZNS1_24adjacent_difference_implIS3_Lb1ELb0EPKsPsN6thrust23THRUST_200600_302600_NS4plusIsEEEE10hipError_tPvRmT2_T3_mT4_P12ihipStream_tbEUlT_E_NS1_11comp_targetILNS1_3genE0ELNS1_11target_archE4294967295ELNS1_3gpuE0ELNS1_3repE0EEENS1_30default_config_static_selectorELNS0_4arch9wavefront6targetE1EEEvT1_
		.amdhsa_group_segment_fixed_size 0
		.amdhsa_private_segment_fixed_size 0
		.amdhsa_kernarg_size 56
		.amdhsa_user_sgpr_count 6
		.amdhsa_user_sgpr_private_segment_buffer 1
		.amdhsa_user_sgpr_dispatch_ptr 0
		.amdhsa_user_sgpr_queue_ptr 0
		.amdhsa_user_sgpr_kernarg_segment_ptr 1
		.amdhsa_user_sgpr_dispatch_id 0
		.amdhsa_user_sgpr_flat_scratch_init 0
		.amdhsa_user_sgpr_private_segment_size 0
		.amdhsa_uses_dynamic_stack 0
		.amdhsa_system_sgpr_private_segment_wavefront_offset 0
		.amdhsa_system_sgpr_workgroup_id_x 1
		.amdhsa_system_sgpr_workgroup_id_y 0
		.amdhsa_system_sgpr_workgroup_id_z 0
		.amdhsa_system_sgpr_workgroup_info 0
		.amdhsa_system_vgpr_workitem_id 0
		.amdhsa_next_free_vgpr 1
		.amdhsa_next_free_sgpr 0
		.amdhsa_reserve_vcc 0
		.amdhsa_reserve_flat_scratch 0
		.amdhsa_float_round_mode_32 0
		.amdhsa_float_round_mode_16_64 0
		.amdhsa_float_denorm_mode_32 3
		.amdhsa_float_denorm_mode_16_64 3
		.amdhsa_dx10_clamp 1
		.amdhsa_ieee_mode 1
		.amdhsa_fp16_overflow 0
		.amdhsa_exception_fp_ieee_invalid_op 0
		.amdhsa_exception_fp_denorm_src 0
		.amdhsa_exception_fp_ieee_div_zero 0
		.amdhsa_exception_fp_ieee_overflow 0
		.amdhsa_exception_fp_ieee_underflow 0
		.amdhsa_exception_fp_ieee_inexact 0
		.amdhsa_exception_int_div_zero 0
	.end_amdhsa_kernel
	.section	.text._ZN7rocprim17ROCPRIM_400000_NS6detail17trampoline_kernelINS0_14default_configENS1_35adjacent_difference_config_selectorILb1EsEEZNS1_24adjacent_difference_implIS3_Lb1ELb0EPKsPsN6thrust23THRUST_200600_302600_NS4plusIsEEEE10hipError_tPvRmT2_T3_mT4_P12ihipStream_tbEUlT_E_NS1_11comp_targetILNS1_3genE0ELNS1_11target_archE4294967295ELNS1_3gpuE0ELNS1_3repE0EEENS1_30default_config_static_selectorELNS0_4arch9wavefront6targetE1EEEvT1_,"axG",@progbits,_ZN7rocprim17ROCPRIM_400000_NS6detail17trampoline_kernelINS0_14default_configENS1_35adjacent_difference_config_selectorILb1EsEEZNS1_24adjacent_difference_implIS3_Lb1ELb0EPKsPsN6thrust23THRUST_200600_302600_NS4plusIsEEEE10hipError_tPvRmT2_T3_mT4_P12ihipStream_tbEUlT_E_NS1_11comp_targetILNS1_3genE0ELNS1_11target_archE4294967295ELNS1_3gpuE0ELNS1_3repE0EEENS1_30default_config_static_selectorELNS0_4arch9wavefront6targetE1EEEvT1_,comdat
.Lfunc_end765:
	.size	_ZN7rocprim17ROCPRIM_400000_NS6detail17trampoline_kernelINS0_14default_configENS1_35adjacent_difference_config_selectorILb1EsEEZNS1_24adjacent_difference_implIS3_Lb1ELb0EPKsPsN6thrust23THRUST_200600_302600_NS4plusIsEEEE10hipError_tPvRmT2_T3_mT4_P12ihipStream_tbEUlT_E_NS1_11comp_targetILNS1_3genE0ELNS1_11target_archE4294967295ELNS1_3gpuE0ELNS1_3repE0EEENS1_30default_config_static_selectorELNS0_4arch9wavefront6targetE1EEEvT1_, .Lfunc_end765-_ZN7rocprim17ROCPRIM_400000_NS6detail17trampoline_kernelINS0_14default_configENS1_35adjacent_difference_config_selectorILb1EsEEZNS1_24adjacent_difference_implIS3_Lb1ELb0EPKsPsN6thrust23THRUST_200600_302600_NS4plusIsEEEE10hipError_tPvRmT2_T3_mT4_P12ihipStream_tbEUlT_E_NS1_11comp_targetILNS1_3genE0ELNS1_11target_archE4294967295ELNS1_3gpuE0ELNS1_3repE0EEENS1_30default_config_static_selectorELNS0_4arch9wavefront6targetE1EEEvT1_
                                        ; -- End function
	.set _ZN7rocprim17ROCPRIM_400000_NS6detail17trampoline_kernelINS0_14default_configENS1_35adjacent_difference_config_selectorILb1EsEEZNS1_24adjacent_difference_implIS3_Lb1ELb0EPKsPsN6thrust23THRUST_200600_302600_NS4plusIsEEEE10hipError_tPvRmT2_T3_mT4_P12ihipStream_tbEUlT_E_NS1_11comp_targetILNS1_3genE0ELNS1_11target_archE4294967295ELNS1_3gpuE0ELNS1_3repE0EEENS1_30default_config_static_selectorELNS0_4arch9wavefront6targetE1EEEvT1_.num_vgpr, 0
	.set _ZN7rocprim17ROCPRIM_400000_NS6detail17trampoline_kernelINS0_14default_configENS1_35adjacent_difference_config_selectorILb1EsEEZNS1_24adjacent_difference_implIS3_Lb1ELb0EPKsPsN6thrust23THRUST_200600_302600_NS4plusIsEEEE10hipError_tPvRmT2_T3_mT4_P12ihipStream_tbEUlT_E_NS1_11comp_targetILNS1_3genE0ELNS1_11target_archE4294967295ELNS1_3gpuE0ELNS1_3repE0EEENS1_30default_config_static_selectorELNS0_4arch9wavefront6targetE1EEEvT1_.num_agpr, 0
	.set _ZN7rocprim17ROCPRIM_400000_NS6detail17trampoline_kernelINS0_14default_configENS1_35adjacent_difference_config_selectorILb1EsEEZNS1_24adjacent_difference_implIS3_Lb1ELb0EPKsPsN6thrust23THRUST_200600_302600_NS4plusIsEEEE10hipError_tPvRmT2_T3_mT4_P12ihipStream_tbEUlT_E_NS1_11comp_targetILNS1_3genE0ELNS1_11target_archE4294967295ELNS1_3gpuE0ELNS1_3repE0EEENS1_30default_config_static_selectorELNS0_4arch9wavefront6targetE1EEEvT1_.numbered_sgpr, 0
	.set _ZN7rocprim17ROCPRIM_400000_NS6detail17trampoline_kernelINS0_14default_configENS1_35adjacent_difference_config_selectorILb1EsEEZNS1_24adjacent_difference_implIS3_Lb1ELb0EPKsPsN6thrust23THRUST_200600_302600_NS4plusIsEEEE10hipError_tPvRmT2_T3_mT4_P12ihipStream_tbEUlT_E_NS1_11comp_targetILNS1_3genE0ELNS1_11target_archE4294967295ELNS1_3gpuE0ELNS1_3repE0EEENS1_30default_config_static_selectorELNS0_4arch9wavefront6targetE1EEEvT1_.num_named_barrier, 0
	.set _ZN7rocprim17ROCPRIM_400000_NS6detail17trampoline_kernelINS0_14default_configENS1_35adjacent_difference_config_selectorILb1EsEEZNS1_24adjacent_difference_implIS3_Lb1ELb0EPKsPsN6thrust23THRUST_200600_302600_NS4plusIsEEEE10hipError_tPvRmT2_T3_mT4_P12ihipStream_tbEUlT_E_NS1_11comp_targetILNS1_3genE0ELNS1_11target_archE4294967295ELNS1_3gpuE0ELNS1_3repE0EEENS1_30default_config_static_selectorELNS0_4arch9wavefront6targetE1EEEvT1_.private_seg_size, 0
	.set _ZN7rocprim17ROCPRIM_400000_NS6detail17trampoline_kernelINS0_14default_configENS1_35adjacent_difference_config_selectorILb1EsEEZNS1_24adjacent_difference_implIS3_Lb1ELb0EPKsPsN6thrust23THRUST_200600_302600_NS4plusIsEEEE10hipError_tPvRmT2_T3_mT4_P12ihipStream_tbEUlT_E_NS1_11comp_targetILNS1_3genE0ELNS1_11target_archE4294967295ELNS1_3gpuE0ELNS1_3repE0EEENS1_30default_config_static_selectorELNS0_4arch9wavefront6targetE1EEEvT1_.uses_vcc, 0
	.set _ZN7rocprim17ROCPRIM_400000_NS6detail17trampoline_kernelINS0_14default_configENS1_35adjacent_difference_config_selectorILb1EsEEZNS1_24adjacent_difference_implIS3_Lb1ELb0EPKsPsN6thrust23THRUST_200600_302600_NS4plusIsEEEE10hipError_tPvRmT2_T3_mT4_P12ihipStream_tbEUlT_E_NS1_11comp_targetILNS1_3genE0ELNS1_11target_archE4294967295ELNS1_3gpuE0ELNS1_3repE0EEENS1_30default_config_static_selectorELNS0_4arch9wavefront6targetE1EEEvT1_.uses_flat_scratch, 0
	.set _ZN7rocprim17ROCPRIM_400000_NS6detail17trampoline_kernelINS0_14default_configENS1_35adjacent_difference_config_selectorILb1EsEEZNS1_24adjacent_difference_implIS3_Lb1ELb0EPKsPsN6thrust23THRUST_200600_302600_NS4plusIsEEEE10hipError_tPvRmT2_T3_mT4_P12ihipStream_tbEUlT_E_NS1_11comp_targetILNS1_3genE0ELNS1_11target_archE4294967295ELNS1_3gpuE0ELNS1_3repE0EEENS1_30default_config_static_selectorELNS0_4arch9wavefront6targetE1EEEvT1_.has_dyn_sized_stack, 0
	.set _ZN7rocprim17ROCPRIM_400000_NS6detail17trampoline_kernelINS0_14default_configENS1_35adjacent_difference_config_selectorILb1EsEEZNS1_24adjacent_difference_implIS3_Lb1ELb0EPKsPsN6thrust23THRUST_200600_302600_NS4plusIsEEEE10hipError_tPvRmT2_T3_mT4_P12ihipStream_tbEUlT_E_NS1_11comp_targetILNS1_3genE0ELNS1_11target_archE4294967295ELNS1_3gpuE0ELNS1_3repE0EEENS1_30default_config_static_selectorELNS0_4arch9wavefront6targetE1EEEvT1_.has_recursion, 0
	.set _ZN7rocprim17ROCPRIM_400000_NS6detail17trampoline_kernelINS0_14default_configENS1_35adjacent_difference_config_selectorILb1EsEEZNS1_24adjacent_difference_implIS3_Lb1ELb0EPKsPsN6thrust23THRUST_200600_302600_NS4plusIsEEEE10hipError_tPvRmT2_T3_mT4_P12ihipStream_tbEUlT_E_NS1_11comp_targetILNS1_3genE0ELNS1_11target_archE4294967295ELNS1_3gpuE0ELNS1_3repE0EEENS1_30default_config_static_selectorELNS0_4arch9wavefront6targetE1EEEvT1_.has_indirect_call, 0
	.section	.AMDGPU.csdata,"",@progbits
; Kernel info:
; codeLenInByte = 0
; TotalNumSgprs: 4
; NumVgprs: 0
; ScratchSize: 0
; MemoryBound: 0
; FloatMode: 240
; IeeeMode: 1
; LDSByteSize: 0 bytes/workgroup (compile time only)
; SGPRBlocks: 0
; VGPRBlocks: 0
; NumSGPRsForWavesPerEU: 4
; NumVGPRsForWavesPerEU: 1
; Occupancy: 10
; WaveLimiterHint : 0
; COMPUTE_PGM_RSRC2:SCRATCH_EN: 0
; COMPUTE_PGM_RSRC2:USER_SGPR: 6
; COMPUTE_PGM_RSRC2:TRAP_HANDLER: 0
; COMPUTE_PGM_RSRC2:TGID_X_EN: 1
; COMPUTE_PGM_RSRC2:TGID_Y_EN: 0
; COMPUTE_PGM_RSRC2:TGID_Z_EN: 0
; COMPUTE_PGM_RSRC2:TIDIG_COMP_CNT: 0
	.section	.text._ZN7rocprim17ROCPRIM_400000_NS6detail17trampoline_kernelINS0_14default_configENS1_35adjacent_difference_config_selectorILb1EsEEZNS1_24adjacent_difference_implIS3_Lb1ELb0EPKsPsN6thrust23THRUST_200600_302600_NS4plusIsEEEE10hipError_tPvRmT2_T3_mT4_P12ihipStream_tbEUlT_E_NS1_11comp_targetILNS1_3genE10ELNS1_11target_archE1201ELNS1_3gpuE5ELNS1_3repE0EEENS1_30default_config_static_selectorELNS0_4arch9wavefront6targetE1EEEvT1_,"axG",@progbits,_ZN7rocprim17ROCPRIM_400000_NS6detail17trampoline_kernelINS0_14default_configENS1_35adjacent_difference_config_selectorILb1EsEEZNS1_24adjacent_difference_implIS3_Lb1ELb0EPKsPsN6thrust23THRUST_200600_302600_NS4plusIsEEEE10hipError_tPvRmT2_T3_mT4_P12ihipStream_tbEUlT_E_NS1_11comp_targetILNS1_3genE10ELNS1_11target_archE1201ELNS1_3gpuE5ELNS1_3repE0EEENS1_30default_config_static_selectorELNS0_4arch9wavefront6targetE1EEEvT1_,comdat
	.protected	_ZN7rocprim17ROCPRIM_400000_NS6detail17trampoline_kernelINS0_14default_configENS1_35adjacent_difference_config_selectorILb1EsEEZNS1_24adjacent_difference_implIS3_Lb1ELb0EPKsPsN6thrust23THRUST_200600_302600_NS4plusIsEEEE10hipError_tPvRmT2_T3_mT4_P12ihipStream_tbEUlT_E_NS1_11comp_targetILNS1_3genE10ELNS1_11target_archE1201ELNS1_3gpuE5ELNS1_3repE0EEENS1_30default_config_static_selectorELNS0_4arch9wavefront6targetE1EEEvT1_ ; -- Begin function _ZN7rocprim17ROCPRIM_400000_NS6detail17trampoline_kernelINS0_14default_configENS1_35adjacent_difference_config_selectorILb1EsEEZNS1_24adjacent_difference_implIS3_Lb1ELb0EPKsPsN6thrust23THRUST_200600_302600_NS4plusIsEEEE10hipError_tPvRmT2_T3_mT4_P12ihipStream_tbEUlT_E_NS1_11comp_targetILNS1_3genE10ELNS1_11target_archE1201ELNS1_3gpuE5ELNS1_3repE0EEENS1_30default_config_static_selectorELNS0_4arch9wavefront6targetE1EEEvT1_
	.globl	_ZN7rocprim17ROCPRIM_400000_NS6detail17trampoline_kernelINS0_14default_configENS1_35adjacent_difference_config_selectorILb1EsEEZNS1_24adjacent_difference_implIS3_Lb1ELb0EPKsPsN6thrust23THRUST_200600_302600_NS4plusIsEEEE10hipError_tPvRmT2_T3_mT4_P12ihipStream_tbEUlT_E_NS1_11comp_targetILNS1_3genE10ELNS1_11target_archE1201ELNS1_3gpuE5ELNS1_3repE0EEENS1_30default_config_static_selectorELNS0_4arch9wavefront6targetE1EEEvT1_
	.p2align	8
	.type	_ZN7rocprim17ROCPRIM_400000_NS6detail17trampoline_kernelINS0_14default_configENS1_35adjacent_difference_config_selectorILb1EsEEZNS1_24adjacent_difference_implIS3_Lb1ELb0EPKsPsN6thrust23THRUST_200600_302600_NS4plusIsEEEE10hipError_tPvRmT2_T3_mT4_P12ihipStream_tbEUlT_E_NS1_11comp_targetILNS1_3genE10ELNS1_11target_archE1201ELNS1_3gpuE5ELNS1_3repE0EEENS1_30default_config_static_selectorELNS0_4arch9wavefront6targetE1EEEvT1_,@function
_ZN7rocprim17ROCPRIM_400000_NS6detail17trampoline_kernelINS0_14default_configENS1_35adjacent_difference_config_selectorILb1EsEEZNS1_24adjacent_difference_implIS3_Lb1ELb0EPKsPsN6thrust23THRUST_200600_302600_NS4plusIsEEEE10hipError_tPvRmT2_T3_mT4_P12ihipStream_tbEUlT_E_NS1_11comp_targetILNS1_3genE10ELNS1_11target_archE1201ELNS1_3gpuE5ELNS1_3repE0EEENS1_30default_config_static_selectorELNS0_4arch9wavefront6targetE1EEEvT1_: ; @_ZN7rocprim17ROCPRIM_400000_NS6detail17trampoline_kernelINS0_14default_configENS1_35adjacent_difference_config_selectorILb1EsEEZNS1_24adjacent_difference_implIS3_Lb1ELb0EPKsPsN6thrust23THRUST_200600_302600_NS4plusIsEEEE10hipError_tPvRmT2_T3_mT4_P12ihipStream_tbEUlT_E_NS1_11comp_targetILNS1_3genE10ELNS1_11target_archE1201ELNS1_3gpuE5ELNS1_3repE0EEENS1_30default_config_static_selectorELNS0_4arch9wavefront6targetE1EEEvT1_
; %bb.0:
	.section	.rodata,"a",@progbits
	.p2align	6, 0x0
	.amdhsa_kernel _ZN7rocprim17ROCPRIM_400000_NS6detail17trampoline_kernelINS0_14default_configENS1_35adjacent_difference_config_selectorILb1EsEEZNS1_24adjacent_difference_implIS3_Lb1ELb0EPKsPsN6thrust23THRUST_200600_302600_NS4plusIsEEEE10hipError_tPvRmT2_T3_mT4_P12ihipStream_tbEUlT_E_NS1_11comp_targetILNS1_3genE10ELNS1_11target_archE1201ELNS1_3gpuE5ELNS1_3repE0EEENS1_30default_config_static_selectorELNS0_4arch9wavefront6targetE1EEEvT1_
		.amdhsa_group_segment_fixed_size 0
		.amdhsa_private_segment_fixed_size 0
		.amdhsa_kernarg_size 56
		.amdhsa_user_sgpr_count 6
		.amdhsa_user_sgpr_private_segment_buffer 1
		.amdhsa_user_sgpr_dispatch_ptr 0
		.amdhsa_user_sgpr_queue_ptr 0
		.amdhsa_user_sgpr_kernarg_segment_ptr 1
		.amdhsa_user_sgpr_dispatch_id 0
		.amdhsa_user_sgpr_flat_scratch_init 0
		.amdhsa_user_sgpr_private_segment_size 0
		.amdhsa_uses_dynamic_stack 0
		.amdhsa_system_sgpr_private_segment_wavefront_offset 0
		.amdhsa_system_sgpr_workgroup_id_x 1
		.amdhsa_system_sgpr_workgroup_id_y 0
		.amdhsa_system_sgpr_workgroup_id_z 0
		.amdhsa_system_sgpr_workgroup_info 0
		.amdhsa_system_vgpr_workitem_id 0
		.amdhsa_next_free_vgpr 1
		.amdhsa_next_free_sgpr 0
		.amdhsa_reserve_vcc 0
		.amdhsa_reserve_flat_scratch 0
		.amdhsa_float_round_mode_32 0
		.amdhsa_float_round_mode_16_64 0
		.amdhsa_float_denorm_mode_32 3
		.amdhsa_float_denorm_mode_16_64 3
		.amdhsa_dx10_clamp 1
		.amdhsa_ieee_mode 1
		.amdhsa_fp16_overflow 0
		.amdhsa_exception_fp_ieee_invalid_op 0
		.amdhsa_exception_fp_denorm_src 0
		.amdhsa_exception_fp_ieee_div_zero 0
		.amdhsa_exception_fp_ieee_overflow 0
		.amdhsa_exception_fp_ieee_underflow 0
		.amdhsa_exception_fp_ieee_inexact 0
		.amdhsa_exception_int_div_zero 0
	.end_amdhsa_kernel
	.section	.text._ZN7rocprim17ROCPRIM_400000_NS6detail17trampoline_kernelINS0_14default_configENS1_35adjacent_difference_config_selectorILb1EsEEZNS1_24adjacent_difference_implIS3_Lb1ELb0EPKsPsN6thrust23THRUST_200600_302600_NS4plusIsEEEE10hipError_tPvRmT2_T3_mT4_P12ihipStream_tbEUlT_E_NS1_11comp_targetILNS1_3genE10ELNS1_11target_archE1201ELNS1_3gpuE5ELNS1_3repE0EEENS1_30default_config_static_selectorELNS0_4arch9wavefront6targetE1EEEvT1_,"axG",@progbits,_ZN7rocprim17ROCPRIM_400000_NS6detail17trampoline_kernelINS0_14default_configENS1_35adjacent_difference_config_selectorILb1EsEEZNS1_24adjacent_difference_implIS3_Lb1ELb0EPKsPsN6thrust23THRUST_200600_302600_NS4plusIsEEEE10hipError_tPvRmT2_T3_mT4_P12ihipStream_tbEUlT_E_NS1_11comp_targetILNS1_3genE10ELNS1_11target_archE1201ELNS1_3gpuE5ELNS1_3repE0EEENS1_30default_config_static_selectorELNS0_4arch9wavefront6targetE1EEEvT1_,comdat
.Lfunc_end766:
	.size	_ZN7rocprim17ROCPRIM_400000_NS6detail17trampoline_kernelINS0_14default_configENS1_35adjacent_difference_config_selectorILb1EsEEZNS1_24adjacent_difference_implIS3_Lb1ELb0EPKsPsN6thrust23THRUST_200600_302600_NS4plusIsEEEE10hipError_tPvRmT2_T3_mT4_P12ihipStream_tbEUlT_E_NS1_11comp_targetILNS1_3genE10ELNS1_11target_archE1201ELNS1_3gpuE5ELNS1_3repE0EEENS1_30default_config_static_selectorELNS0_4arch9wavefront6targetE1EEEvT1_, .Lfunc_end766-_ZN7rocprim17ROCPRIM_400000_NS6detail17trampoline_kernelINS0_14default_configENS1_35adjacent_difference_config_selectorILb1EsEEZNS1_24adjacent_difference_implIS3_Lb1ELb0EPKsPsN6thrust23THRUST_200600_302600_NS4plusIsEEEE10hipError_tPvRmT2_T3_mT4_P12ihipStream_tbEUlT_E_NS1_11comp_targetILNS1_3genE10ELNS1_11target_archE1201ELNS1_3gpuE5ELNS1_3repE0EEENS1_30default_config_static_selectorELNS0_4arch9wavefront6targetE1EEEvT1_
                                        ; -- End function
	.set _ZN7rocprim17ROCPRIM_400000_NS6detail17trampoline_kernelINS0_14default_configENS1_35adjacent_difference_config_selectorILb1EsEEZNS1_24adjacent_difference_implIS3_Lb1ELb0EPKsPsN6thrust23THRUST_200600_302600_NS4plusIsEEEE10hipError_tPvRmT2_T3_mT4_P12ihipStream_tbEUlT_E_NS1_11comp_targetILNS1_3genE10ELNS1_11target_archE1201ELNS1_3gpuE5ELNS1_3repE0EEENS1_30default_config_static_selectorELNS0_4arch9wavefront6targetE1EEEvT1_.num_vgpr, 0
	.set _ZN7rocprim17ROCPRIM_400000_NS6detail17trampoline_kernelINS0_14default_configENS1_35adjacent_difference_config_selectorILb1EsEEZNS1_24adjacent_difference_implIS3_Lb1ELb0EPKsPsN6thrust23THRUST_200600_302600_NS4plusIsEEEE10hipError_tPvRmT2_T3_mT4_P12ihipStream_tbEUlT_E_NS1_11comp_targetILNS1_3genE10ELNS1_11target_archE1201ELNS1_3gpuE5ELNS1_3repE0EEENS1_30default_config_static_selectorELNS0_4arch9wavefront6targetE1EEEvT1_.num_agpr, 0
	.set _ZN7rocprim17ROCPRIM_400000_NS6detail17trampoline_kernelINS0_14default_configENS1_35adjacent_difference_config_selectorILb1EsEEZNS1_24adjacent_difference_implIS3_Lb1ELb0EPKsPsN6thrust23THRUST_200600_302600_NS4plusIsEEEE10hipError_tPvRmT2_T3_mT4_P12ihipStream_tbEUlT_E_NS1_11comp_targetILNS1_3genE10ELNS1_11target_archE1201ELNS1_3gpuE5ELNS1_3repE0EEENS1_30default_config_static_selectorELNS0_4arch9wavefront6targetE1EEEvT1_.numbered_sgpr, 0
	.set _ZN7rocprim17ROCPRIM_400000_NS6detail17trampoline_kernelINS0_14default_configENS1_35adjacent_difference_config_selectorILb1EsEEZNS1_24adjacent_difference_implIS3_Lb1ELb0EPKsPsN6thrust23THRUST_200600_302600_NS4plusIsEEEE10hipError_tPvRmT2_T3_mT4_P12ihipStream_tbEUlT_E_NS1_11comp_targetILNS1_3genE10ELNS1_11target_archE1201ELNS1_3gpuE5ELNS1_3repE0EEENS1_30default_config_static_selectorELNS0_4arch9wavefront6targetE1EEEvT1_.num_named_barrier, 0
	.set _ZN7rocprim17ROCPRIM_400000_NS6detail17trampoline_kernelINS0_14default_configENS1_35adjacent_difference_config_selectorILb1EsEEZNS1_24adjacent_difference_implIS3_Lb1ELb0EPKsPsN6thrust23THRUST_200600_302600_NS4plusIsEEEE10hipError_tPvRmT2_T3_mT4_P12ihipStream_tbEUlT_E_NS1_11comp_targetILNS1_3genE10ELNS1_11target_archE1201ELNS1_3gpuE5ELNS1_3repE0EEENS1_30default_config_static_selectorELNS0_4arch9wavefront6targetE1EEEvT1_.private_seg_size, 0
	.set _ZN7rocprim17ROCPRIM_400000_NS6detail17trampoline_kernelINS0_14default_configENS1_35adjacent_difference_config_selectorILb1EsEEZNS1_24adjacent_difference_implIS3_Lb1ELb0EPKsPsN6thrust23THRUST_200600_302600_NS4plusIsEEEE10hipError_tPvRmT2_T3_mT4_P12ihipStream_tbEUlT_E_NS1_11comp_targetILNS1_3genE10ELNS1_11target_archE1201ELNS1_3gpuE5ELNS1_3repE0EEENS1_30default_config_static_selectorELNS0_4arch9wavefront6targetE1EEEvT1_.uses_vcc, 0
	.set _ZN7rocprim17ROCPRIM_400000_NS6detail17trampoline_kernelINS0_14default_configENS1_35adjacent_difference_config_selectorILb1EsEEZNS1_24adjacent_difference_implIS3_Lb1ELb0EPKsPsN6thrust23THRUST_200600_302600_NS4plusIsEEEE10hipError_tPvRmT2_T3_mT4_P12ihipStream_tbEUlT_E_NS1_11comp_targetILNS1_3genE10ELNS1_11target_archE1201ELNS1_3gpuE5ELNS1_3repE0EEENS1_30default_config_static_selectorELNS0_4arch9wavefront6targetE1EEEvT1_.uses_flat_scratch, 0
	.set _ZN7rocprim17ROCPRIM_400000_NS6detail17trampoline_kernelINS0_14default_configENS1_35adjacent_difference_config_selectorILb1EsEEZNS1_24adjacent_difference_implIS3_Lb1ELb0EPKsPsN6thrust23THRUST_200600_302600_NS4plusIsEEEE10hipError_tPvRmT2_T3_mT4_P12ihipStream_tbEUlT_E_NS1_11comp_targetILNS1_3genE10ELNS1_11target_archE1201ELNS1_3gpuE5ELNS1_3repE0EEENS1_30default_config_static_selectorELNS0_4arch9wavefront6targetE1EEEvT1_.has_dyn_sized_stack, 0
	.set _ZN7rocprim17ROCPRIM_400000_NS6detail17trampoline_kernelINS0_14default_configENS1_35adjacent_difference_config_selectorILb1EsEEZNS1_24adjacent_difference_implIS3_Lb1ELb0EPKsPsN6thrust23THRUST_200600_302600_NS4plusIsEEEE10hipError_tPvRmT2_T3_mT4_P12ihipStream_tbEUlT_E_NS1_11comp_targetILNS1_3genE10ELNS1_11target_archE1201ELNS1_3gpuE5ELNS1_3repE0EEENS1_30default_config_static_selectorELNS0_4arch9wavefront6targetE1EEEvT1_.has_recursion, 0
	.set _ZN7rocprim17ROCPRIM_400000_NS6detail17trampoline_kernelINS0_14default_configENS1_35adjacent_difference_config_selectorILb1EsEEZNS1_24adjacent_difference_implIS3_Lb1ELb0EPKsPsN6thrust23THRUST_200600_302600_NS4plusIsEEEE10hipError_tPvRmT2_T3_mT4_P12ihipStream_tbEUlT_E_NS1_11comp_targetILNS1_3genE10ELNS1_11target_archE1201ELNS1_3gpuE5ELNS1_3repE0EEENS1_30default_config_static_selectorELNS0_4arch9wavefront6targetE1EEEvT1_.has_indirect_call, 0
	.section	.AMDGPU.csdata,"",@progbits
; Kernel info:
; codeLenInByte = 0
; TotalNumSgprs: 4
; NumVgprs: 0
; ScratchSize: 0
; MemoryBound: 0
; FloatMode: 240
; IeeeMode: 1
; LDSByteSize: 0 bytes/workgroup (compile time only)
; SGPRBlocks: 0
; VGPRBlocks: 0
; NumSGPRsForWavesPerEU: 4
; NumVGPRsForWavesPerEU: 1
; Occupancy: 10
; WaveLimiterHint : 0
; COMPUTE_PGM_RSRC2:SCRATCH_EN: 0
; COMPUTE_PGM_RSRC2:USER_SGPR: 6
; COMPUTE_PGM_RSRC2:TRAP_HANDLER: 0
; COMPUTE_PGM_RSRC2:TGID_X_EN: 1
; COMPUTE_PGM_RSRC2:TGID_Y_EN: 0
; COMPUTE_PGM_RSRC2:TGID_Z_EN: 0
; COMPUTE_PGM_RSRC2:TIDIG_COMP_CNT: 0
	.section	.text._ZN7rocprim17ROCPRIM_400000_NS6detail17trampoline_kernelINS0_14default_configENS1_35adjacent_difference_config_selectorILb1EsEEZNS1_24adjacent_difference_implIS3_Lb1ELb0EPKsPsN6thrust23THRUST_200600_302600_NS4plusIsEEEE10hipError_tPvRmT2_T3_mT4_P12ihipStream_tbEUlT_E_NS1_11comp_targetILNS1_3genE5ELNS1_11target_archE942ELNS1_3gpuE9ELNS1_3repE0EEENS1_30default_config_static_selectorELNS0_4arch9wavefront6targetE1EEEvT1_,"axG",@progbits,_ZN7rocprim17ROCPRIM_400000_NS6detail17trampoline_kernelINS0_14default_configENS1_35adjacent_difference_config_selectorILb1EsEEZNS1_24adjacent_difference_implIS3_Lb1ELb0EPKsPsN6thrust23THRUST_200600_302600_NS4plusIsEEEE10hipError_tPvRmT2_T3_mT4_P12ihipStream_tbEUlT_E_NS1_11comp_targetILNS1_3genE5ELNS1_11target_archE942ELNS1_3gpuE9ELNS1_3repE0EEENS1_30default_config_static_selectorELNS0_4arch9wavefront6targetE1EEEvT1_,comdat
	.protected	_ZN7rocprim17ROCPRIM_400000_NS6detail17trampoline_kernelINS0_14default_configENS1_35adjacent_difference_config_selectorILb1EsEEZNS1_24adjacent_difference_implIS3_Lb1ELb0EPKsPsN6thrust23THRUST_200600_302600_NS4plusIsEEEE10hipError_tPvRmT2_T3_mT4_P12ihipStream_tbEUlT_E_NS1_11comp_targetILNS1_3genE5ELNS1_11target_archE942ELNS1_3gpuE9ELNS1_3repE0EEENS1_30default_config_static_selectorELNS0_4arch9wavefront6targetE1EEEvT1_ ; -- Begin function _ZN7rocprim17ROCPRIM_400000_NS6detail17trampoline_kernelINS0_14default_configENS1_35adjacent_difference_config_selectorILb1EsEEZNS1_24adjacent_difference_implIS3_Lb1ELb0EPKsPsN6thrust23THRUST_200600_302600_NS4plusIsEEEE10hipError_tPvRmT2_T3_mT4_P12ihipStream_tbEUlT_E_NS1_11comp_targetILNS1_3genE5ELNS1_11target_archE942ELNS1_3gpuE9ELNS1_3repE0EEENS1_30default_config_static_selectorELNS0_4arch9wavefront6targetE1EEEvT1_
	.globl	_ZN7rocprim17ROCPRIM_400000_NS6detail17trampoline_kernelINS0_14default_configENS1_35adjacent_difference_config_selectorILb1EsEEZNS1_24adjacent_difference_implIS3_Lb1ELb0EPKsPsN6thrust23THRUST_200600_302600_NS4plusIsEEEE10hipError_tPvRmT2_T3_mT4_P12ihipStream_tbEUlT_E_NS1_11comp_targetILNS1_3genE5ELNS1_11target_archE942ELNS1_3gpuE9ELNS1_3repE0EEENS1_30default_config_static_selectorELNS0_4arch9wavefront6targetE1EEEvT1_
	.p2align	8
	.type	_ZN7rocprim17ROCPRIM_400000_NS6detail17trampoline_kernelINS0_14default_configENS1_35adjacent_difference_config_selectorILb1EsEEZNS1_24adjacent_difference_implIS3_Lb1ELb0EPKsPsN6thrust23THRUST_200600_302600_NS4plusIsEEEE10hipError_tPvRmT2_T3_mT4_P12ihipStream_tbEUlT_E_NS1_11comp_targetILNS1_3genE5ELNS1_11target_archE942ELNS1_3gpuE9ELNS1_3repE0EEENS1_30default_config_static_selectorELNS0_4arch9wavefront6targetE1EEEvT1_,@function
_ZN7rocprim17ROCPRIM_400000_NS6detail17trampoline_kernelINS0_14default_configENS1_35adjacent_difference_config_selectorILb1EsEEZNS1_24adjacent_difference_implIS3_Lb1ELb0EPKsPsN6thrust23THRUST_200600_302600_NS4plusIsEEEE10hipError_tPvRmT2_T3_mT4_P12ihipStream_tbEUlT_E_NS1_11comp_targetILNS1_3genE5ELNS1_11target_archE942ELNS1_3gpuE9ELNS1_3repE0EEENS1_30default_config_static_selectorELNS0_4arch9wavefront6targetE1EEEvT1_: ; @_ZN7rocprim17ROCPRIM_400000_NS6detail17trampoline_kernelINS0_14default_configENS1_35adjacent_difference_config_selectorILb1EsEEZNS1_24adjacent_difference_implIS3_Lb1ELb0EPKsPsN6thrust23THRUST_200600_302600_NS4plusIsEEEE10hipError_tPvRmT2_T3_mT4_P12ihipStream_tbEUlT_E_NS1_11comp_targetILNS1_3genE5ELNS1_11target_archE942ELNS1_3gpuE9ELNS1_3repE0EEENS1_30default_config_static_selectorELNS0_4arch9wavefront6targetE1EEEvT1_
; %bb.0:
	.section	.rodata,"a",@progbits
	.p2align	6, 0x0
	.amdhsa_kernel _ZN7rocprim17ROCPRIM_400000_NS6detail17trampoline_kernelINS0_14default_configENS1_35adjacent_difference_config_selectorILb1EsEEZNS1_24adjacent_difference_implIS3_Lb1ELb0EPKsPsN6thrust23THRUST_200600_302600_NS4plusIsEEEE10hipError_tPvRmT2_T3_mT4_P12ihipStream_tbEUlT_E_NS1_11comp_targetILNS1_3genE5ELNS1_11target_archE942ELNS1_3gpuE9ELNS1_3repE0EEENS1_30default_config_static_selectorELNS0_4arch9wavefront6targetE1EEEvT1_
		.amdhsa_group_segment_fixed_size 0
		.amdhsa_private_segment_fixed_size 0
		.amdhsa_kernarg_size 56
		.amdhsa_user_sgpr_count 6
		.amdhsa_user_sgpr_private_segment_buffer 1
		.amdhsa_user_sgpr_dispatch_ptr 0
		.amdhsa_user_sgpr_queue_ptr 0
		.amdhsa_user_sgpr_kernarg_segment_ptr 1
		.amdhsa_user_sgpr_dispatch_id 0
		.amdhsa_user_sgpr_flat_scratch_init 0
		.amdhsa_user_sgpr_private_segment_size 0
		.amdhsa_uses_dynamic_stack 0
		.amdhsa_system_sgpr_private_segment_wavefront_offset 0
		.amdhsa_system_sgpr_workgroup_id_x 1
		.amdhsa_system_sgpr_workgroup_id_y 0
		.amdhsa_system_sgpr_workgroup_id_z 0
		.amdhsa_system_sgpr_workgroup_info 0
		.amdhsa_system_vgpr_workitem_id 0
		.amdhsa_next_free_vgpr 1
		.amdhsa_next_free_sgpr 0
		.amdhsa_reserve_vcc 0
		.amdhsa_reserve_flat_scratch 0
		.amdhsa_float_round_mode_32 0
		.amdhsa_float_round_mode_16_64 0
		.amdhsa_float_denorm_mode_32 3
		.amdhsa_float_denorm_mode_16_64 3
		.amdhsa_dx10_clamp 1
		.amdhsa_ieee_mode 1
		.amdhsa_fp16_overflow 0
		.amdhsa_exception_fp_ieee_invalid_op 0
		.amdhsa_exception_fp_denorm_src 0
		.amdhsa_exception_fp_ieee_div_zero 0
		.amdhsa_exception_fp_ieee_overflow 0
		.amdhsa_exception_fp_ieee_underflow 0
		.amdhsa_exception_fp_ieee_inexact 0
		.amdhsa_exception_int_div_zero 0
	.end_amdhsa_kernel
	.section	.text._ZN7rocprim17ROCPRIM_400000_NS6detail17trampoline_kernelINS0_14default_configENS1_35adjacent_difference_config_selectorILb1EsEEZNS1_24adjacent_difference_implIS3_Lb1ELb0EPKsPsN6thrust23THRUST_200600_302600_NS4plusIsEEEE10hipError_tPvRmT2_T3_mT4_P12ihipStream_tbEUlT_E_NS1_11comp_targetILNS1_3genE5ELNS1_11target_archE942ELNS1_3gpuE9ELNS1_3repE0EEENS1_30default_config_static_selectorELNS0_4arch9wavefront6targetE1EEEvT1_,"axG",@progbits,_ZN7rocprim17ROCPRIM_400000_NS6detail17trampoline_kernelINS0_14default_configENS1_35adjacent_difference_config_selectorILb1EsEEZNS1_24adjacent_difference_implIS3_Lb1ELb0EPKsPsN6thrust23THRUST_200600_302600_NS4plusIsEEEE10hipError_tPvRmT2_T3_mT4_P12ihipStream_tbEUlT_E_NS1_11comp_targetILNS1_3genE5ELNS1_11target_archE942ELNS1_3gpuE9ELNS1_3repE0EEENS1_30default_config_static_selectorELNS0_4arch9wavefront6targetE1EEEvT1_,comdat
.Lfunc_end767:
	.size	_ZN7rocprim17ROCPRIM_400000_NS6detail17trampoline_kernelINS0_14default_configENS1_35adjacent_difference_config_selectorILb1EsEEZNS1_24adjacent_difference_implIS3_Lb1ELb0EPKsPsN6thrust23THRUST_200600_302600_NS4plusIsEEEE10hipError_tPvRmT2_T3_mT4_P12ihipStream_tbEUlT_E_NS1_11comp_targetILNS1_3genE5ELNS1_11target_archE942ELNS1_3gpuE9ELNS1_3repE0EEENS1_30default_config_static_selectorELNS0_4arch9wavefront6targetE1EEEvT1_, .Lfunc_end767-_ZN7rocprim17ROCPRIM_400000_NS6detail17trampoline_kernelINS0_14default_configENS1_35adjacent_difference_config_selectorILb1EsEEZNS1_24adjacent_difference_implIS3_Lb1ELb0EPKsPsN6thrust23THRUST_200600_302600_NS4plusIsEEEE10hipError_tPvRmT2_T3_mT4_P12ihipStream_tbEUlT_E_NS1_11comp_targetILNS1_3genE5ELNS1_11target_archE942ELNS1_3gpuE9ELNS1_3repE0EEENS1_30default_config_static_selectorELNS0_4arch9wavefront6targetE1EEEvT1_
                                        ; -- End function
	.set _ZN7rocprim17ROCPRIM_400000_NS6detail17trampoline_kernelINS0_14default_configENS1_35adjacent_difference_config_selectorILb1EsEEZNS1_24adjacent_difference_implIS3_Lb1ELb0EPKsPsN6thrust23THRUST_200600_302600_NS4plusIsEEEE10hipError_tPvRmT2_T3_mT4_P12ihipStream_tbEUlT_E_NS1_11comp_targetILNS1_3genE5ELNS1_11target_archE942ELNS1_3gpuE9ELNS1_3repE0EEENS1_30default_config_static_selectorELNS0_4arch9wavefront6targetE1EEEvT1_.num_vgpr, 0
	.set _ZN7rocprim17ROCPRIM_400000_NS6detail17trampoline_kernelINS0_14default_configENS1_35adjacent_difference_config_selectorILb1EsEEZNS1_24adjacent_difference_implIS3_Lb1ELb0EPKsPsN6thrust23THRUST_200600_302600_NS4plusIsEEEE10hipError_tPvRmT2_T3_mT4_P12ihipStream_tbEUlT_E_NS1_11comp_targetILNS1_3genE5ELNS1_11target_archE942ELNS1_3gpuE9ELNS1_3repE0EEENS1_30default_config_static_selectorELNS0_4arch9wavefront6targetE1EEEvT1_.num_agpr, 0
	.set _ZN7rocprim17ROCPRIM_400000_NS6detail17trampoline_kernelINS0_14default_configENS1_35adjacent_difference_config_selectorILb1EsEEZNS1_24adjacent_difference_implIS3_Lb1ELb0EPKsPsN6thrust23THRUST_200600_302600_NS4plusIsEEEE10hipError_tPvRmT2_T3_mT4_P12ihipStream_tbEUlT_E_NS1_11comp_targetILNS1_3genE5ELNS1_11target_archE942ELNS1_3gpuE9ELNS1_3repE0EEENS1_30default_config_static_selectorELNS0_4arch9wavefront6targetE1EEEvT1_.numbered_sgpr, 0
	.set _ZN7rocprim17ROCPRIM_400000_NS6detail17trampoline_kernelINS0_14default_configENS1_35adjacent_difference_config_selectorILb1EsEEZNS1_24adjacent_difference_implIS3_Lb1ELb0EPKsPsN6thrust23THRUST_200600_302600_NS4plusIsEEEE10hipError_tPvRmT2_T3_mT4_P12ihipStream_tbEUlT_E_NS1_11comp_targetILNS1_3genE5ELNS1_11target_archE942ELNS1_3gpuE9ELNS1_3repE0EEENS1_30default_config_static_selectorELNS0_4arch9wavefront6targetE1EEEvT1_.num_named_barrier, 0
	.set _ZN7rocprim17ROCPRIM_400000_NS6detail17trampoline_kernelINS0_14default_configENS1_35adjacent_difference_config_selectorILb1EsEEZNS1_24adjacent_difference_implIS3_Lb1ELb0EPKsPsN6thrust23THRUST_200600_302600_NS4plusIsEEEE10hipError_tPvRmT2_T3_mT4_P12ihipStream_tbEUlT_E_NS1_11comp_targetILNS1_3genE5ELNS1_11target_archE942ELNS1_3gpuE9ELNS1_3repE0EEENS1_30default_config_static_selectorELNS0_4arch9wavefront6targetE1EEEvT1_.private_seg_size, 0
	.set _ZN7rocprim17ROCPRIM_400000_NS6detail17trampoline_kernelINS0_14default_configENS1_35adjacent_difference_config_selectorILb1EsEEZNS1_24adjacent_difference_implIS3_Lb1ELb0EPKsPsN6thrust23THRUST_200600_302600_NS4plusIsEEEE10hipError_tPvRmT2_T3_mT4_P12ihipStream_tbEUlT_E_NS1_11comp_targetILNS1_3genE5ELNS1_11target_archE942ELNS1_3gpuE9ELNS1_3repE0EEENS1_30default_config_static_selectorELNS0_4arch9wavefront6targetE1EEEvT1_.uses_vcc, 0
	.set _ZN7rocprim17ROCPRIM_400000_NS6detail17trampoline_kernelINS0_14default_configENS1_35adjacent_difference_config_selectorILb1EsEEZNS1_24adjacent_difference_implIS3_Lb1ELb0EPKsPsN6thrust23THRUST_200600_302600_NS4plusIsEEEE10hipError_tPvRmT2_T3_mT4_P12ihipStream_tbEUlT_E_NS1_11comp_targetILNS1_3genE5ELNS1_11target_archE942ELNS1_3gpuE9ELNS1_3repE0EEENS1_30default_config_static_selectorELNS0_4arch9wavefront6targetE1EEEvT1_.uses_flat_scratch, 0
	.set _ZN7rocprim17ROCPRIM_400000_NS6detail17trampoline_kernelINS0_14default_configENS1_35adjacent_difference_config_selectorILb1EsEEZNS1_24adjacent_difference_implIS3_Lb1ELb0EPKsPsN6thrust23THRUST_200600_302600_NS4plusIsEEEE10hipError_tPvRmT2_T3_mT4_P12ihipStream_tbEUlT_E_NS1_11comp_targetILNS1_3genE5ELNS1_11target_archE942ELNS1_3gpuE9ELNS1_3repE0EEENS1_30default_config_static_selectorELNS0_4arch9wavefront6targetE1EEEvT1_.has_dyn_sized_stack, 0
	.set _ZN7rocprim17ROCPRIM_400000_NS6detail17trampoline_kernelINS0_14default_configENS1_35adjacent_difference_config_selectorILb1EsEEZNS1_24adjacent_difference_implIS3_Lb1ELb0EPKsPsN6thrust23THRUST_200600_302600_NS4plusIsEEEE10hipError_tPvRmT2_T3_mT4_P12ihipStream_tbEUlT_E_NS1_11comp_targetILNS1_3genE5ELNS1_11target_archE942ELNS1_3gpuE9ELNS1_3repE0EEENS1_30default_config_static_selectorELNS0_4arch9wavefront6targetE1EEEvT1_.has_recursion, 0
	.set _ZN7rocprim17ROCPRIM_400000_NS6detail17trampoline_kernelINS0_14default_configENS1_35adjacent_difference_config_selectorILb1EsEEZNS1_24adjacent_difference_implIS3_Lb1ELb0EPKsPsN6thrust23THRUST_200600_302600_NS4plusIsEEEE10hipError_tPvRmT2_T3_mT4_P12ihipStream_tbEUlT_E_NS1_11comp_targetILNS1_3genE5ELNS1_11target_archE942ELNS1_3gpuE9ELNS1_3repE0EEENS1_30default_config_static_selectorELNS0_4arch9wavefront6targetE1EEEvT1_.has_indirect_call, 0
	.section	.AMDGPU.csdata,"",@progbits
; Kernel info:
; codeLenInByte = 0
; TotalNumSgprs: 4
; NumVgprs: 0
; ScratchSize: 0
; MemoryBound: 0
; FloatMode: 240
; IeeeMode: 1
; LDSByteSize: 0 bytes/workgroup (compile time only)
; SGPRBlocks: 0
; VGPRBlocks: 0
; NumSGPRsForWavesPerEU: 4
; NumVGPRsForWavesPerEU: 1
; Occupancy: 10
; WaveLimiterHint : 0
; COMPUTE_PGM_RSRC2:SCRATCH_EN: 0
; COMPUTE_PGM_RSRC2:USER_SGPR: 6
; COMPUTE_PGM_RSRC2:TRAP_HANDLER: 0
; COMPUTE_PGM_RSRC2:TGID_X_EN: 1
; COMPUTE_PGM_RSRC2:TGID_Y_EN: 0
; COMPUTE_PGM_RSRC2:TGID_Z_EN: 0
; COMPUTE_PGM_RSRC2:TIDIG_COMP_CNT: 0
	.section	.text._ZN7rocprim17ROCPRIM_400000_NS6detail17trampoline_kernelINS0_14default_configENS1_35adjacent_difference_config_selectorILb1EsEEZNS1_24adjacent_difference_implIS3_Lb1ELb0EPKsPsN6thrust23THRUST_200600_302600_NS4plusIsEEEE10hipError_tPvRmT2_T3_mT4_P12ihipStream_tbEUlT_E_NS1_11comp_targetILNS1_3genE4ELNS1_11target_archE910ELNS1_3gpuE8ELNS1_3repE0EEENS1_30default_config_static_selectorELNS0_4arch9wavefront6targetE1EEEvT1_,"axG",@progbits,_ZN7rocprim17ROCPRIM_400000_NS6detail17trampoline_kernelINS0_14default_configENS1_35adjacent_difference_config_selectorILb1EsEEZNS1_24adjacent_difference_implIS3_Lb1ELb0EPKsPsN6thrust23THRUST_200600_302600_NS4plusIsEEEE10hipError_tPvRmT2_T3_mT4_P12ihipStream_tbEUlT_E_NS1_11comp_targetILNS1_3genE4ELNS1_11target_archE910ELNS1_3gpuE8ELNS1_3repE0EEENS1_30default_config_static_selectorELNS0_4arch9wavefront6targetE1EEEvT1_,comdat
	.protected	_ZN7rocprim17ROCPRIM_400000_NS6detail17trampoline_kernelINS0_14default_configENS1_35adjacent_difference_config_selectorILb1EsEEZNS1_24adjacent_difference_implIS3_Lb1ELb0EPKsPsN6thrust23THRUST_200600_302600_NS4plusIsEEEE10hipError_tPvRmT2_T3_mT4_P12ihipStream_tbEUlT_E_NS1_11comp_targetILNS1_3genE4ELNS1_11target_archE910ELNS1_3gpuE8ELNS1_3repE0EEENS1_30default_config_static_selectorELNS0_4arch9wavefront6targetE1EEEvT1_ ; -- Begin function _ZN7rocprim17ROCPRIM_400000_NS6detail17trampoline_kernelINS0_14default_configENS1_35adjacent_difference_config_selectorILb1EsEEZNS1_24adjacent_difference_implIS3_Lb1ELb0EPKsPsN6thrust23THRUST_200600_302600_NS4plusIsEEEE10hipError_tPvRmT2_T3_mT4_P12ihipStream_tbEUlT_E_NS1_11comp_targetILNS1_3genE4ELNS1_11target_archE910ELNS1_3gpuE8ELNS1_3repE0EEENS1_30default_config_static_selectorELNS0_4arch9wavefront6targetE1EEEvT1_
	.globl	_ZN7rocprim17ROCPRIM_400000_NS6detail17trampoline_kernelINS0_14default_configENS1_35adjacent_difference_config_selectorILb1EsEEZNS1_24adjacent_difference_implIS3_Lb1ELb0EPKsPsN6thrust23THRUST_200600_302600_NS4plusIsEEEE10hipError_tPvRmT2_T3_mT4_P12ihipStream_tbEUlT_E_NS1_11comp_targetILNS1_3genE4ELNS1_11target_archE910ELNS1_3gpuE8ELNS1_3repE0EEENS1_30default_config_static_selectorELNS0_4arch9wavefront6targetE1EEEvT1_
	.p2align	8
	.type	_ZN7rocprim17ROCPRIM_400000_NS6detail17trampoline_kernelINS0_14default_configENS1_35adjacent_difference_config_selectorILb1EsEEZNS1_24adjacent_difference_implIS3_Lb1ELb0EPKsPsN6thrust23THRUST_200600_302600_NS4plusIsEEEE10hipError_tPvRmT2_T3_mT4_P12ihipStream_tbEUlT_E_NS1_11comp_targetILNS1_3genE4ELNS1_11target_archE910ELNS1_3gpuE8ELNS1_3repE0EEENS1_30default_config_static_selectorELNS0_4arch9wavefront6targetE1EEEvT1_,@function
_ZN7rocprim17ROCPRIM_400000_NS6detail17trampoline_kernelINS0_14default_configENS1_35adjacent_difference_config_selectorILb1EsEEZNS1_24adjacent_difference_implIS3_Lb1ELb0EPKsPsN6thrust23THRUST_200600_302600_NS4plusIsEEEE10hipError_tPvRmT2_T3_mT4_P12ihipStream_tbEUlT_E_NS1_11comp_targetILNS1_3genE4ELNS1_11target_archE910ELNS1_3gpuE8ELNS1_3repE0EEENS1_30default_config_static_selectorELNS0_4arch9wavefront6targetE1EEEvT1_: ; @_ZN7rocprim17ROCPRIM_400000_NS6detail17trampoline_kernelINS0_14default_configENS1_35adjacent_difference_config_selectorILb1EsEEZNS1_24adjacent_difference_implIS3_Lb1ELb0EPKsPsN6thrust23THRUST_200600_302600_NS4plusIsEEEE10hipError_tPvRmT2_T3_mT4_P12ihipStream_tbEUlT_E_NS1_11comp_targetILNS1_3genE4ELNS1_11target_archE910ELNS1_3gpuE8ELNS1_3repE0EEENS1_30default_config_static_selectorELNS0_4arch9wavefront6targetE1EEEvT1_
; %bb.0:
	.section	.rodata,"a",@progbits
	.p2align	6, 0x0
	.amdhsa_kernel _ZN7rocprim17ROCPRIM_400000_NS6detail17trampoline_kernelINS0_14default_configENS1_35adjacent_difference_config_selectorILb1EsEEZNS1_24adjacent_difference_implIS3_Lb1ELb0EPKsPsN6thrust23THRUST_200600_302600_NS4plusIsEEEE10hipError_tPvRmT2_T3_mT4_P12ihipStream_tbEUlT_E_NS1_11comp_targetILNS1_3genE4ELNS1_11target_archE910ELNS1_3gpuE8ELNS1_3repE0EEENS1_30default_config_static_selectorELNS0_4arch9wavefront6targetE1EEEvT1_
		.amdhsa_group_segment_fixed_size 0
		.amdhsa_private_segment_fixed_size 0
		.amdhsa_kernarg_size 56
		.amdhsa_user_sgpr_count 6
		.amdhsa_user_sgpr_private_segment_buffer 1
		.amdhsa_user_sgpr_dispatch_ptr 0
		.amdhsa_user_sgpr_queue_ptr 0
		.amdhsa_user_sgpr_kernarg_segment_ptr 1
		.amdhsa_user_sgpr_dispatch_id 0
		.amdhsa_user_sgpr_flat_scratch_init 0
		.amdhsa_user_sgpr_private_segment_size 0
		.amdhsa_uses_dynamic_stack 0
		.amdhsa_system_sgpr_private_segment_wavefront_offset 0
		.amdhsa_system_sgpr_workgroup_id_x 1
		.amdhsa_system_sgpr_workgroup_id_y 0
		.amdhsa_system_sgpr_workgroup_id_z 0
		.amdhsa_system_sgpr_workgroup_info 0
		.amdhsa_system_vgpr_workitem_id 0
		.amdhsa_next_free_vgpr 1
		.amdhsa_next_free_sgpr 0
		.amdhsa_reserve_vcc 0
		.amdhsa_reserve_flat_scratch 0
		.amdhsa_float_round_mode_32 0
		.amdhsa_float_round_mode_16_64 0
		.amdhsa_float_denorm_mode_32 3
		.amdhsa_float_denorm_mode_16_64 3
		.amdhsa_dx10_clamp 1
		.amdhsa_ieee_mode 1
		.amdhsa_fp16_overflow 0
		.amdhsa_exception_fp_ieee_invalid_op 0
		.amdhsa_exception_fp_denorm_src 0
		.amdhsa_exception_fp_ieee_div_zero 0
		.amdhsa_exception_fp_ieee_overflow 0
		.amdhsa_exception_fp_ieee_underflow 0
		.amdhsa_exception_fp_ieee_inexact 0
		.amdhsa_exception_int_div_zero 0
	.end_amdhsa_kernel
	.section	.text._ZN7rocprim17ROCPRIM_400000_NS6detail17trampoline_kernelINS0_14default_configENS1_35adjacent_difference_config_selectorILb1EsEEZNS1_24adjacent_difference_implIS3_Lb1ELb0EPKsPsN6thrust23THRUST_200600_302600_NS4plusIsEEEE10hipError_tPvRmT2_T3_mT4_P12ihipStream_tbEUlT_E_NS1_11comp_targetILNS1_3genE4ELNS1_11target_archE910ELNS1_3gpuE8ELNS1_3repE0EEENS1_30default_config_static_selectorELNS0_4arch9wavefront6targetE1EEEvT1_,"axG",@progbits,_ZN7rocprim17ROCPRIM_400000_NS6detail17trampoline_kernelINS0_14default_configENS1_35adjacent_difference_config_selectorILb1EsEEZNS1_24adjacent_difference_implIS3_Lb1ELb0EPKsPsN6thrust23THRUST_200600_302600_NS4plusIsEEEE10hipError_tPvRmT2_T3_mT4_P12ihipStream_tbEUlT_E_NS1_11comp_targetILNS1_3genE4ELNS1_11target_archE910ELNS1_3gpuE8ELNS1_3repE0EEENS1_30default_config_static_selectorELNS0_4arch9wavefront6targetE1EEEvT1_,comdat
.Lfunc_end768:
	.size	_ZN7rocprim17ROCPRIM_400000_NS6detail17trampoline_kernelINS0_14default_configENS1_35adjacent_difference_config_selectorILb1EsEEZNS1_24adjacent_difference_implIS3_Lb1ELb0EPKsPsN6thrust23THRUST_200600_302600_NS4plusIsEEEE10hipError_tPvRmT2_T3_mT4_P12ihipStream_tbEUlT_E_NS1_11comp_targetILNS1_3genE4ELNS1_11target_archE910ELNS1_3gpuE8ELNS1_3repE0EEENS1_30default_config_static_selectorELNS0_4arch9wavefront6targetE1EEEvT1_, .Lfunc_end768-_ZN7rocprim17ROCPRIM_400000_NS6detail17trampoline_kernelINS0_14default_configENS1_35adjacent_difference_config_selectorILb1EsEEZNS1_24adjacent_difference_implIS3_Lb1ELb0EPKsPsN6thrust23THRUST_200600_302600_NS4plusIsEEEE10hipError_tPvRmT2_T3_mT4_P12ihipStream_tbEUlT_E_NS1_11comp_targetILNS1_3genE4ELNS1_11target_archE910ELNS1_3gpuE8ELNS1_3repE0EEENS1_30default_config_static_selectorELNS0_4arch9wavefront6targetE1EEEvT1_
                                        ; -- End function
	.set _ZN7rocprim17ROCPRIM_400000_NS6detail17trampoline_kernelINS0_14default_configENS1_35adjacent_difference_config_selectorILb1EsEEZNS1_24adjacent_difference_implIS3_Lb1ELb0EPKsPsN6thrust23THRUST_200600_302600_NS4plusIsEEEE10hipError_tPvRmT2_T3_mT4_P12ihipStream_tbEUlT_E_NS1_11comp_targetILNS1_3genE4ELNS1_11target_archE910ELNS1_3gpuE8ELNS1_3repE0EEENS1_30default_config_static_selectorELNS0_4arch9wavefront6targetE1EEEvT1_.num_vgpr, 0
	.set _ZN7rocprim17ROCPRIM_400000_NS6detail17trampoline_kernelINS0_14default_configENS1_35adjacent_difference_config_selectorILb1EsEEZNS1_24adjacent_difference_implIS3_Lb1ELb0EPKsPsN6thrust23THRUST_200600_302600_NS4plusIsEEEE10hipError_tPvRmT2_T3_mT4_P12ihipStream_tbEUlT_E_NS1_11comp_targetILNS1_3genE4ELNS1_11target_archE910ELNS1_3gpuE8ELNS1_3repE0EEENS1_30default_config_static_selectorELNS0_4arch9wavefront6targetE1EEEvT1_.num_agpr, 0
	.set _ZN7rocprim17ROCPRIM_400000_NS6detail17trampoline_kernelINS0_14default_configENS1_35adjacent_difference_config_selectorILb1EsEEZNS1_24adjacent_difference_implIS3_Lb1ELb0EPKsPsN6thrust23THRUST_200600_302600_NS4plusIsEEEE10hipError_tPvRmT2_T3_mT4_P12ihipStream_tbEUlT_E_NS1_11comp_targetILNS1_3genE4ELNS1_11target_archE910ELNS1_3gpuE8ELNS1_3repE0EEENS1_30default_config_static_selectorELNS0_4arch9wavefront6targetE1EEEvT1_.numbered_sgpr, 0
	.set _ZN7rocprim17ROCPRIM_400000_NS6detail17trampoline_kernelINS0_14default_configENS1_35adjacent_difference_config_selectorILb1EsEEZNS1_24adjacent_difference_implIS3_Lb1ELb0EPKsPsN6thrust23THRUST_200600_302600_NS4plusIsEEEE10hipError_tPvRmT2_T3_mT4_P12ihipStream_tbEUlT_E_NS1_11comp_targetILNS1_3genE4ELNS1_11target_archE910ELNS1_3gpuE8ELNS1_3repE0EEENS1_30default_config_static_selectorELNS0_4arch9wavefront6targetE1EEEvT1_.num_named_barrier, 0
	.set _ZN7rocprim17ROCPRIM_400000_NS6detail17trampoline_kernelINS0_14default_configENS1_35adjacent_difference_config_selectorILb1EsEEZNS1_24adjacent_difference_implIS3_Lb1ELb0EPKsPsN6thrust23THRUST_200600_302600_NS4plusIsEEEE10hipError_tPvRmT2_T3_mT4_P12ihipStream_tbEUlT_E_NS1_11comp_targetILNS1_3genE4ELNS1_11target_archE910ELNS1_3gpuE8ELNS1_3repE0EEENS1_30default_config_static_selectorELNS0_4arch9wavefront6targetE1EEEvT1_.private_seg_size, 0
	.set _ZN7rocprim17ROCPRIM_400000_NS6detail17trampoline_kernelINS0_14default_configENS1_35adjacent_difference_config_selectorILb1EsEEZNS1_24adjacent_difference_implIS3_Lb1ELb0EPKsPsN6thrust23THRUST_200600_302600_NS4plusIsEEEE10hipError_tPvRmT2_T3_mT4_P12ihipStream_tbEUlT_E_NS1_11comp_targetILNS1_3genE4ELNS1_11target_archE910ELNS1_3gpuE8ELNS1_3repE0EEENS1_30default_config_static_selectorELNS0_4arch9wavefront6targetE1EEEvT1_.uses_vcc, 0
	.set _ZN7rocprim17ROCPRIM_400000_NS6detail17trampoline_kernelINS0_14default_configENS1_35adjacent_difference_config_selectorILb1EsEEZNS1_24adjacent_difference_implIS3_Lb1ELb0EPKsPsN6thrust23THRUST_200600_302600_NS4plusIsEEEE10hipError_tPvRmT2_T3_mT4_P12ihipStream_tbEUlT_E_NS1_11comp_targetILNS1_3genE4ELNS1_11target_archE910ELNS1_3gpuE8ELNS1_3repE0EEENS1_30default_config_static_selectorELNS0_4arch9wavefront6targetE1EEEvT1_.uses_flat_scratch, 0
	.set _ZN7rocprim17ROCPRIM_400000_NS6detail17trampoline_kernelINS0_14default_configENS1_35adjacent_difference_config_selectorILb1EsEEZNS1_24adjacent_difference_implIS3_Lb1ELb0EPKsPsN6thrust23THRUST_200600_302600_NS4plusIsEEEE10hipError_tPvRmT2_T3_mT4_P12ihipStream_tbEUlT_E_NS1_11comp_targetILNS1_3genE4ELNS1_11target_archE910ELNS1_3gpuE8ELNS1_3repE0EEENS1_30default_config_static_selectorELNS0_4arch9wavefront6targetE1EEEvT1_.has_dyn_sized_stack, 0
	.set _ZN7rocprim17ROCPRIM_400000_NS6detail17trampoline_kernelINS0_14default_configENS1_35adjacent_difference_config_selectorILb1EsEEZNS1_24adjacent_difference_implIS3_Lb1ELb0EPKsPsN6thrust23THRUST_200600_302600_NS4plusIsEEEE10hipError_tPvRmT2_T3_mT4_P12ihipStream_tbEUlT_E_NS1_11comp_targetILNS1_3genE4ELNS1_11target_archE910ELNS1_3gpuE8ELNS1_3repE0EEENS1_30default_config_static_selectorELNS0_4arch9wavefront6targetE1EEEvT1_.has_recursion, 0
	.set _ZN7rocprim17ROCPRIM_400000_NS6detail17trampoline_kernelINS0_14default_configENS1_35adjacent_difference_config_selectorILb1EsEEZNS1_24adjacent_difference_implIS3_Lb1ELb0EPKsPsN6thrust23THRUST_200600_302600_NS4plusIsEEEE10hipError_tPvRmT2_T3_mT4_P12ihipStream_tbEUlT_E_NS1_11comp_targetILNS1_3genE4ELNS1_11target_archE910ELNS1_3gpuE8ELNS1_3repE0EEENS1_30default_config_static_selectorELNS0_4arch9wavefront6targetE1EEEvT1_.has_indirect_call, 0
	.section	.AMDGPU.csdata,"",@progbits
; Kernel info:
; codeLenInByte = 0
; TotalNumSgprs: 4
; NumVgprs: 0
; ScratchSize: 0
; MemoryBound: 0
; FloatMode: 240
; IeeeMode: 1
; LDSByteSize: 0 bytes/workgroup (compile time only)
; SGPRBlocks: 0
; VGPRBlocks: 0
; NumSGPRsForWavesPerEU: 4
; NumVGPRsForWavesPerEU: 1
; Occupancy: 10
; WaveLimiterHint : 0
; COMPUTE_PGM_RSRC2:SCRATCH_EN: 0
; COMPUTE_PGM_RSRC2:USER_SGPR: 6
; COMPUTE_PGM_RSRC2:TRAP_HANDLER: 0
; COMPUTE_PGM_RSRC2:TGID_X_EN: 1
; COMPUTE_PGM_RSRC2:TGID_Y_EN: 0
; COMPUTE_PGM_RSRC2:TGID_Z_EN: 0
; COMPUTE_PGM_RSRC2:TIDIG_COMP_CNT: 0
	.section	.text._ZN7rocprim17ROCPRIM_400000_NS6detail17trampoline_kernelINS0_14default_configENS1_35adjacent_difference_config_selectorILb1EsEEZNS1_24adjacent_difference_implIS3_Lb1ELb0EPKsPsN6thrust23THRUST_200600_302600_NS4plusIsEEEE10hipError_tPvRmT2_T3_mT4_P12ihipStream_tbEUlT_E_NS1_11comp_targetILNS1_3genE3ELNS1_11target_archE908ELNS1_3gpuE7ELNS1_3repE0EEENS1_30default_config_static_selectorELNS0_4arch9wavefront6targetE1EEEvT1_,"axG",@progbits,_ZN7rocprim17ROCPRIM_400000_NS6detail17trampoline_kernelINS0_14default_configENS1_35adjacent_difference_config_selectorILb1EsEEZNS1_24adjacent_difference_implIS3_Lb1ELb0EPKsPsN6thrust23THRUST_200600_302600_NS4plusIsEEEE10hipError_tPvRmT2_T3_mT4_P12ihipStream_tbEUlT_E_NS1_11comp_targetILNS1_3genE3ELNS1_11target_archE908ELNS1_3gpuE7ELNS1_3repE0EEENS1_30default_config_static_selectorELNS0_4arch9wavefront6targetE1EEEvT1_,comdat
	.protected	_ZN7rocprim17ROCPRIM_400000_NS6detail17trampoline_kernelINS0_14default_configENS1_35adjacent_difference_config_selectorILb1EsEEZNS1_24adjacent_difference_implIS3_Lb1ELb0EPKsPsN6thrust23THRUST_200600_302600_NS4plusIsEEEE10hipError_tPvRmT2_T3_mT4_P12ihipStream_tbEUlT_E_NS1_11comp_targetILNS1_3genE3ELNS1_11target_archE908ELNS1_3gpuE7ELNS1_3repE0EEENS1_30default_config_static_selectorELNS0_4arch9wavefront6targetE1EEEvT1_ ; -- Begin function _ZN7rocprim17ROCPRIM_400000_NS6detail17trampoline_kernelINS0_14default_configENS1_35adjacent_difference_config_selectorILb1EsEEZNS1_24adjacent_difference_implIS3_Lb1ELb0EPKsPsN6thrust23THRUST_200600_302600_NS4plusIsEEEE10hipError_tPvRmT2_T3_mT4_P12ihipStream_tbEUlT_E_NS1_11comp_targetILNS1_3genE3ELNS1_11target_archE908ELNS1_3gpuE7ELNS1_3repE0EEENS1_30default_config_static_selectorELNS0_4arch9wavefront6targetE1EEEvT1_
	.globl	_ZN7rocprim17ROCPRIM_400000_NS6detail17trampoline_kernelINS0_14default_configENS1_35adjacent_difference_config_selectorILb1EsEEZNS1_24adjacent_difference_implIS3_Lb1ELb0EPKsPsN6thrust23THRUST_200600_302600_NS4plusIsEEEE10hipError_tPvRmT2_T3_mT4_P12ihipStream_tbEUlT_E_NS1_11comp_targetILNS1_3genE3ELNS1_11target_archE908ELNS1_3gpuE7ELNS1_3repE0EEENS1_30default_config_static_selectorELNS0_4arch9wavefront6targetE1EEEvT1_
	.p2align	8
	.type	_ZN7rocprim17ROCPRIM_400000_NS6detail17trampoline_kernelINS0_14default_configENS1_35adjacent_difference_config_selectorILb1EsEEZNS1_24adjacent_difference_implIS3_Lb1ELb0EPKsPsN6thrust23THRUST_200600_302600_NS4plusIsEEEE10hipError_tPvRmT2_T3_mT4_P12ihipStream_tbEUlT_E_NS1_11comp_targetILNS1_3genE3ELNS1_11target_archE908ELNS1_3gpuE7ELNS1_3repE0EEENS1_30default_config_static_selectorELNS0_4arch9wavefront6targetE1EEEvT1_,@function
_ZN7rocprim17ROCPRIM_400000_NS6detail17trampoline_kernelINS0_14default_configENS1_35adjacent_difference_config_selectorILb1EsEEZNS1_24adjacent_difference_implIS3_Lb1ELb0EPKsPsN6thrust23THRUST_200600_302600_NS4plusIsEEEE10hipError_tPvRmT2_T3_mT4_P12ihipStream_tbEUlT_E_NS1_11comp_targetILNS1_3genE3ELNS1_11target_archE908ELNS1_3gpuE7ELNS1_3repE0EEENS1_30default_config_static_selectorELNS0_4arch9wavefront6targetE1EEEvT1_: ; @_ZN7rocprim17ROCPRIM_400000_NS6detail17trampoline_kernelINS0_14default_configENS1_35adjacent_difference_config_selectorILb1EsEEZNS1_24adjacent_difference_implIS3_Lb1ELb0EPKsPsN6thrust23THRUST_200600_302600_NS4plusIsEEEE10hipError_tPvRmT2_T3_mT4_P12ihipStream_tbEUlT_E_NS1_11comp_targetILNS1_3genE3ELNS1_11target_archE908ELNS1_3gpuE7ELNS1_3repE0EEENS1_30default_config_static_selectorELNS0_4arch9wavefront6targetE1EEEvT1_
; %bb.0:
	.section	.rodata,"a",@progbits
	.p2align	6, 0x0
	.amdhsa_kernel _ZN7rocprim17ROCPRIM_400000_NS6detail17trampoline_kernelINS0_14default_configENS1_35adjacent_difference_config_selectorILb1EsEEZNS1_24adjacent_difference_implIS3_Lb1ELb0EPKsPsN6thrust23THRUST_200600_302600_NS4plusIsEEEE10hipError_tPvRmT2_T3_mT4_P12ihipStream_tbEUlT_E_NS1_11comp_targetILNS1_3genE3ELNS1_11target_archE908ELNS1_3gpuE7ELNS1_3repE0EEENS1_30default_config_static_selectorELNS0_4arch9wavefront6targetE1EEEvT1_
		.amdhsa_group_segment_fixed_size 0
		.amdhsa_private_segment_fixed_size 0
		.amdhsa_kernarg_size 56
		.amdhsa_user_sgpr_count 6
		.amdhsa_user_sgpr_private_segment_buffer 1
		.amdhsa_user_sgpr_dispatch_ptr 0
		.amdhsa_user_sgpr_queue_ptr 0
		.amdhsa_user_sgpr_kernarg_segment_ptr 1
		.amdhsa_user_sgpr_dispatch_id 0
		.amdhsa_user_sgpr_flat_scratch_init 0
		.amdhsa_user_sgpr_private_segment_size 0
		.amdhsa_uses_dynamic_stack 0
		.amdhsa_system_sgpr_private_segment_wavefront_offset 0
		.amdhsa_system_sgpr_workgroup_id_x 1
		.amdhsa_system_sgpr_workgroup_id_y 0
		.amdhsa_system_sgpr_workgroup_id_z 0
		.amdhsa_system_sgpr_workgroup_info 0
		.amdhsa_system_vgpr_workitem_id 0
		.amdhsa_next_free_vgpr 1
		.amdhsa_next_free_sgpr 0
		.amdhsa_reserve_vcc 0
		.amdhsa_reserve_flat_scratch 0
		.amdhsa_float_round_mode_32 0
		.amdhsa_float_round_mode_16_64 0
		.amdhsa_float_denorm_mode_32 3
		.amdhsa_float_denorm_mode_16_64 3
		.amdhsa_dx10_clamp 1
		.amdhsa_ieee_mode 1
		.amdhsa_fp16_overflow 0
		.amdhsa_exception_fp_ieee_invalid_op 0
		.amdhsa_exception_fp_denorm_src 0
		.amdhsa_exception_fp_ieee_div_zero 0
		.amdhsa_exception_fp_ieee_overflow 0
		.amdhsa_exception_fp_ieee_underflow 0
		.amdhsa_exception_fp_ieee_inexact 0
		.amdhsa_exception_int_div_zero 0
	.end_amdhsa_kernel
	.section	.text._ZN7rocprim17ROCPRIM_400000_NS6detail17trampoline_kernelINS0_14default_configENS1_35adjacent_difference_config_selectorILb1EsEEZNS1_24adjacent_difference_implIS3_Lb1ELb0EPKsPsN6thrust23THRUST_200600_302600_NS4plusIsEEEE10hipError_tPvRmT2_T3_mT4_P12ihipStream_tbEUlT_E_NS1_11comp_targetILNS1_3genE3ELNS1_11target_archE908ELNS1_3gpuE7ELNS1_3repE0EEENS1_30default_config_static_selectorELNS0_4arch9wavefront6targetE1EEEvT1_,"axG",@progbits,_ZN7rocprim17ROCPRIM_400000_NS6detail17trampoline_kernelINS0_14default_configENS1_35adjacent_difference_config_selectorILb1EsEEZNS1_24adjacent_difference_implIS3_Lb1ELb0EPKsPsN6thrust23THRUST_200600_302600_NS4plusIsEEEE10hipError_tPvRmT2_T3_mT4_P12ihipStream_tbEUlT_E_NS1_11comp_targetILNS1_3genE3ELNS1_11target_archE908ELNS1_3gpuE7ELNS1_3repE0EEENS1_30default_config_static_selectorELNS0_4arch9wavefront6targetE1EEEvT1_,comdat
.Lfunc_end769:
	.size	_ZN7rocprim17ROCPRIM_400000_NS6detail17trampoline_kernelINS0_14default_configENS1_35adjacent_difference_config_selectorILb1EsEEZNS1_24adjacent_difference_implIS3_Lb1ELb0EPKsPsN6thrust23THRUST_200600_302600_NS4plusIsEEEE10hipError_tPvRmT2_T3_mT4_P12ihipStream_tbEUlT_E_NS1_11comp_targetILNS1_3genE3ELNS1_11target_archE908ELNS1_3gpuE7ELNS1_3repE0EEENS1_30default_config_static_selectorELNS0_4arch9wavefront6targetE1EEEvT1_, .Lfunc_end769-_ZN7rocprim17ROCPRIM_400000_NS6detail17trampoline_kernelINS0_14default_configENS1_35adjacent_difference_config_selectorILb1EsEEZNS1_24adjacent_difference_implIS3_Lb1ELb0EPKsPsN6thrust23THRUST_200600_302600_NS4plusIsEEEE10hipError_tPvRmT2_T3_mT4_P12ihipStream_tbEUlT_E_NS1_11comp_targetILNS1_3genE3ELNS1_11target_archE908ELNS1_3gpuE7ELNS1_3repE0EEENS1_30default_config_static_selectorELNS0_4arch9wavefront6targetE1EEEvT1_
                                        ; -- End function
	.set _ZN7rocprim17ROCPRIM_400000_NS6detail17trampoline_kernelINS0_14default_configENS1_35adjacent_difference_config_selectorILb1EsEEZNS1_24adjacent_difference_implIS3_Lb1ELb0EPKsPsN6thrust23THRUST_200600_302600_NS4plusIsEEEE10hipError_tPvRmT2_T3_mT4_P12ihipStream_tbEUlT_E_NS1_11comp_targetILNS1_3genE3ELNS1_11target_archE908ELNS1_3gpuE7ELNS1_3repE0EEENS1_30default_config_static_selectorELNS0_4arch9wavefront6targetE1EEEvT1_.num_vgpr, 0
	.set _ZN7rocprim17ROCPRIM_400000_NS6detail17trampoline_kernelINS0_14default_configENS1_35adjacent_difference_config_selectorILb1EsEEZNS1_24adjacent_difference_implIS3_Lb1ELb0EPKsPsN6thrust23THRUST_200600_302600_NS4plusIsEEEE10hipError_tPvRmT2_T3_mT4_P12ihipStream_tbEUlT_E_NS1_11comp_targetILNS1_3genE3ELNS1_11target_archE908ELNS1_3gpuE7ELNS1_3repE0EEENS1_30default_config_static_selectorELNS0_4arch9wavefront6targetE1EEEvT1_.num_agpr, 0
	.set _ZN7rocprim17ROCPRIM_400000_NS6detail17trampoline_kernelINS0_14default_configENS1_35adjacent_difference_config_selectorILb1EsEEZNS1_24adjacent_difference_implIS3_Lb1ELb0EPKsPsN6thrust23THRUST_200600_302600_NS4plusIsEEEE10hipError_tPvRmT2_T3_mT4_P12ihipStream_tbEUlT_E_NS1_11comp_targetILNS1_3genE3ELNS1_11target_archE908ELNS1_3gpuE7ELNS1_3repE0EEENS1_30default_config_static_selectorELNS0_4arch9wavefront6targetE1EEEvT1_.numbered_sgpr, 0
	.set _ZN7rocprim17ROCPRIM_400000_NS6detail17trampoline_kernelINS0_14default_configENS1_35adjacent_difference_config_selectorILb1EsEEZNS1_24adjacent_difference_implIS3_Lb1ELb0EPKsPsN6thrust23THRUST_200600_302600_NS4plusIsEEEE10hipError_tPvRmT2_T3_mT4_P12ihipStream_tbEUlT_E_NS1_11comp_targetILNS1_3genE3ELNS1_11target_archE908ELNS1_3gpuE7ELNS1_3repE0EEENS1_30default_config_static_selectorELNS0_4arch9wavefront6targetE1EEEvT1_.num_named_barrier, 0
	.set _ZN7rocprim17ROCPRIM_400000_NS6detail17trampoline_kernelINS0_14default_configENS1_35adjacent_difference_config_selectorILb1EsEEZNS1_24adjacent_difference_implIS3_Lb1ELb0EPKsPsN6thrust23THRUST_200600_302600_NS4plusIsEEEE10hipError_tPvRmT2_T3_mT4_P12ihipStream_tbEUlT_E_NS1_11comp_targetILNS1_3genE3ELNS1_11target_archE908ELNS1_3gpuE7ELNS1_3repE0EEENS1_30default_config_static_selectorELNS0_4arch9wavefront6targetE1EEEvT1_.private_seg_size, 0
	.set _ZN7rocprim17ROCPRIM_400000_NS6detail17trampoline_kernelINS0_14default_configENS1_35adjacent_difference_config_selectorILb1EsEEZNS1_24adjacent_difference_implIS3_Lb1ELb0EPKsPsN6thrust23THRUST_200600_302600_NS4plusIsEEEE10hipError_tPvRmT2_T3_mT4_P12ihipStream_tbEUlT_E_NS1_11comp_targetILNS1_3genE3ELNS1_11target_archE908ELNS1_3gpuE7ELNS1_3repE0EEENS1_30default_config_static_selectorELNS0_4arch9wavefront6targetE1EEEvT1_.uses_vcc, 0
	.set _ZN7rocprim17ROCPRIM_400000_NS6detail17trampoline_kernelINS0_14default_configENS1_35adjacent_difference_config_selectorILb1EsEEZNS1_24adjacent_difference_implIS3_Lb1ELb0EPKsPsN6thrust23THRUST_200600_302600_NS4plusIsEEEE10hipError_tPvRmT2_T3_mT4_P12ihipStream_tbEUlT_E_NS1_11comp_targetILNS1_3genE3ELNS1_11target_archE908ELNS1_3gpuE7ELNS1_3repE0EEENS1_30default_config_static_selectorELNS0_4arch9wavefront6targetE1EEEvT1_.uses_flat_scratch, 0
	.set _ZN7rocprim17ROCPRIM_400000_NS6detail17trampoline_kernelINS0_14default_configENS1_35adjacent_difference_config_selectorILb1EsEEZNS1_24adjacent_difference_implIS3_Lb1ELb0EPKsPsN6thrust23THRUST_200600_302600_NS4plusIsEEEE10hipError_tPvRmT2_T3_mT4_P12ihipStream_tbEUlT_E_NS1_11comp_targetILNS1_3genE3ELNS1_11target_archE908ELNS1_3gpuE7ELNS1_3repE0EEENS1_30default_config_static_selectorELNS0_4arch9wavefront6targetE1EEEvT1_.has_dyn_sized_stack, 0
	.set _ZN7rocprim17ROCPRIM_400000_NS6detail17trampoline_kernelINS0_14default_configENS1_35adjacent_difference_config_selectorILb1EsEEZNS1_24adjacent_difference_implIS3_Lb1ELb0EPKsPsN6thrust23THRUST_200600_302600_NS4plusIsEEEE10hipError_tPvRmT2_T3_mT4_P12ihipStream_tbEUlT_E_NS1_11comp_targetILNS1_3genE3ELNS1_11target_archE908ELNS1_3gpuE7ELNS1_3repE0EEENS1_30default_config_static_selectorELNS0_4arch9wavefront6targetE1EEEvT1_.has_recursion, 0
	.set _ZN7rocprim17ROCPRIM_400000_NS6detail17trampoline_kernelINS0_14default_configENS1_35adjacent_difference_config_selectorILb1EsEEZNS1_24adjacent_difference_implIS3_Lb1ELb0EPKsPsN6thrust23THRUST_200600_302600_NS4plusIsEEEE10hipError_tPvRmT2_T3_mT4_P12ihipStream_tbEUlT_E_NS1_11comp_targetILNS1_3genE3ELNS1_11target_archE908ELNS1_3gpuE7ELNS1_3repE0EEENS1_30default_config_static_selectorELNS0_4arch9wavefront6targetE1EEEvT1_.has_indirect_call, 0
	.section	.AMDGPU.csdata,"",@progbits
; Kernel info:
; codeLenInByte = 0
; TotalNumSgprs: 4
; NumVgprs: 0
; ScratchSize: 0
; MemoryBound: 0
; FloatMode: 240
; IeeeMode: 1
; LDSByteSize: 0 bytes/workgroup (compile time only)
; SGPRBlocks: 0
; VGPRBlocks: 0
; NumSGPRsForWavesPerEU: 4
; NumVGPRsForWavesPerEU: 1
; Occupancy: 10
; WaveLimiterHint : 0
; COMPUTE_PGM_RSRC2:SCRATCH_EN: 0
; COMPUTE_PGM_RSRC2:USER_SGPR: 6
; COMPUTE_PGM_RSRC2:TRAP_HANDLER: 0
; COMPUTE_PGM_RSRC2:TGID_X_EN: 1
; COMPUTE_PGM_RSRC2:TGID_Y_EN: 0
; COMPUTE_PGM_RSRC2:TGID_Z_EN: 0
; COMPUTE_PGM_RSRC2:TIDIG_COMP_CNT: 0
	.section	.text._ZN7rocprim17ROCPRIM_400000_NS6detail17trampoline_kernelINS0_14default_configENS1_35adjacent_difference_config_selectorILb1EsEEZNS1_24adjacent_difference_implIS3_Lb1ELb0EPKsPsN6thrust23THRUST_200600_302600_NS4plusIsEEEE10hipError_tPvRmT2_T3_mT4_P12ihipStream_tbEUlT_E_NS1_11comp_targetILNS1_3genE2ELNS1_11target_archE906ELNS1_3gpuE6ELNS1_3repE0EEENS1_30default_config_static_selectorELNS0_4arch9wavefront6targetE1EEEvT1_,"axG",@progbits,_ZN7rocprim17ROCPRIM_400000_NS6detail17trampoline_kernelINS0_14default_configENS1_35adjacent_difference_config_selectorILb1EsEEZNS1_24adjacent_difference_implIS3_Lb1ELb0EPKsPsN6thrust23THRUST_200600_302600_NS4plusIsEEEE10hipError_tPvRmT2_T3_mT4_P12ihipStream_tbEUlT_E_NS1_11comp_targetILNS1_3genE2ELNS1_11target_archE906ELNS1_3gpuE6ELNS1_3repE0EEENS1_30default_config_static_selectorELNS0_4arch9wavefront6targetE1EEEvT1_,comdat
	.protected	_ZN7rocprim17ROCPRIM_400000_NS6detail17trampoline_kernelINS0_14default_configENS1_35adjacent_difference_config_selectorILb1EsEEZNS1_24adjacent_difference_implIS3_Lb1ELb0EPKsPsN6thrust23THRUST_200600_302600_NS4plusIsEEEE10hipError_tPvRmT2_T3_mT4_P12ihipStream_tbEUlT_E_NS1_11comp_targetILNS1_3genE2ELNS1_11target_archE906ELNS1_3gpuE6ELNS1_3repE0EEENS1_30default_config_static_selectorELNS0_4arch9wavefront6targetE1EEEvT1_ ; -- Begin function _ZN7rocprim17ROCPRIM_400000_NS6detail17trampoline_kernelINS0_14default_configENS1_35adjacent_difference_config_selectorILb1EsEEZNS1_24adjacent_difference_implIS3_Lb1ELb0EPKsPsN6thrust23THRUST_200600_302600_NS4plusIsEEEE10hipError_tPvRmT2_T3_mT4_P12ihipStream_tbEUlT_E_NS1_11comp_targetILNS1_3genE2ELNS1_11target_archE906ELNS1_3gpuE6ELNS1_3repE0EEENS1_30default_config_static_selectorELNS0_4arch9wavefront6targetE1EEEvT1_
	.globl	_ZN7rocprim17ROCPRIM_400000_NS6detail17trampoline_kernelINS0_14default_configENS1_35adjacent_difference_config_selectorILb1EsEEZNS1_24adjacent_difference_implIS3_Lb1ELb0EPKsPsN6thrust23THRUST_200600_302600_NS4plusIsEEEE10hipError_tPvRmT2_T3_mT4_P12ihipStream_tbEUlT_E_NS1_11comp_targetILNS1_3genE2ELNS1_11target_archE906ELNS1_3gpuE6ELNS1_3repE0EEENS1_30default_config_static_selectorELNS0_4arch9wavefront6targetE1EEEvT1_
	.p2align	8
	.type	_ZN7rocprim17ROCPRIM_400000_NS6detail17trampoline_kernelINS0_14default_configENS1_35adjacent_difference_config_selectorILb1EsEEZNS1_24adjacent_difference_implIS3_Lb1ELb0EPKsPsN6thrust23THRUST_200600_302600_NS4plusIsEEEE10hipError_tPvRmT2_T3_mT4_P12ihipStream_tbEUlT_E_NS1_11comp_targetILNS1_3genE2ELNS1_11target_archE906ELNS1_3gpuE6ELNS1_3repE0EEENS1_30default_config_static_selectorELNS0_4arch9wavefront6targetE1EEEvT1_,@function
_ZN7rocprim17ROCPRIM_400000_NS6detail17trampoline_kernelINS0_14default_configENS1_35adjacent_difference_config_selectorILb1EsEEZNS1_24adjacent_difference_implIS3_Lb1ELb0EPKsPsN6thrust23THRUST_200600_302600_NS4plusIsEEEE10hipError_tPvRmT2_T3_mT4_P12ihipStream_tbEUlT_E_NS1_11comp_targetILNS1_3genE2ELNS1_11target_archE906ELNS1_3gpuE6ELNS1_3repE0EEENS1_30default_config_static_selectorELNS0_4arch9wavefront6targetE1EEEvT1_: ; @_ZN7rocprim17ROCPRIM_400000_NS6detail17trampoline_kernelINS0_14default_configENS1_35adjacent_difference_config_selectorILb1EsEEZNS1_24adjacent_difference_implIS3_Lb1ELb0EPKsPsN6thrust23THRUST_200600_302600_NS4plusIsEEEE10hipError_tPvRmT2_T3_mT4_P12ihipStream_tbEUlT_E_NS1_11comp_targetILNS1_3genE2ELNS1_11target_archE906ELNS1_3gpuE6ELNS1_3repE0EEENS1_30default_config_static_selectorELNS0_4arch9wavefront6targetE1EEEvT1_
; %bb.0:
	s_load_dwordx8 s[8:15], s[4:5], 0x0
	s_load_dwordx4 s[16:19], s[4:5], 0x28
	s_mul_i32 s20, s6, 0x440
	s_mov_b32 s7, 0
	s_mov_b64 s[22:23], -1
	s_waitcnt lgkmcnt(0)
	s_lshl_b64 s[10:11], s[10:11], 1
	s_add_u32 s26, s8, s10
	s_addc_u32 s27, s9, s11
	s_mul_i32 s3, s15, 0xf0f0f0f1
	s_mul_hi_u32 s4, s14, 0xf0f0f0f1
	s_mul_hi_u32 s2, s15, 0xf0f0f0f1
	s_add_u32 s3, s3, s4
	s_mul_i32 s1, s14, 0xf0f0f0f0
	s_addc_u32 s2, s2, 0
	s_mul_hi_u32 s0, s14, 0xf0f0f0f0
	s_add_u32 s1, s1, s3
	s_addc_u32 s0, s0, 0
	s_add_u32 s0, s2, s0
	s_addc_u32 s1, 0, 0
	s_mul_i32 s3, s15, 0xf0f0f0f0
	s_mul_hi_u32 s2, s15, 0xf0f0f0f0
	s_add_u32 s0, s3, s0
	s_addc_u32 s1, s2, s1
	s_lshr_b64 s[2:3], s[0:1], 10
	s_lshr_b32 s0, s1, 10
	s_mulk_i32 s0, 0x440
	s_mul_hi_u32 s1, s2, 0x440
	s_add_i32 s1, s1, s0
	s_mul_i32 s0, s2, 0x440
	s_sub_u32 s0, s14, s0
	s_subb_u32 s1, s15, s1
	s_cmp_lg_u64 s[0:1], 0
	s_cselect_b64 s[0:1], -1, 0
	v_cndmask_b32_e64 v1, 0, 1, s[0:1]
	v_readfirstlane_b32 s0, v1
	s_add_u32 s4, s2, s0
	s_addc_u32 s5, s3, 0
	s_add_u32 s2, s18, s6
	s_addc_u32 s3, s19, 0
	s_add_u32 s8, s4, -1
	s_addc_u32 s9, s5, -1
	v_mov_b32_e32 v1, s8
	v_mov_b32_e32 v2, s9
	v_cmp_ge_u64_e64 s[0:1], s[2:3], v[1:2]
	s_mul_i32 s15, s8, 0xfffffbc0
	s_and_b64 vcc, exec, s[0:1]
	s_cbranch_vccz .LBB770_36
; %bb.1:
	s_mov_b32 s21, s7
	s_add_i32 s28, s15, s14
	s_lshl_b64 s[22:23], s[20:21], 1
	s_add_u32 s22, s26, s22
	v_mov_b32_e32 v1, 0
	s_addc_u32 s23, s27, s23
	v_cmp_gt_u32_e32 vcc, s28, v0
	v_mov_b32_e32 v2, v1
	v_mov_b32_e32 v3, v1
	;; [unrolled: 1-line block ×8, first 2 shown]
	s_and_saveexec_b64 s[24:25], vcc
	s_cbranch_execz .LBB770_3
; %bb.2:
	v_mov_b32_e32 v2, v1
	v_mov_b32_e32 v3, v1
	;; [unrolled: 1-line block ×8, first 2 shown]
	v_lshlrev_b32_e32 v1, 1, v0
	global_load_ushort v1, v1, s[22:23]
	s_waitcnt vmcnt(0)
	v_and_b32_e32 v1, 0xffff, v1
.LBB770_3:
	s_or_b64 exec, exec, s[24:25]
	v_or_b32_e32 v10, 64, v0
	v_cmp_gt_u32_e32 vcc, s28, v10
	s_and_saveexec_b64 s[24:25], vcc
	s_cbranch_execz .LBB770_5
; %bb.4:
	v_lshlrev_b32_e32 v10, 1, v0
	global_load_ushort v10, v10, s[22:23] offset:128
	s_mov_b32 s21, 0x5040100
	s_waitcnt vmcnt(0)
	v_perm_b32 v1, v10, v1, s21
.LBB770_5:
	s_or_b64 exec, exec, s[24:25]
	v_or_b32_e32 v10, 0x80, v0
	v_cmp_gt_u32_e32 vcc, s28, v10
	s_and_saveexec_b64 s[24:25], vcc
	s_cbranch_execz .LBB770_7
; %bb.6:
	v_lshlrev_b32_e32 v10, 1, v0
	global_load_ushort v10, v10, s[22:23] offset:256
	s_mov_b32 s21, 0xffff
	s_waitcnt vmcnt(0)
	v_bfi_b32 v2, s21, v10, v2
.LBB770_7:
	s_or_b64 exec, exec, s[24:25]
	v_or_b32_e32 v10, 0xc0, v0
	v_cmp_gt_u32_e32 vcc, s28, v10
	s_and_saveexec_b64 s[24:25], vcc
	s_cbranch_execz .LBB770_9
; %bb.8:
	v_lshlrev_b32_e32 v10, 1, v0
	global_load_ushort v10, v10, s[22:23] offset:384
	s_mov_b32 s21, 0x5040100
	s_waitcnt vmcnt(0)
	v_perm_b32 v2, v10, v2, s21
.LBB770_9:
	s_or_b64 exec, exec, s[24:25]
	v_or_b32_e32 v10, 0x100, v0
	v_cmp_gt_u32_e32 vcc, s28, v10
	s_and_saveexec_b64 s[24:25], vcc
	s_cbranch_execz .LBB770_11
; %bb.10:
	v_lshlrev_b32_e32 v10, 1, v0
	global_load_ushort v10, v10, s[22:23] offset:512
	s_mov_b32 s21, 0xffff
	s_waitcnt vmcnt(0)
	v_bfi_b32 v3, s21, v10, v3
.LBB770_11:
	;; [unrolled: 24-line block ×7, first 2 shown]
	s_or_b64 exec, exec, s[24:25]
	v_or_b32_e32 v10, 0x3c0, v0
	v_cmp_gt_u32_e32 vcc, s28, v10
	s_and_saveexec_b64 s[24:25], vcc
	s_cbranch_execz .LBB770_33
; %bb.32:
	v_lshlrev_b32_e32 v10, 1, v0
	global_load_ushort v10, v10, s[22:23] offset:1920
	s_mov_b32 s21, 0x5040100
	s_waitcnt vmcnt(0)
	v_perm_b32 v8, v10, v8, s21
.LBB770_33:
	s_or_b64 exec, exec, s[24:25]
	v_or_b32_e32 v10, 0x400, v0
	v_cmp_gt_u32_e32 vcc, s28, v10
	s_and_saveexec_b64 s[24:25], vcc
	s_cbranch_execz .LBB770_35
; %bb.34:
	v_lshlrev_b32_e32 v9, 1, v0
	global_load_ushort v9, v9, s[22:23] offset:2048
.LBB770_35:
	s_or_b64 exec, exec, s[24:25]
	v_lshlrev_b32_e32 v10, 1, v0
	s_mov_b64 s[22:23], 0
	ds_write_b16 v10, v1
	ds_write_b16_d16_hi v10, v1 offset:128
	ds_write_b16 v10, v2 offset:256
	ds_write_b16_d16_hi v10, v2 offset:384
	ds_write_b16 v10, v3 offset:512
	;; [unrolled: 2-line block ×7, first 2 shown]
	ds_write_b16_d16_hi v10, v8 offset:1920
	s_waitcnt vmcnt(0)
	ds_write_b16 v10, v9 offset:2048
	s_waitcnt lgkmcnt(0)
	; wave barrier
.LBB770_36:
	s_and_b64 vcc, exec, s[22:23]
	v_lshlrev_b32_e32 v11, 1, v0
	s_cbranch_vccz .LBB770_38
; %bb.37:
	s_mov_b32 s21, 0
	s_lshl_b64 s[22:23], s[20:21], 1
	s_add_u32 s22, s26, s22
	s_addc_u32 s23, s27, s23
	global_load_ushort v1, v11, s[22:23]
	global_load_ushort v2, v11, s[22:23] offset:128
	global_load_ushort v3, v11, s[22:23] offset:256
	;; [unrolled: 1-line block ×16, first 2 shown]
	s_waitcnt vmcnt(16)
	ds_write_b16 v11, v1
	s_waitcnt vmcnt(15)
	ds_write_b16 v11, v2 offset:128
	s_waitcnt vmcnt(14)
	ds_write_b16 v11, v3 offset:256
	;; [unrolled: 2-line block ×16, first 2 shown]
	s_waitcnt lgkmcnt(0)
	; wave barrier
.LBB770_38:
	v_mul_u32_u24_e32 v12, 34, v0
	ds_read_b32 v9, v12
	ds_read_b32 v15, v12 offset:2
	ds_read_b32 v22, v12 offset:4
	;; [unrolled: 1-line block ×13, first 2 shown]
	ds_read_u16 v28, v12 offset:28
	ds_read_u16 v10, v12 offset:30
	;; [unrolled: 1-line block ×3, first 2 shown]
	s_cmp_eq_u64 s[2:3], 0
	s_waitcnt lgkmcnt(0)
	; wave barrier
	s_cbranch_scc1 .LBB770_43
; %bb.39:
	s_lshl_b64 s[18:19], s[18:19], 1
	s_add_u32 s16, s16, s18
	s_addc_u32 s17, s17, s19
	s_lshl_b64 s[6:7], s[6:7], 1
	s_add_u32 s6, s16, s6
	s_addc_u32 s7, s17, s7
	v_mov_b32_e32 v1, 0
	global_load_ushort v29, v1, s[6:7] offset:-2
	s_cmp_eq_u64 s[2:3], s[8:9]
	s_cbranch_scc1 .LBB770_44
; %bb.40:
	v_cmp_ne_u32_e32 vcc, 0, v0
	s_waitcnt vmcnt(0)
	v_mov_b32_e32 v14, v29
	ds_write_b16 v11, v4
	s_waitcnt lgkmcnt(0)
	; wave barrier
	s_and_saveexec_b64 s[6:7], vcc
; %bb.41:
	v_add_u32_e32 v1, -2, v11
	ds_read_u16 v14, v1
; %bb.42:
	s_or_b64 exec, exec, s[6:7]
	v_add_u16_e32 v13, v10, v28
	v_pk_add_u16 v3, v21, v27
	v_pk_add_u16 v2, v20, v26
	;; [unrolled: 1-line block ×7, first 2 shown]
	s_waitcnt lgkmcnt(0)
	v_add_u16_e32 v14, v14, v9
	v_mov_b32_e32 v30, v10
	s_branch .LBB770_48
.LBB770_43:
                                        ; implicit-def: $vgpr3
                                        ; implicit-def: $vgpr8
                                        ; implicit-def: $vgpr30
                                        ; implicit-def: $vgpr13
                                        ; implicit-def: $vgpr14
	s_branch .LBB770_49
.LBB770_44:
                                        ; implicit-def: $vgpr3
                                        ; implicit-def: $vgpr8
                                        ; implicit-def: $vgpr13
                                        ; implicit-def: $vgpr14
	v_mov_b32_e32 v30, v10
	s_cbranch_execz .LBB770_48
; %bb.45:
	v_mul_u32_u24_e32 v14, 17, v0
	v_cmp_ne_u32_e32 vcc, 0, v0
	ds_write_b16 v11, v4
	s_waitcnt lgkmcnt(0)
	; wave barrier
	s_and_saveexec_b64 s[6:7], vcc
	s_cbranch_execz .LBB770_47
; %bb.46:
	v_add_u32_e32 v1, -2, v11
	s_waitcnt vmcnt(0)
	ds_read_u16 v29, v1
.LBB770_47:
	s_or_b64 exec, exec, s[6:7]
	s_mulk_i32 s2, 0xfbc0
	s_add_i32 s6, s2, s14
	v_add_u32_e32 v1, 13, v14
	v_add_u32_e32 v2, 14, v14
	v_cmp_gt_u32_e32 vcc, s6, v1
	v_cndmask_b32_e32 v1, 0, v27, vcc
	v_lshrrev_b32_e32 v3, 16, v27
	v_cmp_gt_u32_e32 vcc, s6, v2
	v_cndmask_b32_e32 v2, 0, v3, vcc
	s_mov_b32 s7, 0x5040100
	v_perm_b32 v1, v2, v1, s7
	v_pk_add_u16 v3, v1, v21
	v_add_u32_e32 v1, 11, v14
	v_add_u32_e32 v2, 12, v14
	v_cmp_gt_u32_e32 vcc, s6, v2
	v_cmp_gt_u32_e64 s[2:3], s6, v1
	v_mov_b32_e32 v5, 0
	v_cndmask_b32_e64 v1, 0, v26, s[2:3]
	v_cndmask_b32_sdwa v2, v5, v26, vcc dst_sel:DWORD dst_unused:UNUSED_PAD src0_sel:DWORD src1_sel:WORD_1
	v_perm_b32 v1, v2, v1, s7
	v_pk_add_u16 v2, v1, v20
	v_add_u32_e32 v1, 9, v14
	v_add_u32_e32 v6, 10, v14
	v_cmp_gt_u32_e32 vcc, s6, v6
	v_cmp_gt_u32_e64 s[2:3], s6, v1
	v_cndmask_b32_e64 v1, 0, v25, s[2:3]
	v_cndmask_b32_sdwa v6, v5, v25, vcc dst_sel:DWORD dst_unused:UNUSED_PAD src0_sel:DWORD src1_sel:WORD_1
	v_perm_b32 v1, v6, v1, s7
	v_add_u32_e32 v6, 7, v14
	v_add_u32_e32 v7, 8, v14
	v_cmp_gt_u32_e32 vcc, s6, v7
	v_cmp_gt_u32_e64 s[2:3], s6, v6
	v_cndmask_b32_e64 v6, 0, v24, s[2:3]
	v_cndmask_b32_sdwa v7, v5, v24, vcc dst_sel:DWORD dst_unused:UNUSED_PAD src0_sel:DWORD src1_sel:WORD_1
	v_perm_b32 v6, v7, v6, s7
	;; [unrolled: 7-line block ×3, first 2 shown]
	v_pk_add_u16 v8, v6, v18
	v_add_u32_e32 v6, 4, v14
	v_cmp_gt_u32_e32 vcc, s6, v6
	v_add_u32_e32 v6, 3, v14
	v_cmp_gt_u32_e64 s[2:3], s6, v6
	v_cndmask_b32_e64 v6, 0, v22, s[2:3]
	v_cndmask_b32_sdwa v13, v5, v22, vcc dst_sel:DWORD dst_unused:UNUSED_PAD src0_sel:DWORD src1_sel:WORD_1
	v_perm_b32 v6, v13, v6, s7
	v_add_u32_e32 v13, 2, v14
	v_cmp_gt_u32_e32 vcc, s6, v13
	v_add_u32_e32 v13, 1, v14
	v_cmp_gt_u32_e64 s[2:3], s6, v13
	v_cndmask_b32_e64 v13, 0, v9, s[2:3]
	v_cndmask_b32_sdwa v5, v5, v9, vcc dst_sel:DWORD dst_unused:UNUSED_PAD src0_sel:DWORD src1_sel:WORD_1
	v_perm_b32 v5, v5, v13, s7
	v_add_u32_e32 v13, 16, v14
	v_cmp_gt_u32_e32 vcc, s6, v13
	v_add_u32_e32 v13, 15, v14
	v_cndmask_b32_e32 v30, 0, v10, vcc
	v_cmp_gt_u32_e32 vcc, s6, v13
	v_cndmask_b32_e32 v13, 0, v28, vcc
	v_cmp_gt_u32_e32 vcc, s6, v14
	s_waitcnt vmcnt(0) lgkmcnt(0)
	v_cndmask_b32_e32 v14, 0, v29, vcc
	v_pk_add_u16 v1, v1, v19
	v_pk_add_u16 v7, v7, v17
	;; [unrolled: 1-line block ×4, first 2 shown]
	v_add_u16_e32 v13, v13, v10
	v_add_u16_e32 v14, v14, v9
.LBB770_48:
	s_cbranch_execnz .LBB770_58
.LBB770_49:
	s_cmp_eq_u64 s[4:5], 1
	v_cmp_ne_u32_e32 vcc, 0, v0
	s_cbranch_scc1 .LBB770_53
; %bb.50:
	v_mov_b32_e32 v14, v9
	ds_write_b16 v11, v4
	s_waitcnt lgkmcnt(0)
	; wave barrier
	s_and_saveexec_b64 s[2:3], vcc
	s_cbranch_execz .LBB770_52
; %bb.51:
	v_add_u32_e32 v1, -2, v11
	ds_read_u16 v1, v1
	s_waitcnt lgkmcnt(0)
	v_add_u16_e32 v14, v1, v9
.LBB770_52:
	s_or_b64 exec, exec, s[2:3]
	v_add_u16_e32 v13, v10, v28
	v_pk_add_u16 v3, v21, v27
	v_pk_add_u16 v2, v20, v26
	;; [unrolled: 1-line block ×7, first 2 shown]
	s_cbranch_execz .LBB770_54
	s_branch .LBB770_57
.LBB770_53:
                                        ; implicit-def: $vgpr3
                                        ; implicit-def: $vgpr8
                                        ; implicit-def: $vgpr13
                                        ; implicit-def: $vgpr14
.LBB770_54:
	v_mad_u32_u24 v1, v0, 17, 16
	v_cmp_gt_u32_e64 s[2:3], s14, v1
	v_mad_u32_u24 v1, v0, 17, 15
	v_cmp_gt_u32_e32 vcc, s14, v1
	v_mad_u32_u24 v2, v0, 17, 13
	v_mad_u32_u24 v5, v0, 17, 14
	v_cndmask_b32_e32 v1, 0, v28, vcc
	v_cmp_gt_u32_e32 vcc, s14, v5
	v_cmp_gt_u32_e64 s[4:5], s14, v2
	v_mov_b32_e32 v8, 0
	v_cndmask_b32_e64 v2, 0, v27, s[4:5]
	v_cndmask_b32_sdwa v5, v8, v27, vcc dst_sel:DWORD dst_unused:UNUSED_PAD src0_sel:DWORD src1_sel:WORD_1
	s_mov_b32 s6, 0x5040100
	v_perm_b32 v2, v5, v2, s6
	v_mad_u32_u24 v5, v0, 17, 11
	v_mad_u32_u24 v6, v0, 17, 12
	v_cmp_gt_u32_e32 vcc, s14, v6
	v_cmp_gt_u32_e64 s[4:5], s14, v5
	v_cndmask_b32_e64 v5, 0, v26, s[4:5]
	v_cndmask_b32_sdwa v6, v8, v26, vcc dst_sel:DWORD dst_unused:UNUSED_PAD src0_sel:DWORD src1_sel:WORD_1
	v_perm_b32 v5, v6, v5, s6
	v_mad_u32_u24 v6, v0, 17, 9
	v_mad_u32_u24 v7, v0, 17, 10
	v_cmp_gt_u32_e32 vcc, s14, v7
	v_cmp_gt_u32_e64 s[4:5], s14, v6
	v_cndmask_b32_e64 v6, 0, v25, s[4:5]
	v_cndmask_b32_sdwa v7, v8, v25, vcc dst_sel:DWORD dst_unused:UNUSED_PAD src0_sel:DWORD src1_sel:WORD_1
	;; [unrolled: 7-line block ×5, first 2 shown]
	v_perm_b32 v22, v22, v13, s6
	v_mad_u32_u24 v13, v0, 17, 1
	v_mad_u32_u24 v23, v0, 17, 2
	v_mul_u32_u24_e32 v3, 17, v0
	v_cmp_gt_u32_e32 vcc, s14, v23
	v_cmp_gt_u32_e64 s[4:5], s14, v13
	v_cndmask_b32_e64 v13, 0, v9, s[4:5]
	v_cndmask_b32_sdwa v8, v8, v9, vcc dst_sel:DWORD dst_unused:UNUSED_PAD src0_sel:DWORD src1_sel:WORD_1
	v_cmp_ne_u32_e32 vcc, 0, v0
	v_cmp_gt_u32_e64 s[4:5], s14, v3
	v_perm_b32 v23, v8, v13, s6
	s_and_b64 s[6:7], vcc, s[4:5]
	ds_write_b16 v11, v4
	s_waitcnt lgkmcnt(0)
	; wave barrier
	s_and_saveexec_b64 s[4:5], s[6:7]
	s_cbranch_execz .LBB770_56
; %bb.55:
	v_add_u32_e32 v3, -2, v11
	ds_read_u16 v3, v3
	s_waitcnt lgkmcnt(0)
	v_add_u16_e32 v9, v3, v9
.LBB770_56:
	s_or_b64 exec, exec, s[4:5]
	v_cndmask_b32_e64 v24, 0, v10, s[2:3]
	v_add_u16_e32 v13, v1, v10
	v_pk_add_u16 v3, v2, v21
	v_pk_add_u16 v2, v5, v20
	;; [unrolled: 1-line block ×7, first 2 shown]
	v_mov_b32_e32 v10, v24
	v_mov_b32_e32 v14, v9
.LBB770_57:
	v_mov_b32_e32 v30, v10
.LBB770_58:
	s_add_u32 s4, s12, s10
	s_addc_u32 s5, s13, s11
	v_add_u16_e32 v16, v30, v4
	s_and_b64 vcc, exec, s[0:1]
	v_lshlrev_b32_e32 v15, 5, v0
	; wave barrier
	s_cbranch_vccz .LBB770_92
; %bb.59:
	s_mov_b32 s2, 0x5040100
	v_perm_b32 v4, v16, v13, s2
	ds_write_b16 v12, v14
	ds_write_b128 v12, v[5:8] offset:2
	ds_write_b128 v12, v[1:4] offset:18
	v_sub_u32_e32 v4, v12, v15
	s_waitcnt lgkmcnt(0)
	; wave barrier
	ds_read_u16 v31, v4 offset:128
	ds_read_u16 v30, v4 offset:256
	s_waitcnt vmcnt(0)
	ds_read_u16 v29, v4 offset:384
	ds_read_u16 v28, v4 offset:512
	;; [unrolled: 1-line block ×14, first 2 shown]
	s_mov_b32 s21, 0
	s_add_i32 s15, s15, s14
	s_lshl_b64 s[0:1], s[20:21], 1
	s_add_u32 s0, s4, s0
	s_addc_u32 s1, s5, s1
	v_mov_b32_e32 v10, s1
	v_add_co_u32_e32 v9, vcc, s0, v11
	v_addc_co_u32_e32 v10, vcc, 0, v10, vcc
	v_cmp_gt_u32_e32 vcc, s15, v0
	s_and_saveexec_b64 s[0:1], vcc
	s_cbranch_execz .LBB770_61
; %bb.60:
	v_sub_u32_e32 v32, 0, v15
	v_add_u32_e32 v32, v12, v32
	ds_read_u16 v32, v32
	s_waitcnt lgkmcnt(0)
	global_store_short v[9:10], v32, off
.LBB770_61:
	s_or_b64 exec, exec, s[0:1]
	v_or_b32_e32 v32, 64, v0
	v_cmp_gt_u32_e32 vcc, s15, v32
	s_and_saveexec_b64 s[0:1], vcc
	s_cbranch_execz .LBB770_63
; %bb.62:
	s_waitcnt lgkmcnt(14)
	global_store_short v[9:10], v31, off offset:128
.LBB770_63:
	s_or_b64 exec, exec, s[0:1]
	s_waitcnt lgkmcnt(14)
	v_or_b32_e32 v31, 0x80, v0
	v_cmp_gt_u32_e32 vcc, s15, v31
	s_and_saveexec_b64 s[0:1], vcc
	s_cbranch_execz .LBB770_65
; %bb.64:
	global_store_short v[9:10], v30, off offset:256
.LBB770_65:
	s_or_b64 exec, exec, s[0:1]
	v_or_b32_e32 v30, 0xc0, v0
	v_cmp_gt_u32_e32 vcc, s15, v30
	s_and_saveexec_b64 s[0:1], vcc
	s_cbranch_execz .LBB770_67
; %bb.66:
	s_waitcnt lgkmcnt(13)
	global_store_short v[9:10], v29, off offset:384
.LBB770_67:
	s_or_b64 exec, exec, s[0:1]
	s_waitcnt lgkmcnt(13)
	v_or_b32_e32 v29, 0x100, v0
	v_cmp_gt_u32_e32 vcc, s15, v29
	s_and_saveexec_b64 s[0:1], vcc
	s_cbranch_execz .LBB770_69
; %bb.68:
	s_waitcnt lgkmcnt(12)
	global_store_short v[9:10], v28, off offset:512
.LBB770_69:
	s_or_b64 exec, exec, s[0:1]
	s_waitcnt lgkmcnt(12)
	;; [unrolled: 10-line block ×12, first 2 shown]
	v_or_b32_e32 v18, 0x3c0, v0
	v_cmp_gt_u32_e32 vcc, s15, v18
	s_and_saveexec_b64 s[0:1], vcc
	s_cbranch_execz .LBB770_91
; %bb.90:
	s_waitcnt lgkmcnt(1)
	global_store_short v[9:10], v17, off offset:1920
.LBB770_91:
	s_or_b64 exec, exec, s[0:1]
	v_or_b32_e32 v0, 0x400, v0
	v_cmp_gt_u32_e64 s[0:1], s15, v0
	s_branch .LBB770_94
.LBB770_92:
	s_mov_b64 s[0:1], 0
                                        ; implicit-def: $vgpr4
                                        ; implicit-def: $vgpr9_vgpr10
	s_cbranch_execz .LBB770_94
; %bb.93:
	s_mov_b32 s21, 0
	s_lshl_b64 s[2:3], s[20:21], 1
	s_add_u32 s2, s4, s2
	s_mov_b32 s4, 0x5040100
	s_waitcnt lgkmcnt(0)
	v_perm_b32 v4, v16, v13, s4
	v_sub_u32_e32 v0, v12, v15
	ds_write_b16 v12, v14
	ds_write_b128 v12, v[5:8] offset:2
	ds_write_b128 v12, v[1:4] offset:18
	s_waitcnt lgkmcnt(0)
	; wave barrier
	ds_read_u16 v1, v0
	ds_read_u16 v2, v0 offset:128
	ds_read_u16 v3, v0 offset:256
	;; [unrolled: 1-line block ×16, first 2 shown]
	s_addc_u32 s3, s5, s3
	v_mov_b32_e32 v0, s3
	v_add_co_u32_e32 v9, vcc, s2, v11
	v_addc_co_u32_e32 v10, vcc, 0, v0, vcc
	s_or_b64 s[0:1], s[0:1], exec
	s_waitcnt lgkmcnt(14)
	global_store_short v11, v1, s[2:3]
	global_store_short v11, v2, s[2:3] offset:128
	global_store_short v11, v3, s[2:3] offset:256
	s_waitcnt lgkmcnt(13)
	global_store_short v11, v5, s[2:3] offset:384
	s_waitcnt lgkmcnt(12)
	;; [unrolled: 2-line block ×13, first 2 shown]
	global_store_short v11, v20, s[2:3] offset:1920
.LBB770_94:
	s_and_saveexec_b64 s[2:3], s[0:1]
	s_cbranch_execnz .LBB770_96
; %bb.95:
	s_endpgm
.LBB770_96:
	s_waitcnt lgkmcnt(0)
	global_store_short v[9:10], v4, off offset:2048
	s_endpgm
	.section	.rodata,"a",@progbits
	.p2align	6, 0x0
	.amdhsa_kernel _ZN7rocprim17ROCPRIM_400000_NS6detail17trampoline_kernelINS0_14default_configENS1_35adjacent_difference_config_selectorILb1EsEEZNS1_24adjacent_difference_implIS3_Lb1ELb0EPKsPsN6thrust23THRUST_200600_302600_NS4plusIsEEEE10hipError_tPvRmT2_T3_mT4_P12ihipStream_tbEUlT_E_NS1_11comp_targetILNS1_3genE2ELNS1_11target_archE906ELNS1_3gpuE6ELNS1_3repE0EEENS1_30default_config_static_selectorELNS0_4arch9wavefront6targetE1EEEvT1_
		.amdhsa_group_segment_fixed_size 2176
		.amdhsa_private_segment_fixed_size 0
		.amdhsa_kernarg_size 56
		.amdhsa_user_sgpr_count 6
		.amdhsa_user_sgpr_private_segment_buffer 1
		.amdhsa_user_sgpr_dispatch_ptr 0
		.amdhsa_user_sgpr_queue_ptr 0
		.amdhsa_user_sgpr_kernarg_segment_ptr 1
		.amdhsa_user_sgpr_dispatch_id 0
		.amdhsa_user_sgpr_flat_scratch_init 0
		.amdhsa_user_sgpr_private_segment_size 0
		.amdhsa_uses_dynamic_stack 0
		.amdhsa_system_sgpr_private_segment_wavefront_offset 0
		.amdhsa_system_sgpr_workgroup_id_x 1
		.amdhsa_system_sgpr_workgroup_id_y 0
		.amdhsa_system_sgpr_workgroup_id_z 0
		.amdhsa_system_sgpr_workgroup_info 0
		.amdhsa_system_vgpr_workitem_id 0
		.amdhsa_next_free_vgpr 33
		.amdhsa_next_free_sgpr 61
		.amdhsa_reserve_vcc 1
		.amdhsa_reserve_flat_scratch 0
		.amdhsa_float_round_mode_32 0
		.amdhsa_float_round_mode_16_64 0
		.amdhsa_float_denorm_mode_32 3
		.amdhsa_float_denorm_mode_16_64 3
		.amdhsa_dx10_clamp 1
		.amdhsa_ieee_mode 1
		.amdhsa_fp16_overflow 0
		.amdhsa_exception_fp_ieee_invalid_op 0
		.amdhsa_exception_fp_denorm_src 0
		.amdhsa_exception_fp_ieee_div_zero 0
		.amdhsa_exception_fp_ieee_overflow 0
		.amdhsa_exception_fp_ieee_underflow 0
		.amdhsa_exception_fp_ieee_inexact 0
		.amdhsa_exception_int_div_zero 0
	.end_amdhsa_kernel
	.section	.text._ZN7rocprim17ROCPRIM_400000_NS6detail17trampoline_kernelINS0_14default_configENS1_35adjacent_difference_config_selectorILb1EsEEZNS1_24adjacent_difference_implIS3_Lb1ELb0EPKsPsN6thrust23THRUST_200600_302600_NS4plusIsEEEE10hipError_tPvRmT2_T3_mT4_P12ihipStream_tbEUlT_E_NS1_11comp_targetILNS1_3genE2ELNS1_11target_archE906ELNS1_3gpuE6ELNS1_3repE0EEENS1_30default_config_static_selectorELNS0_4arch9wavefront6targetE1EEEvT1_,"axG",@progbits,_ZN7rocprim17ROCPRIM_400000_NS6detail17trampoline_kernelINS0_14default_configENS1_35adjacent_difference_config_selectorILb1EsEEZNS1_24adjacent_difference_implIS3_Lb1ELb0EPKsPsN6thrust23THRUST_200600_302600_NS4plusIsEEEE10hipError_tPvRmT2_T3_mT4_P12ihipStream_tbEUlT_E_NS1_11comp_targetILNS1_3genE2ELNS1_11target_archE906ELNS1_3gpuE6ELNS1_3repE0EEENS1_30default_config_static_selectorELNS0_4arch9wavefront6targetE1EEEvT1_,comdat
.Lfunc_end770:
	.size	_ZN7rocprim17ROCPRIM_400000_NS6detail17trampoline_kernelINS0_14default_configENS1_35adjacent_difference_config_selectorILb1EsEEZNS1_24adjacent_difference_implIS3_Lb1ELb0EPKsPsN6thrust23THRUST_200600_302600_NS4plusIsEEEE10hipError_tPvRmT2_T3_mT4_P12ihipStream_tbEUlT_E_NS1_11comp_targetILNS1_3genE2ELNS1_11target_archE906ELNS1_3gpuE6ELNS1_3repE0EEENS1_30default_config_static_selectorELNS0_4arch9wavefront6targetE1EEEvT1_, .Lfunc_end770-_ZN7rocprim17ROCPRIM_400000_NS6detail17trampoline_kernelINS0_14default_configENS1_35adjacent_difference_config_selectorILb1EsEEZNS1_24adjacent_difference_implIS3_Lb1ELb0EPKsPsN6thrust23THRUST_200600_302600_NS4plusIsEEEE10hipError_tPvRmT2_T3_mT4_P12ihipStream_tbEUlT_E_NS1_11comp_targetILNS1_3genE2ELNS1_11target_archE906ELNS1_3gpuE6ELNS1_3repE0EEENS1_30default_config_static_selectorELNS0_4arch9wavefront6targetE1EEEvT1_
                                        ; -- End function
	.set _ZN7rocprim17ROCPRIM_400000_NS6detail17trampoline_kernelINS0_14default_configENS1_35adjacent_difference_config_selectorILb1EsEEZNS1_24adjacent_difference_implIS3_Lb1ELb0EPKsPsN6thrust23THRUST_200600_302600_NS4plusIsEEEE10hipError_tPvRmT2_T3_mT4_P12ihipStream_tbEUlT_E_NS1_11comp_targetILNS1_3genE2ELNS1_11target_archE906ELNS1_3gpuE6ELNS1_3repE0EEENS1_30default_config_static_selectorELNS0_4arch9wavefront6targetE1EEEvT1_.num_vgpr, 33
	.set _ZN7rocprim17ROCPRIM_400000_NS6detail17trampoline_kernelINS0_14default_configENS1_35adjacent_difference_config_selectorILb1EsEEZNS1_24adjacent_difference_implIS3_Lb1ELb0EPKsPsN6thrust23THRUST_200600_302600_NS4plusIsEEEE10hipError_tPvRmT2_T3_mT4_P12ihipStream_tbEUlT_E_NS1_11comp_targetILNS1_3genE2ELNS1_11target_archE906ELNS1_3gpuE6ELNS1_3repE0EEENS1_30default_config_static_selectorELNS0_4arch9wavefront6targetE1EEEvT1_.num_agpr, 0
	.set _ZN7rocprim17ROCPRIM_400000_NS6detail17trampoline_kernelINS0_14default_configENS1_35adjacent_difference_config_selectorILb1EsEEZNS1_24adjacent_difference_implIS3_Lb1ELb0EPKsPsN6thrust23THRUST_200600_302600_NS4plusIsEEEE10hipError_tPvRmT2_T3_mT4_P12ihipStream_tbEUlT_E_NS1_11comp_targetILNS1_3genE2ELNS1_11target_archE906ELNS1_3gpuE6ELNS1_3repE0EEENS1_30default_config_static_selectorELNS0_4arch9wavefront6targetE1EEEvT1_.numbered_sgpr, 29
	.set _ZN7rocprim17ROCPRIM_400000_NS6detail17trampoline_kernelINS0_14default_configENS1_35adjacent_difference_config_selectorILb1EsEEZNS1_24adjacent_difference_implIS3_Lb1ELb0EPKsPsN6thrust23THRUST_200600_302600_NS4plusIsEEEE10hipError_tPvRmT2_T3_mT4_P12ihipStream_tbEUlT_E_NS1_11comp_targetILNS1_3genE2ELNS1_11target_archE906ELNS1_3gpuE6ELNS1_3repE0EEENS1_30default_config_static_selectorELNS0_4arch9wavefront6targetE1EEEvT1_.num_named_barrier, 0
	.set _ZN7rocprim17ROCPRIM_400000_NS6detail17trampoline_kernelINS0_14default_configENS1_35adjacent_difference_config_selectorILb1EsEEZNS1_24adjacent_difference_implIS3_Lb1ELb0EPKsPsN6thrust23THRUST_200600_302600_NS4plusIsEEEE10hipError_tPvRmT2_T3_mT4_P12ihipStream_tbEUlT_E_NS1_11comp_targetILNS1_3genE2ELNS1_11target_archE906ELNS1_3gpuE6ELNS1_3repE0EEENS1_30default_config_static_selectorELNS0_4arch9wavefront6targetE1EEEvT1_.private_seg_size, 0
	.set _ZN7rocprim17ROCPRIM_400000_NS6detail17trampoline_kernelINS0_14default_configENS1_35adjacent_difference_config_selectorILb1EsEEZNS1_24adjacent_difference_implIS3_Lb1ELb0EPKsPsN6thrust23THRUST_200600_302600_NS4plusIsEEEE10hipError_tPvRmT2_T3_mT4_P12ihipStream_tbEUlT_E_NS1_11comp_targetILNS1_3genE2ELNS1_11target_archE906ELNS1_3gpuE6ELNS1_3repE0EEENS1_30default_config_static_selectorELNS0_4arch9wavefront6targetE1EEEvT1_.uses_vcc, 1
	.set _ZN7rocprim17ROCPRIM_400000_NS6detail17trampoline_kernelINS0_14default_configENS1_35adjacent_difference_config_selectorILb1EsEEZNS1_24adjacent_difference_implIS3_Lb1ELb0EPKsPsN6thrust23THRUST_200600_302600_NS4plusIsEEEE10hipError_tPvRmT2_T3_mT4_P12ihipStream_tbEUlT_E_NS1_11comp_targetILNS1_3genE2ELNS1_11target_archE906ELNS1_3gpuE6ELNS1_3repE0EEENS1_30default_config_static_selectorELNS0_4arch9wavefront6targetE1EEEvT1_.uses_flat_scratch, 0
	.set _ZN7rocprim17ROCPRIM_400000_NS6detail17trampoline_kernelINS0_14default_configENS1_35adjacent_difference_config_selectorILb1EsEEZNS1_24adjacent_difference_implIS3_Lb1ELb0EPKsPsN6thrust23THRUST_200600_302600_NS4plusIsEEEE10hipError_tPvRmT2_T3_mT4_P12ihipStream_tbEUlT_E_NS1_11comp_targetILNS1_3genE2ELNS1_11target_archE906ELNS1_3gpuE6ELNS1_3repE0EEENS1_30default_config_static_selectorELNS0_4arch9wavefront6targetE1EEEvT1_.has_dyn_sized_stack, 0
	.set _ZN7rocprim17ROCPRIM_400000_NS6detail17trampoline_kernelINS0_14default_configENS1_35adjacent_difference_config_selectorILb1EsEEZNS1_24adjacent_difference_implIS3_Lb1ELb0EPKsPsN6thrust23THRUST_200600_302600_NS4plusIsEEEE10hipError_tPvRmT2_T3_mT4_P12ihipStream_tbEUlT_E_NS1_11comp_targetILNS1_3genE2ELNS1_11target_archE906ELNS1_3gpuE6ELNS1_3repE0EEENS1_30default_config_static_selectorELNS0_4arch9wavefront6targetE1EEEvT1_.has_recursion, 0
	.set _ZN7rocprim17ROCPRIM_400000_NS6detail17trampoline_kernelINS0_14default_configENS1_35adjacent_difference_config_selectorILb1EsEEZNS1_24adjacent_difference_implIS3_Lb1ELb0EPKsPsN6thrust23THRUST_200600_302600_NS4plusIsEEEE10hipError_tPvRmT2_T3_mT4_P12ihipStream_tbEUlT_E_NS1_11comp_targetILNS1_3genE2ELNS1_11target_archE906ELNS1_3gpuE6ELNS1_3repE0EEENS1_30default_config_static_selectorELNS0_4arch9wavefront6targetE1EEEvT1_.has_indirect_call, 0
	.section	.AMDGPU.csdata,"",@progbits
; Kernel info:
; codeLenInByte = 4580
; TotalNumSgprs: 33
; NumVgprs: 33
; ScratchSize: 0
; MemoryBound: 0
; FloatMode: 240
; IeeeMode: 1
; LDSByteSize: 2176 bytes/workgroup (compile time only)
; SGPRBlocks: 8
; VGPRBlocks: 8
; NumSGPRsForWavesPerEU: 65
; NumVGPRsForWavesPerEU: 33
; Occupancy: 7
; WaveLimiterHint : 1
; COMPUTE_PGM_RSRC2:SCRATCH_EN: 0
; COMPUTE_PGM_RSRC2:USER_SGPR: 6
; COMPUTE_PGM_RSRC2:TRAP_HANDLER: 0
; COMPUTE_PGM_RSRC2:TGID_X_EN: 1
; COMPUTE_PGM_RSRC2:TGID_Y_EN: 0
; COMPUTE_PGM_RSRC2:TGID_Z_EN: 0
; COMPUTE_PGM_RSRC2:TIDIG_COMP_CNT: 0
	.section	.text._ZN7rocprim17ROCPRIM_400000_NS6detail17trampoline_kernelINS0_14default_configENS1_35adjacent_difference_config_selectorILb1EsEEZNS1_24adjacent_difference_implIS3_Lb1ELb0EPKsPsN6thrust23THRUST_200600_302600_NS4plusIsEEEE10hipError_tPvRmT2_T3_mT4_P12ihipStream_tbEUlT_E_NS1_11comp_targetILNS1_3genE9ELNS1_11target_archE1100ELNS1_3gpuE3ELNS1_3repE0EEENS1_30default_config_static_selectorELNS0_4arch9wavefront6targetE1EEEvT1_,"axG",@progbits,_ZN7rocprim17ROCPRIM_400000_NS6detail17trampoline_kernelINS0_14default_configENS1_35adjacent_difference_config_selectorILb1EsEEZNS1_24adjacent_difference_implIS3_Lb1ELb0EPKsPsN6thrust23THRUST_200600_302600_NS4plusIsEEEE10hipError_tPvRmT2_T3_mT4_P12ihipStream_tbEUlT_E_NS1_11comp_targetILNS1_3genE9ELNS1_11target_archE1100ELNS1_3gpuE3ELNS1_3repE0EEENS1_30default_config_static_selectorELNS0_4arch9wavefront6targetE1EEEvT1_,comdat
	.protected	_ZN7rocprim17ROCPRIM_400000_NS6detail17trampoline_kernelINS0_14default_configENS1_35adjacent_difference_config_selectorILb1EsEEZNS1_24adjacent_difference_implIS3_Lb1ELb0EPKsPsN6thrust23THRUST_200600_302600_NS4plusIsEEEE10hipError_tPvRmT2_T3_mT4_P12ihipStream_tbEUlT_E_NS1_11comp_targetILNS1_3genE9ELNS1_11target_archE1100ELNS1_3gpuE3ELNS1_3repE0EEENS1_30default_config_static_selectorELNS0_4arch9wavefront6targetE1EEEvT1_ ; -- Begin function _ZN7rocprim17ROCPRIM_400000_NS6detail17trampoline_kernelINS0_14default_configENS1_35adjacent_difference_config_selectorILb1EsEEZNS1_24adjacent_difference_implIS3_Lb1ELb0EPKsPsN6thrust23THRUST_200600_302600_NS4plusIsEEEE10hipError_tPvRmT2_T3_mT4_P12ihipStream_tbEUlT_E_NS1_11comp_targetILNS1_3genE9ELNS1_11target_archE1100ELNS1_3gpuE3ELNS1_3repE0EEENS1_30default_config_static_selectorELNS0_4arch9wavefront6targetE1EEEvT1_
	.globl	_ZN7rocprim17ROCPRIM_400000_NS6detail17trampoline_kernelINS0_14default_configENS1_35adjacent_difference_config_selectorILb1EsEEZNS1_24adjacent_difference_implIS3_Lb1ELb0EPKsPsN6thrust23THRUST_200600_302600_NS4plusIsEEEE10hipError_tPvRmT2_T3_mT4_P12ihipStream_tbEUlT_E_NS1_11comp_targetILNS1_3genE9ELNS1_11target_archE1100ELNS1_3gpuE3ELNS1_3repE0EEENS1_30default_config_static_selectorELNS0_4arch9wavefront6targetE1EEEvT1_
	.p2align	8
	.type	_ZN7rocprim17ROCPRIM_400000_NS6detail17trampoline_kernelINS0_14default_configENS1_35adjacent_difference_config_selectorILb1EsEEZNS1_24adjacent_difference_implIS3_Lb1ELb0EPKsPsN6thrust23THRUST_200600_302600_NS4plusIsEEEE10hipError_tPvRmT2_T3_mT4_P12ihipStream_tbEUlT_E_NS1_11comp_targetILNS1_3genE9ELNS1_11target_archE1100ELNS1_3gpuE3ELNS1_3repE0EEENS1_30default_config_static_selectorELNS0_4arch9wavefront6targetE1EEEvT1_,@function
_ZN7rocprim17ROCPRIM_400000_NS6detail17trampoline_kernelINS0_14default_configENS1_35adjacent_difference_config_selectorILb1EsEEZNS1_24adjacent_difference_implIS3_Lb1ELb0EPKsPsN6thrust23THRUST_200600_302600_NS4plusIsEEEE10hipError_tPvRmT2_T3_mT4_P12ihipStream_tbEUlT_E_NS1_11comp_targetILNS1_3genE9ELNS1_11target_archE1100ELNS1_3gpuE3ELNS1_3repE0EEENS1_30default_config_static_selectorELNS0_4arch9wavefront6targetE1EEEvT1_: ; @_ZN7rocprim17ROCPRIM_400000_NS6detail17trampoline_kernelINS0_14default_configENS1_35adjacent_difference_config_selectorILb1EsEEZNS1_24adjacent_difference_implIS3_Lb1ELb0EPKsPsN6thrust23THRUST_200600_302600_NS4plusIsEEEE10hipError_tPvRmT2_T3_mT4_P12ihipStream_tbEUlT_E_NS1_11comp_targetILNS1_3genE9ELNS1_11target_archE1100ELNS1_3gpuE3ELNS1_3repE0EEENS1_30default_config_static_selectorELNS0_4arch9wavefront6targetE1EEEvT1_
; %bb.0:
	.section	.rodata,"a",@progbits
	.p2align	6, 0x0
	.amdhsa_kernel _ZN7rocprim17ROCPRIM_400000_NS6detail17trampoline_kernelINS0_14default_configENS1_35adjacent_difference_config_selectorILb1EsEEZNS1_24adjacent_difference_implIS3_Lb1ELb0EPKsPsN6thrust23THRUST_200600_302600_NS4plusIsEEEE10hipError_tPvRmT2_T3_mT4_P12ihipStream_tbEUlT_E_NS1_11comp_targetILNS1_3genE9ELNS1_11target_archE1100ELNS1_3gpuE3ELNS1_3repE0EEENS1_30default_config_static_selectorELNS0_4arch9wavefront6targetE1EEEvT1_
		.amdhsa_group_segment_fixed_size 0
		.amdhsa_private_segment_fixed_size 0
		.amdhsa_kernarg_size 56
		.amdhsa_user_sgpr_count 6
		.amdhsa_user_sgpr_private_segment_buffer 1
		.amdhsa_user_sgpr_dispatch_ptr 0
		.amdhsa_user_sgpr_queue_ptr 0
		.amdhsa_user_sgpr_kernarg_segment_ptr 1
		.amdhsa_user_sgpr_dispatch_id 0
		.amdhsa_user_sgpr_flat_scratch_init 0
		.amdhsa_user_sgpr_private_segment_size 0
		.amdhsa_uses_dynamic_stack 0
		.amdhsa_system_sgpr_private_segment_wavefront_offset 0
		.amdhsa_system_sgpr_workgroup_id_x 1
		.amdhsa_system_sgpr_workgroup_id_y 0
		.amdhsa_system_sgpr_workgroup_id_z 0
		.amdhsa_system_sgpr_workgroup_info 0
		.amdhsa_system_vgpr_workitem_id 0
		.amdhsa_next_free_vgpr 1
		.amdhsa_next_free_sgpr 0
		.amdhsa_reserve_vcc 0
		.amdhsa_reserve_flat_scratch 0
		.amdhsa_float_round_mode_32 0
		.amdhsa_float_round_mode_16_64 0
		.amdhsa_float_denorm_mode_32 3
		.amdhsa_float_denorm_mode_16_64 3
		.amdhsa_dx10_clamp 1
		.amdhsa_ieee_mode 1
		.amdhsa_fp16_overflow 0
		.amdhsa_exception_fp_ieee_invalid_op 0
		.amdhsa_exception_fp_denorm_src 0
		.amdhsa_exception_fp_ieee_div_zero 0
		.amdhsa_exception_fp_ieee_overflow 0
		.amdhsa_exception_fp_ieee_underflow 0
		.amdhsa_exception_fp_ieee_inexact 0
		.amdhsa_exception_int_div_zero 0
	.end_amdhsa_kernel
	.section	.text._ZN7rocprim17ROCPRIM_400000_NS6detail17trampoline_kernelINS0_14default_configENS1_35adjacent_difference_config_selectorILb1EsEEZNS1_24adjacent_difference_implIS3_Lb1ELb0EPKsPsN6thrust23THRUST_200600_302600_NS4plusIsEEEE10hipError_tPvRmT2_T3_mT4_P12ihipStream_tbEUlT_E_NS1_11comp_targetILNS1_3genE9ELNS1_11target_archE1100ELNS1_3gpuE3ELNS1_3repE0EEENS1_30default_config_static_selectorELNS0_4arch9wavefront6targetE1EEEvT1_,"axG",@progbits,_ZN7rocprim17ROCPRIM_400000_NS6detail17trampoline_kernelINS0_14default_configENS1_35adjacent_difference_config_selectorILb1EsEEZNS1_24adjacent_difference_implIS3_Lb1ELb0EPKsPsN6thrust23THRUST_200600_302600_NS4plusIsEEEE10hipError_tPvRmT2_T3_mT4_P12ihipStream_tbEUlT_E_NS1_11comp_targetILNS1_3genE9ELNS1_11target_archE1100ELNS1_3gpuE3ELNS1_3repE0EEENS1_30default_config_static_selectorELNS0_4arch9wavefront6targetE1EEEvT1_,comdat
.Lfunc_end771:
	.size	_ZN7rocprim17ROCPRIM_400000_NS6detail17trampoline_kernelINS0_14default_configENS1_35adjacent_difference_config_selectorILb1EsEEZNS1_24adjacent_difference_implIS3_Lb1ELb0EPKsPsN6thrust23THRUST_200600_302600_NS4plusIsEEEE10hipError_tPvRmT2_T3_mT4_P12ihipStream_tbEUlT_E_NS1_11comp_targetILNS1_3genE9ELNS1_11target_archE1100ELNS1_3gpuE3ELNS1_3repE0EEENS1_30default_config_static_selectorELNS0_4arch9wavefront6targetE1EEEvT1_, .Lfunc_end771-_ZN7rocprim17ROCPRIM_400000_NS6detail17trampoline_kernelINS0_14default_configENS1_35adjacent_difference_config_selectorILb1EsEEZNS1_24adjacent_difference_implIS3_Lb1ELb0EPKsPsN6thrust23THRUST_200600_302600_NS4plusIsEEEE10hipError_tPvRmT2_T3_mT4_P12ihipStream_tbEUlT_E_NS1_11comp_targetILNS1_3genE9ELNS1_11target_archE1100ELNS1_3gpuE3ELNS1_3repE0EEENS1_30default_config_static_selectorELNS0_4arch9wavefront6targetE1EEEvT1_
                                        ; -- End function
	.set _ZN7rocprim17ROCPRIM_400000_NS6detail17trampoline_kernelINS0_14default_configENS1_35adjacent_difference_config_selectorILb1EsEEZNS1_24adjacent_difference_implIS3_Lb1ELb0EPKsPsN6thrust23THRUST_200600_302600_NS4plusIsEEEE10hipError_tPvRmT2_T3_mT4_P12ihipStream_tbEUlT_E_NS1_11comp_targetILNS1_3genE9ELNS1_11target_archE1100ELNS1_3gpuE3ELNS1_3repE0EEENS1_30default_config_static_selectorELNS0_4arch9wavefront6targetE1EEEvT1_.num_vgpr, 0
	.set _ZN7rocprim17ROCPRIM_400000_NS6detail17trampoline_kernelINS0_14default_configENS1_35adjacent_difference_config_selectorILb1EsEEZNS1_24adjacent_difference_implIS3_Lb1ELb0EPKsPsN6thrust23THRUST_200600_302600_NS4plusIsEEEE10hipError_tPvRmT2_T3_mT4_P12ihipStream_tbEUlT_E_NS1_11comp_targetILNS1_3genE9ELNS1_11target_archE1100ELNS1_3gpuE3ELNS1_3repE0EEENS1_30default_config_static_selectorELNS0_4arch9wavefront6targetE1EEEvT1_.num_agpr, 0
	.set _ZN7rocprim17ROCPRIM_400000_NS6detail17trampoline_kernelINS0_14default_configENS1_35adjacent_difference_config_selectorILb1EsEEZNS1_24adjacent_difference_implIS3_Lb1ELb0EPKsPsN6thrust23THRUST_200600_302600_NS4plusIsEEEE10hipError_tPvRmT2_T3_mT4_P12ihipStream_tbEUlT_E_NS1_11comp_targetILNS1_3genE9ELNS1_11target_archE1100ELNS1_3gpuE3ELNS1_3repE0EEENS1_30default_config_static_selectorELNS0_4arch9wavefront6targetE1EEEvT1_.numbered_sgpr, 0
	.set _ZN7rocprim17ROCPRIM_400000_NS6detail17trampoline_kernelINS0_14default_configENS1_35adjacent_difference_config_selectorILb1EsEEZNS1_24adjacent_difference_implIS3_Lb1ELb0EPKsPsN6thrust23THRUST_200600_302600_NS4plusIsEEEE10hipError_tPvRmT2_T3_mT4_P12ihipStream_tbEUlT_E_NS1_11comp_targetILNS1_3genE9ELNS1_11target_archE1100ELNS1_3gpuE3ELNS1_3repE0EEENS1_30default_config_static_selectorELNS0_4arch9wavefront6targetE1EEEvT1_.num_named_barrier, 0
	.set _ZN7rocprim17ROCPRIM_400000_NS6detail17trampoline_kernelINS0_14default_configENS1_35adjacent_difference_config_selectorILb1EsEEZNS1_24adjacent_difference_implIS3_Lb1ELb0EPKsPsN6thrust23THRUST_200600_302600_NS4plusIsEEEE10hipError_tPvRmT2_T3_mT4_P12ihipStream_tbEUlT_E_NS1_11comp_targetILNS1_3genE9ELNS1_11target_archE1100ELNS1_3gpuE3ELNS1_3repE0EEENS1_30default_config_static_selectorELNS0_4arch9wavefront6targetE1EEEvT1_.private_seg_size, 0
	.set _ZN7rocprim17ROCPRIM_400000_NS6detail17trampoline_kernelINS0_14default_configENS1_35adjacent_difference_config_selectorILb1EsEEZNS1_24adjacent_difference_implIS3_Lb1ELb0EPKsPsN6thrust23THRUST_200600_302600_NS4plusIsEEEE10hipError_tPvRmT2_T3_mT4_P12ihipStream_tbEUlT_E_NS1_11comp_targetILNS1_3genE9ELNS1_11target_archE1100ELNS1_3gpuE3ELNS1_3repE0EEENS1_30default_config_static_selectorELNS0_4arch9wavefront6targetE1EEEvT1_.uses_vcc, 0
	.set _ZN7rocprim17ROCPRIM_400000_NS6detail17trampoline_kernelINS0_14default_configENS1_35adjacent_difference_config_selectorILb1EsEEZNS1_24adjacent_difference_implIS3_Lb1ELb0EPKsPsN6thrust23THRUST_200600_302600_NS4plusIsEEEE10hipError_tPvRmT2_T3_mT4_P12ihipStream_tbEUlT_E_NS1_11comp_targetILNS1_3genE9ELNS1_11target_archE1100ELNS1_3gpuE3ELNS1_3repE0EEENS1_30default_config_static_selectorELNS0_4arch9wavefront6targetE1EEEvT1_.uses_flat_scratch, 0
	.set _ZN7rocprim17ROCPRIM_400000_NS6detail17trampoline_kernelINS0_14default_configENS1_35adjacent_difference_config_selectorILb1EsEEZNS1_24adjacent_difference_implIS3_Lb1ELb0EPKsPsN6thrust23THRUST_200600_302600_NS4plusIsEEEE10hipError_tPvRmT2_T3_mT4_P12ihipStream_tbEUlT_E_NS1_11comp_targetILNS1_3genE9ELNS1_11target_archE1100ELNS1_3gpuE3ELNS1_3repE0EEENS1_30default_config_static_selectorELNS0_4arch9wavefront6targetE1EEEvT1_.has_dyn_sized_stack, 0
	.set _ZN7rocprim17ROCPRIM_400000_NS6detail17trampoline_kernelINS0_14default_configENS1_35adjacent_difference_config_selectorILb1EsEEZNS1_24adjacent_difference_implIS3_Lb1ELb0EPKsPsN6thrust23THRUST_200600_302600_NS4plusIsEEEE10hipError_tPvRmT2_T3_mT4_P12ihipStream_tbEUlT_E_NS1_11comp_targetILNS1_3genE9ELNS1_11target_archE1100ELNS1_3gpuE3ELNS1_3repE0EEENS1_30default_config_static_selectorELNS0_4arch9wavefront6targetE1EEEvT1_.has_recursion, 0
	.set _ZN7rocprim17ROCPRIM_400000_NS6detail17trampoline_kernelINS0_14default_configENS1_35adjacent_difference_config_selectorILb1EsEEZNS1_24adjacent_difference_implIS3_Lb1ELb0EPKsPsN6thrust23THRUST_200600_302600_NS4plusIsEEEE10hipError_tPvRmT2_T3_mT4_P12ihipStream_tbEUlT_E_NS1_11comp_targetILNS1_3genE9ELNS1_11target_archE1100ELNS1_3gpuE3ELNS1_3repE0EEENS1_30default_config_static_selectorELNS0_4arch9wavefront6targetE1EEEvT1_.has_indirect_call, 0
	.section	.AMDGPU.csdata,"",@progbits
; Kernel info:
; codeLenInByte = 0
; TotalNumSgprs: 4
; NumVgprs: 0
; ScratchSize: 0
; MemoryBound: 0
; FloatMode: 240
; IeeeMode: 1
; LDSByteSize: 0 bytes/workgroup (compile time only)
; SGPRBlocks: 0
; VGPRBlocks: 0
; NumSGPRsForWavesPerEU: 4
; NumVGPRsForWavesPerEU: 1
; Occupancy: 10
; WaveLimiterHint : 0
; COMPUTE_PGM_RSRC2:SCRATCH_EN: 0
; COMPUTE_PGM_RSRC2:USER_SGPR: 6
; COMPUTE_PGM_RSRC2:TRAP_HANDLER: 0
; COMPUTE_PGM_RSRC2:TGID_X_EN: 1
; COMPUTE_PGM_RSRC2:TGID_Y_EN: 0
; COMPUTE_PGM_RSRC2:TGID_Z_EN: 0
; COMPUTE_PGM_RSRC2:TIDIG_COMP_CNT: 0
	.section	.text._ZN7rocprim17ROCPRIM_400000_NS6detail17trampoline_kernelINS0_14default_configENS1_35adjacent_difference_config_selectorILb1EsEEZNS1_24adjacent_difference_implIS3_Lb1ELb0EPKsPsN6thrust23THRUST_200600_302600_NS4plusIsEEEE10hipError_tPvRmT2_T3_mT4_P12ihipStream_tbEUlT_E_NS1_11comp_targetILNS1_3genE8ELNS1_11target_archE1030ELNS1_3gpuE2ELNS1_3repE0EEENS1_30default_config_static_selectorELNS0_4arch9wavefront6targetE1EEEvT1_,"axG",@progbits,_ZN7rocprim17ROCPRIM_400000_NS6detail17trampoline_kernelINS0_14default_configENS1_35adjacent_difference_config_selectorILb1EsEEZNS1_24adjacent_difference_implIS3_Lb1ELb0EPKsPsN6thrust23THRUST_200600_302600_NS4plusIsEEEE10hipError_tPvRmT2_T3_mT4_P12ihipStream_tbEUlT_E_NS1_11comp_targetILNS1_3genE8ELNS1_11target_archE1030ELNS1_3gpuE2ELNS1_3repE0EEENS1_30default_config_static_selectorELNS0_4arch9wavefront6targetE1EEEvT1_,comdat
	.protected	_ZN7rocprim17ROCPRIM_400000_NS6detail17trampoline_kernelINS0_14default_configENS1_35adjacent_difference_config_selectorILb1EsEEZNS1_24adjacent_difference_implIS3_Lb1ELb0EPKsPsN6thrust23THRUST_200600_302600_NS4plusIsEEEE10hipError_tPvRmT2_T3_mT4_P12ihipStream_tbEUlT_E_NS1_11comp_targetILNS1_3genE8ELNS1_11target_archE1030ELNS1_3gpuE2ELNS1_3repE0EEENS1_30default_config_static_selectorELNS0_4arch9wavefront6targetE1EEEvT1_ ; -- Begin function _ZN7rocprim17ROCPRIM_400000_NS6detail17trampoline_kernelINS0_14default_configENS1_35adjacent_difference_config_selectorILb1EsEEZNS1_24adjacent_difference_implIS3_Lb1ELb0EPKsPsN6thrust23THRUST_200600_302600_NS4plusIsEEEE10hipError_tPvRmT2_T3_mT4_P12ihipStream_tbEUlT_E_NS1_11comp_targetILNS1_3genE8ELNS1_11target_archE1030ELNS1_3gpuE2ELNS1_3repE0EEENS1_30default_config_static_selectorELNS0_4arch9wavefront6targetE1EEEvT1_
	.globl	_ZN7rocprim17ROCPRIM_400000_NS6detail17trampoline_kernelINS0_14default_configENS1_35adjacent_difference_config_selectorILb1EsEEZNS1_24adjacent_difference_implIS3_Lb1ELb0EPKsPsN6thrust23THRUST_200600_302600_NS4plusIsEEEE10hipError_tPvRmT2_T3_mT4_P12ihipStream_tbEUlT_E_NS1_11comp_targetILNS1_3genE8ELNS1_11target_archE1030ELNS1_3gpuE2ELNS1_3repE0EEENS1_30default_config_static_selectorELNS0_4arch9wavefront6targetE1EEEvT1_
	.p2align	8
	.type	_ZN7rocprim17ROCPRIM_400000_NS6detail17trampoline_kernelINS0_14default_configENS1_35adjacent_difference_config_selectorILb1EsEEZNS1_24adjacent_difference_implIS3_Lb1ELb0EPKsPsN6thrust23THRUST_200600_302600_NS4plusIsEEEE10hipError_tPvRmT2_T3_mT4_P12ihipStream_tbEUlT_E_NS1_11comp_targetILNS1_3genE8ELNS1_11target_archE1030ELNS1_3gpuE2ELNS1_3repE0EEENS1_30default_config_static_selectorELNS0_4arch9wavefront6targetE1EEEvT1_,@function
_ZN7rocprim17ROCPRIM_400000_NS6detail17trampoline_kernelINS0_14default_configENS1_35adjacent_difference_config_selectorILb1EsEEZNS1_24adjacent_difference_implIS3_Lb1ELb0EPKsPsN6thrust23THRUST_200600_302600_NS4plusIsEEEE10hipError_tPvRmT2_T3_mT4_P12ihipStream_tbEUlT_E_NS1_11comp_targetILNS1_3genE8ELNS1_11target_archE1030ELNS1_3gpuE2ELNS1_3repE0EEENS1_30default_config_static_selectorELNS0_4arch9wavefront6targetE1EEEvT1_: ; @_ZN7rocprim17ROCPRIM_400000_NS6detail17trampoline_kernelINS0_14default_configENS1_35adjacent_difference_config_selectorILb1EsEEZNS1_24adjacent_difference_implIS3_Lb1ELb0EPKsPsN6thrust23THRUST_200600_302600_NS4plusIsEEEE10hipError_tPvRmT2_T3_mT4_P12ihipStream_tbEUlT_E_NS1_11comp_targetILNS1_3genE8ELNS1_11target_archE1030ELNS1_3gpuE2ELNS1_3repE0EEENS1_30default_config_static_selectorELNS0_4arch9wavefront6targetE1EEEvT1_
; %bb.0:
	.section	.rodata,"a",@progbits
	.p2align	6, 0x0
	.amdhsa_kernel _ZN7rocprim17ROCPRIM_400000_NS6detail17trampoline_kernelINS0_14default_configENS1_35adjacent_difference_config_selectorILb1EsEEZNS1_24adjacent_difference_implIS3_Lb1ELb0EPKsPsN6thrust23THRUST_200600_302600_NS4plusIsEEEE10hipError_tPvRmT2_T3_mT4_P12ihipStream_tbEUlT_E_NS1_11comp_targetILNS1_3genE8ELNS1_11target_archE1030ELNS1_3gpuE2ELNS1_3repE0EEENS1_30default_config_static_selectorELNS0_4arch9wavefront6targetE1EEEvT1_
		.amdhsa_group_segment_fixed_size 0
		.amdhsa_private_segment_fixed_size 0
		.amdhsa_kernarg_size 56
		.amdhsa_user_sgpr_count 6
		.amdhsa_user_sgpr_private_segment_buffer 1
		.amdhsa_user_sgpr_dispatch_ptr 0
		.amdhsa_user_sgpr_queue_ptr 0
		.amdhsa_user_sgpr_kernarg_segment_ptr 1
		.amdhsa_user_sgpr_dispatch_id 0
		.amdhsa_user_sgpr_flat_scratch_init 0
		.amdhsa_user_sgpr_private_segment_size 0
		.amdhsa_uses_dynamic_stack 0
		.amdhsa_system_sgpr_private_segment_wavefront_offset 0
		.amdhsa_system_sgpr_workgroup_id_x 1
		.amdhsa_system_sgpr_workgroup_id_y 0
		.amdhsa_system_sgpr_workgroup_id_z 0
		.amdhsa_system_sgpr_workgroup_info 0
		.amdhsa_system_vgpr_workitem_id 0
		.amdhsa_next_free_vgpr 1
		.amdhsa_next_free_sgpr 0
		.amdhsa_reserve_vcc 0
		.amdhsa_reserve_flat_scratch 0
		.amdhsa_float_round_mode_32 0
		.amdhsa_float_round_mode_16_64 0
		.amdhsa_float_denorm_mode_32 3
		.amdhsa_float_denorm_mode_16_64 3
		.amdhsa_dx10_clamp 1
		.amdhsa_ieee_mode 1
		.amdhsa_fp16_overflow 0
		.amdhsa_exception_fp_ieee_invalid_op 0
		.amdhsa_exception_fp_denorm_src 0
		.amdhsa_exception_fp_ieee_div_zero 0
		.amdhsa_exception_fp_ieee_overflow 0
		.amdhsa_exception_fp_ieee_underflow 0
		.amdhsa_exception_fp_ieee_inexact 0
		.amdhsa_exception_int_div_zero 0
	.end_amdhsa_kernel
	.section	.text._ZN7rocprim17ROCPRIM_400000_NS6detail17trampoline_kernelINS0_14default_configENS1_35adjacent_difference_config_selectorILb1EsEEZNS1_24adjacent_difference_implIS3_Lb1ELb0EPKsPsN6thrust23THRUST_200600_302600_NS4plusIsEEEE10hipError_tPvRmT2_T3_mT4_P12ihipStream_tbEUlT_E_NS1_11comp_targetILNS1_3genE8ELNS1_11target_archE1030ELNS1_3gpuE2ELNS1_3repE0EEENS1_30default_config_static_selectorELNS0_4arch9wavefront6targetE1EEEvT1_,"axG",@progbits,_ZN7rocprim17ROCPRIM_400000_NS6detail17trampoline_kernelINS0_14default_configENS1_35adjacent_difference_config_selectorILb1EsEEZNS1_24adjacent_difference_implIS3_Lb1ELb0EPKsPsN6thrust23THRUST_200600_302600_NS4plusIsEEEE10hipError_tPvRmT2_T3_mT4_P12ihipStream_tbEUlT_E_NS1_11comp_targetILNS1_3genE8ELNS1_11target_archE1030ELNS1_3gpuE2ELNS1_3repE0EEENS1_30default_config_static_selectorELNS0_4arch9wavefront6targetE1EEEvT1_,comdat
.Lfunc_end772:
	.size	_ZN7rocprim17ROCPRIM_400000_NS6detail17trampoline_kernelINS0_14default_configENS1_35adjacent_difference_config_selectorILb1EsEEZNS1_24adjacent_difference_implIS3_Lb1ELb0EPKsPsN6thrust23THRUST_200600_302600_NS4plusIsEEEE10hipError_tPvRmT2_T3_mT4_P12ihipStream_tbEUlT_E_NS1_11comp_targetILNS1_3genE8ELNS1_11target_archE1030ELNS1_3gpuE2ELNS1_3repE0EEENS1_30default_config_static_selectorELNS0_4arch9wavefront6targetE1EEEvT1_, .Lfunc_end772-_ZN7rocprim17ROCPRIM_400000_NS6detail17trampoline_kernelINS0_14default_configENS1_35adjacent_difference_config_selectorILb1EsEEZNS1_24adjacent_difference_implIS3_Lb1ELb0EPKsPsN6thrust23THRUST_200600_302600_NS4plusIsEEEE10hipError_tPvRmT2_T3_mT4_P12ihipStream_tbEUlT_E_NS1_11comp_targetILNS1_3genE8ELNS1_11target_archE1030ELNS1_3gpuE2ELNS1_3repE0EEENS1_30default_config_static_selectorELNS0_4arch9wavefront6targetE1EEEvT1_
                                        ; -- End function
	.set _ZN7rocprim17ROCPRIM_400000_NS6detail17trampoline_kernelINS0_14default_configENS1_35adjacent_difference_config_selectorILb1EsEEZNS1_24adjacent_difference_implIS3_Lb1ELb0EPKsPsN6thrust23THRUST_200600_302600_NS4plusIsEEEE10hipError_tPvRmT2_T3_mT4_P12ihipStream_tbEUlT_E_NS1_11comp_targetILNS1_3genE8ELNS1_11target_archE1030ELNS1_3gpuE2ELNS1_3repE0EEENS1_30default_config_static_selectorELNS0_4arch9wavefront6targetE1EEEvT1_.num_vgpr, 0
	.set _ZN7rocprim17ROCPRIM_400000_NS6detail17trampoline_kernelINS0_14default_configENS1_35adjacent_difference_config_selectorILb1EsEEZNS1_24adjacent_difference_implIS3_Lb1ELb0EPKsPsN6thrust23THRUST_200600_302600_NS4plusIsEEEE10hipError_tPvRmT2_T3_mT4_P12ihipStream_tbEUlT_E_NS1_11comp_targetILNS1_3genE8ELNS1_11target_archE1030ELNS1_3gpuE2ELNS1_3repE0EEENS1_30default_config_static_selectorELNS0_4arch9wavefront6targetE1EEEvT1_.num_agpr, 0
	.set _ZN7rocprim17ROCPRIM_400000_NS6detail17trampoline_kernelINS0_14default_configENS1_35adjacent_difference_config_selectorILb1EsEEZNS1_24adjacent_difference_implIS3_Lb1ELb0EPKsPsN6thrust23THRUST_200600_302600_NS4plusIsEEEE10hipError_tPvRmT2_T3_mT4_P12ihipStream_tbEUlT_E_NS1_11comp_targetILNS1_3genE8ELNS1_11target_archE1030ELNS1_3gpuE2ELNS1_3repE0EEENS1_30default_config_static_selectorELNS0_4arch9wavefront6targetE1EEEvT1_.numbered_sgpr, 0
	.set _ZN7rocprim17ROCPRIM_400000_NS6detail17trampoline_kernelINS0_14default_configENS1_35adjacent_difference_config_selectorILb1EsEEZNS1_24adjacent_difference_implIS3_Lb1ELb0EPKsPsN6thrust23THRUST_200600_302600_NS4plusIsEEEE10hipError_tPvRmT2_T3_mT4_P12ihipStream_tbEUlT_E_NS1_11comp_targetILNS1_3genE8ELNS1_11target_archE1030ELNS1_3gpuE2ELNS1_3repE0EEENS1_30default_config_static_selectorELNS0_4arch9wavefront6targetE1EEEvT1_.num_named_barrier, 0
	.set _ZN7rocprim17ROCPRIM_400000_NS6detail17trampoline_kernelINS0_14default_configENS1_35adjacent_difference_config_selectorILb1EsEEZNS1_24adjacent_difference_implIS3_Lb1ELb0EPKsPsN6thrust23THRUST_200600_302600_NS4plusIsEEEE10hipError_tPvRmT2_T3_mT4_P12ihipStream_tbEUlT_E_NS1_11comp_targetILNS1_3genE8ELNS1_11target_archE1030ELNS1_3gpuE2ELNS1_3repE0EEENS1_30default_config_static_selectorELNS0_4arch9wavefront6targetE1EEEvT1_.private_seg_size, 0
	.set _ZN7rocprim17ROCPRIM_400000_NS6detail17trampoline_kernelINS0_14default_configENS1_35adjacent_difference_config_selectorILb1EsEEZNS1_24adjacent_difference_implIS3_Lb1ELb0EPKsPsN6thrust23THRUST_200600_302600_NS4plusIsEEEE10hipError_tPvRmT2_T3_mT4_P12ihipStream_tbEUlT_E_NS1_11comp_targetILNS1_3genE8ELNS1_11target_archE1030ELNS1_3gpuE2ELNS1_3repE0EEENS1_30default_config_static_selectorELNS0_4arch9wavefront6targetE1EEEvT1_.uses_vcc, 0
	.set _ZN7rocprim17ROCPRIM_400000_NS6detail17trampoline_kernelINS0_14default_configENS1_35adjacent_difference_config_selectorILb1EsEEZNS1_24adjacent_difference_implIS3_Lb1ELb0EPKsPsN6thrust23THRUST_200600_302600_NS4plusIsEEEE10hipError_tPvRmT2_T3_mT4_P12ihipStream_tbEUlT_E_NS1_11comp_targetILNS1_3genE8ELNS1_11target_archE1030ELNS1_3gpuE2ELNS1_3repE0EEENS1_30default_config_static_selectorELNS0_4arch9wavefront6targetE1EEEvT1_.uses_flat_scratch, 0
	.set _ZN7rocprim17ROCPRIM_400000_NS6detail17trampoline_kernelINS0_14default_configENS1_35adjacent_difference_config_selectorILb1EsEEZNS1_24adjacent_difference_implIS3_Lb1ELb0EPKsPsN6thrust23THRUST_200600_302600_NS4plusIsEEEE10hipError_tPvRmT2_T3_mT4_P12ihipStream_tbEUlT_E_NS1_11comp_targetILNS1_3genE8ELNS1_11target_archE1030ELNS1_3gpuE2ELNS1_3repE0EEENS1_30default_config_static_selectorELNS0_4arch9wavefront6targetE1EEEvT1_.has_dyn_sized_stack, 0
	.set _ZN7rocprim17ROCPRIM_400000_NS6detail17trampoline_kernelINS0_14default_configENS1_35adjacent_difference_config_selectorILb1EsEEZNS1_24adjacent_difference_implIS3_Lb1ELb0EPKsPsN6thrust23THRUST_200600_302600_NS4plusIsEEEE10hipError_tPvRmT2_T3_mT4_P12ihipStream_tbEUlT_E_NS1_11comp_targetILNS1_3genE8ELNS1_11target_archE1030ELNS1_3gpuE2ELNS1_3repE0EEENS1_30default_config_static_selectorELNS0_4arch9wavefront6targetE1EEEvT1_.has_recursion, 0
	.set _ZN7rocprim17ROCPRIM_400000_NS6detail17trampoline_kernelINS0_14default_configENS1_35adjacent_difference_config_selectorILb1EsEEZNS1_24adjacent_difference_implIS3_Lb1ELb0EPKsPsN6thrust23THRUST_200600_302600_NS4plusIsEEEE10hipError_tPvRmT2_T3_mT4_P12ihipStream_tbEUlT_E_NS1_11comp_targetILNS1_3genE8ELNS1_11target_archE1030ELNS1_3gpuE2ELNS1_3repE0EEENS1_30default_config_static_selectorELNS0_4arch9wavefront6targetE1EEEvT1_.has_indirect_call, 0
	.section	.AMDGPU.csdata,"",@progbits
; Kernel info:
; codeLenInByte = 0
; TotalNumSgprs: 4
; NumVgprs: 0
; ScratchSize: 0
; MemoryBound: 0
; FloatMode: 240
; IeeeMode: 1
; LDSByteSize: 0 bytes/workgroup (compile time only)
; SGPRBlocks: 0
; VGPRBlocks: 0
; NumSGPRsForWavesPerEU: 4
; NumVGPRsForWavesPerEU: 1
; Occupancy: 10
; WaveLimiterHint : 0
; COMPUTE_PGM_RSRC2:SCRATCH_EN: 0
; COMPUTE_PGM_RSRC2:USER_SGPR: 6
; COMPUTE_PGM_RSRC2:TRAP_HANDLER: 0
; COMPUTE_PGM_RSRC2:TGID_X_EN: 1
; COMPUTE_PGM_RSRC2:TGID_Y_EN: 0
; COMPUTE_PGM_RSRC2:TGID_Z_EN: 0
; COMPUTE_PGM_RSRC2:TIDIG_COMP_CNT: 0
	.section	.text._ZN7rocprim17ROCPRIM_400000_NS6detail17trampoline_kernelINS0_14default_configENS1_25transform_config_selectorIdLb0EEEZNS1_14transform_implILb0ES3_S5_NS0_18transform_iteratorINS0_17counting_iteratorImlEEZNS1_24adjacent_difference_implIS3_Lb1ELb0EPdN6thrust23THRUST_200600_302600_NS16discard_iteratorINSD_11use_defaultEEENSD_5minusIdEEEE10hipError_tPvRmT2_T3_mT4_P12ihipStream_tbEUlmE_dEESB_NS0_8identityIvEEEESJ_SM_SN_mSO_SQ_bEUlT_E_NS1_11comp_targetILNS1_3genE0ELNS1_11target_archE4294967295ELNS1_3gpuE0ELNS1_3repE0EEENS1_30default_config_static_selectorELNS0_4arch9wavefront6targetE1EEEvT1_,"axG",@progbits,_ZN7rocprim17ROCPRIM_400000_NS6detail17trampoline_kernelINS0_14default_configENS1_25transform_config_selectorIdLb0EEEZNS1_14transform_implILb0ES3_S5_NS0_18transform_iteratorINS0_17counting_iteratorImlEEZNS1_24adjacent_difference_implIS3_Lb1ELb0EPdN6thrust23THRUST_200600_302600_NS16discard_iteratorINSD_11use_defaultEEENSD_5minusIdEEEE10hipError_tPvRmT2_T3_mT4_P12ihipStream_tbEUlmE_dEESB_NS0_8identityIvEEEESJ_SM_SN_mSO_SQ_bEUlT_E_NS1_11comp_targetILNS1_3genE0ELNS1_11target_archE4294967295ELNS1_3gpuE0ELNS1_3repE0EEENS1_30default_config_static_selectorELNS0_4arch9wavefront6targetE1EEEvT1_,comdat
	.protected	_ZN7rocprim17ROCPRIM_400000_NS6detail17trampoline_kernelINS0_14default_configENS1_25transform_config_selectorIdLb0EEEZNS1_14transform_implILb0ES3_S5_NS0_18transform_iteratorINS0_17counting_iteratorImlEEZNS1_24adjacent_difference_implIS3_Lb1ELb0EPdN6thrust23THRUST_200600_302600_NS16discard_iteratorINSD_11use_defaultEEENSD_5minusIdEEEE10hipError_tPvRmT2_T3_mT4_P12ihipStream_tbEUlmE_dEESB_NS0_8identityIvEEEESJ_SM_SN_mSO_SQ_bEUlT_E_NS1_11comp_targetILNS1_3genE0ELNS1_11target_archE4294967295ELNS1_3gpuE0ELNS1_3repE0EEENS1_30default_config_static_selectorELNS0_4arch9wavefront6targetE1EEEvT1_ ; -- Begin function _ZN7rocprim17ROCPRIM_400000_NS6detail17trampoline_kernelINS0_14default_configENS1_25transform_config_selectorIdLb0EEEZNS1_14transform_implILb0ES3_S5_NS0_18transform_iteratorINS0_17counting_iteratorImlEEZNS1_24adjacent_difference_implIS3_Lb1ELb0EPdN6thrust23THRUST_200600_302600_NS16discard_iteratorINSD_11use_defaultEEENSD_5minusIdEEEE10hipError_tPvRmT2_T3_mT4_P12ihipStream_tbEUlmE_dEESB_NS0_8identityIvEEEESJ_SM_SN_mSO_SQ_bEUlT_E_NS1_11comp_targetILNS1_3genE0ELNS1_11target_archE4294967295ELNS1_3gpuE0ELNS1_3repE0EEENS1_30default_config_static_selectorELNS0_4arch9wavefront6targetE1EEEvT1_
	.globl	_ZN7rocprim17ROCPRIM_400000_NS6detail17trampoline_kernelINS0_14default_configENS1_25transform_config_selectorIdLb0EEEZNS1_14transform_implILb0ES3_S5_NS0_18transform_iteratorINS0_17counting_iteratorImlEEZNS1_24adjacent_difference_implIS3_Lb1ELb0EPdN6thrust23THRUST_200600_302600_NS16discard_iteratorINSD_11use_defaultEEENSD_5minusIdEEEE10hipError_tPvRmT2_T3_mT4_P12ihipStream_tbEUlmE_dEESB_NS0_8identityIvEEEESJ_SM_SN_mSO_SQ_bEUlT_E_NS1_11comp_targetILNS1_3genE0ELNS1_11target_archE4294967295ELNS1_3gpuE0ELNS1_3repE0EEENS1_30default_config_static_selectorELNS0_4arch9wavefront6targetE1EEEvT1_
	.p2align	8
	.type	_ZN7rocprim17ROCPRIM_400000_NS6detail17trampoline_kernelINS0_14default_configENS1_25transform_config_selectorIdLb0EEEZNS1_14transform_implILb0ES3_S5_NS0_18transform_iteratorINS0_17counting_iteratorImlEEZNS1_24adjacent_difference_implIS3_Lb1ELb0EPdN6thrust23THRUST_200600_302600_NS16discard_iteratorINSD_11use_defaultEEENSD_5minusIdEEEE10hipError_tPvRmT2_T3_mT4_P12ihipStream_tbEUlmE_dEESB_NS0_8identityIvEEEESJ_SM_SN_mSO_SQ_bEUlT_E_NS1_11comp_targetILNS1_3genE0ELNS1_11target_archE4294967295ELNS1_3gpuE0ELNS1_3repE0EEENS1_30default_config_static_selectorELNS0_4arch9wavefront6targetE1EEEvT1_,@function
_ZN7rocprim17ROCPRIM_400000_NS6detail17trampoline_kernelINS0_14default_configENS1_25transform_config_selectorIdLb0EEEZNS1_14transform_implILb0ES3_S5_NS0_18transform_iteratorINS0_17counting_iteratorImlEEZNS1_24adjacent_difference_implIS3_Lb1ELb0EPdN6thrust23THRUST_200600_302600_NS16discard_iteratorINSD_11use_defaultEEENSD_5minusIdEEEE10hipError_tPvRmT2_T3_mT4_P12ihipStream_tbEUlmE_dEESB_NS0_8identityIvEEEESJ_SM_SN_mSO_SQ_bEUlT_E_NS1_11comp_targetILNS1_3genE0ELNS1_11target_archE4294967295ELNS1_3gpuE0ELNS1_3repE0EEENS1_30default_config_static_selectorELNS0_4arch9wavefront6targetE1EEEvT1_: ; @_ZN7rocprim17ROCPRIM_400000_NS6detail17trampoline_kernelINS0_14default_configENS1_25transform_config_selectorIdLb0EEEZNS1_14transform_implILb0ES3_S5_NS0_18transform_iteratorINS0_17counting_iteratorImlEEZNS1_24adjacent_difference_implIS3_Lb1ELb0EPdN6thrust23THRUST_200600_302600_NS16discard_iteratorINSD_11use_defaultEEENSD_5minusIdEEEE10hipError_tPvRmT2_T3_mT4_P12ihipStream_tbEUlmE_dEESB_NS0_8identityIvEEEESJ_SM_SN_mSO_SQ_bEUlT_E_NS1_11comp_targetILNS1_3genE0ELNS1_11target_archE4294967295ELNS1_3gpuE0ELNS1_3repE0EEENS1_30default_config_static_selectorELNS0_4arch9wavefront6targetE1EEEvT1_
; %bb.0:
	.section	.rodata,"a",@progbits
	.p2align	6, 0x0
	.amdhsa_kernel _ZN7rocprim17ROCPRIM_400000_NS6detail17trampoline_kernelINS0_14default_configENS1_25transform_config_selectorIdLb0EEEZNS1_14transform_implILb0ES3_S5_NS0_18transform_iteratorINS0_17counting_iteratorImlEEZNS1_24adjacent_difference_implIS3_Lb1ELb0EPdN6thrust23THRUST_200600_302600_NS16discard_iteratorINSD_11use_defaultEEENSD_5minusIdEEEE10hipError_tPvRmT2_T3_mT4_P12ihipStream_tbEUlmE_dEESB_NS0_8identityIvEEEESJ_SM_SN_mSO_SQ_bEUlT_E_NS1_11comp_targetILNS1_3genE0ELNS1_11target_archE4294967295ELNS1_3gpuE0ELNS1_3repE0EEENS1_30default_config_static_selectorELNS0_4arch9wavefront6targetE1EEEvT1_
		.amdhsa_group_segment_fixed_size 0
		.amdhsa_private_segment_fixed_size 0
		.amdhsa_kernarg_size 56
		.amdhsa_user_sgpr_count 6
		.amdhsa_user_sgpr_private_segment_buffer 1
		.amdhsa_user_sgpr_dispatch_ptr 0
		.amdhsa_user_sgpr_queue_ptr 0
		.amdhsa_user_sgpr_kernarg_segment_ptr 1
		.amdhsa_user_sgpr_dispatch_id 0
		.amdhsa_user_sgpr_flat_scratch_init 0
		.amdhsa_user_sgpr_private_segment_size 0
		.amdhsa_uses_dynamic_stack 0
		.amdhsa_system_sgpr_private_segment_wavefront_offset 0
		.amdhsa_system_sgpr_workgroup_id_x 1
		.amdhsa_system_sgpr_workgroup_id_y 0
		.amdhsa_system_sgpr_workgroup_id_z 0
		.amdhsa_system_sgpr_workgroup_info 0
		.amdhsa_system_vgpr_workitem_id 0
		.amdhsa_next_free_vgpr 1
		.amdhsa_next_free_sgpr 0
		.amdhsa_reserve_vcc 0
		.amdhsa_reserve_flat_scratch 0
		.amdhsa_float_round_mode_32 0
		.amdhsa_float_round_mode_16_64 0
		.amdhsa_float_denorm_mode_32 3
		.amdhsa_float_denorm_mode_16_64 3
		.amdhsa_dx10_clamp 1
		.amdhsa_ieee_mode 1
		.amdhsa_fp16_overflow 0
		.amdhsa_exception_fp_ieee_invalid_op 0
		.amdhsa_exception_fp_denorm_src 0
		.amdhsa_exception_fp_ieee_div_zero 0
		.amdhsa_exception_fp_ieee_overflow 0
		.amdhsa_exception_fp_ieee_underflow 0
		.amdhsa_exception_fp_ieee_inexact 0
		.amdhsa_exception_int_div_zero 0
	.end_amdhsa_kernel
	.section	.text._ZN7rocprim17ROCPRIM_400000_NS6detail17trampoline_kernelINS0_14default_configENS1_25transform_config_selectorIdLb0EEEZNS1_14transform_implILb0ES3_S5_NS0_18transform_iteratorINS0_17counting_iteratorImlEEZNS1_24adjacent_difference_implIS3_Lb1ELb0EPdN6thrust23THRUST_200600_302600_NS16discard_iteratorINSD_11use_defaultEEENSD_5minusIdEEEE10hipError_tPvRmT2_T3_mT4_P12ihipStream_tbEUlmE_dEESB_NS0_8identityIvEEEESJ_SM_SN_mSO_SQ_bEUlT_E_NS1_11comp_targetILNS1_3genE0ELNS1_11target_archE4294967295ELNS1_3gpuE0ELNS1_3repE0EEENS1_30default_config_static_selectorELNS0_4arch9wavefront6targetE1EEEvT1_,"axG",@progbits,_ZN7rocprim17ROCPRIM_400000_NS6detail17trampoline_kernelINS0_14default_configENS1_25transform_config_selectorIdLb0EEEZNS1_14transform_implILb0ES3_S5_NS0_18transform_iteratorINS0_17counting_iteratorImlEEZNS1_24adjacent_difference_implIS3_Lb1ELb0EPdN6thrust23THRUST_200600_302600_NS16discard_iteratorINSD_11use_defaultEEENSD_5minusIdEEEE10hipError_tPvRmT2_T3_mT4_P12ihipStream_tbEUlmE_dEESB_NS0_8identityIvEEEESJ_SM_SN_mSO_SQ_bEUlT_E_NS1_11comp_targetILNS1_3genE0ELNS1_11target_archE4294967295ELNS1_3gpuE0ELNS1_3repE0EEENS1_30default_config_static_selectorELNS0_4arch9wavefront6targetE1EEEvT1_,comdat
.Lfunc_end773:
	.size	_ZN7rocprim17ROCPRIM_400000_NS6detail17trampoline_kernelINS0_14default_configENS1_25transform_config_selectorIdLb0EEEZNS1_14transform_implILb0ES3_S5_NS0_18transform_iteratorINS0_17counting_iteratorImlEEZNS1_24adjacent_difference_implIS3_Lb1ELb0EPdN6thrust23THRUST_200600_302600_NS16discard_iteratorINSD_11use_defaultEEENSD_5minusIdEEEE10hipError_tPvRmT2_T3_mT4_P12ihipStream_tbEUlmE_dEESB_NS0_8identityIvEEEESJ_SM_SN_mSO_SQ_bEUlT_E_NS1_11comp_targetILNS1_3genE0ELNS1_11target_archE4294967295ELNS1_3gpuE0ELNS1_3repE0EEENS1_30default_config_static_selectorELNS0_4arch9wavefront6targetE1EEEvT1_, .Lfunc_end773-_ZN7rocprim17ROCPRIM_400000_NS6detail17trampoline_kernelINS0_14default_configENS1_25transform_config_selectorIdLb0EEEZNS1_14transform_implILb0ES3_S5_NS0_18transform_iteratorINS0_17counting_iteratorImlEEZNS1_24adjacent_difference_implIS3_Lb1ELb0EPdN6thrust23THRUST_200600_302600_NS16discard_iteratorINSD_11use_defaultEEENSD_5minusIdEEEE10hipError_tPvRmT2_T3_mT4_P12ihipStream_tbEUlmE_dEESB_NS0_8identityIvEEEESJ_SM_SN_mSO_SQ_bEUlT_E_NS1_11comp_targetILNS1_3genE0ELNS1_11target_archE4294967295ELNS1_3gpuE0ELNS1_3repE0EEENS1_30default_config_static_selectorELNS0_4arch9wavefront6targetE1EEEvT1_
                                        ; -- End function
	.set _ZN7rocprim17ROCPRIM_400000_NS6detail17trampoline_kernelINS0_14default_configENS1_25transform_config_selectorIdLb0EEEZNS1_14transform_implILb0ES3_S5_NS0_18transform_iteratorINS0_17counting_iteratorImlEEZNS1_24adjacent_difference_implIS3_Lb1ELb0EPdN6thrust23THRUST_200600_302600_NS16discard_iteratorINSD_11use_defaultEEENSD_5minusIdEEEE10hipError_tPvRmT2_T3_mT4_P12ihipStream_tbEUlmE_dEESB_NS0_8identityIvEEEESJ_SM_SN_mSO_SQ_bEUlT_E_NS1_11comp_targetILNS1_3genE0ELNS1_11target_archE4294967295ELNS1_3gpuE0ELNS1_3repE0EEENS1_30default_config_static_selectorELNS0_4arch9wavefront6targetE1EEEvT1_.num_vgpr, 0
	.set _ZN7rocprim17ROCPRIM_400000_NS6detail17trampoline_kernelINS0_14default_configENS1_25transform_config_selectorIdLb0EEEZNS1_14transform_implILb0ES3_S5_NS0_18transform_iteratorINS0_17counting_iteratorImlEEZNS1_24adjacent_difference_implIS3_Lb1ELb0EPdN6thrust23THRUST_200600_302600_NS16discard_iteratorINSD_11use_defaultEEENSD_5minusIdEEEE10hipError_tPvRmT2_T3_mT4_P12ihipStream_tbEUlmE_dEESB_NS0_8identityIvEEEESJ_SM_SN_mSO_SQ_bEUlT_E_NS1_11comp_targetILNS1_3genE0ELNS1_11target_archE4294967295ELNS1_3gpuE0ELNS1_3repE0EEENS1_30default_config_static_selectorELNS0_4arch9wavefront6targetE1EEEvT1_.num_agpr, 0
	.set _ZN7rocprim17ROCPRIM_400000_NS6detail17trampoline_kernelINS0_14default_configENS1_25transform_config_selectorIdLb0EEEZNS1_14transform_implILb0ES3_S5_NS0_18transform_iteratorINS0_17counting_iteratorImlEEZNS1_24adjacent_difference_implIS3_Lb1ELb0EPdN6thrust23THRUST_200600_302600_NS16discard_iteratorINSD_11use_defaultEEENSD_5minusIdEEEE10hipError_tPvRmT2_T3_mT4_P12ihipStream_tbEUlmE_dEESB_NS0_8identityIvEEEESJ_SM_SN_mSO_SQ_bEUlT_E_NS1_11comp_targetILNS1_3genE0ELNS1_11target_archE4294967295ELNS1_3gpuE0ELNS1_3repE0EEENS1_30default_config_static_selectorELNS0_4arch9wavefront6targetE1EEEvT1_.numbered_sgpr, 0
	.set _ZN7rocprim17ROCPRIM_400000_NS6detail17trampoline_kernelINS0_14default_configENS1_25transform_config_selectorIdLb0EEEZNS1_14transform_implILb0ES3_S5_NS0_18transform_iteratorINS0_17counting_iteratorImlEEZNS1_24adjacent_difference_implIS3_Lb1ELb0EPdN6thrust23THRUST_200600_302600_NS16discard_iteratorINSD_11use_defaultEEENSD_5minusIdEEEE10hipError_tPvRmT2_T3_mT4_P12ihipStream_tbEUlmE_dEESB_NS0_8identityIvEEEESJ_SM_SN_mSO_SQ_bEUlT_E_NS1_11comp_targetILNS1_3genE0ELNS1_11target_archE4294967295ELNS1_3gpuE0ELNS1_3repE0EEENS1_30default_config_static_selectorELNS0_4arch9wavefront6targetE1EEEvT1_.num_named_barrier, 0
	.set _ZN7rocprim17ROCPRIM_400000_NS6detail17trampoline_kernelINS0_14default_configENS1_25transform_config_selectorIdLb0EEEZNS1_14transform_implILb0ES3_S5_NS0_18transform_iteratorINS0_17counting_iteratorImlEEZNS1_24adjacent_difference_implIS3_Lb1ELb0EPdN6thrust23THRUST_200600_302600_NS16discard_iteratorINSD_11use_defaultEEENSD_5minusIdEEEE10hipError_tPvRmT2_T3_mT4_P12ihipStream_tbEUlmE_dEESB_NS0_8identityIvEEEESJ_SM_SN_mSO_SQ_bEUlT_E_NS1_11comp_targetILNS1_3genE0ELNS1_11target_archE4294967295ELNS1_3gpuE0ELNS1_3repE0EEENS1_30default_config_static_selectorELNS0_4arch9wavefront6targetE1EEEvT1_.private_seg_size, 0
	.set _ZN7rocprim17ROCPRIM_400000_NS6detail17trampoline_kernelINS0_14default_configENS1_25transform_config_selectorIdLb0EEEZNS1_14transform_implILb0ES3_S5_NS0_18transform_iteratorINS0_17counting_iteratorImlEEZNS1_24adjacent_difference_implIS3_Lb1ELb0EPdN6thrust23THRUST_200600_302600_NS16discard_iteratorINSD_11use_defaultEEENSD_5minusIdEEEE10hipError_tPvRmT2_T3_mT4_P12ihipStream_tbEUlmE_dEESB_NS0_8identityIvEEEESJ_SM_SN_mSO_SQ_bEUlT_E_NS1_11comp_targetILNS1_3genE0ELNS1_11target_archE4294967295ELNS1_3gpuE0ELNS1_3repE0EEENS1_30default_config_static_selectorELNS0_4arch9wavefront6targetE1EEEvT1_.uses_vcc, 0
	.set _ZN7rocprim17ROCPRIM_400000_NS6detail17trampoline_kernelINS0_14default_configENS1_25transform_config_selectorIdLb0EEEZNS1_14transform_implILb0ES3_S5_NS0_18transform_iteratorINS0_17counting_iteratorImlEEZNS1_24adjacent_difference_implIS3_Lb1ELb0EPdN6thrust23THRUST_200600_302600_NS16discard_iteratorINSD_11use_defaultEEENSD_5minusIdEEEE10hipError_tPvRmT2_T3_mT4_P12ihipStream_tbEUlmE_dEESB_NS0_8identityIvEEEESJ_SM_SN_mSO_SQ_bEUlT_E_NS1_11comp_targetILNS1_3genE0ELNS1_11target_archE4294967295ELNS1_3gpuE0ELNS1_3repE0EEENS1_30default_config_static_selectorELNS0_4arch9wavefront6targetE1EEEvT1_.uses_flat_scratch, 0
	.set _ZN7rocprim17ROCPRIM_400000_NS6detail17trampoline_kernelINS0_14default_configENS1_25transform_config_selectorIdLb0EEEZNS1_14transform_implILb0ES3_S5_NS0_18transform_iteratorINS0_17counting_iteratorImlEEZNS1_24adjacent_difference_implIS3_Lb1ELb0EPdN6thrust23THRUST_200600_302600_NS16discard_iteratorINSD_11use_defaultEEENSD_5minusIdEEEE10hipError_tPvRmT2_T3_mT4_P12ihipStream_tbEUlmE_dEESB_NS0_8identityIvEEEESJ_SM_SN_mSO_SQ_bEUlT_E_NS1_11comp_targetILNS1_3genE0ELNS1_11target_archE4294967295ELNS1_3gpuE0ELNS1_3repE0EEENS1_30default_config_static_selectorELNS0_4arch9wavefront6targetE1EEEvT1_.has_dyn_sized_stack, 0
	.set _ZN7rocprim17ROCPRIM_400000_NS6detail17trampoline_kernelINS0_14default_configENS1_25transform_config_selectorIdLb0EEEZNS1_14transform_implILb0ES3_S5_NS0_18transform_iteratorINS0_17counting_iteratorImlEEZNS1_24adjacent_difference_implIS3_Lb1ELb0EPdN6thrust23THRUST_200600_302600_NS16discard_iteratorINSD_11use_defaultEEENSD_5minusIdEEEE10hipError_tPvRmT2_T3_mT4_P12ihipStream_tbEUlmE_dEESB_NS0_8identityIvEEEESJ_SM_SN_mSO_SQ_bEUlT_E_NS1_11comp_targetILNS1_3genE0ELNS1_11target_archE4294967295ELNS1_3gpuE0ELNS1_3repE0EEENS1_30default_config_static_selectorELNS0_4arch9wavefront6targetE1EEEvT1_.has_recursion, 0
	.set _ZN7rocprim17ROCPRIM_400000_NS6detail17trampoline_kernelINS0_14default_configENS1_25transform_config_selectorIdLb0EEEZNS1_14transform_implILb0ES3_S5_NS0_18transform_iteratorINS0_17counting_iteratorImlEEZNS1_24adjacent_difference_implIS3_Lb1ELb0EPdN6thrust23THRUST_200600_302600_NS16discard_iteratorINSD_11use_defaultEEENSD_5minusIdEEEE10hipError_tPvRmT2_T3_mT4_P12ihipStream_tbEUlmE_dEESB_NS0_8identityIvEEEESJ_SM_SN_mSO_SQ_bEUlT_E_NS1_11comp_targetILNS1_3genE0ELNS1_11target_archE4294967295ELNS1_3gpuE0ELNS1_3repE0EEENS1_30default_config_static_selectorELNS0_4arch9wavefront6targetE1EEEvT1_.has_indirect_call, 0
	.section	.AMDGPU.csdata,"",@progbits
; Kernel info:
; codeLenInByte = 0
; TotalNumSgprs: 4
; NumVgprs: 0
; ScratchSize: 0
; MemoryBound: 0
; FloatMode: 240
; IeeeMode: 1
; LDSByteSize: 0 bytes/workgroup (compile time only)
; SGPRBlocks: 0
; VGPRBlocks: 0
; NumSGPRsForWavesPerEU: 4
; NumVGPRsForWavesPerEU: 1
; Occupancy: 10
; WaveLimiterHint : 0
; COMPUTE_PGM_RSRC2:SCRATCH_EN: 0
; COMPUTE_PGM_RSRC2:USER_SGPR: 6
; COMPUTE_PGM_RSRC2:TRAP_HANDLER: 0
; COMPUTE_PGM_RSRC2:TGID_X_EN: 1
; COMPUTE_PGM_RSRC2:TGID_Y_EN: 0
; COMPUTE_PGM_RSRC2:TGID_Z_EN: 0
; COMPUTE_PGM_RSRC2:TIDIG_COMP_CNT: 0
	.section	.text._ZN7rocprim17ROCPRIM_400000_NS6detail17trampoline_kernelINS0_14default_configENS1_25transform_config_selectorIdLb0EEEZNS1_14transform_implILb0ES3_S5_NS0_18transform_iteratorINS0_17counting_iteratorImlEEZNS1_24adjacent_difference_implIS3_Lb1ELb0EPdN6thrust23THRUST_200600_302600_NS16discard_iteratorINSD_11use_defaultEEENSD_5minusIdEEEE10hipError_tPvRmT2_T3_mT4_P12ihipStream_tbEUlmE_dEESB_NS0_8identityIvEEEESJ_SM_SN_mSO_SQ_bEUlT_E_NS1_11comp_targetILNS1_3genE5ELNS1_11target_archE942ELNS1_3gpuE9ELNS1_3repE0EEENS1_30default_config_static_selectorELNS0_4arch9wavefront6targetE1EEEvT1_,"axG",@progbits,_ZN7rocprim17ROCPRIM_400000_NS6detail17trampoline_kernelINS0_14default_configENS1_25transform_config_selectorIdLb0EEEZNS1_14transform_implILb0ES3_S5_NS0_18transform_iteratorINS0_17counting_iteratorImlEEZNS1_24adjacent_difference_implIS3_Lb1ELb0EPdN6thrust23THRUST_200600_302600_NS16discard_iteratorINSD_11use_defaultEEENSD_5minusIdEEEE10hipError_tPvRmT2_T3_mT4_P12ihipStream_tbEUlmE_dEESB_NS0_8identityIvEEEESJ_SM_SN_mSO_SQ_bEUlT_E_NS1_11comp_targetILNS1_3genE5ELNS1_11target_archE942ELNS1_3gpuE9ELNS1_3repE0EEENS1_30default_config_static_selectorELNS0_4arch9wavefront6targetE1EEEvT1_,comdat
	.protected	_ZN7rocprim17ROCPRIM_400000_NS6detail17trampoline_kernelINS0_14default_configENS1_25transform_config_selectorIdLb0EEEZNS1_14transform_implILb0ES3_S5_NS0_18transform_iteratorINS0_17counting_iteratorImlEEZNS1_24adjacent_difference_implIS3_Lb1ELb0EPdN6thrust23THRUST_200600_302600_NS16discard_iteratorINSD_11use_defaultEEENSD_5minusIdEEEE10hipError_tPvRmT2_T3_mT4_P12ihipStream_tbEUlmE_dEESB_NS0_8identityIvEEEESJ_SM_SN_mSO_SQ_bEUlT_E_NS1_11comp_targetILNS1_3genE5ELNS1_11target_archE942ELNS1_3gpuE9ELNS1_3repE0EEENS1_30default_config_static_selectorELNS0_4arch9wavefront6targetE1EEEvT1_ ; -- Begin function _ZN7rocprim17ROCPRIM_400000_NS6detail17trampoline_kernelINS0_14default_configENS1_25transform_config_selectorIdLb0EEEZNS1_14transform_implILb0ES3_S5_NS0_18transform_iteratorINS0_17counting_iteratorImlEEZNS1_24adjacent_difference_implIS3_Lb1ELb0EPdN6thrust23THRUST_200600_302600_NS16discard_iteratorINSD_11use_defaultEEENSD_5minusIdEEEE10hipError_tPvRmT2_T3_mT4_P12ihipStream_tbEUlmE_dEESB_NS0_8identityIvEEEESJ_SM_SN_mSO_SQ_bEUlT_E_NS1_11comp_targetILNS1_3genE5ELNS1_11target_archE942ELNS1_3gpuE9ELNS1_3repE0EEENS1_30default_config_static_selectorELNS0_4arch9wavefront6targetE1EEEvT1_
	.globl	_ZN7rocprim17ROCPRIM_400000_NS6detail17trampoline_kernelINS0_14default_configENS1_25transform_config_selectorIdLb0EEEZNS1_14transform_implILb0ES3_S5_NS0_18transform_iteratorINS0_17counting_iteratorImlEEZNS1_24adjacent_difference_implIS3_Lb1ELb0EPdN6thrust23THRUST_200600_302600_NS16discard_iteratorINSD_11use_defaultEEENSD_5minusIdEEEE10hipError_tPvRmT2_T3_mT4_P12ihipStream_tbEUlmE_dEESB_NS0_8identityIvEEEESJ_SM_SN_mSO_SQ_bEUlT_E_NS1_11comp_targetILNS1_3genE5ELNS1_11target_archE942ELNS1_3gpuE9ELNS1_3repE0EEENS1_30default_config_static_selectorELNS0_4arch9wavefront6targetE1EEEvT1_
	.p2align	8
	.type	_ZN7rocprim17ROCPRIM_400000_NS6detail17trampoline_kernelINS0_14default_configENS1_25transform_config_selectorIdLb0EEEZNS1_14transform_implILb0ES3_S5_NS0_18transform_iteratorINS0_17counting_iteratorImlEEZNS1_24adjacent_difference_implIS3_Lb1ELb0EPdN6thrust23THRUST_200600_302600_NS16discard_iteratorINSD_11use_defaultEEENSD_5minusIdEEEE10hipError_tPvRmT2_T3_mT4_P12ihipStream_tbEUlmE_dEESB_NS0_8identityIvEEEESJ_SM_SN_mSO_SQ_bEUlT_E_NS1_11comp_targetILNS1_3genE5ELNS1_11target_archE942ELNS1_3gpuE9ELNS1_3repE0EEENS1_30default_config_static_selectorELNS0_4arch9wavefront6targetE1EEEvT1_,@function
_ZN7rocprim17ROCPRIM_400000_NS6detail17trampoline_kernelINS0_14default_configENS1_25transform_config_selectorIdLb0EEEZNS1_14transform_implILb0ES3_S5_NS0_18transform_iteratorINS0_17counting_iteratorImlEEZNS1_24adjacent_difference_implIS3_Lb1ELb0EPdN6thrust23THRUST_200600_302600_NS16discard_iteratorINSD_11use_defaultEEENSD_5minusIdEEEE10hipError_tPvRmT2_T3_mT4_P12ihipStream_tbEUlmE_dEESB_NS0_8identityIvEEEESJ_SM_SN_mSO_SQ_bEUlT_E_NS1_11comp_targetILNS1_3genE5ELNS1_11target_archE942ELNS1_3gpuE9ELNS1_3repE0EEENS1_30default_config_static_selectorELNS0_4arch9wavefront6targetE1EEEvT1_: ; @_ZN7rocprim17ROCPRIM_400000_NS6detail17trampoline_kernelINS0_14default_configENS1_25transform_config_selectorIdLb0EEEZNS1_14transform_implILb0ES3_S5_NS0_18transform_iteratorINS0_17counting_iteratorImlEEZNS1_24adjacent_difference_implIS3_Lb1ELb0EPdN6thrust23THRUST_200600_302600_NS16discard_iteratorINSD_11use_defaultEEENSD_5minusIdEEEE10hipError_tPvRmT2_T3_mT4_P12ihipStream_tbEUlmE_dEESB_NS0_8identityIvEEEESJ_SM_SN_mSO_SQ_bEUlT_E_NS1_11comp_targetILNS1_3genE5ELNS1_11target_archE942ELNS1_3gpuE9ELNS1_3repE0EEENS1_30default_config_static_selectorELNS0_4arch9wavefront6targetE1EEEvT1_
; %bb.0:
	.section	.rodata,"a",@progbits
	.p2align	6, 0x0
	.amdhsa_kernel _ZN7rocprim17ROCPRIM_400000_NS6detail17trampoline_kernelINS0_14default_configENS1_25transform_config_selectorIdLb0EEEZNS1_14transform_implILb0ES3_S5_NS0_18transform_iteratorINS0_17counting_iteratorImlEEZNS1_24adjacent_difference_implIS3_Lb1ELb0EPdN6thrust23THRUST_200600_302600_NS16discard_iteratorINSD_11use_defaultEEENSD_5minusIdEEEE10hipError_tPvRmT2_T3_mT4_P12ihipStream_tbEUlmE_dEESB_NS0_8identityIvEEEESJ_SM_SN_mSO_SQ_bEUlT_E_NS1_11comp_targetILNS1_3genE5ELNS1_11target_archE942ELNS1_3gpuE9ELNS1_3repE0EEENS1_30default_config_static_selectorELNS0_4arch9wavefront6targetE1EEEvT1_
		.amdhsa_group_segment_fixed_size 0
		.amdhsa_private_segment_fixed_size 0
		.amdhsa_kernarg_size 56
		.amdhsa_user_sgpr_count 6
		.amdhsa_user_sgpr_private_segment_buffer 1
		.amdhsa_user_sgpr_dispatch_ptr 0
		.amdhsa_user_sgpr_queue_ptr 0
		.amdhsa_user_sgpr_kernarg_segment_ptr 1
		.amdhsa_user_sgpr_dispatch_id 0
		.amdhsa_user_sgpr_flat_scratch_init 0
		.amdhsa_user_sgpr_private_segment_size 0
		.amdhsa_uses_dynamic_stack 0
		.amdhsa_system_sgpr_private_segment_wavefront_offset 0
		.amdhsa_system_sgpr_workgroup_id_x 1
		.amdhsa_system_sgpr_workgroup_id_y 0
		.amdhsa_system_sgpr_workgroup_id_z 0
		.amdhsa_system_sgpr_workgroup_info 0
		.amdhsa_system_vgpr_workitem_id 0
		.amdhsa_next_free_vgpr 1
		.amdhsa_next_free_sgpr 0
		.amdhsa_reserve_vcc 0
		.amdhsa_reserve_flat_scratch 0
		.amdhsa_float_round_mode_32 0
		.amdhsa_float_round_mode_16_64 0
		.amdhsa_float_denorm_mode_32 3
		.amdhsa_float_denorm_mode_16_64 3
		.amdhsa_dx10_clamp 1
		.amdhsa_ieee_mode 1
		.amdhsa_fp16_overflow 0
		.amdhsa_exception_fp_ieee_invalid_op 0
		.amdhsa_exception_fp_denorm_src 0
		.amdhsa_exception_fp_ieee_div_zero 0
		.amdhsa_exception_fp_ieee_overflow 0
		.amdhsa_exception_fp_ieee_underflow 0
		.amdhsa_exception_fp_ieee_inexact 0
		.amdhsa_exception_int_div_zero 0
	.end_amdhsa_kernel
	.section	.text._ZN7rocprim17ROCPRIM_400000_NS6detail17trampoline_kernelINS0_14default_configENS1_25transform_config_selectorIdLb0EEEZNS1_14transform_implILb0ES3_S5_NS0_18transform_iteratorINS0_17counting_iteratorImlEEZNS1_24adjacent_difference_implIS3_Lb1ELb0EPdN6thrust23THRUST_200600_302600_NS16discard_iteratorINSD_11use_defaultEEENSD_5minusIdEEEE10hipError_tPvRmT2_T3_mT4_P12ihipStream_tbEUlmE_dEESB_NS0_8identityIvEEEESJ_SM_SN_mSO_SQ_bEUlT_E_NS1_11comp_targetILNS1_3genE5ELNS1_11target_archE942ELNS1_3gpuE9ELNS1_3repE0EEENS1_30default_config_static_selectorELNS0_4arch9wavefront6targetE1EEEvT1_,"axG",@progbits,_ZN7rocprim17ROCPRIM_400000_NS6detail17trampoline_kernelINS0_14default_configENS1_25transform_config_selectorIdLb0EEEZNS1_14transform_implILb0ES3_S5_NS0_18transform_iteratorINS0_17counting_iteratorImlEEZNS1_24adjacent_difference_implIS3_Lb1ELb0EPdN6thrust23THRUST_200600_302600_NS16discard_iteratorINSD_11use_defaultEEENSD_5minusIdEEEE10hipError_tPvRmT2_T3_mT4_P12ihipStream_tbEUlmE_dEESB_NS0_8identityIvEEEESJ_SM_SN_mSO_SQ_bEUlT_E_NS1_11comp_targetILNS1_3genE5ELNS1_11target_archE942ELNS1_3gpuE9ELNS1_3repE0EEENS1_30default_config_static_selectorELNS0_4arch9wavefront6targetE1EEEvT1_,comdat
.Lfunc_end774:
	.size	_ZN7rocprim17ROCPRIM_400000_NS6detail17trampoline_kernelINS0_14default_configENS1_25transform_config_selectorIdLb0EEEZNS1_14transform_implILb0ES3_S5_NS0_18transform_iteratorINS0_17counting_iteratorImlEEZNS1_24adjacent_difference_implIS3_Lb1ELb0EPdN6thrust23THRUST_200600_302600_NS16discard_iteratorINSD_11use_defaultEEENSD_5minusIdEEEE10hipError_tPvRmT2_T3_mT4_P12ihipStream_tbEUlmE_dEESB_NS0_8identityIvEEEESJ_SM_SN_mSO_SQ_bEUlT_E_NS1_11comp_targetILNS1_3genE5ELNS1_11target_archE942ELNS1_3gpuE9ELNS1_3repE0EEENS1_30default_config_static_selectorELNS0_4arch9wavefront6targetE1EEEvT1_, .Lfunc_end774-_ZN7rocprim17ROCPRIM_400000_NS6detail17trampoline_kernelINS0_14default_configENS1_25transform_config_selectorIdLb0EEEZNS1_14transform_implILb0ES3_S5_NS0_18transform_iteratorINS0_17counting_iteratorImlEEZNS1_24adjacent_difference_implIS3_Lb1ELb0EPdN6thrust23THRUST_200600_302600_NS16discard_iteratorINSD_11use_defaultEEENSD_5minusIdEEEE10hipError_tPvRmT2_T3_mT4_P12ihipStream_tbEUlmE_dEESB_NS0_8identityIvEEEESJ_SM_SN_mSO_SQ_bEUlT_E_NS1_11comp_targetILNS1_3genE5ELNS1_11target_archE942ELNS1_3gpuE9ELNS1_3repE0EEENS1_30default_config_static_selectorELNS0_4arch9wavefront6targetE1EEEvT1_
                                        ; -- End function
	.set _ZN7rocprim17ROCPRIM_400000_NS6detail17trampoline_kernelINS0_14default_configENS1_25transform_config_selectorIdLb0EEEZNS1_14transform_implILb0ES3_S5_NS0_18transform_iteratorINS0_17counting_iteratorImlEEZNS1_24adjacent_difference_implIS3_Lb1ELb0EPdN6thrust23THRUST_200600_302600_NS16discard_iteratorINSD_11use_defaultEEENSD_5minusIdEEEE10hipError_tPvRmT2_T3_mT4_P12ihipStream_tbEUlmE_dEESB_NS0_8identityIvEEEESJ_SM_SN_mSO_SQ_bEUlT_E_NS1_11comp_targetILNS1_3genE5ELNS1_11target_archE942ELNS1_3gpuE9ELNS1_3repE0EEENS1_30default_config_static_selectorELNS0_4arch9wavefront6targetE1EEEvT1_.num_vgpr, 0
	.set _ZN7rocprim17ROCPRIM_400000_NS6detail17trampoline_kernelINS0_14default_configENS1_25transform_config_selectorIdLb0EEEZNS1_14transform_implILb0ES3_S5_NS0_18transform_iteratorINS0_17counting_iteratorImlEEZNS1_24adjacent_difference_implIS3_Lb1ELb0EPdN6thrust23THRUST_200600_302600_NS16discard_iteratorINSD_11use_defaultEEENSD_5minusIdEEEE10hipError_tPvRmT2_T3_mT4_P12ihipStream_tbEUlmE_dEESB_NS0_8identityIvEEEESJ_SM_SN_mSO_SQ_bEUlT_E_NS1_11comp_targetILNS1_3genE5ELNS1_11target_archE942ELNS1_3gpuE9ELNS1_3repE0EEENS1_30default_config_static_selectorELNS0_4arch9wavefront6targetE1EEEvT1_.num_agpr, 0
	.set _ZN7rocprim17ROCPRIM_400000_NS6detail17trampoline_kernelINS0_14default_configENS1_25transform_config_selectorIdLb0EEEZNS1_14transform_implILb0ES3_S5_NS0_18transform_iteratorINS0_17counting_iteratorImlEEZNS1_24adjacent_difference_implIS3_Lb1ELb0EPdN6thrust23THRUST_200600_302600_NS16discard_iteratorINSD_11use_defaultEEENSD_5minusIdEEEE10hipError_tPvRmT2_T3_mT4_P12ihipStream_tbEUlmE_dEESB_NS0_8identityIvEEEESJ_SM_SN_mSO_SQ_bEUlT_E_NS1_11comp_targetILNS1_3genE5ELNS1_11target_archE942ELNS1_3gpuE9ELNS1_3repE0EEENS1_30default_config_static_selectorELNS0_4arch9wavefront6targetE1EEEvT1_.numbered_sgpr, 0
	.set _ZN7rocprim17ROCPRIM_400000_NS6detail17trampoline_kernelINS0_14default_configENS1_25transform_config_selectorIdLb0EEEZNS1_14transform_implILb0ES3_S5_NS0_18transform_iteratorINS0_17counting_iteratorImlEEZNS1_24adjacent_difference_implIS3_Lb1ELb0EPdN6thrust23THRUST_200600_302600_NS16discard_iteratorINSD_11use_defaultEEENSD_5minusIdEEEE10hipError_tPvRmT2_T3_mT4_P12ihipStream_tbEUlmE_dEESB_NS0_8identityIvEEEESJ_SM_SN_mSO_SQ_bEUlT_E_NS1_11comp_targetILNS1_3genE5ELNS1_11target_archE942ELNS1_3gpuE9ELNS1_3repE0EEENS1_30default_config_static_selectorELNS0_4arch9wavefront6targetE1EEEvT1_.num_named_barrier, 0
	.set _ZN7rocprim17ROCPRIM_400000_NS6detail17trampoline_kernelINS0_14default_configENS1_25transform_config_selectorIdLb0EEEZNS1_14transform_implILb0ES3_S5_NS0_18transform_iteratorINS0_17counting_iteratorImlEEZNS1_24adjacent_difference_implIS3_Lb1ELb0EPdN6thrust23THRUST_200600_302600_NS16discard_iteratorINSD_11use_defaultEEENSD_5minusIdEEEE10hipError_tPvRmT2_T3_mT4_P12ihipStream_tbEUlmE_dEESB_NS0_8identityIvEEEESJ_SM_SN_mSO_SQ_bEUlT_E_NS1_11comp_targetILNS1_3genE5ELNS1_11target_archE942ELNS1_3gpuE9ELNS1_3repE0EEENS1_30default_config_static_selectorELNS0_4arch9wavefront6targetE1EEEvT1_.private_seg_size, 0
	.set _ZN7rocprim17ROCPRIM_400000_NS6detail17trampoline_kernelINS0_14default_configENS1_25transform_config_selectorIdLb0EEEZNS1_14transform_implILb0ES3_S5_NS0_18transform_iteratorINS0_17counting_iteratorImlEEZNS1_24adjacent_difference_implIS3_Lb1ELb0EPdN6thrust23THRUST_200600_302600_NS16discard_iteratorINSD_11use_defaultEEENSD_5minusIdEEEE10hipError_tPvRmT2_T3_mT4_P12ihipStream_tbEUlmE_dEESB_NS0_8identityIvEEEESJ_SM_SN_mSO_SQ_bEUlT_E_NS1_11comp_targetILNS1_3genE5ELNS1_11target_archE942ELNS1_3gpuE9ELNS1_3repE0EEENS1_30default_config_static_selectorELNS0_4arch9wavefront6targetE1EEEvT1_.uses_vcc, 0
	.set _ZN7rocprim17ROCPRIM_400000_NS6detail17trampoline_kernelINS0_14default_configENS1_25transform_config_selectorIdLb0EEEZNS1_14transform_implILb0ES3_S5_NS0_18transform_iteratorINS0_17counting_iteratorImlEEZNS1_24adjacent_difference_implIS3_Lb1ELb0EPdN6thrust23THRUST_200600_302600_NS16discard_iteratorINSD_11use_defaultEEENSD_5minusIdEEEE10hipError_tPvRmT2_T3_mT4_P12ihipStream_tbEUlmE_dEESB_NS0_8identityIvEEEESJ_SM_SN_mSO_SQ_bEUlT_E_NS1_11comp_targetILNS1_3genE5ELNS1_11target_archE942ELNS1_3gpuE9ELNS1_3repE0EEENS1_30default_config_static_selectorELNS0_4arch9wavefront6targetE1EEEvT1_.uses_flat_scratch, 0
	.set _ZN7rocprim17ROCPRIM_400000_NS6detail17trampoline_kernelINS0_14default_configENS1_25transform_config_selectorIdLb0EEEZNS1_14transform_implILb0ES3_S5_NS0_18transform_iteratorINS0_17counting_iteratorImlEEZNS1_24adjacent_difference_implIS3_Lb1ELb0EPdN6thrust23THRUST_200600_302600_NS16discard_iteratorINSD_11use_defaultEEENSD_5minusIdEEEE10hipError_tPvRmT2_T3_mT4_P12ihipStream_tbEUlmE_dEESB_NS0_8identityIvEEEESJ_SM_SN_mSO_SQ_bEUlT_E_NS1_11comp_targetILNS1_3genE5ELNS1_11target_archE942ELNS1_3gpuE9ELNS1_3repE0EEENS1_30default_config_static_selectorELNS0_4arch9wavefront6targetE1EEEvT1_.has_dyn_sized_stack, 0
	.set _ZN7rocprim17ROCPRIM_400000_NS6detail17trampoline_kernelINS0_14default_configENS1_25transform_config_selectorIdLb0EEEZNS1_14transform_implILb0ES3_S5_NS0_18transform_iteratorINS0_17counting_iteratorImlEEZNS1_24adjacent_difference_implIS3_Lb1ELb0EPdN6thrust23THRUST_200600_302600_NS16discard_iteratorINSD_11use_defaultEEENSD_5minusIdEEEE10hipError_tPvRmT2_T3_mT4_P12ihipStream_tbEUlmE_dEESB_NS0_8identityIvEEEESJ_SM_SN_mSO_SQ_bEUlT_E_NS1_11comp_targetILNS1_3genE5ELNS1_11target_archE942ELNS1_3gpuE9ELNS1_3repE0EEENS1_30default_config_static_selectorELNS0_4arch9wavefront6targetE1EEEvT1_.has_recursion, 0
	.set _ZN7rocprim17ROCPRIM_400000_NS6detail17trampoline_kernelINS0_14default_configENS1_25transform_config_selectorIdLb0EEEZNS1_14transform_implILb0ES3_S5_NS0_18transform_iteratorINS0_17counting_iteratorImlEEZNS1_24adjacent_difference_implIS3_Lb1ELb0EPdN6thrust23THRUST_200600_302600_NS16discard_iteratorINSD_11use_defaultEEENSD_5minusIdEEEE10hipError_tPvRmT2_T3_mT4_P12ihipStream_tbEUlmE_dEESB_NS0_8identityIvEEEESJ_SM_SN_mSO_SQ_bEUlT_E_NS1_11comp_targetILNS1_3genE5ELNS1_11target_archE942ELNS1_3gpuE9ELNS1_3repE0EEENS1_30default_config_static_selectorELNS0_4arch9wavefront6targetE1EEEvT1_.has_indirect_call, 0
	.section	.AMDGPU.csdata,"",@progbits
; Kernel info:
; codeLenInByte = 0
; TotalNumSgprs: 4
; NumVgprs: 0
; ScratchSize: 0
; MemoryBound: 0
; FloatMode: 240
; IeeeMode: 1
; LDSByteSize: 0 bytes/workgroup (compile time only)
; SGPRBlocks: 0
; VGPRBlocks: 0
; NumSGPRsForWavesPerEU: 4
; NumVGPRsForWavesPerEU: 1
; Occupancy: 10
; WaveLimiterHint : 0
; COMPUTE_PGM_RSRC2:SCRATCH_EN: 0
; COMPUTE_PGM_RSRC2:USER_SGPR: 6
; COMPUTE_PGM_RSRC2:TRAP_HANDLER: 0
; COMPUTE_PGM_RSRC2:TGID_X_EN: 1
; COMPUTE_PGM_RSRC2:TGID_Y_EN: 0
; COMPUTE_PGM_RSRC2:TGID_Z_EN: 0
; COMPUTE_PGM_RSRC2:TIDIG_COMP_CNT: 0
	.section	.text._ZN7rocprim17ROCPRIM_400000_NS6detail17trampoline_kernelINS0_14default_configENS1_25transform_config_selectorIdLb0EEEZNS1_14transform_implILb0ES3_S5_NS0_18transform_iteratorINS0_17counting_iteratorImlEEZNS1_24adjacent_difference_implIS3_Lb1ELb0EPdN6thrust23THRUST_200600_302600_NS16discard_iteratorINSD_11use_defaultEEENSD_5minusIdEEEE10hipError_tPvRmT2_T3_mT4_P12ihipStream_tbEUlmE_dEESB_NS0_8identityIvEEEESJ_SM_SN_mSO_SQ_bEUlT_E_NS1_11comp_targetILNS1_3genE4ELNS1_11target_archE910ELNS1_3gpuE8ELNS1_3repE0EEENS1_30default_config_static_selectorELNS0_4arch9wavefront6targetE1EEEvT1_,"axG",@progbits,_ZN7rocprim17ROCPRIM_400000_NS6detail17trampoline_kernelINS0_14default_configENS1_25transform_config_selectorIdLb0EEEZNS1_14transform_implILb0ES3_S5_NS0_18transform_iteratorINS0_17counting_iteratorImlEEZNS1_24adjacent_difference_implIS3_Lb1ELb0EPdN6thrust23THRUST_200600_302600_NS16discard_iteratorINSD_11use_defaultEEENSD_5minusIdEEEE10hipError_tPvRmT2_T3_mT4_P12ihipStream_tbEUlmE_dEESB_NS0_8identityIvEEEESJ_SM_SN_mSO_SQ_bEUlT_E_NS1_11comp_targetILNS1_3genE4ELNS1_11target_archE910ELNS1_3gpuE8ELNS1_3repE0EEENS1_30default_config_static_selectorELNS0_4arch9wavefront6targetE1EEEvT1_,comdat
	.protected	_ZN7rocprim17ROCPRIM_400000_NS6detail17trampoline_kernelINS0_14default_configENS1_25transform_config_selectorIdLb0EEEZNS1_14transform_implILb0ES3_S5_NS0_18transform_iteratorINS0_17counting_iteratorImlEEZNS1_24adjacent_difference_implIS3_Lb1ELb0EPdN6thrust23THRUST_200600_302600_NS16discard_iteratorINSD_11use_defaultEEENSD_5minusIdEEEE10hipError_tPvRmT2_T3_mT4_P12ihipStream_tbEUlmE_dEESB_NS0_8identityIvEEEESJ_SM_SN_mSO_SQ_bEUlT_E_NS1_11comp_targetILNS1_3genE4ELNS1_11target_archE910ELNS1_3gpuE8ELNS1_3repE0EEENS1_30default_config_static_selectorELNS0_4arch9wavefront6targetE1EEEvT1_ ; -- Begin function _ZN7rocprim17ROCPRIM_400000_NS6detail17trampoline_kernelINS0_14default_configENS1_25transform_config_selectorIdLb0EEEZNS1_14transform_implILb0ES3_S5_NS0_18transform_iteratorINS0_17counting_iteratorImlEEZNS1_24adjacent_difference_implIS3_Lb1ELb0EPdN6thrust23THRUST_200600_302600_NS16discard_iteratorINSD_11use_defaultEEENSD_5minusIdEEEE10hipError_tPvRmT2_T3_mT4_P12ihipStream_tbEUlmE_dEESB_NS0_8identityIvEEEESJ_SM_SN_mSO_SQ_bEUlT_E_NS1_11comp_targetILNS1_3genE4ELNS1_11target_archE910ELNS1_3gpuE8ELNS1_3repE0EEENS1_30default_config_static_selectorELNS0_4arch9wavefront6targetE1EEEvT1_
	.globl	_ZN7rocprim17ROCPRIM_400000_NS6detail17trampoline_kernelINS0_14default_configENS1_25transform_config_selectorIdLb0EEEZNS1_14transform_implILb0ES3_S5_NS0_18transform_iteratorINS0_17counting_iteratorImlEEZNS1_24adjacent_difference_implIS3_Lb1ELb0EPdN6thrust23THRUST_200600_302600_NS16discard_iteratorINSD_11use_defaultEEENSD_5minusIdEEEE10hipError_tPvRmT2_T3_mT4_P12ihipStream_tbEUlmE_dEESB_NS0_8identityIvEEEESJ_SM_SN_mSO_SQ_bEUlT_E_NS1_11comp_targetILNS1_3genE4ELNS1_11target_archE910ELNS1_3gpuE8ELNS1_3repE0EEENS1_30default_config_static_selectorELNS0_4arch9wavefront6targetE1EEEvT1_
	.p2align	8
	.type	_ZN7rocprim17ROCPRIM_400000_NS6detail17trampoline_kernelINS0_14default_configENS1_25transform_config_selectorIdLb0EEEZNS1_14transform_implILb0ES3_S5_NS0_18transform_iteratorINS0_17counting_iteratorImlEEZNS1_24adjacent_difference_implIS3_Lb1ELb0EPdN6thrust23THRUST_200600_302600_NS16discard_iteratorINSD_11use_defaultEEENSD_5minusIdEEEE10hipError_tPvRmT2_T3_mT4_P12ihipStream_tbEUlmE_dEESB_NS0_8identityIvEEEESJ_SM_SN_mSO_SQ_bEUlT_E_NS1_11comp_targetILNS1_3genE4ELNS1_11target_archE910ELNS1_3gpuE8ELNS1_3repE0EEENS1_30default_config_static_selectorELNS0_4arch9wavefront6targetE1EEEvT1_,@function
_ZN7rocprim17ROCPRIM_400000_NS6detail17trampoline_kernelINS0_14default_configENS1_25transform_config_selectorIdLb0EEEZNS1_14transform_implILb0ES3_S5_NS0_18transform_iteratorINS0_17counting_iteratorImlEEZNS1_24adjacent_difference_implIS3_Lb1ELb0EPdN6thrust23THRUST_200600_302600_NS16discard_iteratorINSD_11use_defaultEEENSD_5minusIdEEEE10hipError_tPvRmT2_T3_mT4_P12ihipStream_tbEUlmE_dEESB_NS0_8identityIvEEEESJ_SM_SN_mSO_SQ_bEUlT_E_NS1_11comp_targetILNS1_3genE4ELNS1_11target_archE910ELNS1_3gpuE8ELNS1_3repE0EEENS1_30default_config_static_selectorELNS0_4arch9wavefront6targetE1EEEvT1_: ; @_ZN7rocprim17ROCPRIM_400000_NS6detail17trampoline_kernelINS0_14default_configENS1_25transform_config_selectorIdLb0EEEZNS1_14transform_implILb0ES3_S5_NS0_18transform_iteratorINS0_17counting_iteratorImlEEZNS1_24adjacent_difference_implIS3_Lb1ELb0EPdN6thrust23THRUST_200600_302600_NS16discard_iteratorINSD_11use_defaultEEENSD_5minusIdEEEE10hipError_tPvRmT2_T3_mT4_P12ihipStream_tbEUlmE_dEESB_NS0_8identityIvEEEESJ_SM_SN_mSO_SQ_bEUlT_E_NS1_11comp_targetILNS1_3genE4ELNS1_11target_archE910ELNS1_3gpuE8ELNS1_3repE0EEENS1_30default_config_static_selectorELNS0_4arch9wavefront6targetE1EEEvT1_
; %bb.0:
	.section	.rodata,"a",@progbits
	.p2align	6, 0x0
	.amdhsa_kernel _ZN7rocprim17ROCPRIM_400000_NS6detail17trampoline_kernelINS0_14default_configENS1_25transform_config_selectorIdLb0EEEZNS1_14transform_implILb0ES3_S5_NS0_18transform_iteratorINS0_17counting_iteratorImlEEZNS1_24adjacent_difference_implIS3_Lb1ELb0EPdN6thrust23THRUST_200600_302600_NS16discard_iteratorINSD_11use_defaultEEENSD_5minusIdEEEE10hipError_tPvRmT2_T3_mT4_P12ihipStream_tbEUlmE_dEESB_NS0_8identityIvEEEESJ_SM_SN_mSO_SQ_bEUlT_E_NS1_11comp_targetILNS1_3genE4ELNS1_11target_archE910ELNS1_3gpuE8ELNS1_3repE0EEENS1_30default_config_static_selectorELNS0_4arch9wavefront6targetE1EEEvT1_
		.amdhsa_group_segment_fixed_size 0
		.amdhsa_private_segment_fixed_size 0
		.amdhsa_kernarg_size 56
		.amdhsa_user_sgpr_count 6
		.amdhsa_user_sgpr_private_segment_buffer 1
		.amdhsa_user_sgpr_dispatch_ptr 0
		.amdhsa_user_sgpr_queue_ptr 0
		.amdhsa_user_sgpr_kernarg_segment_ptr 1
		.amdhsa_user_sgpr_dispatch_id 0
		.amdhsa_user_sgpr_flat_scratch_init 0
		.amdhsa_user_sgpr_private_segment_size 0
		.amdhsa_uses_dynamic_stack 0
		.amdhsa_system_sgpr_private_segment_wavefront_offset 0
		.amdhsa_system_sgpr_workgroup_id_x 1
		.amdhsa_system_sgpr_workgroup_id_y 0
		.amdhsa_system_sgpr_workgroup_id_z 0
		.amdhsa_system_sgpr_workgroup_info 0
		.amdhsa_system_vgpr_workitem_id 0
		.amdhsa_next_free_vgpr 1
		.amdhsa_next_free_sgpr 0
		.amdhsa_reserve_vcc 0
		.amdhsa_reserve_flat_scratch 0
		.amdhsa_float_round_mode_32 0
		.amdhsa_float_round_mode_16_64 0
		.amdhsa_float_denorm_mode_32 3
		.amdhsa_float_denorm_mode_16_64 3
		.amdhsa_dx10_clamp 1
		.amdhsa_ieee_mode 1
		.amdhsa_fp16_overflow 0
		.amdhsa_exception_fp_ieee_invalid_op 0
		.amdhsa_exception_fp_denorm_src 0
		.amdhsa_exception_fp_ieee_div_zero 0
		.amdhsa_exception_fp_ieee_overflow 0
		.amdhsa_exception_fp_ieee_underflow 0
		.amdhsa_exception_fp_ieee_inexact 0
		.amdhsa_exception_int_div_zero 0
	.end_amdhsa_kernel
	.section	.text._ZN7rocprim17ROCPRIM_400000_NS6detail17trampoline_kernelINS0_14default_configENS1_25transform_config_selectorIdLb0EEEZNS1_14transform_implILb0ES3_S5_NS0_18transform_iteratorINS0_17counting_iteratorImlEEZNS1_24adjacent_difference_implIS3_Lb1ELb0EPdN6thrust23THRUST_200600_302600_NS16discard_iteratorINSD_11use_defaultEEENSD_5minusIdEEEE10hipError_tPvRmT2_T3_mT4_P12ihipStream_tbEUlmE_dEESB_NS0_8identityIvEEEESJ_SM_SN_mSO_SQ_bEUlT_E_NS1_11comp_targetILNS1_3genE4ELNS1_11target_archE910ELNS1_3gpuE8ELNS1_3repE0EEENS1_30default_config_static_selectorELNS0_4arch9wavefront6targetE1EEEvT1_,"axG",@progbits,_ZN7rocprim17ROCPRIM_400000_NS6detail17trampoline_kernelINS0_14default_configENS1_25transform_config_selectorIdLb0EEEZNS1_14transform_implILb0ES3_S5_NS0_18transform_iteratorINS0_17counting_iteratorImlEEZNS1_24adjacent_difference_implIS3_Lb1ELb0EPdN6thrust23THRUST_200600_302600_NS16discard_iteratorINSD_11use_defaultEEENSD_5minusIdEEEE10hipError_tPvRmT2_T3_mT4_P12ihipStream_tbEUlmE_dEESB_NS0_8identityIvEEEESJ_SM_SN_mSO_SQ_bEUlT_E_NS1_11comp_targetILNS1_3genE4ELNS1_11target_archE910ELNS1_3gpuE8ELNS1_3repE0EEENS1_30default_config_static_selectorELNS0_4arch9wavefront6targetE1EEEvT1_,comdat
.Lfunc_end775:
	.size	_ZN7rocprim17ROCPRIM_400000_NS6detail17trampoline_kernelINS0_14default_configENS1_25transform_config_selectorIdLb0EEEZNS1_14transform_implILb0ES3_S5_NS0_18transform_iteratorINS0_17counting_iteratorImlEEZNS1_24adjacent_difference_implIS3_Lb1ELb0EPdN6thrust23THRUST_200600_302600_NS16discard_iteratorINSD_11use_defaultEEENSD_5minusIdEEEE10hipError_tPvRmT2_T3_mT4_P12ihipStream_tbEUlmE_dEESB_NS0_8identityIvEEEESJ_SM_SN_mSO_SQ_bEUlT_E_NS1_11comp_targetILNS1_3genE4ELNS1_11target_archE910ELNS1_3gpuE8ELNS1_3repE0EEENS1_30default_config_static_selectorELNS0_4arch9wavefront6targetE1EEEvT1_, .Lfunc_end775-_ZN7rocprim17ROCPRIM_400000_NS6detail17trampoline_kernelINS0_14default_configENS1_25transform_config_selectorIdLb0EEEZNS1_14transform_implILb0ES3_S5_NS0_18transform_iteratorINS0_17counting_iteratorImlEEZNS1_24adjacent_difference_implIS3_Lb1ELb0EPdN6thrust23THRUST_200600_302600_NS16discard_iteratorINSD_11use_defaultEEENSD_5minusIdEEEE10hipError_tPvRmT2_T3_mT4_P12ihipStream_tbEUlmE_dEESB_NS0_8identityIvEEEESJ_SM_SN_mSO_SQ_bEUlT_E_NS1_11comp_targetILNS1_3genE4ELNS1_11target_archE910ELNS1_3gpuE8ELNS1_3repE0EEENS1_30default_config_static_selectorELNS0_4arch9wavefront6targetE1EEEvT1_
                                        ; -- End function
	.set _ZN7rocprim17ROCPRIM_400000_NS6detail17trampoline_kernelINS0_14default_configENS1_25transform_config_selectorIdLb0EEEZNS1_14transform_implILb0ES3_S5_NS0_18transform_iteratorINS0_17counting_iteratorImlEEZNS1_24adjacent_difference_implIS3_Lb1ELb0EPdN6thrust23THRUST_200600_302600_NS16discard_iteratorINSD_11use_defaultEEENSD_5minusIdEEEE10hipError_tPvRmT2_T3_mT4_P12ihipStream_tbEUlmE_dEESB_NS0_8identityIvEEEESJ_SM_SN_mSO_SQ_bEUlT_E_NS1_11comp_targetILNS1_3genE4ELNS1_11target_archE910ELNS1_3gpuE8ELNS1_3repE0EEENS1_30default_config_static_selectorELNS0_4arch9wavefront6targetE1EEEvT1_.num_vgpr, 0
	.set _ZN7rocprim17ROCPRIM_400000_NS6detail17trampoline_kernelINS0_14default_configENS1_25transform_config_selectorIdLb0EEEZNS1_14transform_implILb0ES3_S5_NS0_18transform_iteratorINS0_17counting_iteratorImlEEZNS1_24adjacent_difference_implIS3_Lb1ELb0EPdN6thrust23THRUST_200600_302600_NS16discard_iteratorINSD_11use_defaultEEENSD_5minusIdEEEE10hipError_tPvRmT2_T3_mT4_P12ihipStream_tbEUlmE_dEESB_NS0_8identityIvEEEESJ_SM_SN_mSO_SQ_bEUlT_E_NS1_11comp_targetILNS1_3genE4ELNS1_11target_archE910ELNS1_3gpuE8ELNS1_3repE0EEENS1_30default_config_static_selectorELNS0_4arch9wavefront6targetE1EEEvT1_.num_agpr, 0
	.set _ZN7rocprim17ROCPRIM_400000_NS6detail17trampoline_kernelINS0_14default_configENS1_25transform_config_selectorIdLb0EEEZNS1_14transform_implILb0ES3_S5_NS0_18transform_iteratorINS0_17counting_iteratorImlEEZNS1_24adjacent_difference_implIS3_Lb1ELb0EPdN6thrust23THRUST_200600_302600_NS16discard_iteratorINSD_11use_defaultEEENSD_5minusIdEEEE10hipError_tPvRmT2_T3_mT4_P12ihipStream_tbEUlmE_dEESB_NS0_8identityIvEEEESJ_SM_SN_mSO_SQ_bEUlT_E_NS1_11comp_targetILNS1_3genE4ELNS1_11target_archE910ELNS1_3gpuE8ELNS1_3repE0EEENS1_30default_config_static_selectorELNS0_4arch9wavefront6targetE1EEEvT1_.numbered_sgpr, 0
	.set _ZN7rocprim17ROCPRIM_400000_NS6detail17trampoline_kernelINS0_14default_configENS1_25transform_config_selectorIdLb0EEEZNS1_14transform_implILb0ES3_S5_NS0_18transform_iteratorINS0_17counting_iteratorImlEEZNS1_24adjacent_difference_implIS3_Lb1ELb0EPdN6thrust23THRUST_200600_302600_NS16discard_iteratorINSD_11use_defaultEEENSD_5minusIdEEEE10hipError_tPvRmT2_T3_mT4_P12ihipStream_tbEUlmE_dEESB_NS0_8identityIvEEEESJ_SM_SN_mSO_SQ_bEUlT_E_NS1_11comp_targetILNS1_3genE4ELNS1_11target_archE910ELNS1_3gpuE8ELNS1_3repE0EEENS1_30default_config_static_selectorELNS0_4arch9wavefront6targetE1EEEvT1_.num_named_barrier, 0
	.set _ZN7rocprim17ROCPRIM_400000_NS6detail17trampoline_kernelINS0_14default_configENS1_25transform_config_selectorIdLb0EEEZNS1_14transform_implILb0ES3_S5_NS0_18transform_iteratorINS0_17counting_iteratorImlEEZNS1_24adjacent_difference_implIS3_Lb1ELb0EPdN6thrust23THRUST_200600_302600_NS16discard_iteratorINSD_11use_defaultEEENSD_5minusIdEEEE10hipError_tPvRmT2_T3_mT4_P12ihipStream_tbEUlmE_dEESB_NS0_8identityIvEEEESJ_SM_SN_mSO_SQ_bEUlT_E_NS1_11comp_targetILNS1_3genE4ELNS1_11target_archE910ELNS1_3gpuE8ELNS1_3repE0EEENS1_30default_config_static_selectorELNS0_4arch9wavefront6targetE1EEEvT1_.private_seg_size, 0
	.set _ZN7rocprim17ROCPRIM_400000_NS6detail17trampoline_kernelINS0_14default_configENS1_25transform_config_selectorIdLb0EEEZNS1_14transform_implILb0ES3_S5_NS0_18transform_iteratorINS0_17counting_iteratorImlEEZNS1_24adjacent_difference_implIS3_Lb1ELb0EPdN6thrust23THRUST_200600_302600_NS16discard_iteratorINSD_11use_defaultEEENSD_5minusIdEEEE10hipError_tPvRmT2_T3_mT4_P12ihipStream_tbEUlmE_dEESB_NS0_8identityIvEEEESJ_SM_SN_mSO_SQ_bEUlT_E_NS1_11comp_targetILNS1_3genE4ELNS1_11target_archE910ELNS1_3gpuE8ELNS1_3repE0EEENS1_30default_config_static_selectorELNS0_4arch9wavefront6targetE1EEEvT1_.uses_vcc, 0
	.set _ZN7rocprim17ROCPRIM_400000_NS6detail17trampoline_kernelINS0_14default_configENS1_25transform_config_selectorIdLb0EEEZNS1_14transform_implILb0ES3_S5_NS0_18transform_iteratorINS0_17counting_iteratorImlEEZNS1_24adjacent_difference_implIS3_Lb1ELb0EPdN6thrust23THRUST_200600_302600_NS16discard_iteratorINSD_11use_defaultEEENSD_5minusIdEEEE10hipError_tPvRmT2_T3_mT4_P12ihipStream_tbEUlmE_dEESB_NS0_8identityIvEEEESJ_SM_SN_mSO_SQ_bEUlT_E_NS1_11comp_targetILNS1_3genE4ELNS1_11target_archE910ELNS1_3gpuE8ELNS1_3repE0EEENS1_30default_config_static_selectorELNS0_4arch9wavefront6targetE1EEEvT1_.uses_flat_scratch, 0
	.set _ZN7rocprim17ROCPRIM_400000_NS6detail17trampoline_kernelINS0_14default_configENS1_25transform_config_selectorIdLb0EEEZNS1_14transform_implILb0ES3_S5_NS0_18transform_iteratorINS0_17counting_iteratorImlEEZNS1_24adjacent_difference_implIS3_Lb1ELb0EPdN6thrust23THRUST_200600_302600_NS16discard_iteratorINSD_11use_defaultEEENSD_5minusIdEEEE10hipError_tPvRmT2_T3_mT4_P12ihipStream_tbEUlmE_dEESB_NS0_8identityIvEEEESJ_SM_SN_mSO_SQ_bEUlT_E_NS1_11comp_targetILNS1_3genE4ELNS1_11target_archE910ELNS1_3gpuE8ELNS1_3repE0EEENS1_30default_config_static_selectorELNS0_4arch9wavefront6targetE1EEEvT1_.has_dyn_sized_stack, 0
	.set _ZN7rocprim17ROCPRIM_400000_NS6detail17trampoline_kernelINS0_14default_configENS1_25transform_config_selectorIdLb0EEEZNS1_14transform_implILb0ES3_S5_NS0_18transform_iteratorINS0_17counting_iteratorImlEEZNS1_24adjacent_difference_implIS3_Lb1ELb0EPdN6thrust23THRUST_200600_302600_NS16discard_iteratorINSD_11use_defaultEEENSD_5minusIdEEEE10hipError_tPvRmT2_T3_mT4_P12ihipStream_tbEUlmE_dEESB_NS0_8identityIvEEEESJ_SM_SN_mSO_SQ_bEUlT_E_NS1_11comp_targetILNS1_3genE4ELNS1_11target_archE910ELNS1_3gpuE8ELNS1_3repE0EEENS1_30default_config_static_selectorELNS0_4arch9wavefront6targetE1EEEvT1_.has_recursion, 0
	.set _ZN7rocprim17ROCPRIM_400000_NS6detail17trampoline_kernelINS0_14default_configENS1_25transform_config_selectorIdLb0EEEZNS1_14transform_implILb0ES3_S5_NS0_18transform_iteratorINS0_17counting_iteratorImlEEZNS1_24adjacent_difference_implIS3_Lb1ELb0EPdN6thrust23THRUST_200600_302600_NS16discard_iteratorINSD_11use_defaultEEENSD_5minusIdEEEE10hipError_tPvRmT2_T3_mT4_P12ihipStream_tbEUlmE_dEESB_NS0_8identityIvEEEESJ_SM_SN_mSO_SQ_bEUlT_E_NS1_11comp_targetILNS1_3genE4ELNS1_11target_archE910ELNS1_3gpuE8ELNS1_3repE0EEENS1_30default_config_static_selectorELNS0_4arch9wavefront6targetE1EEEvT1_.has_indirect_call, 0
	.section	.AMDGPU.csdata,"",@progbits
; Kernel info:
; codeLenInByte = 0
; TotalNumSgprs: 4
; NumVgprs: 0
; ScratchSize: 0
; MemoryBound: 0
; FloatMode: 240
; IeeeMode: 1
; LDSByteSize: 0 bytes/workgroup (compile time only)
; SGPRBlocks: 0
; VGPRBlocks: 0
; NumSGPRsForWavesPerEU: 4
; NumVGPRsForWavesPerEU: 1
; Occupancy: 10
; WaveLimiterHint : 0
; COMPUTE_PGM_RSRC2:SCRATCH_EN: 0
; COMPUTE_PGM_RSRC2:USER_SGPR: 6
; COMPUTE_PGM_RSRC2:TRAP_HANDLER: 0
; COMPUTE_PGM_RSRC2:TGID_X_EN: 1
; COMPUTE_PGM_RSRC2:TGID_Y_EN: 0
; COMPUTE_PGM_RSRC2:TGID_Z_EN: 0
; COMPUTE_PGM_RSRC2:TIDIG_COMP_CNT: 0
	.section	.text._ZN7rocprim17ROCPRIM_400000_NS6detail17trampoline_kernelINS0_14default_configENS1_25transform_config_selectorIdLb0EEEZNS1_14transform_implILb0ES3_S5_NS0_18transform_iteratorINS0_17counting_iteratorImlEEZNS1_24adjacent_difference_implIS3_Lb1ELb0EPdN6thrust23THRUST_200600_302600_NS16discard_iteratorINSD_11use_defaultEEENSD_5minusIdEEEE10hipError_tPvRmT2_T3_mT4_P12ihipStream_tbEUlmE_dEESB_NS0_8identityIvEEEESJ_SM_SN_mSO_SQ_bEUlT_E_NS1_11comp_targetILNS1_3genE3ELNS1_11target_archE908ELNS1_3gpuE7ELNS1_3repE0EEENS1_30default_config_static_selectorELNS0_4arch9wavefront6targetE1EEEvT1_,"axG",@progbits,_ZN7rocprim17ROCPRIM_400000_NS6detail17trampoline_kernelINS0_14default_configENS1_25transform_config_selectorIdLb0EEEZNS1_14transform_implILb0ES3_S5_NS0_18transform_iteratorINS0_17counting_iteratorImlEEZNS1_24adjacent_difference_implIS3_Lb1ELb0EPdN6thrust23THRUST_200600_302600_NS16discard_iteratorINSD_11use_defaultEEENSD_5minusIdEEEE10hipError_tPvRmT2_T3_mT4_P12ihipStream_tbEUlmE_dEESB_NS0_8identityIvEEEESJ_SM_SN_mSO_SQ_bEUlT_E_NS1_11comp_targetILNS1_3genE3ELNS1_11target_archE908ELNS1_3gpuE7ELNS1_3repE0EEENS1_30default_config_static_selectorELNS0_4arch9wavefront6targetE1EEEvT1_,comdat
	.protected	_ZN7rocprim17ROCPRIM_400000_NS6detail17trampoline_kernelINS0_14default_configENS1_25transform_config_selectorIdLb0EEEZNS1_14transform_implILb0ES3_S5_NS0_18transform_iteratorINS0_17counting_iteratorImlEEZNS1_24adjacent_difference_implIS3_Lb1ELb0EPdN6thrust23THRUST_200600_302600_NS16discard_iteratorINSD_11use_defaultEEENSD_5minusIdEEEE10hipError_tPvRmT2_T3_mT4_P12ihipStream_tbEUlmE_dEESB_NS0_8identityIvEEEESJ_SM_SN_mSO_SQ_bEUlT_E_NS1_11comp_targetILNS1_3genE3ELNS1_11target_archE908ELNS1_3gpuE7ELNS1_3repE0EEENS1_30default_config_static_selectorELNS0_4arch9wavefront6targetE1EEEvT1_ ; -- Begin function _ZN7rocprim17ROCPRIM_400000_NS6detail17trampoline_kernelINS0_14default_configENS1_25transform_config_selectorIdLb0EEEZNS1_14transform_implILb0ES3_S5_NS0_18transform_iteratorINS0_17counting_iteratorImlEEZNS1_24adjacent_difference_implIS3_Lb1ELb0EPdN6thrust23THRUST_200600_302600_NS16discard_iteratorINSD_11use_defaultEEENSD_5minusIdEEEE10hipError_tPvRmT2_T3_mT4_P12ihipStream_tbEUlmE_dEESB_NS0_8identityIvEEEESJ_SM_SN_mSO_SQ_bEUlT_E_NS1_11comp_targetILNS1_3genE3ELNS1_11target_archE908ELNS1_3gpuE7ELNS1_3repE0EEENS1_30default_config_static_selectorELNS0_4arch9wavefront6targetE1EEEvT1_
	.globl	_ZN7rocprim17ROCPRIM_400000_NS6detail17trampoline_kernelINS0_14default_configENS1_25transform_config_selectorIdLb0EEEZNS1_14transform_implILb0ES3_S5_NS0_18transform_iteratorINS0_17counting_iteratorImlEEZNS1_24adjacent_difference_implIS3_Lb1ELb0EPdN6thrust23THRUST_200600_302600_NS16discard_iteratorINSD_11use_defaultEEENSD_5minusIdEEEE10hipError_tPvRmT2_T3_mT4_P12ihipStream_tbEUlmE_dEESB_NS0_8identityIvEEEESJ_SM_SN_mSO_SQ_bEUlT_E_NS1_11comp_targetILNS1_3genE3ELNS1_11target_archE908ELNS1_3gpuE7ELNS1_3repE0EEENS1_30default_config_static_selectorELNS0_4arch9wavefront6targetE1EEEvT1_
	.p2align	8
	.type	_ZN7rocprim17ROCPRIM_400000_NS6detail17trampoline_kernelINS0_14default_configENS1_25transform_config_selectorIdLb0EEEZNS1_14transform_implILb0ES3_S5_NS0_18transform_iteratorINS0_17counting_iteratorImlEEZNS1_24adjacent_difference_implIS3_Lb1ELb0EPdN6thrust23THRUST_200600_302600_NS16discard_iteratorINSD_11use_defaultEEENSD_5minusIdEEEE10hipError_tPvRmT2_T3_mT4_P12ihipStream_tbEUlmE_dEESB_NS0_8identityIvEEEESJ_SM_SN_mSO_SQ_bEUlT_E_NS1_11comp_targetILNS1_3genE3ELNS1_11target_archE908ELNS1_3gpuE7ELNS1_3repE0EEENS1_30default_config_static_selectorELNS0_4arch9wavefront6targetE1EEEvT1_,@function
_ZN7rocprim17ROCPRIM_400000_NS6detail17trampoline_kernelINS0_14default_configENS1_25transform_config_selectorIdLb0EEEZNS1_14transform_implILb0ES3_S5_NS0_18transform_iteratorINS0_17counting_iteratorImlEEZNS1_24adjacent_difference_implIS3_Lb1ELb0EPdN6thrust23THRUST_200600_302600_NS16discard_iteratorINSD_11use_defaultEEENSD_5minusIdEEEE10hipError_tPvRmT2_T3_mT4_P12ihipStream_tbEUlmE_dEESB_NS0_8identityIvEEEESJ_SM_SN_mSO_SQ_bEUlT_E_NS1_11comp_targetILNS1_3genE3ELNS1_11target_archE908ELNS1_3gpuE7ELNS1_3repE0EEENS1_30default_config_static_selectorELNS0_4arch9wavefront6targetE1EEEvT1_: ; @_ZN7rocprim17ROCPRIM_400000_NS6detail17trampoline_kernelINS0_14default_configENS1_25transform_config_selectorIdLb0EEEZNS1_14transform_implILb0ES3_S5_NS0_18transform_iteratorINS0_17counting_iteratorImlEEZNS1_24adjacent_difference_implIS3_Lb1ELb0EPdN6thrust23THRUST_200600_302600_NS16discard_iteratorINSD_11use_defaultEEENSD_5minusIdEEEE10hipError_tPvRmT2_T3_mT4_P12ihipStream_tbEUlmE_dEESB_NS0_8identityIvEEEESJ_SM_SN_mSO_SQ_bEUlT_E_NS1_11comp_targetILNS1_3genE3ELNS1_11target_archE908ELNS1_3gpuE7ELNS1_3repE0EEENS1_30default_config_static_selectorELNS0_4arch9wavefront6targetE1EEEvT1_
; %bb.0:
	.section	.rodata,"a",@progbits
	.p2align	6, 0x0
	.amdhsa_kernel _ZN7rocprim17ROCPRIM_400000_NS6detail17trampoline_kernelINS0_14default_configENS1_25transform_config_selectorIdLb0EEEZNS1_14transform_implILb0ES3_S5_NS0_18transform_iteratorINS0_17counting_iteratorImlEEZNS1_24adjacent_difference_implIS3_Lb1ELb0EPdN6thrust23THRUST_200600_302600_NS16discard_iteratorINSD_11use_defaultEEENSD_5minusIdEEEE10hipError_tPvRmT2_T3_mT4_P12ihipStream_tbEUlmE_dEESB_NS0_8identityIvEEEESJ_SM_SN_mSO_SQ_bEUlT_E_NS1_11comp_targetILNS1_3genE3ELNS1_11target_archE908ELNS1_3gpuE7ELNS1_3repE0EEENS1_30default_config_static_selectorELNS0_4arch9wavefront6targetE1EEEvT1_
		.amdhsa_group_segment_fixed_size 0
		.amdhsa_private_segment_fixed_size 0
		.amdhsa_kernarg_size 56
		.amdhsa_user_sgpr_count 6
		.amdhsa_user_sgpr_private_segment_buffer 1
		.amdhsa_user_sgpr_dispatch_ptr 0
		.amdhsa_user_sgpr_queue_ptr 0
		.amdhsa_user_sgpr_kernarg_segment_ptr 1
		.amdhsa_user_sgpr_dispatch_id 0
		.amdhsa_user_sgpr_flat_scratch_init 0
		.amdhsa_user_sgpr_private_segment_size 0
		.amdhsa_uses_dynamic_stack 0
		.amdhsa_system_sgpr_private_segment_wavefront_offset 0
		.amdhsa_system_sgpr_workgroup_id_x 1
		.amdhsa_system_sgpr_workgroup_id_y 0
		.amdhsa_system_sgpr_workgroup_id_z 0
		.amdhsa_system_sgpr_workgroup_info 0
		.amdhsa_system_vgpr_workitem_id 0
		.amdhsa_next_free_vgpr 1
		.amdhsa_next_free_sgpr 0
		.amdhsa_reserve_vcc 0
		.amdhsa_reserve_flat_scratch 0
		.amdhsa_float_round_mode_32 0
		.amdhsa_float_round_mode_16_64 0
		.amdhsa_float_denorm_mode_32 3
		.amdhsa_float_denorm_mode_16_64 3
		.amdhsa_dx10_clamp 1
		.amdhsa_ieee_mode 1
		.amdhsa_fp16_overflow 0
		.amdhsa_exception_fp_ieee_invalid_op 0
		.amdhsa_exception_fp_denorm_src 0
		.amdhsa_exception_fp_ieee_div_zero 0
		.amdhsa_exception_fp_ieee_overflow 0
		.amdhsa_exception_fp_ieee_underflow 0
		.amdhsa_exception_fp_ieee_inexact 0
		.amdhsa_exception_int_div_zero 0
	.end_amdhsa_kernel
	.section	.text._ZN7rocprim17ROCPRIM_400000_NS6detail17trampoline_kernelINS0_14default_configENS1_25transform_config_selectorIdLb0EEEZNS1_14transform_implILb0ES3_S5_NS0_18transform_iteratorINS0_17counting_iteratorImlEEZNS1_24adjacent_difference_implIS3_Lb1ELb0EPdN6thrust23THRUST_200600_302600_NS16discard_iteratorINSD_11use_defaultEEENSD_5minusIdEEEE10hipError_tPvRmT2_T3_mT4_P12ihipStream_tbEUlmE_dEESB_NS0_8identityIvEEEESJ_SM_SN_mSO_SQ_bEUlT_E_NS1_11comp_targetILNS1_3genE3ELNS1_11target_archE908ELNS1_3gpuE7ELNS1_3repE0EEENS1_30default_config_static_selectorELNS0_4arch9wavefront6targetE1EEEvT1_,"axG",@progbits,_ZN7rocprim17ROCPRIM_400000_NS6detail17trampoline_kernelINS0_14default_configENS1_25transform_config_selectorIdLb0EEEZNS1_14transform_implILb0ES3_S5_NS0_18transform_iteratorINS0_17counting_iteratorImlEEZNS1_24adjacent_difference_implIS3_Lb1ELb0EPdN6thrust23THRUST_200600_302600_NS16discard_iteratorINSD_11use_defaultEEENSD_5minusIdEEEE10hipError_tPvRmT2_T3_mT4_P12ihipStream_tbEUlmE_dEESB_NS0_8identityIvEEEESJ_SM_SN_mSO_SQ_bEUlT_E_NS1_11comp_targetILNS1_3genE3ELNS1_11target_archE908ELNS1_3gpuE7ELNS1_3repE0EEENS1_30default_config_static_selectorELNS0_4arch9wavefront6targetE1EEEvT1_,comdat
.Lfunc_end776:
	.size	_ZN7rocprim17ROCPRIM_400000_NS6detail17trampoline_kernelINS0_14default_configENS1_25transform_config_selectorIdLb0EEEZNS1_14transform_implILb0ES3_S5_NS0_18transform_iteratorINS0_17counting_iteratorImlEEZNS1_24adjacent_difference_implIS3_Lb1ELb0EPdN6thrust23THRUST_200600_302600_NS16discard_iteratorINSD_11use_defaultEEENSD_5minusIdEEEE10hipError_tPvRmT2_T3_mT4_P12ihipStream_tbEUlmE_dEESB_NS0_8identityIvEEEESJ_SM_SN_mSO_SQ_bEUlT_E_NS1_11comp_targetILNS1_3genE3ELNS1_11target_archE908ELNS1_3gpuE7ELNS1_3repE0EEENS1_30default_config_static_selectorELNS0_4arch9wavefront6targetE1EEEvT1_, .Lfunc_end776-_ZN7rocprim17ROCPRIM_400000_NS6detail17trampoline_kernelINS0_14default_configENS1_25transform_config_selectorIdLb0EEEZNS1_14transform_implILb0ES3_S5_NS0_18transform_iteratorINS0_17counting_iteratorImlEEZNS1_24adjacent_difference_implIS3_Lb1ELb0EPdN6thrust23THRUST_200600_302600_NS16discard_iteratorINSD_11use_defaultEEENSD_5minusIdEEEE10hipError_tPvRmT2_T3_mT4_P12ihipStream_tbEUlmE_dEESB_NS0_8identityIvEEEESJ_SM_SN_mSO_SQ_bEUlT_E_NS1_11comp_targetILNS1_3genE3ELNS1_11target_archE908ELNS1_3gpuE7ELNS1_3repE0EEENS1_30default_config_static_selectorELNS0_4arch9wavefront6targetE1EEEvT1_
                                        ; -- End function
	.set _ZN7rocprim17ROCPRIM_400000_NS6detail17trampoline_kernelINS0_14default_configENS1_25transform_config_selectorIdLb0EEEZNS1_14transform_implILb0ES3_S5_NS0_18transform_iteratorINS0_17counting_iteratorImlEEZNS1_24adjacent_difference_implIS3_Lb1ELb0EPdN6thrust23THRUST_200600_302600_NS16discard_iteratorINSD_11use_defaultEEENSD_5minusIdEEEE10hipError_tPvRmT2_T3_mT4_P12ihipStream_tbEUlmE_dEESB_NS0_8identityIvEEEESJ_SM_SN_mSO_SQ_bEUlT_E_NS1_11comp_targetILNS1_3genE3ELNS1_11target_archE908ELNS1_3gpuE7ELNS1_3repE0EEENS1_30default_config_static_selectorELNS0_4arch9wavefront6targetE1EEEvT1_.num_vgpr, 0
	.set _ZN7rocprim17ROCPRIM_400000_NS6detail17trampoline_kernelINS0_14default_configENS1_25transform_config_selectorIdLb0EEEZNS1_14transform_implILb0ES3_S5_NS0_18transform_iteratorINS0_17counting_iteratorImlEEZNS1_24adjacent_difference_implIS3_Lb1ELb0EPdN6thrust23THRUST_200600_302600_NS16discard_iteratorINSD_11use_defaultEEENSD_5minusIdEEEE10hipError_tPvRmT2_T3_mT4_P12ihipStream_tbEUlmE_dEESB_NS0_8identityIvEEEESJ_SM_SN_mSO_SQ_bEUlT_E_NS1_11comp_targetILNS1_3genE3ELNS1_11target_archE908ELNS1_3gpuE7ELNS1_3repE0EEENS1_30default_config_static_selectorELNS0_4arch9wavefront6targetE1EEEvT1_.num_agpr, 0
	.set _ZN7rocprim17ROCPRIM_400000_NS6detail17trampoline_kernelINS0_14default_configENS1_25transform_config_selectorIdLb0EEEZNS1_14transform_implILb0ES3_S5_NS0_18transform_iteratorINS0_17counting_iteratorImlEEZNS1_24adjacent_difference_implIS3_Lb1ELb0EPdN6thrust23THRUST_200600_302600_NS16discard_iteratorINSD_11use_defaultEEENSD_5minusIdEEEE10hipError_tPvRmT2_T3_mT4_P12ihipStream_tbEUlmE_dEESB_NS0_8identityIvEEEESJ_SM_SN_mSO_SQ_bEUlT_E_NS1_11comp_targetILNS1_3genE3ELNS1_11target_archE908ELNS1_3gpuE7ELNS1_3repE0EEENS1_30default_config_static_selectorELNS0_4arch9wavefront6targetE1EEEvT1_.numbered_sgpr, 0
	.set _ZN7rocprim17ROCPRIM_400000_NS6detail17trampoline_kernelINS0_14default_configENS1_25transform_config_selectorIdLb0EEEZNS1_14transform_implILb0ES3_S5_NS0_18transform_iteratorINS0_17counting_iteratorImlEEZNS1_24adjacent_difference_implIS3_Lb1ELb0EPdN6thrust23THRUST_200600_302600_NS16discard_iteratorINSD_11use_defaultEEENSD_5minusIdEEEE10hipError_tPvRmT2_T3_mT4_P12ihipStream_tbEUlmE_dEESB_NS0_8identityIvEEEESJ_SM_SN_mSO_SQ_bEUlT_E_NS1_11comp_targetILNS1_3genE3ELNS1_11target_archE908ELNS1_3gpuE7ELNS1_3repE0EEENS1_30default_config_static_selectorELNS0_4arch9wavefront6targetE1EEEvT1_.num_named_barrier, 0
	.set _ZN7rocprim17ROCPRIM_400000_NS6detail17trampoline_kernelINS0_14default_configENS1_25transform_config_selectorIdLb0EEEZNS1_14transform_implILb0ES3_S5_NS0_18transform_iteratorINS0_17counting_iteratorImlEEZNS1_24adjacent_difference_implIS3_Lb1ELb0EPdN6thrust23THRUST_200600_302600_NS16discard_iteratorINSD_11use_defaultEEENSD_5minusIdEEEE10hipError_tPvRmT2_T3_mT4_P12ihipStream_tbEUlmE_dEESB_NS0_8identityIvEEEESJ_SM_SN_mSO_SQ_bEUlT_E_NS1_11comp_targetILNS1_3genE3ELNS1_11target_archE908ELNS1_3gpuE7ELNS1_3repE0EEENS1_30default_config_static_selectorELNS0_4arch9wavefront6targetE1EEEvT1_.private_seg_size, 0
	.set _ZN7rocprim17ROCPRIM_400000_NS6detail17trampoline_kernelINS0_14default_configENS1_25transform_config_selectorIdLb0EEEZNS1_14transform_implILb0ES3_S5_NS0_18transform_iteratorINS0_17counting_iteratorImlEEZNS1_24adjacent_difference_implIS3_Lb1ELb0EPdN6thrust23THRUST_200600_302600_NS16discard_iteratorINSD_11use_defaultEEENSD_5minusIdEEEE10hipError_tPvRmT2_T3_mT4_P12ihipStream_tbEUlmE_dEESB_NS0_8identityIvEEEESJ_SM_SN_mSO_SQ_bEUlT_E_NS1_11comp_targetILNS1_3genE3ELNS1_11target_archE908ELNS1_3gpuE7ELNS1_3repE0EEENS1_30default_config_static_selectorELNS0_4arch9wavefront6targetE1EEEvT1_.uses_vcc, 0
	.set _ZN7rocprim17ROCPRIM_400000_NS6detail17trampoline_kernelINS0_14default_configENS1_25transform_config_selectorIdLb0EEEZNS1_14transform_implILb0ES3_S5_NS0_18transform_iteratorINS0_17counting_iteratorImlEEZNS1_24adjacent_difference_implIS3_Lb1ELb0EPdN6thrust23THRUST_200600_302600_NS16discard_iteratorINSD_11use_defaultEEENSD_5minusIdEEEE10hipError_tPvRmT2_T3_mT4_P12ihipStream_tbEUlmE_dEESB_NS0_8identityIvEEEESJ_SM_SN_mSO_SQ_bEUlT_E_NS1_11comp_targetILNS1_3genE3ELNS1_11target_archE908ELNS1_3gpuE7ELNS1_3repE0EEENS1_30default_config_static_selectorELNS0_4arch9wavefront6targetE1EEEvT1_.uses_flat_scratch, 0
	.set _ZN7rocprim17ROCPRIM_400000_NS6detail17trampoline_kernelINS0_14default_configENS1_25transform_config_selectorIdLb0EEEZNS1_14transform_implILb0ES3_S5_NS0_18transform_iteratorINS0_17counting_iteratorImlEEZNS1_24adjacent_difference_implIS3_Lb1ELb0EPdN6thrust23THRUST_200600_302600_NS16discard_iteratorINSD_11use_defaultEEENSD_5minusIdEEEE10hipError_tPvRmT2_T3_mT4_P12ihipStream_tbEUlmE_dEESB_NS0_8identityIvEEEESJ_SM_SN_mSO_SQ_bEUlT_E_NS1_11comp_targetILNS1_3genE3ELNS1_11target_archE908ELNS1_3gpuE7ELNS1_3repE0EEENS1_30default_config_static_selectorELNS0_4arch9wavefront6targetE1EEEvT1_.has_dyn_sized_stack, 0
	.set _ZN7rocprim17ROCPRIM_400000_NS6detail17trampoline_kernelINS0_14default_configENS1_25transform_config_selectorIdLb0EEEZNS1_14transform_implILb0ES3_S5_NS0_18transform_iteratorINS0_17counting_iteratorImlEEZNS1_24adjacent_difference_implIS3_Lb1ELb0EPdN6thrust23THRUST_200600_302600_NS16discard_iteratorINSD_11use_defaultEEENSD_5minusIdEEEE10hipError_tPvRmT2_T3_mT4_P12ihipStream_tbEUlmE_dEESB_NS0_8identityIvEEEESJ_SM_SN_mSO_SQ_bEUlT_E_NS1_11comp_targetILNS1_3genE3ELNS1_11target_archE908ELNS1_3gpuE7ELNS1_3repE0EEENS1_30default_config_static_selectorELNS0_4arch9wavefront6targetE1EEEvT1_.has_recursion, 0
	.set _ZN7rocprim17ROCPRIM_400000_NS6detail17trampoline_kernelINS0_14default_configENS1_25transform_config_selectorIdLb0EEEZNS1_14transform_implILb0ES3_S5_NS0_18transform_iteratorINS0_17counting_iteratorImlEEZNS1_24adjacent_difference_implIS3_Lb1ELb0EPdN6thrust23THRUST_200600_302600_NS16discard_iteratorINSD_11use_defaultEEENSD_5minusIdEEEE10hipError_tPvRmT2_T3_mT4_P12ihipStream_tbEUlmE_dEESB_NS0_8identityIvEEEESJ_SM_SN_mSO_SQ_bEUlT_E_NS1_11comp_targetILNS1_3genE3ELNS1_11target_archE908ELNS1_3gpuE7ELNS1_3repE0EEENS1_30default_config_static_selectorELNS0_4arch9wavefront6targetE1EEEvT1_.has_indirect_call, 0
	.section	.AMDGPU.csdata,"",@progbits
; Kernel info:
; codeLenInByte = 0
; TotalNumSgprs: 4
; NumVgprs: 0
; ScratchSize: 0
; MemoryBound: 0
; FloatMode: 240
; IeeeMode: 1
; LDSByteSize: 0 bytes/workgroup (compile time only)
; SGPRBlocks: 0
; VGPRBlocks: 0
; NumSGPRsForWavesPerEU: 4
; NumVGPRsForWavesPerEU: 1
; Occupancy: 10
; WaveLimiterHint : 0
; COMPUTE_PGM_RSRC2:SCRATCH_EN: 0
; COMPUTE_PGM_RSRC2:USER_SGPR: 6
; COMPUTE_PGM_RSRC2:TRAP_HANDLER: 0
; COMPUTE_PGM_RSRC2:TGID_X_EN: 1
; COMPUTE_PGM_RSRC2:TGID_Y_EN: 0
; COMPUTE_PGM_RSRC2:TGID_Z_EN: 0
; COMPUTE_PGM_RSRC2:TIDIG_COMP_CNT: 0
	.section	.text._ZN7rocprim17ROCPRIM_400000_NS6detail17trampoline_kernelINS0_14default_configENS1_25transform_config_selectorIdLb0EEEZNS1_14transform_implILb0ES3_S5_NS0_18transform_iteratorINS0_17counting_iteratorImlEEZNS1_24adjacent_difference_implIS3_Lb1ELb0EPdN6thrust23THRUST_200600_302600_NS16discard_iteratorINSD_11use_defaultEEENSD_5minusIdEEEE10hipError_tPvRmT2_T3_mT4_P12ihipStream_tbEUlmE_dEESB_NS0_8identityIvEEEESJ_SM_SN_mSO_SQ_bEUlT_E_NS1_11comp_targetILNS1_3genE2ELNS1_11target_archE906ELNS1_3gpuE6ELNS1_3repE0EEENS1_30default_config_static_selectorELNS0_4arch9wavefront6targetE1EEEvT1_,"axG",@progbits,_ZN7rocprim17ROCPRIM_400000_NS6detail17trampoline_kernelINS0_14default_configENS1_25transform_config_selectorIdLb0EEEZNS1_14transform_implILb0ES3_S5_NS0_18transform_iteratorINS0_17counting_iteratorImlEEZNS1_24adjacent_difference_implIS3_Lb1ELb0EPdN6thrust23THRUST_200600_302600_NS16discard_iteratorINSD_11use_defaultEEENSD_5minusIdEEEE10hipError_tPvRmT2_T3_mT4_P12ihipStream_tbEUlmE_dEESB_NS0_8identityIvEEEESJ_SM_SN_mSO_SQ_bEUlT_E_NS1_11comp_targetILNS1_3genE2ELNS1_11target_archE906ELNS1_3gpuE6ELNS1_3repE0EEENS1_30default_config_static_selectorELNS0_4arch9wavefront6targetE1EEEvT1_,comdat
	.protected	_ZN7rocprim17ROCPRIM_400000_NS6detail17trampoline_kernelINS0_14default_configENS1_25transform_config_selectorIdLb0EEEZNS1_14transform_implILb0ES3_S5_NS0_18transform_iteratorINS0_17counting_iteratorImlEEZNS1_24adjacent_difference_implIS3_Lb1ELb0EPdN6thrust23THRUST_200600_302600_NS16discard_iteratorINSD_11use_defaultEEENSD_5minusIdEEEE10hipError_tPvRmT2_T3_mT4_P12ihipStream_tbEUlmE_dEESB_NS0_8identityIvEEEESJ_SM_SN_mSO_SQ_bEUlT_E_NS1_11comp_targetILNS1_3genE2ELNS1_11target_archE906ELNS1_3gpuE6ELNS1_3repE0EEENS1_30default_config_static_selectorELNS0_4arch9wavefront6targetE1EEEvT1_ ; -- Begin function _ZN7rocprim17ROCPRIM_400000_NS6detail17trampoline_kernelINS0_14default_configENS1_25transform_config_selectorIdLb0EEEZNS1_14transform_implILb0ES3_S5_NS0_18transform_iteratorINS0_17counting_iteratorImlEEZNS1_24adjacent_difference_implIS3_Lb1ELb0EPdN6thrust23THRUST_200600_302600_NS16discard_iteratorINSD_11use_defaultEEENSD_5minusIdEEEE10hipError_tPvRmT2_T3_mT4_P12ihipStream_tbEUlmE_dEESB_NS0_8identityIvEEEESJ_SM_SN_mSO_SQ_bEUlT_E_NS1_11comp_targetILNS1_3genE2ELNS1_11target_archE906ELNS1_3gpuE6ELNS1_3repE0EEENS1_30default_config_static_selectorELNS0_4arch9wavefront6targetE1EEEvT1_
	.globl	_ZN7rocprim17ROCPRIM_400000_NS6detail17trampoline_kernelINS0_14default_configENS1_25transform_config_selectorIdLb0EEEZNS1_14transform_implILb0ES3_S5_NS0_18transform_iteratorINS0_17counting_iteratorImlEEZNS1_24adjacent_difference_implIS3_Lb1ELb0EPdN6thrust23THRUST_200600_302600_NS16discard_iteratorINSD_11use_defaultEEENSD_5minusIdEEEE10hipError_tPvRmT2_T3_mT4_P12ihipStream_tbEUlmE_dEESB_NS0_8identityIvEEEESJ_SM_SN_mSO_SQ_bEUlT_E_NS1_11comp_targetILNS1_3genE2ELNS1_11target_archE906ELNS1_3gpuE6ELNS1_3repE0EEENS1_30default_config_static_selectorELNS0_4arch9wavefront6targetE1EEEvT1_
	.p2align	8
	.type	_ZN7rocprim17ROCPRIM_400000_NS6detail17trampoline_kernelINS0_14default_configENS1_25transform_config_selectorIdLb0EEEZNS1_14transform_implILb0ES3_S5_NS0_18transform_iteratorINS0_17counting_iteratorImlEEZNS1_24adjacent_difference_implIS3_Lb1ELb0EPdN6thrust23THRUST_200600_302600_NS16discard_iteratorINSD_11use_defaultEEENSD_5minusIdEEEE10hipError_tPvRmT2_T3_mT4_P12ihipStream_tbEUlmE_dEESB_NS0_8identityIvEEEESJ_SM_SN_mSO_SQ_bEUlT_E_NS1_11comp_targetILNS1_3genE2ELNS1_11target_archE906ELNS1_3gpuE6ELNS1_3repE0EEENS1_30default_config_static_selectorELNS0_4arch9wavefront6targetE1EEEvT1_,@function
_ZN7rocprim17ROCPRIM_400000_NS6detail17trampoline_kernelINS0_14default_configENS1_25transform_config_selectorIdLb0EEEZNS1_14transform_implILb0ES3_S5_NS0_18transform_iteratorINS0_17counting_iteratorImlEEZNS1_24adjacent_difference_implIS3_Lb1ELb0EPdN6thrust23THRUST_200600_302600_NS16discard_iteratorINSD_11use_defaultEEENSD_5minusIdEEEE10hipError_tPvRmT2_T3_mT4_P12ihipStream_tbEUlmE_dEESB_NS0_8identityIvEEEESJ_SM_SN_mSO_SQ_bEUlT_E_NS1_11comp_targetILNS1_3genE2ELNS1_11target_archE906ELNS1_3gpuE6ELNS1_3repE0EEENS1_30default_config_static_selectorELNS0_4arch9wavefront6targetE1EEEvT1_: ; @_ZN7rocprim17ROCPRIM_400000_NS6detail17trampoline_kernelINS0_14default_configENS1_25transform_config_selectorIdLb0EEEZNS1_14transform_implILb0ES3_S5_NS0_18transform_iteratorINS0_17counting_iteratorImlEEZNS1_24adjacent_difference_implIS3_Lb1ELb0EPdN6thrust23THRUST_200600_302600_NS16discard_iteratorINSD_11use_defaultEEENSD_5minusIdEEEE10hipError_tPvRmT2_T3_mT4_P12ihipStream_tbEUlmE_dEESB_NS0_8identityIvEEEESJ_SM_SN_mSO_SQ_bEUlT_E_NS1_11comp_targetILNS1_3genE2ELNS1_11target_archE906ELNS1_3gpuE6ELNS1_3repE0EEENS1_30default_config_static_selectorELNS0_4arch9wavefront6targetE1EEEvT1_
; %bb.0:
	s_load_dword s1, s[4:5], 0x38
	s_load_dword s7, s[4:5], 0x20
	s_lshl_b32 s0, s6, 10
	s_waitcnt lgkmcnt(0)
	s_add_i32 s1, s1, -1
	s_cmp_lg_u32 s6, s1
	s_cselect_b64 s[2:3], -1, 0
	s_sub_i32 s1, s7, s0
	v_cmp_gt_u32_e32 vcc, s1, v0
	s_or_b64 s[2:3], s[2:3], vcc
	s_and_saveexec_b64 s[6:7], s[2:3]
	s_cbranch_execz .LBB777_2
; %bb.1:
	s_load_dwordx2 s[2:3], s[4:5], 0x18
	s_load_dwordx2 s[6:7], s[4:5], 0x28
	s_load_dwordx4 s[8:11], s[4:5], 0x0
	s_load_dword s1, s[4:5], 0x10
	v_or_b32_e32 v1, s0, v0
	s_waitcnt lgkmcnt(0)
	s_lshl_b64 s[4:5], s[2:3], 3
	s_add_u32 s4, s6, s4
	s_addc_u32 s5, s7, s5
	s_add_u32 s2, s8, s2
	s_addc_u32 s3, s9, s3
	v_mov_b32_e32 v2, s3
	v_add_co_u32_e32 v1, vcc, s2, v1
	v_addc_co_u32_e32 v3, vcc, 0, v2, vcc
	v_mad_u64_u32 v[1:2], s[2:3], v1, s1, 0
	v_mad_u64_u32 v[2:3], s[2:3], v3, s1, v[2:3]
	v_mov_b32_e32 v3, s11
	s_mov_b32 s1, 0
	v_lshlrev_b64 v[1:2], 3, v[1:2]
	s_lshl_b64 s[0:1], s[0:1], 3
	v_add_co_u32_e32 v1, vcc, s10, v1
	v_addc_co_u32_e32 v2, vcc, v3, v2, vcc
	global_load_dwordx2 v[2:3], v[1:2], off
	v_mov_b32_e32 v1, 0
	s_add_u32 s0, s4, s0
	v_lshlrev_b64 v[0:1], 3, v[0:1]
	s_addc_u32 s1, s5, s1
	v_mov_b32_e32 v4, s1
	v_add_co_u32_e32 v0, vcc, s0, v0
	v_addc_co_u32_e32 v1, vcc, v4, v1, vcc
	s_waitcnt vmcnt(0)
	global_store_dwordx2 v[0:1], v[2:3], off
.LBB777_2:
	s_endpgm
	.section	.rodata,"a",@progbits
	.p2align	6, 0x0
	.amdhsa_kernel _ZN7rocprim17ROCPRIM_400000_NS6detail17trampoline_kernelINS0_14default_configENS1_25transform_config_selectorIdLb0EEEZNS1_14transform_implILb0ES3_S5_NS0_18transform_iteratorINS0_17counting_iteratorImlEEZNS1_24adjacent_difference_implIS3_Lb1ELb0EPdN6thrust23THRUST_200600_302600_NS16discard_iteratorINSD_11use_defaultEEENSD_5minusIdEEEE10hipError_tPvRmT2_T3_mT4_P12ihipStream_tbEUlmE_dEESB_NS0_8identityIvEEEESJ_SM_SN_mSO_SQ_bEUlT_E_NS1_11comp_targetILNS1_3genE2ELNS1_11target_archE906ELNS1_3gpuE6ELNS1_3repE0EEENS1_30default_config_static_selectorELNS0_4arch9wavefront6targetE1EEEvT1_
		.amdhsa_group_segment_fixed_size 0
		.amdhsa_private_segment_fixed_size 0
		.amdhsa_kernarg_size 312
		.amdhsa_user_sgpr_count 6
		.amdhsa_user_sgpr_private_segment_buffer 1
		.amdhsa_user_sgpr_dispatch_ptr 0
		.amdhsa_user_sgpr_queue_ptr 0
		.amdhsa_user_sgpr_kernarg_segment_ptr 1
		.amdhsa_user_sgpr_dispatch_id 0
		.amdhsa_user_sgpr_flat_scratch_init 0
		.amdhsa_user_sgpr_private_segment_size 0
		.amdhsa_uses_dynamic_stack 0
		.amdhsa_system_sgpr_private_segment_wavefront_offset 0
		.amdhsa_system_sgpr_workgroup_id_x 1
		.amdhsa_system_sgpr_workgroup_id_y 0
		.amdhsa_system_sgpr_workgroup_id_z 0
		.amdhsa_system_sgpr_workgroup_info 0
		.amdhsa_system_vgpr_workitem_id 0
		.amdhsa_next_free_vgpr 5
		.amdhsa_next_free_sgpr 12
		.amdhsa_reserve_vcc 1
		.amdhsa_reserve_flat_scratch 0
		.amdhsa_float_round_mode_32 0
		.amdhsa_float_round_mode_16_64 0
		.amdhsa_float_denorm_mode_32 3
		.amdhsa_float_denorm_mode_16_64 3
		.amdhsa_dx10_clamp 1
		.amdhsa_ieee_mode 1
		.amdhsa_fp16_overflow 0
		.amdhsa_exception_fp_ieee_invalid_op 0
		.amdhsa_exception_fp_denorm_src 0
		.amdhsa_exception_fp_ieee_div_zero 0
		.amdhsa_exception_fp_ieee_overflow 0
		.amdhsa_exception_fp_ieee_underflow 0
		.amdhsa_exception_fp_ieee_inexact 0
		.amdhsa_exception_int_div_zero 0
	.end_amdhsa_kernel
	.section	.text._ZN7rocprim17ROCPRIM_400000_NS6detail17trampoline_kernelINS0_14default_configENS1_25transform_config_selectorIdLb0EEEZNS1_14transform_implILb0ES3_S5_NS0_18transform_iteratorINS0_17counting_iteratorImlEEZNS1_24adjacent_difference_implIS3_Lb1ELb0EPdN6thrust23THRUST_200600_302600_NS16discard_iteratorINSD_11use_defaultEEENSD_5minusIdEEEE10hipError_tPvRmT2_T3_mT4_P12ihipStream_tbEUlmE_dEESB_NS0_8identityIvEEEESJ_SM_SN_mSO_SQ_bEUlT_E_NS1_11comp_targetILNS1_3genE2ELNS1_11target_archE906ELNS1_3gpuE6ELNS1_3repE0EEENS1_30default_config_static_selectorELNS0_4arch9wavefront6targetE1EEEvT1_,"axG",@progbits,_ZN7rocprim17ROCPRIM_400000_NS6detail17trampoline_kernelINS0_14default_configENS1_25transform_config_selectorIdLb0EEEZNS1_14transform_implILb0ES3_S5_NS0_18transform_iteratorINS0_17counting_iteratorImlEEZNS1_24adjacent_difference_implIS3_Lb1ELb0EPdN6thrust23THRUST_200600_302600_NS16discard_iteratorINSD_11use_defaultEEENSD_5minusIdEEEE10hipError_tPvRmT2_T3_mT4_P12ihipStream_tbEUlmE_dEESB_NS0_8identityIvEEEESJ_SM_SN_mSO_SQ_bEUlT_E_NS1_11comp_targetILNS1_3genE2ELNS1_11target_archE906ELNS1_3gpuE6ELNS1_3repE0EEENS1_30default_config_static_selectorELNS0_4arch9wavefront6targetE1EEEvT1_,comdat
.Lfunc_end777:
	.size	_ZN7rocprim17ROCPRIM_400000_NS6detail17trampoline_kernelINS0_14default_configENS1_25transform_config_selectorIdLb0EEEZNS1_14transform_implILb0ES3_S5_NS0_18transform_iteratorINS0_17counting_iteratorImlEEZNS1_24adjacent_difference_implIS3_Lb1ELb0EPdN6thrust23THRUST_200600_302600_NS16discard_iteratorINSD_11use_defaultEEENSD_5minusIdEEEE10hipError_tPvRmT2_T3_mT4_P12ihipStream_tbEUlmE_dEESB_NS0_8identityIvEEEESJ_SM_SN_mSO_SQ_bEUlT_E_NS1_11comp_targetILNS1_3genE2ELNS1_11target_archE906ELNS1_3gpuE6ELNS1_3repE0EEENS1_30default_config_static_selectorELNS0_4arch9wavefront6targetE1EEEvT1_, .Lfunc_end777-_ZN7rocprim17ROCPRIM_400000_NS6detail17trampoline_kernelINS0_14default_configENS1_25transform_config_selectorIdLb0EEEZNS1_14transform_implILb0ES3_S5_NS0_18transform_iteratorINS0_17counting_iteratorImlEEZNS1_24adjacent_difference_implIS3_Lb1ELb0EPdN6thrust23THRUST_200600_302600_NS16discard_iteratorINSD_11use_defaultEEENSD_5minusIdEEEE10hipError_tPvRmT2_T3_mT4_P12ihipStream_tbEUlmE_dEESB_NS0_8identityIvEEEESJ_SM_SN_mSO_SQ_bEUlT_E_NS1_11comp_targetILNS1_3genE2ELNS1_11target_archE906ELNS1_3gpuE6ELNS1_3repE0EEENS1_30default_config_static_selectorELNS0_4arch9wavefront6targetE1EEEvT1_
                                        ; -- End function
	.set _ZN7rocprim17ROCPRIM_400000_NS6detail17trampoline_kernelINS0_14default_configENS1_25transform_config_selectorIdLb0EEEZNS1_14transform_implILb0ES3_S5_NS0_18transform_iteratorINS0_17counting_iteratorImlEEZNS1_24adjacent_difference_implIS3_Lb1ELb0EPdN6thrust23THRUST_200600_302600_NS16discard_iteratorINSD_11use_defaultEEENSD_5minusIdEEEE10hipError_tPvRmT2_T3_mT4_P12ihipStream_tbEUlmE_dEESB_NS0_8identityIvEEEESJ_SM_SN_mSO_SQ_bEUlT_E_NS1_11comp_targetILNS1_3genE2ELNS1_11target_archE906ELNS1_3gpuE6ELNS1_3repE0EEENS1_30default_config_static_selectorELNS0_4arch9wavefront6targetE1EEEvT1_.num_vgpr, 5
	.set _ZN7rocprim17ROCPRIM_400000_NS6detail17trampoline_kernelINS0_14default_configENS1_25transform_config_selectorIdLb0EEEZNS1_14transform_implILb0ES3_S5_NS0_18transform_iteratorINS0_17counting_iteratorImlEEZNS1_24adjacent_difference_implIS3_Lb1ELb0EPdN6thrust23THRUST_200600_302600_NS16discard_iteratorINSD_11use_defaultEEENSD_5minusIdEEEE10hipError_tPvRmT2_T3_mT4_P12ihipStream_tbEUlmE_dEESB_NS0_8identityIvEEEESJ_SM_SN_mSO_SQ_bEUlT_E_NS1_11comp_targetILNS1_3genE2ELNS1_11target_archE906ELNS1_3gpuE6ELNS1_3repE0EEENS1_30default_config_static_selectorELNS0_4arch9wavefront6targetE1EEEvT1_.num_agpr, 0
	.set _ZN7rocprim17ROCPRIM_400000_NS6detail17trampoline_kernelINS0_14default_configENS1_25transform_config_selectorIdLb0EEEZNS1_14transform_implILb0ES3_S5_NS0_18transform_iteratorINS0_17counting_iteratorImlEEZNS1_24adjacent_difference_implIS3_Lb1ELb0EPdN6thrust23THRUST_200600_302600_NS16discard_iteratorINSD_11use_defaultEEENSD_5minusIdEEEE10hipError_tPvRmT2_T3_mT4_P12ihipStream_tbEUlmE_dEESB_NS0_8identityIvEEEESJ_SM_SN_mSO_SQ_bEUlT_E_NS1_11comp_targetILNS1_3genE2ELNS1_11target_archE906ELNS1_3gpuE6ELNS1_3repE0EEENS1_30default_config_static_selectorELNS0_4arch9wavefront6targetE1EEEvT1_.numbered_sgpr, 12
	.set _ZN7rocprim17ROCPRIM_400000_NS6detail17trampoline_kernelINS0_14default_configENS1_25transform_config_selectorIdLb0EEEZNS1_14transform_implILb0ES3_S5_NS0_18transform_iteratorINS0_17counting_iteratorImlEEZNS1_24adjacent_difference_implIS3_Lb1ELb0EPdN6thrust23THRUST_200600_302600_NS16discard_iteratorINSD_11use_defaultEEENSD_5minusIdEEEE10hipError_tPvRmT2_T3_mT4_P12ihipStream_tbEUlmE_dEESB_NS0_8identityIvEEEESJ_SM_SN_mSO_SQ_bEUlT_E_NS1_11comp_targetILNS1_3genE2ELNS1_11target_archE906ELNS1_3gpuE6ELNS1_3repE0EEENS1_30default_config_static_selectorELNS0_4arch9wavefront6targetE1EEEvT1_.num_named_barrier, 0
	.set _ZN7rocprim17ROCPRIM_400000_NS6detail17trampoline_kernelINS0_14default_configENS1_25transform_config_selectorIdLb0EEEZNS1_14transform_implILb0ES3_S5_NS0_18transform_iteratorINS0_17counting_iteratorImlEEZNS1_24adjacent_difference_implIS3_Lb1ELb0EPdN6thrust23THRUST_200600_302600_NS16discard_iteratorINSD_11use_defaultEEENSD_5minusIdEEEE10hipError_tPvRmT2_T3_mT4_P12ihipStream_tbEUlmE_dEESB_NS0_8identityIvEEEESJ_SM_SN_mSO_SQ_bEUlT_E_NS1_11comp_targetILNS1_3genE2ELNS1_11target_archE906ELNS1_3gpuE6ELNS1_3repE0EEENS1_30default_config_static_selectorELNS0_4arch9wavefront6targetE1EEEvT1_.private_seg_size, 0
	.set _ZN7rocprim17ROCPRIM_400000_NS6detail17trampoline_kernelINS0_14default_configENS1_25transform_config_selectorIdLb0EEEZNS1_14transform_implILb0ES3_S5_NS0_18transform_iteratorINS0_17counting_iteratorImlEEZNS1_24adjacent_difference_implIS3_Lb1ELb0EPdN6thrust23THRUST_200600_302600_NS16discard_iteratorINSD_11use_defaultEEENSD_5minusIdEEEE10hipError_tPvRmT2_T3_mT4_P12ihipStream_tbEUlmE_dEESB_NS0_8identityIvEEEESJ_SM_SN_mSO_SQ_bEUlT_E_NS1_11comp_targetILNS1_3genE2ELNS1_11target_archE906ELNS1_3gpuE6ELNS1_3repE0EEENS1_30default_config_static_selectorELNS0_4arch9wavefront6targetE1EEEvT1_.uses_vcc, 1
	.set _ZN7rocprim17ROCPRIM_400000_NS6detail17trampoline_kernelINS0_14default_configENS1_25transform_config_selectorIdLb0EEEZNS1_14transform_implILb0ES3_S5_NS0_18transform_iteratorINS0_17counting_iteratorImlEEZNS1_24adjacent_difference_implIS3_Lb1ELb0EPdN6thrust23THRUST_200600_302600_NS16discard_iteratorINSD_11use_defaultEEENSD_5minusIdEEEE10hipError_tPvRmT2_T3_mT4_P12ihipStream_tbEUlmE_dEESB_NS0_8identityIvEEEESJ_SM_SN_mSO_SQ_bEUlT_E_NS1_11comp_targetILNS1_3genE2ELNS1_11target_archE906ELNS1_3gpuE6ELNS1_3repE0EEENS1_30default_config_static_selectorELNS0_4arch9wavefront6targetE1EEEvT1_.uses_flat_scratch, 0
	.set _ZN7rocprim17ROCPRIM_400000_NS6detail17trampoline_kernelINS0_14default_configENS1_25transform_config_selectorIdLb0EEEZNS1_14transform_implILb0ES3_S5_NS0_18transform_iteratorINS0_17counting_iteratorImlEEZNS1_24adjacent_difference_implIS3_Lb1ELb0EPdN6thrust23THRUST_200600_302600_NS16discard_iteratorINSD_11use_defaultEEENSD_5minusIdEEEE10hipError_tPvRmT2_T3_mT4_P12ihipStream_tbEUlmE_dEESB_NS0_8identityIvEEEESJ_SM_SN_mSO_SQ_bEUlT_E_NS1_11comp_targetILNS1_3genE2ELNS1_11target_archE906ELNS1_3gpuE6ELNS1_3repE0EEENS1_30default_config_static_selectorELNS0_4arch9wavefront6targetE1EEEvT1_.has_dyn_sized_stack, 0
	.set _ZN7rocprim17ROCPRIM_400000_NS6detail17trampoline_kernelINS0_14default_configENS1_25transform_config_selectorIdLb0EEEZNS1_14transform_implILb0ES3_S5_NS0_18transform_iteratorINS0_17counting_iteratorImlEEZNS1_24adjacent_difference_implIS3_Lb1ELb0EPdN6thrust23THRUST_200600_302600_NS16discard_iteratorINSD_11use_defaultEEENSD_5minusIdEEEE10hipError_tPvRmT2_T3_mT4_P12ihipStream_tbEUlmE_dEESB_NS0_8identityIvEEEESJ_SM_SN_mSO_SQ_bEUlT_E_NS1_11comp_targetILNS1_3genE2ELNS1_11target_archE906ELNS1_3gpuE6ELNS1_3repE0EEENS1_30default_config_static_selectorELNS0_4arch9wavefront6targetE1EEEvT1_.has_recursion, 0
	.set _ZN7rocprim17ROCPRIM_400000_NS6detail17trampoline_kernelINS0_14default_configENS1_25transform_config_selectorIdLb0EEEZNS1_14transform_implILb0ES3_S5_NS0_18transform_iteratorINS0_17counting_iteratorImlEEZNS1_24adjacent_difference_implIS3_Lb1ELb0EPdN6thrust23THRUST_200600_302600_NS16discard_iteratorINSD_11use_defaultEEENSD_5minusIdEEEE10hipError_tPvRmT2_T3_mT4_P12ihipStream_tbEUlmE_dEESB_NS0_8identityIvEEEESJ_SM_SN_mSO_SQ_bEUlT_E_NS1_11comp_targetILNS1_3genE2ELNS1_11target_archE906ELNS1_3gpuE6ELNS1_3repE0EEENS1_30default_config_static_selectorELNS0_4arch9wavefront6targetE1EEEvT1_.has_indirect_call, 0
	.section	.AMDGPU.csdata,"",@progbits
; Kernel info:
; codeLenInByte = 228
; TotalNumSgprs: 16
; NumVgprs: 5
; ScratchSize: 0
; MemoryBound: 0
; FloatMode: 240
; IeeeMode: 1
; LDSByteSize: 0 bytes/workgroup (compile time only)
; SGPRBlocks: 1
; VGPRBlocks: 1
; NumSGPRsForWavesPerEU: 16
; NumVGPRsForWavesPerEU: 5
; Occupancy: 10
; WaveLimiterHint : 0
; COMPUTE_PGM_RSRC2:SCRATCH_EN: 0
; COMPUTE_PGM_RSRC2:USER_SGPR: 6
; COMPUTE_PGM_RSRC2:TRAP_HANDLER: 0
; COMPUTE_PGM_RSRC2:TGID_X_EN: 1
; COMPUTE_PGM_RSRC2:TGID_Y_EN: 0
; COMPUTE_PGM_RSRC2:TGID_Z_EN: 0
; COMPUTE_PGM_RSRC2:TIDIG_COMP_CNT: 0
	.section	.text._ZN7rocprim17ROCPRIM_400000_NS6detail17trampoline_kernelINS0_14default_configENS1_25transform_config_selectorIdLb0EEEZNS1_14transform_implILb0ES3_S5_NS0_18transform_iteratorINS0_17counting_iteratorImlEEZNS1_24adjacent_difference_implIS3_Lb1ELb0EPdN6thrust23THRUST_200600_302600_NS16discard_iteratorINSD_11use_defaultEEENSD_5minusIdEEEE10hipError_tPvRmT2_T3_mT4_P12ihipStream_tbEUlmE_dEESB_NS0_8identityIvEEEESJ_SM_SN_mSO_SQ_bEUlT_E_NS1_11comp_targetILNS1_3genE10ELNS1_11target_archE1201ELNS1_3gpuE5ELNS1_3repE0EEENS1_30default_config_static_selectorELNS0_4arch9wavefront6targetE1EEEvT1_,"axG",@progbits,_ZN7rocprim17ROCPRIM_400000_NS6detail17trampoline_kernelINS0_14default_configENS1_25transform_config_selectorIdLb0EEEZNS1_14transform_implILb0ES3_S5_NS0_18transform_iteratorINS0_17counting_iteratorImlEEZNS1_24adjacent_difference_implIS3_Lb1ELb0EPdN6thrust23THRUST_200600_302600_NS16discard_iteratorINSD_11use_defaultEEENSD_5minusIdEEEE10hipError_tPvRmT2_T3_mT4_P12ihipStream_tbEUlmE_dEESB_NS0_8identityIvEEEESJ_SM_SN_mSO_SQ_bEUlT_E_NS1_11comp_targetILNS1_3genE10ELNS1_11target_archE1201ELNS1_3gpuE5ELNS1_3repE0EEENS1_30default_config_static_selectorELNS0_4arch9wavefront6targetE1EEEvT1_,comdat
	.protected	_ZN7rocprim17ROCPRIM_400000_NS6detail17trampoline_kernelINS0_14default_configENS1_25transform_config_selectorIdLb0EEEZNS1_14transform_implILb0ES3_S5_NS0_18transform_iteratorINS0_17counting_iteratorImlEEZNS1_24adjacent_difference_implIS3_Lb1ELb0EPdN6thrust23THRUST_200600_302600_NS16discard_iteratorINSD_11use_defaultEEENSD_5minusIdEEEE10hipError_tPvRmT2_T3_mT4_P12ihipStream_tbEUlmE_dEESB_NS0_8identityIvEEEESJ_SM_SN_mSO_SQ_bEUlT_E_NS1_11comp_targetILNS1_3genE10ELNS1_11target_archE1201ELNS1_3gpuE5ELNS1_3repE0EEENS1_30default_config_static_selectorELNS0_4arch9wavefront6targetE1EEEvT1_ ; -- Begin function _ZN7rocprim17ROCPRIM_400000_NS6detail17trampoline_kernelINS0_14default_configENS1_25transform_config_selectorIdLb0EEEZNS1_14transform_implILb0ES3_S5_NS0_18transform_iteratorINS0_17counting_iteratorImlEEZNS1_24adjacent_difference_implIS3_Lb1ELb0EPdN6thrust23THRUST_200600_302600_NS16discard_iteratorINSD_11use_defaultEEENSD_5minusIdEEEE10hipError_tPvRmT2_T3_mT4_P12ihipStream_tbEUlmE_dEESB_NS0_8identityIvEEEESJ_SM_SN_mSO_SQ_bEUlT_E_NS1_11comp_targetILNS1_3genE10ELNS1_11target_archE1201ELNS1_3gpuE5ELNS1_3repE0EEENS1_30default_config_static_selectorELNS0_4arch9wavefront6targetE1EEEvT1_
	.globl	_ZN7rocprim17ROCPRIM_400000_NS6detail17trampoline_kernelINS0_14default_configENS1_25transform_config_selectorIdLb0EEEZNS1_14transform_implILb0ES3_S5_NS0_18transform_iteratorINS0_17counting_iteratorImlEEZNS1_24adjacent_difference_implIS3_Lb1ELb0EPdN6thrust23THRUST_200600_302600_NS16discard_iteratorINSD_11use_defaultEEENSD_5minusIdEEEE10hipError_tPvRmT2_T3_mT4_P12ihipStream_tbEUlmE_dEESB_NS0_8identityIvEEEESJ_SM_SN_mSO_SQ_bEUlT_E_NS1_11comp_targetILNS1_3genE10ELNS1_11target_archE1201ELNS1_3gpuE5ELNS1_3repE0EEENS1_30default_config_static_selectorELNS0_4arch9wavefront6targetE1EEEvT1_
	.p2align	8
	.type	_ZN7rocprim17ROCPRIM_400000_NS6detail17trampoline_kernelINS0_14default_configENS1_25transform_config_selectorIdLb0EEEZNS1_14transform_implILb0ES3_S5_NS0_18transform_iteratorINS0_17counting_iteratorImlEEZNS1_24adjacent_difference_implIS3_Lb1ELb0EPdN6thrust23THRUST_200600_302600_NS16discard_iteratorINSD_11use_defaultEEENSD_5minusIdEEEE10hipError_tPvRmT2_T3_mT4_P12ihipStream_tbEUlmE_dEESB_NS0_8identityIvEEEESJ_SM_SN_mSO_SQ_bEUlT_E_NS1_11comp_targetILNS1_3genE10ELNS1_11target_archE1201ELNS1_3gpuE5ELNS1_3repE0EEENS1_30default_config_static_selectorELNS0_4arch9wavefront6targetE1EEEvT1_,@function
_ZN7rocprim17ROCPRIM_400000_NS6detail17trampoline_kernelINS0_14default_configENS1_25transform_config_selectorIdLb0EEEZNS1_14transform_implILb0ES3_S5_NS0_18transform_iteratorINS0_17counting_iteratorImlEEZNS1_24adjacent_difference_implIS3_Lb1ELb0EPdN6thrust23THRUST_200600_302600_NS16discard_iteratorINSD_11use_defaultEEENSD_5minusIdEEEE10hipError_tPvRmT2_T3_mT4_P12ihipStream_tbEUlmE_dEESB_NS0_8identityIvEEEESJ_SM_SN_mSO_SQ_bEUlT_E_NS1_11comp_targetILNS1_3genE10ELNS1_11target_archE1201ELNS1_3gpuE5ELNS1_3repE0EEENS1_30default_config_static_selectorELNS0_4arch9wavefront6targetE1EEEvT1_: ; @_ZN7rocprim17ROCPRIM_400000_NS6detail17trampoline_kernelINS0_14default_configENS1_25transform_config_selectorIdLb0EEEZNS1_14transform_implILb0ES3_S5_NS0_18transform_iteratorINS0_17counting_iteratorImlEEZNS1_24adjacent_difference_implIS3_Lb1ELb0EPdN6thrust23THRUST_200600_302600_NS16discard_iteratorINSD_11use_defaultEEENSD_5minusIdEEEE10hipError_tPvRmT2_T3_mT4_P12ihipStream_tbEUlmE_dEESB_NS0_8identityIvEEEESJ_SM_SN_mSO_SQ_bEUlT_E_NS1_11comp_targetILNS1_3genE10ELNS1_11target_archE1201ELNS1_3gpuE5ELNS1_3repE0EEENS1_30default_config_static_selectorELNS0_4arch9wavefront6targetE1EEEvT1_
; %bb.0:
	.section	.rodata,"a",@progbits
	.p2align	6, 0x0
	.amdhsa_kernel _ZN7rocprim17ROCPRIM_400000_NS6detail17trampoline_kernelINS0_14default_configENS1_25transform_config_selectorIdLb0EEEZNS1_14transform_implILb0ES3_S5_NS0_18transform_iteratorINS0_17counting_iteratorImlEEZNS1_24adjacent_difference_implIS3_Lb1ELb0EPdN6thrust23THRUST_200600_302600_NS16discard_iteratorINSD_11use_defaultEEENSD_5minusIdEEEE10hipError_tPvRmT2_T3_mT4_P12ihipStream_tbEUlmE_dEESB_NS0_8identityIvEEEESJ_SM_SN_mSO_SQ_bEUlT_E_NS1_11comp_targetILNS1_3genE10ELNS1_11target_archE1201ELNS1_3gpuE5ELNS1_3repE0EEENS1_30default_config_static_selectorELNS0_4arch9wavefront6targetE1EEEvT1_
		.amdhsa_group_segment_fixed_size 0
		.amdhsa_private_segment_fixed_size 0
		.amdhsa_kernarg_size 56
		.amdhsa_user_sgpr_count 6
		.amdhsa_user_sgpr_private_segment_buffer 1
		.amdhsa_user_sgpr_dispatch_ptr 0
		.amdhsa_user_sgpr_queue_ptr 0
		.amdhsa_user_sgpr_kernarg_segment_ptr 1
		.amdhsa_user_sgpr_dispatch_id 0
		.amdhsa_user_sgpr_flat_scratch_init 0
		.amdhsa_user_sgpr_private_segment_size 0
		.amdhsa_uses_dynamic_stack 0
		.amdhsa_system_sgpr_private_segment_wavefront_offset 0
		.amdhsa_system_sgpr_workgroup_id_x 1
		.amdhsa_system_sgpr_workgroup_id_y 0
		.amdhsa_system_sgpr_workgroup_id_z 0
		.amdhsa_system_sgpr_workgroup_info 0
		.amdhsa_system_vgpr_workitem_id 0
		.amdhsa_next_free_vgpr 1
		.amdhsa_next_free_sgpr 0
		.amdhsa_reserve_vcc 0
		.amdhsa_reserve_flat_scratch 0
		.amdhsa_float_round_mode_32 0
		.amdhsa_float_round_mode_16_64 0
		.amdhsa_float_denorm_mode_32 3
		.amdhsa_float_denorm_mode_16_64 3
		.amdhsa_dx10_clamp 1
		.amdhsa_ieee_mode 1
		.amdhsa_fp16_overflow 0
		.amdhsa_exception_fp_ieee_invalid_op 0
		.amdhsa_exception_fp_denorm_src 0
		.amdhsa_exception_fp_ieee_div_zero 0
		.amdhsa_exception_fp_ieee_overflow 0
		.amdhsa_exception_fp_ieee_underflow 0
		.amdhsa_exception_fp_ieee_inexact 0
		.amdhsa_exception_int_div_zero 0
	.end_amdhsa_kernel
	.section	.text._ZN7rocprim17ROCPRIM_400000_NS6detail17trampoline_kernelINS0_14default_configENS1_25transform_config_selectorIdLb0EEEZNS1_14transform_implILb0ES3_S5_NS0_18transform_iteratorINS0_17counting_iteratorImlEEZNS1_24adjacent_difference_implIS3_Lb1ELb0EPdN6thrust23THRUST_200600_302600_NS16discard_iteratorINSD_11use_defaultEEENSD_5minusIdEEEE10hipError_tPvRmT2_T3_mT4_P12ihipStream_tbEUlmE_dEESB_NS0_8identityIvEEEESJ_SM_SN_mSO_SQ_bEUlT_E_NS1_11comp_targetILNS1_3genE10ELNS1_11target_archE1201ELNS1_3gpuE5ELNS1_3repE0EEENS1_30default_config_static_selectorELNS0_4arch9wavefront6targetE1EEEvT1_,"axG",@progbits,_ZN7rocprim17ROCPRIM_400000_NS6detail17trampoline_kernelINS0_14default_configENS1_25transform_config_selectorIdLb0EEEZNS1_14transform_implILb0ES3_S5_NS0_18transform_iteratorINS0_17counting_iteratorImlEEZNS1_24adjacent_difference_implIS3_Lb1ELb0EPdN6thrust23THRUST_200600_302600_NS16discard_iteratorINSD_11use_defaultEEENSD_5minusIdEEEE10hipError_tPvRmT2_T3_mT4_P12ihipStream_tbEUlmE_dEESB_NS0_8identityIvEEEESJ_SM_SN_mSO_SQ_bEUlT_E_NS1_11comp_targetILNS1_3genE10ELNS1_11target_archE1201ELNS1_3gpuE5ELNS1_3repE0EEENS1_30default_config_static_selectorELNS0_4arch9wavefront6targetE1EEEvT1_,comdat
.Lfunc_end778:
	.size	_ZN7rocprim17ROCPRIM_400000_NS6detail17trampoline_kernelINS0_14default_configENS1_25transform_config_selectorIdLb0EEEZNS1_14transform_implILb0ES3_S5_NS0_18transform_iteratorINS0_17counting_iteratorImlEEZNS1_24adjacent_difference_implIS3_Lb1ELb0EPdN6thrust23THRUST_200600_302600_NS16discard_iteratorINSD_11use_defaultEEENSD_5minusIdEEEE10hipError_tPvRmT2_T3_mT4_P12ihipStream_tbEUlmE_dEESB_NS0_8identityIvEEEESJ_SM_SN_mSO_SQ_bEUlT_E_NS1_11comp_targetILNS1_3genE10ELNS1_11target_archE1201ELNS1_3gpuE5ELNS1_3repE0EEENS1_30default_config_static_selectorELNS0_4arch9wavefront6targetE1EEEvT1_, .Lfunc_end778-_ZN7rocprim17ROCPRIM_400000_NS6detail17trampoline_kernelINS0_14default_configENS1_25transform_config_selectorIdLb0EEEZNS1_14transform_implILb0ES3_S5_NS0_18transform_iteratorINS0_17counting_iteratorImlEEZNS1_24adjacent_difference_implIS3_Lb1ELb0EPdN6thrust23THRUST_200600_302600_NS16discard_iteratorINSD_11use_defaultEEENSD_5minusIdEEEE10hipError_tPvRmT2_T3_mT4_P12ihipStream_tbEUlmE_dEESB_NS0_8identityIvEEEESJ_SM_SN_mSO_SQ_bEUlT_E_NS1_11comp_targetILNS1_3genE10ELNS1_11target_archE1201ELNS1_3gpuE5ELNS1_3repE0EEENS1_30default_config_static_selectorELNS0_4arch9wavefront6targetE1EEEvT1_
                                        ; -- End function
	.set _ZN7rocprim17ROCPRIM_400000_NS6detail17trampoline_kernelINS0_14default_configENS1_25transform_config_selectorIdLb0EEEZNS1_14transform_implILb0ES3_S5_NS0_18transform_iteratorINS0_17counting_iteratorImlEEZNS1_24adjacent_difference_implIS3_Lb1ELb0EPdN6thrust23THRUST_200600_302600_NS16discard_iteratorINSD_11use_defaultEEENSD_5minusIdEEEE10hipError_tPvRmT2_T3_mT4_P12ihipStream_tbEUlmE_dEESB_NS0_8identityIvEEEESJ_SM_SN_mSO_SQ_bEUlT_E_NS1_11comp_targetILNS1_3genE10ELNS1_11target_archE1201ELNS1_3gpuE5ELNS1_3repE0EEENS1_30default_config_static_selectorELNS0_4arch9wavefront6targetE1EEEvT1_.num_vgpr, 0
	.set _ZN7rocprim17ROCPRIM_400000_NS6detail17trampoline_kernelINS0_14default_configENS1_25transform_config_selectorIdLb0EEEZNS1_14transform_implILb0ES3_S5_NS0_18transform_iteratorINS0_17counting_iteratorImlEEZNS1_24adjacent_difference_implIS3_Lb1ELb0EPdN6thrust23THRUST_200600_302600_NS16discard_iteratorINSD_11use_defaultEEENSD_5minusIdEEEE10hipError_tPvRmT2_T3_mT4_P12ihipStream_tbEUlmE_dEESB_NS0_8identityIvEEEESJ_SM_SN_mSO_SQ_bEUlT_E_NS1_11comp_targetILNS1_3genE10ELNS1_11target_archE1201ELNS1_3gpuE5ELNS1_3repE0EEENS1_30default_config_static_selectorELNS0_4arch9wavefront6targetE1EEEvT1_.num_agpr, 0
	.set _ZN7rocprim17ROCPRIM_400000_NS6detail17trampoline_kernelINS0_14default_configENS1_25transform_config_selectorIdLb0EEEZNS1_14transform_implILb0ES3_S5_NS0_18transform_iteratorINS0_17counting_iteratorImlEEZNS1_24adjacent_difference_implIS3_Lb1ELb0EPdN6thrust23THRUST_200600_302600_NS16discard_iteratorINSD_11use_defaultEEENSD_5minusIdEEEE10hipError_tPvRmT2_T3_mT4_P12ihipStream_tbEUlmE_dEESB_NS0_8identityIvEEEESJ_SM_SN_mSO_SQ_bEUlT_E_NS1_11comp_targetILNS1_3genE10ELNS1_11target_archE1201ELNS1_3gpuE5ELNS1_3repE0EEENS1_30default_config_static_selectorELNS0_4arch9wavefront6targetE1EEEvT1_.numbered_sgpr, 0
	.set _ZN7rocprim17ROCPRIM_400000_NS6detail17trampoline_kernelINS0_14default_configENS1_25transform_config_selectorIdLb0EEEZNS1_14transform_implILb0ES3_S5_NS0_18transform_iteratorINS0_17counting_iteratorImlEEZNS1_24adjacent_difference_implIS3_Lb1ELb0EPdN6thrust23THRUST_200600_302600_NS16discard_iteratorINSD_11use_defaultEEENSD_5minusIdEEEE10hipError_tPvRmT2_T3_mT4_P12ihipStream_tbEUlmE_dEESB_NS0_8identityIvEEEESJ_SM_SN_mSO_SQ_bEUlT_E_NS1_11comp_targetILNS1_3genE10ELNS1_11target_archE1201ELNS1_3gpuE5ELNS1_3repE0EEENS1_30default_config_static_selectorELNS0_4arch9wavefront6targetE1EEEvT1_.num_named_barrier, 0
	.set _ZN7rocprim17ROCPRIM_400000_NS6detail17trampoline_kernelINS0_14default_configENS1_25transform_config_selectorIdLb0EEEZNS1_14transform_implILb0ES3_S5_NS0_18transform_iteratorINS0_17counting_iteratorImlEEZNS1_24adjacent_difference_implIS3_Lb1ELb0EPdN6thrust23THRUST_200600_302600_NS16discard_iteratorINSD_11use_defaultEEENSD_5minusIdEEEE10hipError_tPvRmT2_T3_mT4_P12ihipStream_tbEUlmE_dEESB_NS0_8identityIvEEEESJ_SM_SN_mSO_SQ_bEUlT_E_NS1_11comp_targetILNS1_3genE10ELNS1_11target_archE1201ELNS1_3gpuE5ELNS1_3repE0EEENS1_30default_config_static_selectorELNS0_4arch9wavefront6targetE1EEEvT1_.private_seg_size, 0
	.set _ZN7rocprim17ROCPRIM_400000_NS6detail17trampoline_kernelINS0_14default_configENS1_25transform_config_selectorIdLb0EEEZNS1_14transform_implILb0ES3_S5_NS0_18transform_iteratorINS0_17counting_iteratorImlEEZNS1_24adjacent_difference_implIS3_Lb1ELb0EPdN6thrust23THRUST_200600_302600_NS16discard_iteratorINSD_11use_defaultEEENSD_5minusIdEEEE10hipError_tPvRmT2_T3_mT4_P12ihipStream_tbEUlmE_dEESB_NS0_8identityIvEEEESJ_SM_SN_mSO_SQ_bEUlT_E_NS1_11comp_targetILNS1_3genE10ELNS1_11target_archE1201ELNS1_3gpuE5ELNS1_3repE0EEENS1_30default_config_static_selectorELNS0_4arch9wavefront6targetE1EEEvT1_.uses_vcc, 0
	.set _ZN7rocprim17ROCPRIM_400000_NS6detail17trampoline_kernelINS0_14default_configENS1_25transform_config_selectorIdLb0EEEZNS1_14transform_implILb0ES3_S5_NS0_18transform_iteratorINS0_17counting_iteratorImlEEZNS1_24adjacent_difference_implIS3_Lb1ELb0EPdN6thrust23THRUST_200600_302600_NS16discard_iteratorINSD_11use_defaultEEENSD_5minusIdEEEE10hipError_tPvRmT2_T3_mT4_P12ihipStream_tbEUlmE_dEESB_NS0_8identityIvEEEESJ_SM_SN_mSO_SQ_bEUlT_E_NS1_11comp_targetILNS1_3genE10ELNS1_11target_archE1201ELNS1_3gpuE5ELNS1_3repE0EEENS1_30default_config_static_selectorELNS0_4arch9wavefront6targetE1EEEvT1_.uses_flat_scratch, 0
	.set _ZN7rocprim17ROCPRIM_400000_NS6detail17trampoline_kernelINS0_14default_configENS1_25transform_config_selectorIdLb0EEEZNS1_14transform_implILb0ES3_S5_NS0_18transform_iteratorINS0_17counting_iteratorImlEEZNS1_24adjacent_difference_implIS3_Lb1ELb0EPdN6thrust23THRUST_200600_302600_NS16discard_iteratorINSD_11use_defaultEEENSD_5minusIdEEEE10hipError_tPvRmT2_T3_mT4_P12ihipStream_tbEUlmE_dEESB_NS0_8identityIvEEEESJ_SM_SN_mSO_SQ_bEUlT_E_NS1_11comp_targetILNS1_3genE10ELNS1_11target_archE1201ELNS1_3gpuE5ELNS1_3repE0EEENS1_30default_config_static_selectorELNS0_4arch9wavefront6targetE1EEEvT1_.has_dyn_sized_stack, 0
	.set _ZN7rocprim17ROCPRIM_400000_NS6detail17trampoline_kernelINS0_14default_configENS1_25transform_config_selectorIdLb0EEEZNS1_14transform_implILb0ES3_S5_NS0_18transform_iteratorINS0_17counting_iteratorImlEEZNS1_24adjacent_difference_implIS3_Lb1ELb0EPdN6thrust23THRUST_200600_302600_NS16discard_iteratorINSD_11use_defaultEEENSD_5minusIdEEEE10hipError_tPvRmT2_T3_mT4_P12ihipStream_tbEUlmE_dEESB_NS0_8identityIvEEEESJ_SM_SN_mSO_SQ_bEUlT_E_NS1_11comp_targetILNS1_3genE10ELNS1_11target_archE1201ELNS1_3gpuE5ELNS1_3repE0EEENS1_30default_config_static_selectorELNS0_4arch9wavefront6targetE1EEEvT1_.has_recursion, 0
	.set _ZN7rocprim17ROCPRIM_400000_NS6detail17trampoline_kernelINS0_14default_configENS1_25transform_config_selectorIdLb0EEEZNS1_14transform_implILb0ES3_S5_NS0_18transform_iteratorINS0_17counting_iteratorImlEEZNS1_24adjacent_difference_implIS3_Lb1ELb0EPdN6thrust23THRUST_200600_302600_NS16discard_iteratorINSD_11use_defaultEEENSD_5minusIdEEEE10hipError_tPvRmT2_T3_mT4_P12ihipStream_tbEUlmE_dEESB_NS0_8identityIvEEEESJ_SM_SN_mSO_SQ_bEUlT_E_NS1_11comp_targetILNS1_3genE10ELNS1_11target_archE1201ELNS1_3gpuE5ELNS1_3repE0EEENS1_30default_config_static_selectorELNS0_4arch9wavefront6targetE1EEEvT1_.has_indirect_call, 0
	.section	.AMDGPU.csdata,"",@progbits
; Kernel info:
; codeLenInByte = 0
; TotalNumSgprs: 4
; NumVgprs: 0
; ScratchSize: 0
; MemoryBound: 0
; FloatMode: 240
; IeeeMode: 1
; LDSByteSize: 0 bytes/workgroup (compile time only)
; SGPRBlocks: 0
; VGPRBlocks: 0
; NumSGPRsForWavesPerEU: 4
; NumVGPRsForWavesPerEU: 1
; Occupancy: 10
; WaveLimiterHint : 0
; COMPUTE_PGM_RSRC2:SCRATCH_EN: 0
; COMPUTE_PGM_RSRC2:USER_SGPR: 6
; COMPUTE_PGM_RSRC2:TRAP_HANDLER: 0
; COMPUTE_PGM_RSRC2:TGID_X_EN: 1
; COMPUTE_PGM_RSRC2:TGID_Y_EN: 0
; COMPUTE_PGM_RSRC2:TGID_Z_EN: 0
; COMPUTE_PGM_RSRC2:TIDIG_COMP_CNT: 0
	.section	.text._ZN7rocprim17ROCPRIM_400000_NS6detail17trampoline_kernelINS0_14default_configENS1_25transform_config_selectorIdLb0EEEZNS1_14transform_implILb0ES3_S5_NS0_18transform_iteratorINS0_17counting_iteratorImlEEZNS1_24adjacent_difference_implIS3_Lb1ELb0EPdN6thrust23THRUST_200600_302600_NS16discard_iteratorINSD_11use_defaultEEENSD_5minusIdEEEE10hipError_tPvRmT2_T3_mT4_P12ihipStream_tbEUlmE_dEESB_NS0_8identityIvEEEESJ_SM_SN_mSO_SQ_bEUlT_E_NS1_11comp_targetILNS1_3genE10ELNS1_11target_archE1200ELNS1_3gpuE4ELNS1_3repE0EEENS1_30default_config_static_selectorELNS0_4arch9wavefront6targetE1EEEvT1_,"axG",@progbits,_ZN7rocprim17ROCPRIM_400000_NS6detail17trampoline_kernelINS0_14default_configENS1_25transform_config_selectorIdLb0EEEZNS1_14transform_implILb0ES3_S5_NS0_18transform_iteratorINS0_17counting_iteratorImlEEZNS1_24adjacent_difference_implIS3_Lb1ELb0EPdN6thrust23THRUST_200600_302600_NS16discard_iteratorINSD_11use_defaultEEENSD_5minusIdEEEE10hipError_tPvRmT2_T3_mT4_P12ihipStream_tbEUlmE_dEESB_NS0_8identityIvEEEESJ_SM_SN_mSO_SQ_bEUlT_E_NS1_11comp_targetILNS1_3genE10ELNS1_11target_archE1200ELNS1_3gpuE4ELNS1_3repE0EEENS1_30default_config_static_selectorELNS0_4arch9wavefront6targetE1EEEvT1_,comdat
	.protected	_ZN7rocprim17ROCPRIM_400000_NS6detail17trampoline_kernelINS0_14default_configENS1_25transform_config_selectorIdLb0EEEZNS1_14transform_implILb0ES3_S5_NS0_18transform_iteratorINS0_17counting_iteratorImlEEZNS1_24adjacent_difference_implIS3_Lb1ELb0EPdN6thrust23THRUST_200600_302600_NS16discard_iteratorINSD_11use_defaultEEENSD_5minusIdEEEE10hipError_tPvRmT2_T3_mT4_P12ihipStream_tbEUlmE_dEESB_NS0_8identityIvEEEESJ_SM_SN_mSO_SQ_bEUlT_E_NS1_11comp_targetILNS1_3genE10ELNS1_11target_archE1200ELNS1_3gpuE4ELNS1_3repE0EEENS1_30default_config_static_selectorELNS0_4arch9wavefront6targetE1EEEvT1_ ; -- Begin function _ZN7rocprim17ROCPRIM_400000_NS6detail17trampoline_kernelINS0_14default_configENS1_25transform_config_selectorIdLb0EEEZNS1_14transform_implILb0ES3_S5_NS0_18transform_iteratorINS0_17counting_iteratorImlEEZNS1_24adjacent_difference_implIS3_Lb1ELb0EPdN6thrust23THRUST_200600_302600_NS16discard_iteratorINSD_11use_defaultEEENSD_5minusIdEEEE10hipError_tPvRmT2_T3_mT4_P12ihipStream_tbEUlmE_dEESB_NS0_8identityIvEEEESJ_SM_SN_mSO_SQ_bEUlT_E_NS1_11comp_targetILNS1_3genE10ELNS1_11target_archE1200ELNS1_3gpuE4ELNS1_3repE0EEENS1_30default_config_static_selectorELNS0_4arch9wavefront6targetE1EEEvT1_
	.globl	_ZN7rocprim17ROCPRIM_400000_NS6detail17trampoline_kernelINS0_14default_configENS1_25transform_config_selectorIdLb0EEEZNS1_14transform_implILb0ES3_S5_NS0_18transform_iteratorINS0_17counting_iteratorImlEEZNS1_24adjacent_difference_implIS3_Lb1ELb0EPdN6thrust23THRUST_200600_302600_NS16discard_iteratorINSD_11use_defaultEEENSD_5minusIdEEEE10hipError_tPvRmT2_T3_mT4_P12ihipStream_tbEUlmE_dEESB_NS0_8identityIvEEEESJ_SM_SN_mSO_SQ_bEUlT_E_NS1_11comp_targetILNS1_3genE10ELNS1_11target_archE1200ELNS1_3gpuE4ELNS1_3repE0EEENS1_30default_config_static_selectorELNS0_4arch9wavefront6targetE1EEEvT1_
	.p2align	8
	.type	_ZN7rocprim17ROCPRIM_400000_NS6detail17trampoline_kernelINS0_14default_configENS1_25transform_config_selectorIdLb0EEEZNS1_14transform_implILb0ES3_S5_NS0_18transform_iteratorINS0_17counting_iteratorImlEEZNS1_24adjacent_difference_implIS3_Lb1ELb0EPdN6thrust23THRUST_200600_302600_NS16discard_iteratorINSD_11use_defaultEEENSD_5minusIdEEEE10hipError_tPvRmT2_T3_mT4_P12ihipStream_tbEUlmE_dEESB_NS0_8identityIvEEEESJ_SM_SN_mSO_SQ_bEUlT_E_NS1_11comp_targetILNS1_3genE10ELNS1_11target_archE1200ELNS1_3gpuE4ELNS1_3repE0EEENS1_30default_config_static_selectorELNS0_4arch9wavefront6targetE1EEEvT1_,@function
_ZN7rocprim17ROCPRIM_400000_NS6detail17trampoline_kernelINS0_14default_configENS1_25transform_config_selectorIdLb0EEEZNS1_14transform_implILb0ES3_S5_NS0_18transform_iteratorINS0_17counting_iteratorImlEEZNS1_24adjacent_difference_implIS3_Lb1ELb0EPdN6thrust23THRUST_200600_302600_NS16discard_iteratorINSD_11use_defaultEEENSD_5minusIdEEEE10hipError_tPvRmT2_T3_mT4_P12ihipStream_tbEUlmE_dEESB_NS0_8identityIvEEEESJ_SM_SN_mSO_SQ_bEUlT_E_NS1_11comp_targetILNS1_3genE10ELNS1_11target_archE1200ELNS1_3gpuE4ELNS1_3repE0EEENS1_30default_config_static_selectorELNS0_4arch9wavefront6targetE1EEEvT1_: ; @_ZN7rocprim17ROCPRIM_400000_NS6detail17trampoline_kernelINS0_14default_configENS1_25transform_config_selectorIdLb0EEEZNS1_14transform_implILb0ES3_S5_NS0_18transform_iteratorINS0_17counting_iteratorImlEEZNS1_24adjacent_difference_implIS3_Lb1ELb0EPdN6thrust23THRUST_200600_302600_NS16discard_iteratorINSD_11use_defaultEEENSD_5minusIdEEEE10hipError_tPvRmT2_T3_mT4_P12ihipStream_tbEUlmE_dEESB_NS0_8identityIvEEEESJ_SM_SN_mSO_SQ_bEUlT_E_NS1_11comp_targetILNS1_3genE10ELNS1_11target_archE1200ELNS1_3gpuE4ELNS1_3repE0EEENS1_30default_config_static_selectorELNS0_4arch9wavefront6targetE1EEEvT1_
; %bb.0:
	.section	.rodata,"a",@progbits
	.p2align	6, 0x0
	.amdhsa_kernel _ZN7rocprim17ROCPRIM_400000_NS6detail17trampoline_kernelINS0_14default_configENS1_25transform_config_selectorIdLb0EEEZNS1_14transform_implILb0ES3_S5_NS0_18transform_iteratorINS0_17counting_iteratorImlEEZNS1_24adjacent_difference_implIS3_Lb1ELb0EPdN6thrust23THRUST_200600_302600_NS16discard_iteratorINSD_11use_defaultEEENSD_5minusIdEEEE10hipError_tPvRmT2_T3_mT4_P12ihipStream_tbEUlmE_dEESB_NS0_8identityIvEEEESJ_SM_SN_mSO_SQ_bEUlT_E_NS1_11comp_targetILNS1_3genE10ELNS1_11target_archE1200ELNS1_3gpuE4ELNS1_3repE0EEENS1_30default_config_static_selectorELNS0_4arch9wavefront6targetE1EEEvT1_
		.amdhsa_group_segment_fixed_size 0
		.amdhsa_private_segment_fixed_size 0
		.amdhsa_kernarg_size 56
		.amdhsa_user_sgpr_count 6
		.amdhsa_user_sgpr_private_segment_buffer 1
		.amdhsa_user_sgpr_dispatch_ptr 0
		.amdhsa_user_sgpr_queue_ptr 0
		.amdhsa_user_sgpr_kernarg_segment_ptr 1
		.amdhsa_user_sgpr_dispatch_id 0
		.amdhsa_user_sgpr_flat_scratch_init 0
		.amdhsa_user_sgpr_private_segment_size 0
		.amdhsa_uses_dynamic_stack 0
		.amdhsa_system_sgpr_private_segment_wavefront_offset 0
		.amdhsa_system_sgpr_workgroup_id_x 1
		.amdhsa_system_sgpr_workgroup_id_y 0
		.amdhsa_system_sgpr_workgroup_id_z 0
		.amdhsa_system_sgpr_workgroup_info 0
		.amdhsa_system_vgpr_workitem_id 0
		.amdhsa_next_free_vgpr 1
		.amdhsa_next_free_sgpr 0
		.amdhsa_reserve_vcc 0
		.amdhsa_reserve_flat_scratch 0
		.amdhsa_float_round_mode_32 0
		.amdhsa_float_round_mode_16_64 0
		.amdhsa_float_denorm_mode_32 3
		.amdhsa_float_denorm_mode_16_64 3
		.amdhsa_dx10_clamp 1
		.amdhsa_ieee_mode 1
		.amdhsa_fp16_overflow 0
		.amdhsa_exception_fp_ieee_invalid_op 0
		.amdhsa_exception_fp_denorm_src 0
		.amdhsa_exception_fp_ieee_div_zero 0
		.amdhsa_exception_fp_ieee_overflow 0
		.amdhsa_exception_fp_ieee_underflow 0
		.amdhsa_exception_fp_ieee_inexact 0
		.amdhsa_exception_int_div_zero 0
	.end_amdhsa_kernel
	.section	.text._ZN7rocprim17ROCPRIM_400000_NS6detail17trampoline_kernelINS0_14default_configENS1_25transform_config_selectorIdLb0EEEZNS1_14transform_implILb0ES3_S5_NS0_18transform_iteratorINS0_17counting_iteratorImlEEZNS1_24adjacent_difference_implIS3_Lb1ELb0EPdN6thrust23THRUST_200600_302600_NS16discard_iteratorINSD_11use_defaultEEENSD_5minusIdEEEE10hipError_tPvRmT2_T3_mT4_P12ihipStream_tbEUlmE_dEESB_NS0_8identityIvEEEESJ_SM_SN_mSO_SQ_bEUlT_E_NS1_11comp_targetILNS1_3genE10ELNS1_11target_archE1200ELNS1_3gpuE4ELNS1_3repE0EEENS1_30default_config_static_selectorELNS0_4arch9wavefront6targetE1EEEvT1_,"axG",@progbits,_ZN7rocprim17ROCPRIM_400000_NS6detail17trampoline_kernelINS0_14default_configENS1_25transform_config_selectorIdLb0EEEZNS1_14transform_implILb0ES3_S5_NS0_18transform_iteratorINS0_17counting_iteratorImlEEZNS1_24adjacent_difference_implIS3_Lb1ELb0EPdN6thrust23THRUST_200600_302600_NS16discard_iteratorINSD_11use_defaultEEENSD_5minusIdEEEE10hipError_tPvRmT2_T3_mT4_P12ihipStream_tbEUlmE_dEESB_NS0_8identityIvEEEESJ_SM_SN_mSO_SQ_bEUlT_E_NS1_11comp_targetILNS1_3genE10ELNS1_11target_archE1200ELNS1_3gpuE4ELNS1_3repE0EEENS1_30default_config_static_selectorELNS0_4arch9wavefront6targetE1EEEvT1_,comdat
.Lfunc_end779:
	.size	_ZN7rocprim17ROCPRIM_400000_NS6detail17trampoline_kernelINS0_14default_configENS1_25transform_config_selectorIdLb0EEEZNS1_14transform_implILb0ES3_S5_NS0_18transform_iteratorINS0_17counting_iteratorImlEEZNS1_24adjacent_difference_implIS3_Lb1ELb0EPdN6thrust23THRUST_200600_302600_NS16discard_iteratorINSD_11use_defaultEEENSD_5minusIdEEEE10hipError_tPvRmT2_T3_mT4_P12ihipStream_tbEUlmE_dEESB_NS0_8identityIvEEEESJ_SM_SN_mSO_SQ_bEUlT_E_NS1_11comp_targetILNS1_3genE10ELNS1_11target_archE1200ELNS1_3gpuE4ELNS1_3repE0EEENS1_30default_config_static_selectorELNS0_4arch9wavefront6targetE1EEEvT1_, .Lfunc_end779-_ZN7rocprim17ROCPRIM_400000_NS6detail17trampoline_kernelINS0_14default_configENS1_25transform_config_selectorIdLb0EEEZNS1_14transform_implILb0ES3_S5_NS0_18transform_iteratorINS0_17counting_iteratorImlEEZNS1_24adjacent_difference_implIS3_Lb1ELb0EPdN6thrust23THRUST_200600_302600_NS16discard_iteratorINSD_11use_defaultEEENSD_5minusIdEEEE10hipError_tPvRmT2_T3_mT4_P12ihipStream_tbEUlmE_dEESB_NS0_8identityIvEEEESJ_SM_SN_mSO_SQ_bEUlT_E_NS1_11comp_targetILNS1_3genE10ELNS1_11target_archE1200ELNS1_3gpuE4ELNS1_3repE0EEENS1_30default_config_static_selectorELNS0_4arch9wavefront6targetE1EEEvT1_
                                        ; -- End function
	.set _ZN7rocprim17ROCPRIM_400000_NS6detail17trampoline_kernelINS0_14default_configENS1_25transform_config_selectorIdLb0EEEZNS1_14transform_implILb0ES3_S5_NS0_18transform_iteratorINS0_17counting_iteratorImlEEZNS1_24adjacent_difference_implIS3_Lb1ELb0EPdN6thrust23THRUST_200600_302600_NS16discard_iteratorINSD_11use_defaultEEENSD_5minusIdEEEE10hipError_tPvRmT2_T3_mT4_P12ihipStream_tbEUlmE_dEESB_NS0_8identityIvEEEESJ_SM_SN_mSO_SQ_bEUlT_E_NS1_11comp_targetILNS1_3genE10ELNS1_11target_archE1200ELNS1_3gpuE4ELNS1_3repE0EEENS1_30default_config_static_selectorELNS0_4arch9wavefront6targetE1EEEvT1_.num_vgpr, 0
	.set _ZN7rocprim17ROCPRIM_400000_NS6detail17trampoline_kernelINS0_14default_configENS1_25transform_config_selectorIdLb0EEEZNS1_14transform_implILb0ES3_S5_NS0_18transform_iteratorINS0_17counting_iteratorImlEEZNS1_24adjacent_difference_implIS3_Lb1ELb0EPdN6thrust23THRUST_200600_302600_NS16discard_iteratorINSD_11use_defaultEEENSD_5minusIdEEEE10hipError_tPvRmT2_T3_mT4_P12ihipStream_tbEUlmE_dEESB_NS0_8identityIvEEEESJ_SM_SN_mSO_SQ_bEUlT_E_NS1_11comp_targetILNS1_3genE10ELNS1_11target_archE1200ELNS1_3gpuE4ELNS1_3repE0EEENS1_30default_config_static_selectorELNS0_4arch9wavefront6targetE1EEEvT1_.num_agpr, 0
	.set _ZN7rocprim17ROCPRIM_400000_NS6detail17trampoline_kernelINS0_14default_configENS1_25transform_config_selectorIdLb0EEEZNS1_14transform_implILb0ES3_S5_NS0_18transform_iteratorINS0_17counting_iteratorImlEEZNS1_24adjacent_difference_implIS3_Lb1ELb0EPdN6thrust23THRUST_200600_302600_NS16discard_iteratorINSD_11use_defaultEEENSD_5minusIdEEEE10hipError_tPvRmT2_T3_mT4_P12ihipStream_tbEUlmE_dEESB_NS0_8identityIvEEEESJ_SM_SN_mSO_SQ_bEUlT_E_NS1_11comp_targetILNS1_3genE10ELNS1_11target_archE1200ELNS1_3gpuE4ELNS1_3repE0EEENS1_30default_config_static_selectorELNS0_4arch9wavefront6targetE1EEEvT1_.numbered_sgpr, 0
	.set _ZN7rocprim17ROCPRIM_400000_NS6detail17trampoline_kernelINS0_14default_configENS1_25transform_config_selectorIdLb0EEEZNS1_14transform_implILb0ES3_S5_NS0_18transform_iteratorINS0_17counting_iteratorImlEEZNS1_24adjacent_difference_implIS3_Lb1ELb0EPdN6thrust23THRUST_200600_302600_NS16discard_iteratorINSD_11use_defaultEEENSD_5minusIdEEEE10hipError_tPvRmT2_T3_mT4_P12ihipStream_tbEUlmE_dEESB_NS0_8identityIvEEEESJ_SM_SN_mSO_SQ_bEUlT_E_NS1_11comp_targetILNS1_3genE10ELNS1_11target_archE1200ELNS1_3gpuE4ELNS1_3repE0EEENS1_30default_config_static_selectorELNS0_4arch9wavefront6targetE1EEEvT1_.num_named_barrier, 0
	.set _ZN7rocprim17ROCPRIM_400000_NS6detail17trampoline_kernelINS0_14default_configENS1_25transform_config_selectorIdLb0EEEZNS1_14transform_implILb0ES3_S5_NS0_18transform_iteratorINS0_17counting_iteratorImlEEZNS1_24adjacent_difference_implIS3_Lb1ELb0EPdN6thrust23THRUST_200600_302600_NS16discard_iteratorINSD_11use_defaultEEENSD_5minusIdEEEE10hipError_tPvRmT2_T3_mT4_P12ihipStream_tbEUlmE_dEESB_NS0_8identityIvEEEESJ_SM_SN_mSO_SQ_bEUlT_E_NS1_11comp_targetILNS1_3genE10ELNS1_11target_archE1200ELNS1_3gpuE4ELNS1_3repE0EEENS1_30default_config_static_selectorELNS0_4arch9wavefront6targetE1EEEvT1_.private_seg_size, 0
	.set _ZN7rocprim17ROCPRIM_400000_NS6detail17trampoline_kernelINS0_14default_configENS1_25transform_config_selectorIdLb0EEEZNS1_14transform_implILb0ES3_S5_NS0_18transform_iteratorINS0_17counting_iteratorImlEEZNS1_24adjacent_difference_implIS3_Lb1ELb0EPdN6thrust23THRUST_200600_302600_NS16discard_iteratorINSD_11use_defaultEEENSD_5minusIdEEEE10hipError_tPvRmT2_T3_mT4_P12ihipStream_tbEUlmE_dEESB_NS0_8identityIvEEEESJ_SM_SN_mSO_SQ_bEUlT_E_NS1_11comp_targetILNS1_3genE10ELNS1_11target_archE1200ELNS1_3gpuE4ELNS1_3repE0EEENS1_30default_config_static_selectorELNS0_4arch9wavefront6targetE1EEEvT1_.uses_vcc, 0
	.set _ZN7rocprim17ROCPRIM_400000_NS6detail17trampoline_kernelINS0_14default_configENS1_25transform_config_selectorIdLb0EEEZNS1_14transform_implILb0ES3_S5_NS0_18transform_iteratorINS0_17counting_iteratorImlEEZNS1_24adjacent_difference_implIS3_Lb1ELb0EPdN6thrust23THRUST_200600_302600_NS16discard_iteratorINSD_11use_defaultEEENSD_5minusIdEEEE10hipError_tPvRmT2_T3_mT4_P12ihipStream_tbEUlmE_dEESB_NS0_8identityIvEEEESJ_SM_SN_mSO_SQ_bEUlT_E_NS1_11comp_targetILNS1_3genE10ELNS1_11target_archE1200ELNS1_3gpuE4ELNS1_3repE0EEENS1_30default_config_static_selectorELNS0_4arch9wavefront6targetE1EEEvT1_.uses_flat_scratch, 0
	.set _ZN7rocprim17ROCPRIM_400000_NS6detail17trampoline_kernelINS0_14default_configENS1_25transform_config_selectorIdLb0EEEZNS1_14transform_implILb0ES3_S5_NS0_18transform_iteratorINS0_17counting_iteratorImlEEZNS1_24adjacent_difference_implIS3_Lb1ELb0EPdN6thrust23THRUST_200600_302600_NS16discard_iteratorINSD_11use_defaultEEENSD_5minusIdEEEE10hipError_tPvRmT2_T3_mT4_P12ihipStream_tbEUlmE_dEESB_NS0_8identityIvEEEESJ_SM_SN_mSO_SQ_bEUlT_E_NS1_11comp_targetILNS1_3genE10ELNS1_11target_archE1200ELNS1_3gpuE4ELNS1_3repE0EEENS1_30default_config_static_selectorELNS0_4arch9wavefront6targetE1EEEvT1_.has_dyn_sized_stack, 0
	.set _ZN7rocprim17ROCPRIM_400000_NS6detail17trampoline_kernelINS0_14default_configENS1_25transform_config_selectorIdLb0EEEZNS1_14transform_implILb0ES3_S5_NS0_18transform_iteratorINS0_17counting_iteratorImlEEZNS1_24adjacent_difference_implIS3_Lb1ELb0EPdN6thrust23THRUST_200600_302600_NS16discard_iteratorINSD_11use_defaultEEENSD_5minusIdEEEE10hipError_tPvRmT2_T3_mT4_P12ihipStream_tbEUlmE_dEESB_NS0_8identityIvEEEESJ_SM_SN_mSO_SQ_bEUlT_E_NS1_11comp_targetILNS1_3genE10ELNS1_11target_archE1200ELNS1_3gpuE4ELNS1_3repE0EEENS1_30default_config_static_selectorELNS0_4arch9wavefront6targetE1EEEvT1_.has_recursion, 0
	.set _ZN7rocprim17ROCPRIM_400000_NS6detail17trampoline_kernelINS0_14default_configENS1_25transform_config_selectorIdLb0EEEZNS1_14transform_implILb0ES3_S5_NS0_18transform_iteratorINS0_17counting_iteratorImlEEZNS1_24adjacent_difference_implIS3_Lb1ELb0EPdN6thrust23THRUST_200600_302600_NS16discard_iteratorINSD_11use_defaultEEENSD_5minusIdEEEE10hipError_tPvRmT2_T3_mT4_P12ihipStream_tbEUlmE_dEESB_NS0_8identityIvEEEESJ_SM_SN_mSO_SQ_bEUlT_E_NS1_11comp_targetILNS1_3genE10ELNS1_11target_archE1200ELNS1_3gpuE4ELNS1_3repE0EEENS1_30default_config_static_selectorELNS0_4arch9wavefront6targetE1EEEvT1_.has_indirect_call, 0
	.section	.AMDGPU.csdata,"",@progbits
; Kernel info:
; codeLenInByte = 0
; TotalNumSgprs: 4
; NumVgprs: 0
; ScratchSize: 0
; MemoryBound: 0
; FloatMode: 240
; IeeeMode: 1
; LDSByteSize: 0 bytes/workgroup (compile time only)
; SGPRBlocks: 0
; VGPRBlocks: 0
; NumSGPRsForWavesPerEU: 4
; NumVGPRsForWavesPerEU: 1
; Occupancy: 10
; WaveLimiterHint : 0
; COMPUTE_PGM_RSRC2:SCRATCH_EN: 0
; COMPUTE_PGM_RSRC2:USER_SGPR: 6
; COMPUTE_PGM_RSRC2:TRAP_HANDLER: 0
; COMPUTE_PGM_RSRC2:TGID_X_EN: 1
; COMPUTE_PGM_RSRC2:TGID_Y_EN: 0
; COMPUTE_PGM_RSRC2:TGID_Z_EN: 0
; COMPUTE_PGM_RSRC2:TIDIG_COMP_CNT: 0
	.section	.text._ZN7rocprim17ROCPRIM_400000_NS6detail17trampoline_kernelINS0_14default_configENS1_25transform_config_selectorIdLb0EEEZNS1_14transform_implILb0ES3_S5_NS0_18transform_iteratorINS0_17counting_iteratorImlEEZNS1_24adjacent_difference_implIS3_Lb1ELb0EPdN6thrust23THRUST_200600_302600_NS16discard_iteratorINSD_11use_defaultEEENSD_5minusIdEEEE10hipError_tPvRmT2_T3_mT4_P12ihipStream_tbEUlmE_dEESB_NS0_8identityIvEEEESJ_SM_SN_mSO_SQ_bEUlT_E_NS1_11comp_targetILNS1_3genE9ELNS1_11target_archE1100ELNS1_3gpuE3ELNS1_3repE0EEENS1_30default_config_static_selectorELNS0_4arch9wavefront6targetE1EEEvT1_,"axG",@progbits,_ZN7rocprim17ROCPRIM_400000_NS6detail17trampoline_kernelINS0_14default_configENS1_25transform_config_selectorIdLb0EEEZNS1_14transform_implILb0ES3_S5_NS0_18transform_iteratorINS0_17counting_iteratorImlEEZNS1_24adjacent_difference_implIS3_Lb1ELb0EPdN6thrust23THRUST_200600_302600_NS16discard_iteratorINSD_11use_defaultEEENSD_5minusIdEEEE10hipError_tPvRmT2_T3_mT4_P12ihipStream_tbEUlmE_dEESB_NS0_8identityIvEEEESJ_SM_SN_mSO_SQ_bEUlT_E_NS1_11comp_targetILNS1_3genE9ELNS1_11target_archE1100ELNS1_3gpuE3ELNS1_3repE0EEENS1_30default_config_static_selectorELNS0_4arch9wavefront6targetE1EEEvT1_,comdat
	.protected	_ZN7rocprim17ROCPRIM_400000_NS6detail17trampoline_kernelINS0_14default_configENS1_25transform_config_selectorIdLb0EEEZNS1_14transform_implILb0ES3_S5_NS0_18transform_iteratorINS0_17counting_iteratorImlEEZNS1_24adjacent_difference_implIS3_Lb1ELb0EPdN6thrust23THRUST_200600_302600_NS16discard_iteratorINSD_11use_defaultEEENSD_5minusIdEEEE10hipError_tPvRmT2_T3_mT4_P12ihipStream_tbEUlmE_dEESB_NS0_8identityIvEEEESJ_SM_SN_mSO_SQ_bEUlT_E_NS1_11comp_targetILNS1_3genE9ELNS1_11target_archE1100ELNS1_3gpuE3ELNS1_3repE0EEENS1_30default_config_static_selectorELNS0_4arch9wavefront6targetE1EEEvT1_ ; -- Begin function _ZN7rocprim17ROCPRIM_400000_NS6detail17trampoline_kernelINS0_14default_configENS1_25transform_config_selectorIdLb0EEEZNS1_14transform_implILb0ES3_S5_NS0_18transform_iteratorINS0_17counting_iteratorImlEEZNS1_24adjacent_difference_implIS3_Lb1ELb0EPdN6thrust23THRUST_200600_302600_NS16discard_iteratorINSD_11use_defaultEEENSD_5minusIdEEEE10hipError_tPvRmT2_T3_mT4_P12ihipStream_tbEUlmE_dEESB_NS0_8identityIvEEEESJ_SM_SN_mSO_SQ_bEUlT_E_NS1_11comp_targetILNS1_3genE9ELNS1_11target_archE1100ELNS1_3gpuE3ELNS1_3repE0EEENS1_30default_config_static_selectorELNS0_4arch9wavefront6targetE1EEEvT1_
	.globl	_ZN7rocprim17ROCPRIM_400000_NS6detail17trampoline_kernelINS0_14default_configENS1_25transform_config_selectorIdLb0EEEZNS1_14transform_implILb0ES3_S5_NS0_18transform_iteratorINS0_17counting_iteratorImlEEZNS1_24adjacent_difference_implIS3_Lb1ELb0EPdN6thrust23THRUST_200600_302600_NS16discard_iteratorINSD_11use_defaultEEENSD_5minusIdEEEE10hipError_tPvRmT2_T3_mT4_P12ihipStream_tbEUlmE_dEESB_NS0_8identityIvEEEESJ_SM_SN_mSO_SQ_bEUlT_E_NS1_11comp_targetILNS1_3genE9ELNS1_11target_archE1100ELNS1_3gpuE3ELNS1_3repE0EEENS1_30default_config_static_selectorELNS0_4arch9wavefront6targetE1EEEvT1_
	.p2align	8
	.type	_ZN7rocprim17ROCPRIM_400000_NS6detail17trampoline_kernelINS0_14default_configENS1_25transform_config_selectorIdLb0EEEZNS1_14transform_implILb0ES3_S5_NS0_18transform_iteratorINS0_17counting_iteratorImlEEZNS1_24adjacent_difference_implIS3_Lb1ELb0EPdN6thrust23THRUST_200600_302600_NS16discard_iteratorINSD_11use_defaultEEENSD_5minusIdEEEE10hipError_tPvRmT2_T3_mT4_P12ihipStream_tbEUlmE_dEESB_NS0_8identityIvEEEESJ_SM_SN_mSO_SQ_bEUlT_E_NS1_11comp_targetILNS1_3genE9ELNS1_11target_archE1100ELNS1_3gpuE3ELNS1_3repE0EEENS1_30default_config_static_selectorELNS0_4arch9wavefront6targetE1EEEvT1_,@function
_ZN7rocprim17ROCPRIM_400000_NS6detail17trampoline_kernelINS0_14default_configENS1_25transform_config_selectorIdLb0EEEZNS1_14transform_implILb0ES3_S5_NS0_18transform_iteratorINS0_17counting_iteratorImlEEZNS1_24adjacent_difference_implIS3_Lb1ELb0EPdN6thrust23THRUST_200600_302600_NS16discard_iteratorINSD_11use_defaultEEENSD_5minusIdEEEE10hipError_tPvRmT2_T3_mT4_P12ihipStream_tbEUlmE_dEESB_NS0_8identityIvEEEESJ_SM_SN_mSO_SQ_bEUlT_E_NS1_11comp_targetILNS1_3genE9ELNS1_11target_archE1100ELNS1_3gpuE3ELNS1_3repE0EEENS1_30default_config_static_selectorELNS0_4arch9wavefront6targetE1EEEvT1_: ; @_ZN7rocprim17ROCPRIM_400000_NS6detail17trampoline_kernelINS0_14default_configENS1_25transform_config_selectorIdLb0EEEZNS1_14transform_implILb0ES3_S5_NS0_18transform_iteratorINS0_17counting_iteratorImlEEZNS1_24adjacent_difference_implIS3_Lb1ELb0EPdN6thrust23THRUST_200600_302600_NS16discard_iteratorINSD_11use_defaultEEENSD_5minusIdEEEE10hipError_tPvRmT2_T3_mT4_P12ihipStream_tbEUlmE_dEESB_NS0_8identityIvEEEESJ_SM_SN_mSO_SQ_bEUlT_E_NS1_11comp_targetILNS1_3genE9ELNS1_11target_archE1100ELNS1_3gpuE3ELNS1_3repE0EEENS1_30default_config_static_selectorELNS0_4arch9wavefront6targetE1EEEvT1_
; %bb.0:
	.section	.rodata,"a",@progbits
	.p2align	6, 0x0
	.amdhsa_kernel _ZN7rocprim17ROCPRIM_400000_NS6detail17trampoline_kernelINS0_14default_configENS1_25transform_config_selectorIdLb0EEEZNS1_14transform_implILb0ES3_S5_NS0_18transform_iteratorINS0_17counting_iteratorImlEEZNS1_24adjacent_difference_implIS3_Lb1ELb0EPdN6thrust23THRUST_200600_302600_NS16discard_iteratorINSD_11use_defaultEEENSD_5minusIdEEEE10hipError_tPvRmT2_T3_mT4_P12ihipStream_tbEUlmE_dEESB_NS0_8identityIvEEEESJ_SM_SN_mSO_SQ_bEUlT_E_NS1_11comp_targetILNS1_3genE9ELNS1_11target_archE1100ELNS1_3gpuE3ELNS1_3repE0EEENS1_30default_config_static_selectorELNS0_4arch9wavefront6targetE1EEEvT1_
		.amdhsa_group_segment_fixed_size 0
		.amdhsa_private_segment_fixed_size 0
		.amdhsa_kernarg_size 56
		.amdhsa_user_sgpr_count 6
		.amdhsa_user_sgpr_private_segment_buffer 1
		.amdhsa_user_sgpr_dispatch_ptr 0
		.amdhsa_user_sgpr_queue_ptr 0
		.amdhsa_user_sgpr_kernarg_segment_ptr 1
		.amdhsa_user_sgpr_dispatch_id 0
		.amdhsa_user_sgpr_flat_scratch_init 0
		.amdhsa_user_sgpr_private_segment_size 0
		.amdhsa_uses_dynamic_stack 0
		.amdhsa_system_sgpr_private_segment_wavefront_offset 0
		.amdhsa_system_sgpr_workgroup_id_x 1
		.amdhsa_system_sgpr_workgroup_id_y 0
		.amdhsa_system_sgpr_workgroup_id_z 0
		.amdhsa_system_sgpr_workgroup_info 0
		.amdhsa_system_vgpr_workitem_id 0
		.amdhsa_next_free_vgpr 1
		.amdhsa_next_free_sgpr 0
		.amdhsa_reserve_vcc 0
		.amdhsa_reserve_flat_scratch 0
		.amdhsa_float_round_mode_32 0
		.amdhsa_float_round_mode_16_64 0
		.amdhsa_float_denorm_mode_32 3
		.amdhsa_float_denorm_mode_16_64 3
		.amdhsa_dx10_clamp 1
		.amdhsa_ieee_mode 1
		.amdhsa_fp16_overflow 0
		.amdhsa_exception_fp_ieee_invalid_op 0
		.amdhsa_exception_fp_denorm_src 0
		.amdhsa_exception_fp_ieee_div_zero 0
		.amdhsa_exception_fp_ieee_overflow 0
		.amdhsa_exception_fp_ieee_underflow 0
		.amdhsa_exception_fp_ieee_inexact 0
		.amdhsa_exception_int_div_zero 0
	.end_amdhsa_kernel
	.section	.text._ZN7rocprim17ROCPRIM_400000_NS6detail17trampoline_kernelINS0_14default_configENS1_25transform_config_selectorIdLb0EEEZNS1_14transform_implILb0ES3_S5_NS0_18transform_iteratorINS0_17counting_iteratorImlEEZNS1_24adjacent_difference_implIS3_Lb1ELb0EPdN6thrust23THRUST_200600_302600_NS16discard_iteratorINSD_11use_defaultEEENSD_5minusIdEEEE10hipError_tPvRmT2_T3_mT4_P12ihipStream_tbEUlmE_dEESB_NS0_8identityIvEEEESJ_SM_SN_mSO_SQ_bEUlT_E_NS1_11comp_targetILNS1_3genE9ELNS1_11target_archE1100ELNS1_3gpuE3ELNS1_3repE0EEENS1_30default_config_static_selectorELNS0_4arch9wavefront6targetE1EEEvT1_,"axG",@progbits,_ZN7rocprim17ROCPRIM_400000_NS6detail17trampoline_kernelINS0_14default_configENS1_25transform_config_selectorIdLb0EEEZNS1_14transform_implILb0ES3_S5_NS0_18transform_iteratorINS0_17counting_iteratorImlEEZNS1_24adjacent_difference_implIS3_Lb1ELb0EPdN6thrust23THRUST_200600_302600_NS16discard_iteratorINSD_11use_defaultEEENSD_5minusIdEEEE10hipError_tPvRmT2_T3_mT4_P12ihipStream_tbEUlmE_dEESB_NS0_8identityIvEEEESJ_SM_SN_mSO_SQ_bEUlT_E_NS1_11comp_targetILNS1_3genE9ELNS1_11target_archE1100ELNS1_3gpuE3ELNS1_3repE0EEENS1_30default_config_static_selectorELNS0_4arch9wavefront6targetE1EEEvT1_,comdat
.Lfunc_end780:
	.size	_ZN7rocprim17ROCPRIM_400000_NS6detail17trampoline_kernelINS0_14default_configENS1_25transform_config_selectorIdLb0EEEZNS1_14transform_implILb0ES3_S5_NS0_18transform_iteratorINS0_17counting_iteratorImlEEZNS1_24adjacent_difference_implIS3_Lb1ELb0EPdN6thrust23THRUST_200600_302600_NS16discard_iteratorINSD_11use_defaultEEENSD_5minusIdEEEE10hipError_tPvRmT2_T3_mT4_P12ihipStream_tbEUlmE_dEESB_NS0_8identityIvEEEESJ_SM_SN_mSO_SQ_bEUlT_E_NS1_11comp_targetILNS1_3genE9ELNS1_11target_archE1100ELNS1_3gpuE3ELNS1_3repE0EEENS1_30default_config_static_selectorELNS0_4arch9wavefront6targetE1EEEvT1_, .Lfunc_end780-_ZN7rocprim17ROCPRIM_400000_NS6detail17trampoline_kernelINS0_14default_configENS1_25transform_config_selectorIdLb0EEEZNS1_14transform_implILb0ES3_S5_NS0_18transform_iteratorINS0_17counting_iteratorImlEEZNS1_24adjacent_difference_implIS3_Lb1ELb0EPdN6thrust23THRUST_200600_302600_NS16discard_iteratorINSD_11use_defaultEEENSD_5minusIdEEEE10hipError_tPvRmT2_T3_mT4_P12ihipStream_tbEUlmE_dEESB_NS0_8identityIvEEEESJ_SM_SN_mSO_SQ_bEUlT_E_NS1_11comp_targetILNS1_3genE9ELNS1_11target_archE1100ELNS1_3gpuE3ELNS1_3repE0EEENS1_30default_config_static_selectorELNS0_4arch9wavefront6targetE1EEEvT1_
                                        ; -- End function
	.set _ZN7rocprim17ROCPRIM_400000_NS6detail17trampoline_kernelINS0_14default_configENS1_25transform_config_selectorIdLb0EEEZNS1_14transform_implILb0ES3_S5_NS0_18transform_iteratorINS0_17counting_iteratorImlEEZNS1_24adjacent_difference_implIS3_Lb1ELb0EPdN6thrust23THRUST_200600_302600_NS16discard_iteratorINSD_11use_defaultEEENSD_5minusIdEEEE10hipError_tPvRmT2_T3_mT4_P12ihipStream_tbEUlmE_dEESB_NS0_8identityIvEEEESJ_SM_SN_mSO_SQ_bEUlT_E_NS1_11comp_targetILNS1_3genE9ELNS1_11target_archE1100ELNS1_3gpuE3ELNS1_3repE0EEENS1_30default_config_static_selectorELNS0_4arch9wavefront6targetE1EEEvT1_.num_vgpr, 0
	.set _ZN7rocprim17ROCPRIM_400000_NS6detail17trampoline_kernelINS0_14default_configENS1_25transform_config_selectorIdLb0EEEZNS1_14transform_implILb0ES3_S5_NS0_18transform_iteratorINS0_17counting_iteratorImlEEZNS1_24adjacent_difference_implIS3_Lb1ELb0EPdN6thrust23THRUST_200600_302600_NS16discard_iteratorINSD_11use_defaultEEENSD_5minusIdEEEE10hipError_tPvRmT2_T3_mT4_P12ihipStream_tbEUlmE_dEESB_NS0_8identityIvEEEESJ_SM_SN_mSO_SQ_bEUlT_E_NS1_11comp_targetILNS1_3genE9ELNS1_11target_archE1100ELNS1_3gpuE3ELNS1_3repE0EEENS1_30default_config_static_selectorELNS0_4arch9wavefront6targetE1EEEvT1_.num_agpr, 0
	.set _ZN7rocprim17ROCPRIM_400000_NS6detail17trampoline_kernelINS0_14default_configENS1_25transform_config_selectorIdLb0EEEZNS1_14transform_implILb0ES3_S5_NS0_18transform_iteratorINS0_17counting_iteratorImlEEZNS1_24adjacent_difference_implIS3_Lb1ELb0EPdN6thrust23THRUST_200600_302600_NS16discard_iteratorINSD_11use_defaultEEENSD_5minusIdEEEE10hipError_tPvRmT2_T3_mT4_P12ihipStream_tbEUlmE_dEESB_NS0_8identityIvEEEESJ_SM_SN_mSO_SQ_bEUlT_E_NS1_11comp_targetILNS1_3genE9ELNS1_11target_archE1100ELNS1_3gpuE3ELNS1_3repE0EEENS1_30default_config_static_selectorELNS0_4arch9wavefront6targetE1EEEvT1_.numbered_sgpr, 0
	.set _ZN7rocprim17ROCPRIM_400000_NS6detail17trampoline_kernelINS0_14default_configENS1_25transform_config_selectorIdLb0EEEZNS1_14transform_implILb0ES3_S5_NS0_18transform_iteratorINS0_17counting_iteratorImlEEZNS1_24adjacent_difference_implIS3_Lb1ELb0EPdN6thrust23THRUST_200600_302600_NS16discard_iteratorINSD_11use_defaultEEENSD_5minusIdEEEE10hipError_tPvRmT2_T3_mT4_P12ihipStream_tbEUlmE_dEESB_NS0_8identityIvEEEESJ_SM_SN_mSO_SQ_bEUlT_E_NS1_11comp_targetILNS1_3genE9ELNS1_11target_archE1100ELNS1_3gpuE3ELNS1_3repE0EEENS1_30default_config_static_selectorELNS0_4arch9wavefront6targetE1EEEvT1_.num_named_barrier, 0
	.set _ZN7rocprim17ROCPRIM_400000_NS6detail17trampoline_kernelINS0_14default_configENS1_25transform_config_selectorIdLb0EEEZNS1_14transform_implILb0ES3_S5_NS0_18transform_iteratorINS0_17counting_iteratorImlEEZNS1_24adjacent_difference_implIS3_Lb1ELb0EPdN6thrust23THRUST_200600_302600_NS16discard_iteratorINSD_11use_defaultEEENSD_5minusIdEEEE10hipError_tPvRmT2_T3_mT4_P12ihipStream_tbEUlmE_dEESB_NS0_8identityIvEEEESJ_SM_SN_mSO_SQ_bEUlT_E_NS1_11comp_targetILNS1_3genE9ELNS1_11target_archE1100ELNS1_3gpuE3ELNS1_3repE0EEENS1_30default_config_static_selectorELNS0_4arch9wavefront6targetE1EEEvT1_.private_seg_size, 0
	.set _ZN7rocprim17ROCPRIM_400000_NS6detail17trampoline_kernelINS0_14default_configENS1_25transform_config_selectorIdLb0EEEZNS1_14transform_implILb0ES3_S5_NS0_18transform_iteratorINS0_17counting_iteratorImlEEZNS1_24adjacent_difference_implIS3_Lb1ELb0EPdN6thrust23THRUST_200600_302600_NS16discard_iteratorINSD_11use_defaultEEENSD_5minusIdEEEE10hipError_tPvRmT2_T3_mT4_P12ihipStream_tbEUlmE_dEESB_NS0_8identityIvEEEESJ_SM_SN_mSO_SQ_bEUlT_E_NS1_11comp_targetILNS1_3genE9ELNS1_11target_archE1100ELNS1_3gpuE3ELNS1_3repE0EEENS1_30default_config_static_selectorELNS0_4arch9wavefront6targetE1EEEvT1_.uses_vcc, 0
	.set _ZN7rocprim17ROCPRIM_400000_NS6detail17trampoline_kernelINS0_14default_configENS1_25transform_config_selectorIdLb0EEEZNS1_14transform_implILb0ES3_S5_NS0_18transform_iteratorINS0_17counting_iteratorImlEEZNS1_24adjacent_difference_implIS3_Lb1ELb0EPdN6thrust23THRUST_200600_302600_NS16discard_iteratorINSD_11use_defaultEEENSD_5minusIdEEEE10hipError_tPvRmT2_T3_mT4_P12ihipStream_tbEUlmE_dEESB_NS0_8identityIvEEEESJ_SM_SN_mSO_SQ_bEUlT_E_NS1_11comp_targetILNS1_3genE9ELNS1_11target_archE1100ELNS1_3gpuE3ELNS1_3repE0EEENS1_30default_config_static_selectorELNS0_4arch9wavefront6targetE1EEEvT1_.uses_flat_scratch, 0
	.set _ZN7rocprim17ROCPRIM_400000_NS6detail17trampoline_kernelINS0_14default_configENS1_25transform_config_selectorIdLb0EEEZNS1_14transform_implILb0ES3_S5_NS0_18transform_iteratorINS0_17counting_iteratorImlEEZNS1_24adjacent_difference_implIS3_Lb1ELb0EPdN6thrust23THRUST_200600_302600_NS16discard_iteratorINSD_11use_defaultEEENSD_5minusIdEEEE10hipError_tPvRmT2_T3_mT4_P12ihipStream_tbEUlmE_dEESB_NS0_8identityIvEEEESJ_SM_SN_mSO_SQ_bEUlT_E_NS1_11comp_targetILNS1_3genE9ELNS1_11target_archE1100ELNS1_3gpuE3ELNS1_3repE0EEENS1_30default_config_static_selectorELNS0_4arch9wavefront6targetE1EEEvT1_.has_dyn_sized_stack, 0
	.set _ZN7rocprim17ROCPRIM_400000_NS6detail17trampoline_kernelINS0_14default_configENS1_25transform_config_selectorIdLb0EEEZNS1_14transform_implILb0ES3_S5_NS0_18transform_iteratorINS0_17counting_iteratorImlEEZNS1_24adjacent_difference_implIS3_Lb1ELb0EPdN6thrust23THRUST_200600_302600_NS16discard_iteratorINSD_11use_defaultEEENSD_5minusIdEEEE10hipError_tPvRmT2_T3_mT4_P12ihipStream_tbEUlmE_dEESB_NS0_8identityIvEEEESJ_SM_SN_mSO_SQ_bEUlT_E_NS1_11comp_targetILNS1_3genE9ELNS1_11target_archE1100ELNS1_3gpuE3ELNS1_3repE0EEENS1_30default_config_static_selectorELNS0_4arch9wavefront6targetE1EEEvT1_.has_recursion, 0
	.set _ZN7rocprim17ROCPRIM_400000_NS6detail17trampoline_kernelINS0_14default_configENS1_25transform_config_selectorIdLb0EEEZNS1_14transform_implILb0ES3_S5_NS0_18transform_iteratorINS0_17counting_iteratorImlEEZNS1_24adjacent_difference_implIS3_Lb1ELb0EPdN6thrust23THRUST_200600_302600_NS16discard_iteratorINSD_11use_defaultEEENSD_5minusIdEEEE10hipError_tPvRmT2_T3_mT4_P12ihipStream_tbEUlmE_dEESB_NS0_8identityIvEEEESJ_SM_SN_mSO_SQ_bEUlT_E_NS1_11comp_targetILNS1_3genE9ELNS1_11target_archE1100ELNS1_3gpuE3ELNS1_3repE0EEENS1_30default_config_static_selectorELNS0_4arch9wavefront6targetE1EEEvT1_.has_indirect_call, 0
	.section	.AMDGPU.csdata,"",@progbits
; Kernel info:
; codeLenInByte = 0
; TotalNumSgprs: 4
; NumVgprs: 0
; ScratchSize: 0
; MemoryBound: 0
; FloatMode: 240
; IeeeMode: 1
; LDSByteSize: 0 bytes/workgroup (compile time only)
; SGPRBlocks: 0
; VGPRBlocks: 0
; NumSGPRsForWavesPerEU: 4
; NumVGPRsForWavesPerEU: 1
; Occupancy: 10
; WaveLimiterHint : 0
; COMPUTE_PGM_RSRC2:SCRATCH_EN: 0
; COMPUTE_PGM_RSRC2:USER_SGPR: 6
; COMPUTE_PGM_RSRC2:TRAP_HANDLER: 0
; COMPUTE_PGM_RSRC2:TGID_X_EN: 1
; COMPUTE_PGM_RSRC2:TGID_Y_EN: 0
; COMPUTE_PGM_RSRC2:TGID_Z_EN: 0
; COMPUTE_PGM_RSRC2:TIDIG_COMP_CNT: 0
	.section	.text._ZN7rocprim17ROCPRIM_400000_NS6detail17trampoline_kernelINS0_14default_configENS1_25transform_config_selectorIdLb0EEEZNS1_14transform_implILb0ES3_S5_NS0_18transform_iteratorINS0_17counting_iteratorImlEEZNS1_24adjacent_difference_implIS3_Lb1ELb0EPdN6thrust23THRUST_200600_302600_NS16discard_iteratorINSD_11use_defaultEEENSD_5minusIdEEEE10hipError_tPvRmT2_T3_mT4_P12ihipStream_tbEUlmE_dEESB_NS0_8identityIvEEEESJ_SM_SN_mSO_SQ_bEUlT_E_NS1_11comp_targetILNS1_3genE8ELNS1_11target_archE1030ELNS1_3gpuE2ELNS1_3repE0EEENS1_30default_config_static_selectorELNS0_4arch9wavefront6targetE1EEEvT1_,"axG",@progbits,_ZN7rocprim17ROCPRIM_400000_NS6detail17trampoline_kernelINS0_14default_configENS1_25transform_config_selectorIdLb0EEEZNS1_14transform_implILb0ES3_S5_NS0_18transform_iteratorINS0_17counting_iteratorImlEEZNS1_24adjacent_difference_implIS3_Lb1ELb0EPdN6thrust23THRUST_200600_302600_NS16discard_iteratorINSD_11use_defaultEEENSD_5minusIdEEEE10hipError_tPvRmT2_T3_mT4_P12ihipStream_tbEUlmE_dEESB_NS0_8identityIvEEEESJ_SM_SN_mSO_SQ_bEUlT_E_NS1_11comp_targetILNS1_3genE8ELNS1_11target_archE1030ELNS1_3gpuE2ELNS1_3repE0EEENS1_30default_config_static_selectorELNS0_4arch9wavefront6targetE1EEEvT1_,comdat
	.protected	_ZN7rocprim17ROCPRIM_400000_NS6detail17trampoline_kernelINS0_14default_configENS1_25transform_config_selectorIdLb0EEEZNS1_14transform_implILb0ES3_S5_NS0_18transform_iteratorINS0_17counting_iteratorImlEEZNS1_24adjacent_difference_implIS3_Lb1ELb0EPdN6thrust23THRUST_200600_302600_NS16discard_iteratorINSD_11use_defaultEEENSD_5minusIdEEEE10hipError_tPvRmT2_T3_mT4_P12ihipStream_tbEUlmE_dEESB_NS0_8identityIvEEEESJ_SM_SN_mSO_SQ_bEUlT_E_NS1_11comp_targetILNS1_3genE8ELNS1_11target_archE1030ELNS1_3gpuE2ELNS1_3repE0EEENS1_30default_config_static_selectorELNS0_4arch9wavefront6targetE1EEEvT1_ ; -- Begin function _ZN7rocprim17ROCPRIM_400000_NS6detail17trampoline_kernelINS0_14default_configENS1_25transform_config_selectorIdLb0EEEZNS1_14transform_implILb0ES3_S5_NS0_18transform_iteratorINS0_17counting_iteratorImlEEZNS1_24adjacent_difference_implIS3_Lb1ELb0EPdN6thrust23THRUST_200600_302600_NS16discard_iteratorINSD_11use_defaultEEENSD_5minusIdEEEE10hipError_tPvRmT2_T3_mT4_P12ihipStream_tbEUlmE_dEESB_NS0_8identityIvEEEESJ_SM_SN_mSO_SQ_bEUlT_E_NS1_11comp_targetILNS1_3genE8ELNS1_11target_archE1030ELNS1_3gpuE2ELNS1_3repE0EEENS1_30default_config_static_selectorELNS0_4arch9wavefront6targetE1EEEvT1_
	.globl	_ZN7rocprim17ROCPRIM_400000_NS6detail17trampoline_kernelINS0_14default_configENS1_25transform_config_selectorIdLb0EEEZNS1_14transform_implILb0ES3_S5_NS0_18transform_iteratorINS0_17counting_iteratorImlEEZNS1_24adjacent_difference_implIS3_Lb1ELb0EPdN6thrust23THRUST_200600_302600_NS16discard_iteratorINSD_11use_defaultEEENSD_5minusIdEEEE10hipError_tPvRmT2_T3_mT4_P12ihipStream_tbEUlmE_dEESB_NS0_8identityIvEEEESJ_SM_SN_mSO_SQ_bEUlT_E_NS1_11comp_targetILNS1_3genE8ELNS1_11target_archE1030ELNS1_3gpuE2ELNS1_3repE0EEENS1_30default_config_static_selectorELNS0_4arch9wavefront6targetE1EEEvT1_
	.p2align	8
	.type	_ZN7rocprim17ROCPRIM_400000_NS6detail17trampoline_kernelINS0_14default_configENS1_25transform_config_selectorIdLb0EEEZNS1_14transform_implILb0ES3_S5_NS0_18transform_iteratorINS0_17counting_iteratorImlEEZNS1_24adjacent_difference_implIS3_Lb1ELb0EPdN6thrust23THRUST_200600_302600_NS16discard_iteratorINSD_11use_defaultEEENSD_5minusIdEEEE10hipError_tPvRmT2_T3_mT4_P12ihipStream_tbEUlmE_dEESB_NS0_8identityIvEEEESJ_SM_SN_mSO_SQ_bEUlT_E_NS1_11comp_targetILNS1_3genE8ELNS1_11target_archE1030ELNS1_3gpuE2ELNS1_3repE0EEENS1_30default_config_static_selectorELNS0_4arch9wavefront6targetE1EEEvT1_,@function
_ZN7rocprim17ROCPRIM_400000_NS6detail17trampoline_kernelINS0_14default_configENS1_25transform_config_selectorIdLb0EEEZNS1_14transform_implILb0ES3_S5_NS0_18transform_iteratorINS0_17counting_iteratorImlEEZNS1_24adjacent_difference_implIS3_Lb1ELb0EPdN6thrust23THRUST_200600_302600_NS16discard_iteratorINSD_11use_defaultEEENSD_5minusIdEEEE10hipError_tPvRmT2_T3_mT4_P12ihipStream_tbEUlmE_dEESB_NS0_8identityIvEEEESJ_SM_SN_mSO_SQ_bEUlT_E_NS1_11comp_targetILNS1_3genE8ELNS1_11target_archE1030ELNS1_3gpuE2ELNS1_3repE0EEENS1_30default_config_static_selectorELNS0_4arch9wavefront6targetE1EEEvT1_: ; @_ZN7rocprim17ROCPRIM_400000_NS6detail17trampoline_kernelINS0_14default_configENS1_25transform_config_selectorIdLb0EEEZNS1_14transform_implILb0ES3_S5_NS0_18transform_iteratorINS0_17counting_iteratorImlEEZNS1_24adjacent_difference_implIS3_Lb1ELb0EPdN6thrust23THRUST_200600_302600_NS16discard_iteratorINSD_11use_defaultEEENSD_5minusIdEEEE10hipError_tPvRmT2_T3_mT4_P12ihipStream_tbEUlmE_dEESB_NS0_8identityIvEEEESJ_SM_SN_mSO_SQ_bEUlT_E_NS1_11comp_targetILNS1_3genE8ELNS1_11target_archE1030ELNS1_3gpuE2ELNS1_3repE0EEENS1_30default_config_static_selectorELNS0_4arch9wavefront6targetE1EEEvT1_
; %bb.0:
	.section	.rodata,"a",@progbits
	.p2align	6, 0x0
	.amdhsa_kernel _ZN7rocprim17ROCPRIM_400000_NS6detail17trampoline_kernelINS0_14default_configENS1_25transform_config_selectorIdLb0EEEZNS1_14transform_implILb0ES3_S5_NS0_18transform_iteratorINS0_17counting_iteratorImlEEZNS1_24adjacent_difference_implIS3_Lb1ELb0EPdN6thrust23THRUST_200600_302600_NS16discard_iteratorINSD_11use_defaultEEENSD_5minusIdEEEE10hipError_tPvRmT2_T3_mT4_P12ihipStream_tbEUlmE_dEESB_NS0_8identityIvEEEESJ_SM_SN_mSO_SQ_bEUlT_E_NS1_11comp_targetILNS1_3genE8ELNS1_11target_archE1030ELNS1_3gpuE2ELNS1_3repE0EEENS1_30default_config_static_selectorELNS0_4arch9wavefront6targetE1EEEvT1_
		.amdhsa_group_segment_fixed_size 0
		.amdhsa_private_segment_fixed_size 0
		.amdhsa_kernarg_size 56
		.amdhsa_user_sgpr_count 6
		.amdhsa_user_sgpr_private_segment_buffer 1
		.amdhsa_user_sgpr_dispatch_ptr 0
		.amdhsa_user_sgpr_queue_ptr 0
		.amdhsa_user_sgpr_kernarg_segment_ptr 1
		.amdhsa_user_sgpr_dispatch_id 0
		.amdhsa_user_sgpr_flat_scratch_init 0
		.amdhsa_user_sgpr_private_segment_size 0
		.amdhsa_uses_dynamic_stack 0
		.amdhsa_system_sgpr_private_segment_wavefront_offset 0
		.amdhsa_system_sgpr_workgroup_id_x 1
		.amdhsa_system_sgpr_workgroup_id_y 0
		.amdhsa_system_sgpr_workgroup_id_z 0
		.amdhsa_system_sgpr_workgroup_info 0
		.amdhsa_system_vgpr_workitem_id 0
		.amdhsa_next_free_vgpr 1
		.amdhsa_next_free_sgpr 0
		.amdhsa_reserve_vcc 0
		.amdhsa_reserve_flat_scratch 0
		.amdhsa_float_round_mode_32 0
		.amdhsa_float_round_mode_16_64 0
		.amdhsa_float_denorm_mode_32 3
		.amdhsa_float_denorm_mode_16_64 3
		.amdhsa_dx10_clamp 1
		.amdhsa_ieee_mode 1
		.amdhsa_fp16_overflow 0
		.amdhsa_exception_fp_ieee_invalid_op 0
		.amdhsa_exception_fp_denorm_src 0
		.amdhsa_exception_fp_ieee_div_zero 0
		.amdhsa_exception_fp_ieee_overflow 0
		.amdhsa_exception_fp_ieee_underflow 0
		.amdhsa_exception_fp_ieee_inexact 0
		.amdhsa_exception_int_div_zero 0
	.end_amdhsa_kernel
	.section	.text._ZN7rocprim17ROCPRIM_400000_NS6detail17trampoline_kernelINS0_14default_configENS1_25transform_config_selectorIdLb0EEEZNS1_14transform_implILb0ES3_S5_NS0_18transform_iteratorINS0_17counting_iteratorImlEEZNS1_24adjacent_difference_implIS3_Lb1ELb0EPdN6thrust23THRUST_200600_302600_NS16discard_iteratorINSD_11use_defaultEEENSD_5minusIdEEEE10hipError_tPvRmT2_T3_mT4_P12ihipStream_tbEUlmE_dEESB_NS0_8identityIvEEEESJ_SM_SN_mSO_SQ_bEUlT_E_NS1_11comp_targetILNS1_3genE8ELNS1_11target_archE1030ELNS1_3gpuE2ELNS1_3repE0EEENS1_30default_config_static_selectorELNS0_4arch9wavefront6targetE1EEEvT1_,"axG",@progbits,_ZN7rocprim17ROCPRIM_400000_NS6detail17trampoline_kernelINS0_14default_configENS1_25transform_config_selectorIdLb0EEEZNS1_14transform_implILb0ES3_S5_NS0_18transform_iteratorINS0_17counting_iteratorImlEEZNS1_24adjacent_difference_implIS3_Lb1ELb0EPdN6thrust23THRUST_200600_302600_NS16discard_iteratorINSD_11use_defaultEEENSD_5minusIdEEEE10hipError_tPvRmT2_T3_mT4_P12ihipStream_tbEUlmE_dEESB_NS0_8identityIvEEEESJ_SM_SN_mSO_SQ_bEUlT_E_NS1_11comp_targetILNS1_3genE8ELNS1_11target_archE1030ELNS1_3gpuE2ELNS1_3repE0EEENS1_30default_config_static_selectorELNS0_4arch9wavefront6targetE1EEEvT1_,comdat
.Lfunc_end781:
	.size	_ZN7rocprim17ROCPRIM_400000_NS6detail17trampoline_kernelINS0_14default_configENS1_25transform_config_selectorIdLb0EEEZNS1_14transform_implILb0ES3_S5_NS0_18transform_iteratorINS0_17counting_iteratorImlEEZNS1_24adjacent_difference_implIS3_Lb1ELb0EPdN6thrust23THRUST_200600_302600_NS16discard_iteratorINSD_11use_defaultEEENSD_5minusIdEEEE10hipError_tPvRmT2_T3_mT4_P12ihipStream_tbEUlmE_dEESB_NS0_8identityIvEEEESJ_SM_SN_mSO_SQ_bEUlT_E_NS1_11comp_targetILNS1_3genE8ELNS1_11target_archE1030ELNS1_3gpuE2ELNS1_3repE0EEENS1_30default_config_static_selectorELNS0_4arch9wavefront6targetE1EEEvT1_, .Lfunc_end781-_ZN7rocprim17ROCPRIM_400000_NS6detail17trampoline_kernelINS0_14default_configENS1_25transform_config_selectorIdLb0EEEZNS1_14transform_implILb0ES3_S5_NS0_18transform_iteratorINS0_17counting_iteratorImlEEZNS1_24adjacent_difference_implIS3_Lb1ELb0EPdN6thrust23THRUST_200600_302600_NS16discard_iteratorINSD_11use_defaultEEENSD_5minusIdEEEE10hipError_tPvRmT2_T3_mT4_P12ihipStream_tbEUlmE_dEESB_NS0_8identityIvEEEESJ_SM_SN_mSO_SQ_bEUlT_E_NS1_11comp_targetILNS1_3genE8ELNS1_11target_archE1030ELNS1_3gpuE2ELNS1_3repE0EEENS1_30default_config_static_selectorELNS0_4arch9wavefront6targetE1EEEvT1_
                                        ; -- End function
	.set _ZN7rocprim17ROCPRIM_400000_NS6detail17trampoline_kernelINS0_14default_configENS1_25transform_config_selectorIdLb0EEEZNS1_14transform_implILb0ES3_S5_NS0_18transform_iteratorINS0_17counting_iteratorImlEEZNS1_24adjacent_difference_implIS3_Lb1ELb0EPdN6thrust23THRUST_200600_302600_NS16discard_iteratorINSD_11use_defaultEEENSD_5minusIdEEEE10hipError_tPvRmT2_T3_mT4_P12ihipStream_tbEUlmE_dEESB_NS0_8identityIvEEEESJ_SM_SN_mSO_SQ_bEUlT_E_NS1_11comp_targetILNS1_3genE8ELNS1_11target_archE1030ELNS1_3gpuE2ELNS1_3repE0EEENS1_30default_config_static_selectorELNS0_4arch9wavefront6targetE1EEEvT1_.num_vgpr, 0
	.set _ZN7rocprim17ROCPRIM_400000_NS6detail17trampoline_kernelINS0_14default_configENS1_25transform_config_selectorIdLb0EEEZNS1_14transform_implILb0ES3_S5_NS0_18transform_iteratorINS0_17counting_iteratorImlEEZNS1_24adjacent_difference_implIS3_Lb1ELb0EPdN6thrust23THRUST_200600_302600_NS16discard_iteratorINSD_11use_defaultEEENSD_5minusIdEEEE10hipError_tPvRmT2_T3_mT4_P12ihipStream_tbEUlmE_dEESB_NS0_8identityIvEEEESJ_SM_SN_mSO_SQ_bEUlT_E_NS1_11comp_targetILNS1_3genE8ELNS1_11target_archE1030ELNS1_3gpuE2ELNS1_3repE0EEENS1_30default_config_static_selectorELNS0_4arch9wavefront6targetE1EEEvT1_.num_agpr, 0
	.set _ZN7rocprim17ROCPRIM_400000_NS6detail17trampoline_kernelINS0_14default_configENS1_25transform_config_selectorIdLb0EEEZNS1_14transform_implILb0ES3_S5_NS0_18transform_iteratorINS0_17counting_iteratorImlEEZNS1_24adjacent_difference_implIS3_Lb1ELb0EPdN6thrust23THRUST_200600_302600_NS16discard_iteratorINSD_11use_defaultEEENSD_5minusIdEEEE10hipError_tPvRmT2_T3_mT4_P12ihipStream_tbEUlmE_dEESB_NS0_8identityIvEEEESJ_SM_SN_mSO_SQ_bEUlT_E_NS1_11comp_targetILNS1_3genE8ELNS1_11target_archE1030ELNS1_3gpuE2ELNS1_3repE0EEENS1_30default_config_static_selectorELNS0_4arch9wavefront6targetE1EEEvT1_.numbered_sgpr, 0
	.set _ZN7rocprim17ROCPRIM_400000_NS6detail17trampoline_kernelINS0_14default_configENS1_25transform_config_selectorIdLb0EEEZNS1_14transform_implILb0ES3_S5_NS0_18transform_iteratorINS0_17counting_iteratorImlEEZNS1_24adjacent_difference_implIS3_Lb1ELb0EPdN6thrust23THRUST_200600_302600_NS16discard_iteratorINSD_11use_defaultEEENSD_5minusIdEEEE10hipError_tPvRmT2_T3_mT4_P12ihipStream_tbEUlmE_dEESB_NS0_8identityIvEEEESJ_SM_SN_mSO_SQ_bEUlT_E_NS1_11comp_targetILNS1_3genE8ELNS1_11target_archE1030ELNS1_3gpuE2ELNS1_3repE0EEENS1_30default_config_static_selectorELNS0_4arch9wavefront6targetE1EEEvT1_.num_named_barrier, 0
	.set _ZN7rocprim17ROCPRIM_400000_NS6detail17trampoline_kernelINS0_14default_configENS1_25transform_config_selectorIdLb0EEEZNS1_14transform_implILb0ES3_S5_NS0_18transform_iteratorINS0_17counting_iteratorImlEEZNS1_24adjacent_difference_implIS3_Lb1ELb0EPdN6thrust23THRUST_200600_302600_NS16discard_iteratorINSD_11use_defaultEEENSD_5minusIdEEEE10hipError_tPvRmT2_T3_mT4_P12ihipStream_tbEUlmE_dEESB_NS0_8identityIvEEEESJ_SM_SN_mSO_SQ_bEUlT_E_NS1_11comp_targetILNS1_3genE8ELNS1_11target_archE1030ELNS1_3gpuE2ELNS1_3repE0EEENS1_30default_config_static_selectorELNS0_4arch9wavefront6targetE1EEEvT1_.private_seg_size, 0
	.set _ZN7rocprim17ROCPRIM_400000_NS6detail17trampoline_kernelINS0_14default_configENS1_25transform_config_selectorIdLb0EEEZNS1_14transform_implILb0ES3_S5_NS0_18transform_iteratorINS0_17counting_iteratorImlEEZNS1_24adjacent_difference_implIS3_Lb1ELb0EPdN6thrust23THRUST_200600_302600_NS16discard_iteratorINSD_11use_defaultEEENSD_5minusIdEEEE10hipError_tPvRmT2_T3_mT4_P12ihipStream_tbEUlmE_dEESB_NS0_8identityIvEEEESJ_SM_SN_mSO_SQ_bEUlT_E_NS1_11comp_targetILNS1_3genE8ELNS1_11target_archE1030ELNS1_3gpuE2ELNS1_3repE0EEENS1_30default_config_static_selectorELNS0_4arch9wavefront6targetE1EEEvT1_.uses_vcc, 0
	.set _ZN7rocprim17ROCPRIM_400000_NS6detail17trampoline_kernelINS0_14default_configENS1_25transform_config_selectorIdLb0EEEZNS1_14transform_implILb0ES3_S5_NS0_18transform_iteratorINS0_17counting_iteratorImlEEZNS1_24adjacent_difference_implIS3_Lb1ELb0EPdN6thrust23THRUST_200600_302600_NS16discard_iteratorINSD_11use_defaultEEENSD_5minusIdEEEE10hipError_tPvRmT2_T3_mT4_P12ihipStream_tbEUlmE_dEESB_NS0_8identityIvEEEESJ_SM_SN_mSO_SQ_bEUlT_E_NS1_11comp_targetILNS1_3genE8ELNS1_11target_archE1030ELNS1_3gpuE2ELNS1_3repE0EEENS1_30default_config_static_selectorELNS0_4arch9wavefront6targetE1EEEvT1_.uses_flat_scratch, 0
	.set _ZN7rocprim17ROCPRIM_400000_NS6detail17trampoline_kernelINS0_14default_configENS1_25transform_config_selectorIdLb0EEEZNS1_14transform_implILb0ES3_S5_NS0_18transform_iteratorINS0_17counting_iteratorImlEEZNS1_24adjacent_difference_implIS3_Lb1ELb0EPdN6thrust23THRUST_200600_302600_NS16discard_iteratorINSD_11use_defaultEEENSD_5minusIdEEEE10hipError_tPvRmT2_T3_mT4_P12ihipStream_tbEUlmE_dEESB_NS0_8identityIvEEEESJ_SM_SN_mSO_SQ_bEUlT_E_NS1_11comp_targetILNS1_3genE8ELNS1_11target_archE1030ELNS1_3gpuE2ELNS1_3repE0EEENS1_30default_config_static_selectorELNS0_4arch9wavefront6targetE1EEEvT1_.has_dyn_sized_stack, 0
	.set _ZN7rocprim17ROCPRIM_400000_NS6detail17trampoline_kernelINS0_14default_configENS1_25transform_config_selectorIdLb0EEEZNS1_14transform_implILb0ES3_S5_NS0_18transform_iteratorINS0_17counting_iteratorImlEEZNS1_24adjacent_difference_implIS3_Lb1ELb0EPdN6thrust23THRUST_200600_302600_NS16discard_iteratorINSD_11use_defaultEEENSD_5minusIdEEEE10hipError_tPvRmT2_T3_mT4_P12ihipStream_tbEUlmE_dEESB_NS0_8identityIvEEEESJ_SM_SN_mSO_SQ_bEUlT_E_NS1_11comp_targetILNS1_3genE8ELNS1_11target_archE1030ELNS1_3gpuE2ELNS1_3repE0EEENS1_30default_config_static_selectorELNS0_4arch9wavefront6targetE1EEEvT1_.has_recursion, 0
	.set _ZN7rocprim17ROCPRIM_400000_NS6detail17trampoline_kernelINS0_14default_configENS1_25transform_config_selectorIdLb0EEEZNS1_14transform_implILb0ES3_S5_NS0_18transform_iteratorINS0_17counting_iteratorImlEEZNS1_24adjacent_difference_implIS3_Lb1ELb0EPdN6thrust23THRUST_200600_302600_NS16discard_iteratorINSD_11use_defaultEEENSD_5minusIdEEEE10hipError_tPvRmT2_T3_mT4_P12ihipStream_tbEUlmE_dEESB_NS0_8identityIvEEEESJ_SM_SN_mSO_SQ_bEUlT_E_NS1_11comp_targetILNS1_3genE8ELNS1_11target_archE1030ELNS1_3gpuE2ELNS1_3repE0EEENS1_30default_config_static_selectorELNS0_4arch9wavefront6targetE1EEEvT1_.has_indirect_call, 0
	.section	.AMDGPU.csdata,"",@progbits
; Kernel info:
; codeLenInByte = 0
; TotalNumSgprs: 4
; NumVgprs: 0
; ScratchSize: 0
; MemoryBound: 0
; FloatMode: 240
; IeeeMode: 1
; LDSByteSize: 0 bytes/workgroup (compile time only)
; SGPRBlocks: 0
; VGPRBlocks: 0
; NumSGPRsForWavesPerEU: 4
; NumVGPRsForWavesPerEU: 1
; Occupancy: 10
; WaveLimiterHint : 0
; COMPUTE_PGM_RSRC2:SCRATCH_EN: 0
; COMPUTE_PGM_RSRC2:USER_SGPR: 6
; COMPUTE_PGM_RSRC2:TRAP_HANDLER: 0
; COMPUTE_PGM_RSRC2:TGID_X_EN: 1
; COMPUTE_PGM_RSRC2:TGID_Y_EN: 0
; COMPUTE_PGM_RSRC2:TGID_Z_EN: 0
; COMPUTE_PGM_RSRC2:TIDIG_COMP_CNT: 0
	.section	.text._ZN7rocprim17ROCPRIM_400000_NS6detail17trampoline_kernelINS0_14default_configENS1_35adjacent_difference_config_selectorILb1EdEEZNS1_24adjacent_difference_implIS3_Lb1ELb0EPdN6thrust23THRUST_200600_302600_NS16discard_iteratorINS9_11use_defaultEEENS9_5minusIdEEEE10hipError_tPvRmT2_T3_mT4_P12ihipStream_tbEUlT_E_NS1_11comp_targetILNS1_3genE0ELNS1_11target_archE4294967295ELNS1_3gpuE0ELNS1_3repE0EEENS1_30default_config_static_selectorELNS0_4arch9wavefront6targetE1EEEvT1_,"axG",@progbits,_ZN7rocprim17ROCPRIM_400000_NS6detail17trampoline_kernelINS0_14default_configENS1_35adjacent_difference_config_selectorILb1EdEEZNS1_24adjacent_difference_implIS3_Lb1ELb0EPdN6thrust23THRUST_200600_302600_NS16discard_iteratorINS9_11use_defaultEEENS9_5minusIdEEEE10hipError_tPvRmT2_T3_mT4_P12ihipStream_tbEUlT_E_NS1_11comp_targetILNS1_3genE0ELNS1_11target_archE4294967295ELNS1_3gpuE0ELNS1_3repE0EEENS1_30default_config_static_selectorELNS0_4arch9wavefront6targetE1EEEvT1_,comdat
	.protected	_ZN7rocprim17ROCPRIM_400000_NS6detail17trampoline_kernelINS0_14default_configENS1_35adjacent_difference_config_selectorILb1EdEEZNS1_24adjacent_difference_implIS3_Lb1ELb0EPdN6thrust23THRUST_200600_302600_NS16discard_iteratorINS9_11use_defaultEEENS9_5minusIdEEEE10hipError_tPvRmT2_T3_mT4_P12ihipStream_tbEUlT_E_NS1_11comp_targetILNS1_3genE0ELNS1_11target_archE4294967295ELNS1_3gpuE0ELNS1_3repE0EEENS1_30default_config_static_selectorELNS0_4arch9wavefront6targetE1EEEvT1_ ; -- Begin function _ZN7rocprim17ROCPRIM_400000_NS6detail17trampoline_kernelINS0_14default_configENS1_35adjacent_difference_config_selectorILb1EdEEZNS1_24adjacent_difference_implIS3_Lb1ELb0EPdN6thrust23THRUST_200600_302600_NS16discard_iteratorINS9_11use_defaultEEENS9_5minusIdEEEE10hipError_tPvRmT2_T3_mT4_P12ihipStream_tbEUlT_E_NS1_11comp_targetILNS1_3genE0ELNS1_11target_archE4294967295ELNS1_3gpuE0ELNS1_3repE0EEENS1_30default_config_static_selectorELNS0_4arch9wavefront6targetE1EEEvT1_
	.globl	_ZN7rocprim17ROCPRIM_400000_NS6detail17trampoline_kernelINS0_14default_configENS1_35adjacent_difference_config_selectorILb1EdEEZNS1_24adjacent_difference_implIS3_Lb1ELb0EPdN6thrust23THRUST_200600_302600_NS16discard_iteratorINS9_11use_defaultEEENS9_5minusIdEEEE10hipError_tPvRmT2_T3_mT4_P12ihipStream_tbEUlT_E_NS1_11comp_targetILNS1_3genE0ELNS1_11target_archE4294967295ELNS1_3gpuE0ELNS1_3repE0EEENS1_30default_config_static_selectorELNS0_4arch9wavefront6targetE1EEEvT1_
	.p2align	8
	.type	_ZN7rocprim17ROCPRIM_400000_NS6detail17trampoline_kernelINS0_14default_configENS1_35adjacent_difference_config_selectorILb1EdEEZNS1_24adjacent_difference_implIS3_Lb1ELb0EPdN6thrust23THRUST_200600_302600_NS16discard_iteratorINS9_11use_defaultEEENS9_5minusIdEEEE10hipError_tPvRmT2_T3_mT4_P12ihipStream_tbEUlT_E_NS1_11comp_targetILNS1_3genE0ELNS1_11target_archE4294967295ELNS1_3gpuE0ELNS1_3repE0EEENS1_30default_config_static_selectorELNS0_4arch9wavefront6targetE1EEEvT1_,@function
_ZN7rocprim17ROCPRIM_400000_NS6detail17trampoline_kernelINS0_14default_configENS1_35adjacent_difference_config_selectorILb1EdEEZNS1_24adjacent_difference_implIS3_Lb1ELb0EPdN6thrust23THRUST_200600_302600_NS16discard_iteratorINS9_11use_defaultEEENS9_5minusIdEEEE10hipError_tPvRmT2_T3_mT4_P12ihipStream_tbEUlT_E_NS1_11comp_targetILNS1_3genE0ELNS1_11target_archE4294967295ELNS1_3gpuE0ELNS1_3repE0EEENS1_30default_config_static_selectorELNS0_4arch9wavefront6targetE1EEEvT1_: ; @_ZN7rocprim17ROCPRIM_400000_NS6detail17trampoline_kernelINS0_14default_configENS1_35adjacent_difference_config_selectorILb1EdEEZNS1_24adjacent_difference_implIS3_Lb1ELb0EPdN6thrust23THRUST_200600_302600_NS16discard_iteratorINS9_11use_defaultEEENS9_5minusIdEEEE10hipError_tPvRmT2_T3_mT4_P12ihipStream_tbEUlT_E_NS1_11comp_targetILNS1_3genE0ELNS1_11target_archE4294967295ELNS1_3gpuE0ELNS1_3repE0EEENS1_30default_config_static_selectorELNS0_4arch9wavefront6targetE1EEEvT1_
; %bb.0:
	.section	.rodata,"a",@progbits
	.p2align	6, 0x0
	.amdhsa_kernel _ZN7rocprim17ROCPRIM_400000_NS6detail17trampoline_kernelINS0_14default_configENS1_35adjacent_difference_config_selectorILb1EdEEZNS1_24adjacent_difference_implIS3_Lb1ELb0EPdN6thrust23THRUST_200600_302600_NS16discard_iteratorINS9_11use_defaultEEENS9_5minusIdEEEE10hipError_tPvRmT2_T3_mT4_P12ihipStream_tbEUlT_E_NS1_11comp_targetILNS1_3genE0ELNS1_11target_archE4294967295ELNS1_3gpuE0ELNS1_3repE0EEENS1_30default_config_static_selectorELNS0_4arch9wavefront6targetE1EEEvT1_
		.amdhsa_group_segment_fixed_size 0
		.amdhsa_private_segment_fixed_size 0
		.amdhsa_kernarg_size 64
		.amdhsa_user_sgpr_count 6
		.amdhsa_user_sgpr_private_segment_buffer 1
		.amdhsa_user_sgpr_dispatch_ptr 0
		.amdhsa_user_sgpr_queue_ptr 0
		.amdhsa_user_sgpr_kernarg_segment_ptr 1
		.amdhsa_user_sgpr_dispatch_id 0
		.amdhsa_user_sgpr_flat_scratch_init 0
		.amdhsa_user_sgpr_private_segment_size 0
		.amdhsa_uses_dynamic_stack 0
		.amdhsa_system_sgpr_private_segment_wavefront_offset 0
		.amdhsa_system_sgpr_workgroup_id_x 1
		.amdhsa_system_sgpr_workgroup_id_y 0
		.amdhsa_system_sgpr_workgroup_id_z 0
		.amdhsa_system_sgpr_workgroup_info 0
		.amdhsa_system_vgpr_workitem_id 0
		.amdhsa_next_free_vgpr 1
		.amdhsa_next_free_sgpr 0
		.amdhsa_reserve_vcc 0
		.amdhsa_reserve_flat_scratch 0
		.amdhsa_float_round_mode_32 0
		.amdhsa_float_round_mode_16_64 0
		.amdhsa_float_denorm_mode_32 3
		.amdhsa_float_denorm_mode_16_64 3
		.amdhsa_dx10_clamp 1
		.amdhsa_ieee_mode 1
		.amdhsa_fp16_overflow 0
		.amdhsa_exception_fp_ieee_invalid_op 0
		.amdhsa_exception_fp_denorm_src 0
		.amdhsa_exception_fp_ieee_div_zero 0
		.amdhsa_exception_fp_ieee_overflow 0
		.amdhsa_exception_fp_ieee_underflow 0
		.amdhsa_exception_fp_ieee_inexact 0
		.amdhsa_exception_int_div_zero 0
	.end_amdhsa_kernel
	.section	.text._ZN7rocprim17ROCPRIM_400000_NS6detail17trampoline_kernelINS0_14default_configENS1_35adjacent_difference_config_selectorILb1EdEEZNS1_24adjacent_difference_implIS3_Lb1ELb0EPdN6thrust23THRUST_200600_302600_NS16discard_iteratorINS9_11use_defaultEEENS9_5minusIdEEEE10hipError_tPvRmT2_T3_mT4_P12ihipStream_tbEUlT_E_NS1_11comp_targetILNS1_3genE0ELNS1_11target_archE4294967295ELNS1_3gpuE0ELNS1_3repE0EEENS1_30default_config_static_selectorELNS0_4arch9wavefront6targetE1EEEvT1_,"axG",@progbits,_ZN7rocprim17ROCPRIM_400000_NS6detail17trampoline_kernelINS0_14default_configENS1_35adjacent_difference_config_selectorILb1EdEEZNS1_24adjacent_difference_implIS3_Lb1ELb0EPdN6thrust23THRUST_200600_302600_NS16discard_iteratorINS9_11use_defaultEEENS9_5minusIdEEEE10hipError_tPvRmT2_T3_mT4_P12ihipStream_tbEUlT_E_NS1_11comp_targetILNS1_3genE0ELNS1_11target_archE4294967295ELNS1_3gpuE0ELNS1_3repE0EEENS1_30default_config_static_selectorELNS0_4arch9wavefront6targetE1EEEvT1_,comdat
.Lfunc_end782:
	.size	_ZN7rocprim17ROCPRIM_400000_NS6detail17trampoline_kernelINS0_14default_configENS1_35adjacent_difference_config_selectorILb1EdEEZNS1_24adjacent_difference_implIS3_Lb1ELb0EPdN6thrust23THRUST_200600_302600_NS16discard_iteratorINS9_11use_defaultEEENS9_5minusIdEEEE10hipError_tPvRmT2_T3_mT4_P12ihipStream_tbEUlT_E_NS1_11comp_targetILNS1_3genE0ELNS1_11target_archE4294967295ELNS1_3gpuE0ELNS1_3repE0EEENS1_30default_config_static_selectorELNS0_4arch9wavefront6targetE1EEEvT1_, .Lfunc_end782-_ZN7rocprim17ROCPRIM_400000_NS6detail17trampoline_kernelINS0_14default_configENS1_35adjacent_difference_config_selectorILb1EdEEZNS1_24adjacent_difference_implIS3_Lb1ELb0EPdN6thrust23THRUST_200600_302600_NS16discard_iteratorINS9_11use_defaultEEENS9_5minusIdEEEE10hipError_tPvRmT2_T3_mT4_P12ihipStream_tbEUlT_E_NS1_11comp_targetILNS1_3genE0ELNS1_11target_archE4294967295ELNS1_3gpuE0ELNS1_3repE0EEENS1_30default_config_static_selectorELNS0_4arch9wavefront6targetE1EEEvT1_
                                        ; -- End function
	.set _ZN7rocprim17ROCPRIM_400000_NS6detail17trampoline_kernelINS0_14default_configENS1_35adjacent_difference_config_selectorILb1EdEEZNS1_24adjacent_difference_implIS3_Lb1ELb0EPdN6thrust23THRUST_200600_302600_NS16discard_iteratorINS9_11use_defaultEEENS9_5minusIdEEEE10hipError_tPvRmT2_T3_mT4_P12ihipStream_tbEUlT_E_NS1_11comp_targetILNS1_3genE0ELNS1_11target_archE4294967295ELNS1_3gpuE0ELNS1_3repE0EEENS1_30default_config_static_selectorELNS0_4arch9wavefront6targetE1EEEvT1_.num_vgpr, 0
	.set _ZN7rocprim17ROCPRIM_400000_NS6detail17trampoline_kernelINS0_14default_configENS1_35adjacent_difference_config_selectorILb1EdEEZNS1_24adjacent_difference_implIS3_Lb1ELb0EPdN6thrust23THRUST_200600_302600_NS16discard_iteratorINS9_11use_defaultEEENS9_5minusIdEEEE10hipError_tPvRmT2_T3_mT4_P12ihipStream_tbEUlT_E_NS1_11comp_targetILNS1_3genE0ELNS1_11target_archE4294967295ELNS1_3gpuE0ELNS1_3repE0EEENS1_30default_config_static_selectorELNS0_4arch9wavefront6targetE1EEEvT1_.num_agpr, 0
	.set _ZN7rocprim17ROCPRIM_400000_NS6detail17trampoline_kernelINS0_14default_configENS1_35adjacent_difference_config_selectorILb1EdEEZNS1_24adjacent_difference_implIS3_Lb1ELb0EPdN6thrust23THRUST_200600_302600_NS16discard_iteratorINS9_11use_defaultEEENS9_5minusIdEEEE10hipError_tPvRmT2_T3_mT4_P12ihipStream_tbEUlT_E_NS1_11comp_targetILNS1_3genE0ELNS1_11target_archE4294967295ELNS1_3gpuE0ELNS1_3repE0EEENS1_30default_config_static_selectorELNS0_4arch9wavefront6targetE1EEEvT1_.numbered_sgpr, 0
	.set _ZN7rocprim17ROCPRIM_400000_NS6detail17trampoline_kernelINS0_14default_configENS1_35adjacent_difference_config_selectorILb1EdEEZNS1_24adjacent_difference_implIS3_Lb1ELb0EPdN6thrust23THRUST_200600_302600_NS16discard_iteratorINS9_11use_defaultEEENS9_5minusIdEEEE10hipError_tPvRmT2_T3_mT4_P12ihipStream_tbEUlT_E_NS1_11comp_targetILNS1_3genE0ELNS1_11target_archE4294967295ELNS1_3gpuE0ELNS1_3repE0EEENS1_30default_config_static_selectorELNS0_4arch9wavefront6targetE1EEEvT1_.num_named_barrier, 0
	.set _ZN7rocprim17ROCPRIM_400000_NS6detail17trampoline_kernelINS0_14default_configENS1_35adjacent_difference_config_selectorILb1EdEEZNS1_24adjacent_difference_implIS3_Lb1ELb0EPdN6thrust23THRUST_200600_302600_NS16discard_iteratorINS9_11use_defaultEEENS9_5minusIdEEEE10hipError_tPvRmT2_T3_mT4_P12ihipStream_tbEUlT_E_NS1_11comp_targetILNS1_3genE0ELNS1_11target_archE4294967295ELNS1_3gpuE0ELNS1_3repE0EEENS1_30default_config_static_selectorELNS0_4arch9wavefront6targetE1EEEvT1_.private_seg_size, 0
	.set _ZN7rocprim17ROCPRIM_400000_NS6detail17trampoline_kernelINS0_14default_configENS1_35adjacent_difference_config_selectorILb1EdEEZNS1_24adjacent_difference_implIS3_Lb1ELb0EPdN6thrust23THRUST_200600_302600_NS16discard_iteratorINS9_11use_defaultEEENS9_5minusIdEEEE10hipError_tPvRmT2_T3_mT4_P12ihipStream_tbEUlT_E_NS1_11comp_targetILNS1_3genE0ELNS1_11target_archE4294967295ELNS1_3gpuE0ELNS1_3repE0EEENS1_30default_config_static_selectorELNS0_4arch9wavefront6targetE1EEEvT1_.uses_vcc, 0
	.set _ZN7rocprim17ROCPRIM_400000_NS6detail17trampoline_kernelINS0_14default_configENS1_35adjacent_difference_config_selectorILb1EdEEZNS1_24adjacent_difference_implIS3_Lb1ELb0EPdN6thrust23THRUST_200600_302600_NS16discard_iteratorINS9_11use_defaultEEENS9_5minusIdEEEE10hipError_tPvRmT2_T3_mT4_P12ihipStream_tbEUlT_E_NS1_11comp_targetILNS1_3genE0ELNS1_11target_archE4294967295ELNS1_3gpuE0ELNS1_3repE0EEENS1_30default_config_static_selectorELNS0_4arch9wavefront6targetE1EEEvT1_.uses_flat_scratch, 0
	.set _ZN7rocprim17ROCPRIM_400000_NS6detail17trampoline_kernelINS0_14default_configENS1_35adjacent_difference_config_selectorILb1EdEEZNS1_24adjacent_difference_implIS3_Lb1ELb0EPdN6thrust23THRUST_200600_302600_NS16discard_iteratorINS9_11use_defaultEEENS9_5minusIdEEEE10hipError_tPvRmT2_T3_mT4_P12ihipStream_tbEUlT_E_NS1_11comp_targetILNS1_3genE0ELNS1_11target_archE4294967295ELNS1_3gpuE0ELNS1_3repE0EEENS1_30default_config_static_selectorELNS0_4arch9wavefront6targetE1EEEvT1_.has_dyn_sized_stack, 0
	.set _ZN7rocprim17ROCPRIM_400000_NS6detail17trampoline_kernelINS0_14default_configENS1_35adjacent_difference_config_selectorILb1EdEEZNS1_24adjacent_difference_implIS3_Lb1ELb0EPdN6thrust23THRUST_200600_302600_NS16discard_iteratorINS9_11use_defaultEEENS9_5minusIdEEEE10hipError_tPvRmT2_T3_mT4_P12ihipStream_tbEUlT_E_NS1_11comp_targetILNS1_3genE0ELNS1_11target_archE4294967295ELNS1_3gpuE0ELNS1_3repE0EEENS1_30default_config_static_selectorELNS0_4arch9wavefront6targetE1EEEvT1_.has_recursion, 0
	.set _ZN7rocprim17ROCPRIM_400000_NS6detail17trampoline_kernelINS0_14default_configENS1_35adjacent_difference_config_selectorILb1EdEEZNS1_24adjacent_difference_implIS3_Lb1ELb0EPdN6thrust23THRUST_200600_302600_NS16discard_iteratorINS9_11use_defaultEEENS9_5minusIdEEEE10hipError_tPvRmT2_T3_mT4_P12ihipStream_tbEUlT_E_NS1_11comp_targetILNS1_3genE0ELNS1_11target_archE4294967295ELNS1_3gpuE0ELNS1_3repE0EEENS1_30default_config_static_selectorELNS0_4arch9wavefront6targetE1EEEvT1_.has_indirect_call, 0
	.section	.AMDGPU.csdata,"",@progbits
; Kernel info:
; codeLenInByte = 0
; TotalNumSgprs: 4
; NumVgprs: 0
; ScratchSize: 0
; MemoryBound: 0
; FloatMode: 240
; IeeeMode: 1
; LDSByteSize: 0 bytes/workgroup (compile time only)
; SGPRBlocks: 0
; VGPRBlocks: 0
; NumSGPRsForWavesPerEU: 4
; NumVGPRsForWavesPerEU: 1
; Occupancy: 10
; WaveLimiterHint : 0
; COMPUTE_PGM_RSRC2:SCRATCH_EN: 0
; COMPUTE_PGM_RSRC2:USER_SGPR: 6
; COMPUTE_PGM_RSRC2:TRAP_HANDLER: 0
; COMPUTE_PGM_RSRC2:TGID_X_EN: 1
; COMPUTE_PGM_RSRC2:TGID_Y_EN: 0
; COMPUTE_PGM_RSRC2:TGID_Z_EN: 0
; COMPUTE_PGM_RSRC2:TIDIG_COMP_CNT: 0
	.section	.text._ZN7rocprim17ROCPRIM_400000_NS6detail17trampoline_kernelINS0_14default_configENS1_35adjacent_difference_config_selectorILb1EdEEZNS1_24adjacent_difference_implIS3_Lb1ELb0EPdN6thrust23THRUST_200600_302600_NS16discard_iteratorINS9_11use_defaultEEENS9_5minusIdEEEE10hipError_tPvRmT2_T3_mT4_P12ihipStream_tbEUlT_E_NS1_11comp_targetILNS1_3genE10ELNS1_11target_archE1201ELNS1_3gpuE5ELNS1_3repE0EEENS1_30default_config_static_selectorELNS0_4arch9wavefront6targetE1EEEvT1_,"axG",@progbits,_ZN7rocprim17ROCPRIM_400000_NS6detail17trampoline_kernelINS0_14default_configENS1_35adjacent_difference_config_selectorILb1EdEEZNS1_24adjacent_difference_implIS3_Lb1ELb0EPdN6thrust23THRUST_200600_302600_NS16discard_iteratorINS9_11use_defaultEEENS9_5minusIdEEEE10hipError_tPvRmT2_T3_mT4_P12ihipStream_tbEUlT_E_NS1_11comp_targetILNS1_3genE10ELNS1_11target_archE1201ELNS1_3gpuE5ELNS1_3repE0EEENS1_30default_config_static_selectorELNS0_4arch9wavefront6targetE1EEEvT1_,comdat
	.protected	_ZN7rocprim17ROCPRIM_400000_NS6detail17trampoline_kernelINS0_14default_configENS1_35adjacent_difference_config_selectorILb1EdEEZNS1_24adjacent_difference_implIS3_Lb1ELb0EPdN6thrust23THRUST_200600_302600_NS16discard_iteratorINS9_11use_defaultEEENS9_5minusIdEEEE10hipError_tPvRmT2_T3_mT4_P12ihipStream_tbEUlT_E_NS1_11comp_targetILNS1_3genE10ELNS1_11target_archE1201ELNS1_3gpuE5ELNS1_3repE0EEENS1_30default_config_static_selectorELNS0_4arch9wavefront6targetE1EEEvT1_ ; -- Begin function _ZN7rocprim17ROCPRIM_400000_NS6detail17trampoline_kernelINS0_14default_configENS1_35adjacent_difference_config_selectorILb1EdEEZNS1_24adjacent_difference_implIS3_Lb1ELb0EPdN6thrust23THRUST_200600_302600_NS16discard_iteratorINS9_11use_defaultEEENS9_5minusIdEEEE10hipError_tPvRmT2_T3_mT4_P12ihipStream_tbEUlT_E_NS1_11comp_targetILNS1_3genE10ELNS1_11target_archE1201ELNS1_3gpuE5ELNS1_3repE0EEENS1_30default_config_static_selectorELNS0_4arch9wavefront6targetE1EEEvT1_
	.globl	_ZN7rocprim17ROCPRIM_400000_NS6detail17trampoline_kernelINS0_14default_configENS1_35adjacent_difference_config_selectorILb1EdEEZNS1_24adjacent_difference_implIS3_Lb1ELb0EPdN6thrust23THRUST_200600_302600_NS16discard_iteratorINS9_11use_defaultEEENS9_5minusIdEEEE10hipError_tPvRmT2_T3_mT4_P12ihipStream_tbEUlT_E_NS1_11comp_targetILNS1_3genE10ELNS1_11target_archE1201ELNS1_3gpuE5ELNS1_3repE0EEENS1_30default_config_static_selectorELNS0_4arch9wavefront6targetE1EEEvT1_
	.p2align	8
	.type	_ZN7rocprim17ROCPRIM_400000_NS6detail17trampoline_kernelINS0_14default_configENS1_35adjacent_difference_config_selectorILb1EdEEZNS1_24adjacent_difference_implIS3_Lb1ELb0EPdN6thrust23THRUST_200600_302600_NS16discard_iteratorINS9_11use_defaultEEENS9_5minusIdEEEE10hipError_tPvRmT2_T3_mT4_P12ihipStream_tbEUlT_E_NS1_11comp_targetILNS1_3genE10ELNS1_11target_archE1201ELNS1_3gpuE5ELNS1_3repE0EEENS1_30default_config_static_selectorELNS0_4arch9wavefront6targetE1EEEvT1_,@function
_ZN7rocprim17ROCPRIM_400000_NS6detail17trampoline_kernelINS0_14default_configENS1_35adjacent_difference_config_selectorILb1EdEEZNS1_24adjacent_difference_implIS3_Lb1ELb0EPdN6thrust23THRUST_200600_302600_NS16discard_iteratorINS9_11use_defaultEEENS9_5minusIdEEEE10hipError_tPvRmT2_T3_mT4_P12ihipStream_tbEUlT_E_NS1_11comp_targetILNS1_3genE10ELNS1_11target_archE1201ELNS1_3gpuE5ELNS1_3repE0EEENS1_30default_config_static_selectorELNS0_4arch9wavefront6targetE1EEEvT1_: ; @_ZN7rocprim17ROCPRIM_400000_NS6detail17trampoline_kernelINS0_14default_configENS1_35adjacent_difference_config_selectorILb1EdEEZNS1_24adjacent_difference_implIS3_Lb1ELb0EPdN6thrust23THRUST_200600_302600_NS16discard_iteratorINS9_11use_defaultEEENS9_5minusIdEEEE10hipError_tPvRmT2_T3_mT4_P12ihipStream_tbEUlT_E_NS1_11comp_targetILNS1_3genE10ELNS1_11target_archE1201ELNS1_3gpuE5ELNS1_3repE0EEENS1_30default_config_static_selectorELNS0_4arch9wavefront6targetE1EEEvT1_
; %bb.0:
	.section	.rodata,"a",@progbits
	.p2align	6, 0x0
	.amdhsa_kernel _ZN7rocprim17ROCPRIM_400000_NS6detail17trampoline_kernelINS0_14default_configENS1_35adjacent_difference_config_selectorILb1EdEEZNS1_24adjacent_difference_implIS3_Lb1ELb0EPdN6thrust23THRUST_200600_302600_NS16discard_iteratorINS9_11use_defaultEEENS9_5minusIdEEEE10hipError_tPvRmT2_T3_mT4_P12ihipStream_tbEUlT_E_NS1_11comp_targetILNS1_3genE10ELNS1_11target_archE1201ELNS1_3gpuE5ELNS1_3repE0EEENS1_30default_config_static_selectorELNS0_4arch9wavefront6targetE1EEEvT1_
		.amdhsa_group_segment_fixed_size 0
		.amdhsa_private_segment_fixed_size 0
		.amdhsa_kernarg_size 64
		.amdhsa_user_sgpr_count 6
		.amdhsa_user_sgpr_private_segment_buffer 1
		.amdhsa_user_sgpr_dispatch_ptr 0
		.amdhsa_user_sgpr_queue_ptr 0
		.amdhsa_user_sgpr_kernarg_segment_ptr 1
		.amdhsa_user_sgpr_dispatch_id 0
		.amdhsa_user_sgpr_flat_scratch_init 0
		.amdhsa_user_sgpr_private_segment_size 0
		.amdhsa_uses_dynamic_stack 0
		.amdhsa_system_sgpr_private_segment_wavefront_offset 0
		.amdhsa_system_sgpr_workgroup_id_x 1
		.amdhsa_system_sgpr_workgroup_id_y 0
		.amdhsa_system_sgpr_workgroup_id_z 0
		.amdhsa_system_sgpr_workgroup_info 0
		.amdhsa_system_vgpr_workitem_id 0
		.amdhsa_next_free_vgpr 1
		.amdhsa_next_free_sgpr 0
		.amdhsa_reserve_vcc 0
		.amdhsa_reserve_flat_scratch 0
		.amdhsa_float_round_mode_32 0
		.amdhsa_float_round_mode_16_64 0
		.amdhsa_float_denorm_mode_32 3
		.amdhsa_float_denorm_mode_16_64 3
		.amdhsa_dx10_clamp 1
		.amdhsa_ieee_mode 1
		.amdhsa_fp16_overflow 0
		.amdhsa_exception_fp_ieee_invalid_op 0
		.amdhsa_exception_fp_denorm_src 0
		.amdhsa_exception_fp_ieee_div_zero 0
		.amdhsa_exception_fp_ieee_overflow 0
		.amdhsa_exception_fp_ieee_underflow 0
		.amdhsa_exception_fp_ieee_inexact 0
		.amdhsa_exception_int_div_zero 0
	.end_amdhsa_kernel
	.section	.text._ZN7rocprim17ROCPRIM_400000_NS6detail17trampoline_kernelINS0_14default_configENS1_35adjacent_difference_config_selectorILb1EdEEZNS1_24adjacent_difference_implIS3_Lb1ELb0EPdN6thrust23THRUST_200600_302600_NS16discard_iteratorINS9_11use_defaultEEENS9_5minusIdEEEE10hipError_tPvRmT2_T3_mT4_P12ihipStream_tbEUlT_E_NS1_11comp_targetILNS1_3genE10ELNS1_11target_archE1201ELNS1_3gpuE5ELNS1_3repE0EEENS1_30default_config_static_selectorELNS0_4arch9wavefront6targetE1EEEvT1_,"axG",@progbits,_ZN7rocprim17ROCPRIM_400000_NS6detail17trampoline_kernelINS0_14default_configENS1_35adjacent_difference_config_selectorILb1EdEEZNS1_24adjacent_difference_implIS3_Lb1ELb0EPdN6thrust23THRUST_200600_302600_NS16discard_iteratorINS9_11use_defaultEEENS9_5minusIdEEEE10hipError_tPvRmT2_T3_mT4_P12ihipStream_tbEUlT_E_NS1_11comp_targetILNS1_3genE10ELNS1_11target_archE1201ELNS1_3gpuE5ELNS1_3repE0EEENS1_30default_config_static_selectorELNS0_4arch9wavefront6targetE1EEEvT1_,comdat
.Lfunc_end783:
	.size	_ZN7rocprim17ROCPRIM_400000_NS6detail17trampoline_kernelINS0_14default_configENS1_35adjacent_difference_config_selectorILb1EdEEZNS1_24adjacent_difference_implIS3_Lb1ELb0EPdN6thrust23THRUST_200600_302600_NS16discard_iteratorINS9_11use_defaultEEENS9_5minusIdEEEE10hipError_tPvRmT2_T3_mT4_P12ihipStream_tbEUlT_E_NS1_11comp_targetILNS1_3genE10ELNS1_11target_archE1201ELNS1_3gpuE5ELNS1_3repE0EEENS1_30default_config_static_selectorELNS0_4arch9wavefront6targetE1EEEvT1_, .Lfunc_end783-_ZN7rocprim17ROCPRIM_400000_NS6detail17trampoline_kernelINS0_14default_configENS1_35adjacent_difference_config_selectorILb1EdEEZNS1_24adjacent_difference_implIS3_Lb1ELb0EPdN6thrust23THRUST_200600_302600_NS16discard_iteratorINS9_11use_defaultEEENS9_5minusIdEEEE10hipError_tPvRmT2_T3_mT4_P12ihipStream_tbEUlT_E_NS1_11comp_targetILNS1_3genE10ELNS1_11target_archE1201ELNS1_3gpuE5ELNS1_3repE0EEENS1_30default_config_static_selectorELNS0_4arch9wavefront6targetE1EEEvT1_
                                        ; -- End function
	.set _ZN7rocprim17ROCPRIM_400000_NS6detail17trampoline_kernelINS0_14default_configENS1_35adjacent_difference_config_selectorILb1EdEEZNS1_24adjacent_difference_implIS3_Lb1ELb0EPdN6thrust23THRUST_200600_302600_NS16discard_iteratorINS9_11use_defaultEEENS9_5minusIdEEEE10hipError_tPvRmT2_T3_mT4_P12ihipStream_tbEUlT_E_NS1_11comp_targetILNS1_3genE10ELNS1_11target_archE1201ELNS1_3gpuE5ELNS1_3repE0EEENS1_30default_config_static_selectorELNS0_4arch9wavefront6targetE1EEEvT1_.num_vgpr, 0
	.set _ZN7rocprim17ROCPRIM_400000_NS6detail17trampoline_kernelINS0_14default_configENS1_35adjacent_difference_config_selectorILb1EdEEZNS1_24adjacent_difference_implIS3_Lb1ELb0EPdN6thrust23THRUST_200600_302600_NS16discard_iteratorINS9_11use_defaultEEENS9_5minusIdEEEE10hipError_tPvRmT2_T3_mT4_P12ihipStream_tbEUlT_E_NS1_11comp_targetILNS1_3genE10ELNS1_11target_archE1201ELNS1_3gpuE5ELNS1_3repE0EEENS1_30default_config_static_selectorELNS0_4arch9wavefront6targetE1EEEvT1_.num_agpr, 0
	.set _ZN7rocprim17ROCPRIM_400000_NS6detail17trampoline_kernelINS0_14default_configENS1_35adjacent_difference_config_selectorILb1EdEEZNS1_24adjacent_difference_implIS3_Lb1ELb0EPdN6thrust23THRUST_200600_302600_NS16discard_iteratorINS9_11use_defaultEEENS9_5minusIdEEEE10hipError_tPvRmT2_T3_mT4_P12ihipStream_tbEUlT_E_NS1_11comp_targetILNS1_3genE10ELNS1_11target_archE1201ELNS1_3gpuE5ELNS1_3repE0EEENS1_30default_config_static_selectorELNS0_4arch9wavefront6targetE1EEEvT1_.numbered_sgpr, 0
	.set _ZN7rocprim17ROCPRIM_400000_NS6detail17trampoline_kernelINS0_14default_configENS1_35adjacent_difference_config_selectorILb1EdEEZNS1_24adjacent_difference_implIS3_Lb1ELb0EPdN6thrust23THRUST_200600_302600_NS16discard_iteratorINS9_11use_defaultEEENS9_5minusIdEEEE10hipError_tPvRmT2_T3_mT4_P12ihipStream_tbEUlT_E_NS1_11comp_targetILNS1_3genE10ELNS1_11target_archE1201ELNS1_3gpuE5ELNS1_3repE0EEENS1_30default_config_static_selectorELNS0_4arch9wavefront6targetE1EEEvT1_.num_named_barrier, 0
	.set _ZN7rocprim17ROCPRIM_400000_NS6detail17trampoline_kernelINS0_14default_configENS1_35adjacent_difference_config_selectorILb1EdEEZNS1_24adjacent_difference_implIS3_Lb1ELb0EPdN6thrust23THRUST_200600_302600_NS16discard_iteratorINS9_11use_defaultEEENS9_5minusIdEEEE10hipError_tPvRmT2_T3_mT4_P12ihipStream_tbEUlT_E_NS1_11comp_targetILNS1_3genE10ELNS1_11target_archE1201ELNS1_3gpuE5ELNS1_3repE0EEENS1_30default_config_static_selectorELNS0_4arch9wavefront6targetE1EEEvT1_.private_seg_size, 0
	.set _ZN7rocprim17ROCPRIM_400000_NS6detail17trampoline_kernelINS0_14default_configENS1_35adjacent_difference_config_selectorILb1EdEEZNS1_24adjacent_difference_implIS3_Lb1ELb0EPdN6thrust23THRUST_200600_302600_NS16discard_iteratorINS9_11use_defaultEEENS9_5minusIdEEEE10hipError_tPvRmT2_T3_mT4_P12ihipStream_tbEUlT_E_NS1_11comp_targetILNS1_3genE10ELNS1_11target_archE1201ELNS1_3gpuE5ELNS1_3repE0EEENS1_30default_config_static_selectorELNS0_4arch9wavefront6targetE1EEEvT1_.uses_vcc, 0
	.set _ZN7rocprim17ROCPRIM_400000_NS6detail17trampoline_kernelINS0_14default_configENS1_35adjacent_difference_config_selectorILb1EdEEZNS1_24adjacent_difference_implIS3_Lb1ELb0EPdN6thrust23THRUST_200600_302600_NS16discard_iteratorINS9_11use_defaultEEENS9_5minusIdEEEE10hipError_tPvRmT2_T3_mT4_P12ihipStream_tbEUlT_E_NS1_11comp_targetILNS1_3genE10ELNS1_11target_archE1201ELNS1_3gpuE5ELNS1_3repE0EEENS1_30default_config_static_selectorELNS0_4arch9wavefront6targetE1EEEvT1_.uses_flat_scratch, 0
	.set _ZN7rocprim17ROCPRIM_400000_NS6detail17trampoline_kernelINS0_14default_configENS1_35adjacent_difference_config_selectorILb1EdEEZNS1_24adjacent_difference_implIS3_Lb1ELb0EPdN6thrust23THRUST_200600_302600_NS16discard_iteratorINS9_11use_defaultEEENS9_5minusIdEEEE10hipError_tPvRmT2_T3_mT4_P12ihipStream_tbEUlT_E_NS1_11comp_targetILNS1_3genE10ELNS1_11target_archE1201ELNS1_3gpuE5ELNS1_3repE0EEENS1_30default_config_static_selectorELNS0_4arch9wavefront6targetE1EEEvT1_.has_dyn_sized_stack, 0
	.set _ZN7rocprim17ROCPRIM_400000_NS6detail17trampoline_kernelINS0_14default_configENS1_35adjacent_difference_config_selectorILb1EdEEZNS1_24adjacent_difference_implIS3_Lb1ELb0EPdN6thrust23THRUST_200600_302600_NS16discard_iteratorINS9_11use_defaultEEENS9_5minusIdEEEE10hipError_tPvRmT2_T3_mT4_P12ihipStream_tbEUlT_E_NS1_11comp_targetILNS1_3genE10ELNS1_11target_archE1201ELNS1_3gpuE5ELNS1_3repE0EEENS1_30default_config_static_selectorELNS0_4arch9wavefront6targetE1EEEvT1_.has_recursion, 0
	.set _ZN7rocprim17ROCPRIM_400000_NS6detail17trampoline_kernelINS0_14default_configENS1_35adjacent_difference_config_selectorILb1EdEEZNS1_24adjacent_difference_implIS3_Lb1ELb0EPdN6thrust23THRUST_200600_302600_NS16discard_iteratorINS9_11use_defaultEEENS9_5minusIdEEEE10hipError_tPvRmT2_T3_mT4_P12ihipStream_tbEUlT_E_NS1_11comp_targetILNS1_3genE10ELNS1_11target_archE1201ELNS1_3gpuE5ELNS1_3repE0EEENS1_30default_config_static_selectorELNS0_4arch9wavefront6targetE1EEEvT1_.has_indirect_call, 0
	.section	.AMDGPU.csdata,"",@progbits
; Kernel info:
; codeLenInByte = 0
; TotalNumSgprs: 4
; NumVgprs: 0
; ScratchSize: 0
; MemoryBound: 0
; FloatMode: 240
; IeeeMode: 1
; LDSByteSize: 0 bytes/workgroup (compile time only)
; SGPRBlocks: 0
; VGPRBlocks: 0
; NumSGPRsForWavesPerEU: 4
; NumVGPRsForWavesPerEU: 1
; Occupancy: 10
; WaveLimiterHint : 0
; COMPUTE_PGM_RSRC2:SCRATCH_EN: 0
; COMPUTE_PGM_RSRC2:USER_SGPR: 6
; COMPUTE_PGM_RSRC2:TRAP_HANDLER: 0
; COMPUTE_PGM_RSRC2:TGID_X_EN: 1
; COMPUTE_PGM_RSRC2:TGID_Y_EN: 0
; COMPUTE_PGM_RSRC2:TGID_Z_EN: 0
; COMPUTE_PGM_RSRC2:TIDIG_COMP_CNT: 0
	.section	.text._ZN7rocprim17ROCPRIM_400000_NS6detail17trampoline_kernelINS0_14default_configENS1_35adjacent_difference_config_selectorILb1EdEEZNS1_24adjacent_difference_implIS3_Lb1ELb0EPdN6thrust23THRUST_200600_302600_NS16discard_iteratorINS9_11use_defaultEEENS9_5minusIdEEEE10hipError_tPvRmT2_T3_mT4_P12ihipStream_tbEUlT_E_NS1_11comp_targetILNS1_3genE5ELNS1_11target_archE942ELNS1_3gpuE9ELNS1_3repE0EEENS1_30default_config_static_selectorELNS0_4arch9wavefront6targetE1EEEvT1_,"axG",@progbits,_ZN7rocprim17ROCPRIM_400000_NS6detail17trampoline_kernelINS0_14default_configENS1_35adjacent_difference_config_selectorILb1EdEEZNS1_24adjacent_difference_implIS3_Lb1ELb0EPdN6thrust23THRUST_200600_302600_NS16discard_iteratorINS9_11use_defaultEEENS9_5minusIdEEEE10hipError_tPvRmT2_T3_mT4_P12ihipStream_tbEUlT_E_NS1_11comp_targetILNS1_3genE5ELNS1_11target_archE942ELNS1_3gpuE9ELNS1_3repE0EEENS1_30default_config_static_selectorELNS0_4arch9wavefront6targetE1EEEvT1_,comdat
	.protected	_ZN7rocprim17ROCPRIM_400000_NS6detail17trampoline_kernelINS0_14default_configENS1_35adjacent_difference_config_selectorILb1EdEEZNS1_24adjacent_difference_implIS3_Lb1ELb0EPdN6thrust23THRUST_200600_302600_NS16discard_iteratorINS9_11use_defaultEEENS9_5minusIdEEEE10hipError_tPvRmT2_T3_mT4_P12ihipStream_tbEUlT_E_NS1_11comp_targetILNS1_3genE5ELNS1_11target_archE942ELNS1_3gpuE9ELNS1_3repE0EEENS1_30default_config_static_selectorELNS0_4arch9wavefront6targetE1EEEvT1_ ; -- Begin function _ZN7rocprim17ROCPRIM_400000_NS6detail17trampoline_kernelINS0_14default_configENS1_35adjacent_difference_config_selectorILb1EdEEZNS1_24adjacent_difference_implIS3_Lb1ELb0EPdN6thrust23THRUST_200600_302600_NS16discard_iteratorINS9_11use_defaultEEENS9_5minusIdEEEE10hipError_tPvRmT2_T3_mT4_P12ihipStream_tbEUlT_E_NS1_11comp_targetILNS1_3genE5ELNS1_11target_archE942ELNS1_3gpuE9ELNS1_3repE0EEENS1_30default_config_static_selectorELNS0_4arch9wavefront6targetE1EEEvT1_
	.globl	_ZN7rocprim17ROCPRIM_400000_NS6detail17trampoline_kernelINS0_14default_configENS1_35adjacent_difference_config_selectorILb1EdEEZNS1_24adjacent_difference_implIS3_Lb1ELb0EPdN6thrust23THRUST_200600_302600_NS16discard_iteratorINS9_11use_defaultEEENS9_5minusIdEEEE10hipError_tPvRmT2_T3_mT4_P12ihipStream_tbEUlT_E_NS1_11comp_targetILNS1_3genE5ELNS1_11target_archE942ELNS1_3gpuE9ELNS1_3repE0EEENS1_30default_config_static_selectorELNS0_4arch9wavefront6targetE1EEEvT1_
	.p2align	8
	.type	_ZN7rocprim17ROCPRIM_400000_NS6detail17trampoline_kernelINS0_14default_configENS1_35adjacent_difference_config_selectorILb1EdEEZNS1_24adjacent_difference_implIS3_Lb1ELb0EPdN6thrust23THRUST_200600_302600_NS16discard_iteratorINS9_11use_defaultEEENS9_5minusIdEEEE10hipError_tPvRmT2_T3_mT4_P12ihipStream_tbEUlT_E_NS1_11comp_targetILNS1_3genE5ELNS1_11target_archE942ELNS1_3gpuE9ELNS1_3repE0EEENS1_30default_config_static_selectorELNS0_4arch9wavefront6targetE1EEEvT1_,@function
_ZN7rocprim17ROCPRIM_400000_NS6detail17trampoline_kernelINS0_14default_configENS1_35adjacent_difference_config_selectorILb1EdEEZNS1_24adjacent_difference_implIS3_Lb1ELb0EPdN6thrust23THRUST_200600_302600_NS16discard_iteratorINS9_11use_defaultEEENS9_5minusIdEEEE10hipError_tPvRmT2_T3_mT4_P12ihipStream_tbEUlT_E_NS1_11comp_targetILNS1_3genE5ELNS1_11target_archE942ELNS1_3gpuE9ELNS1_3repE0EEENS1_30default_config_static_selectorELNS0_4arch9wavefront6targetE1EEEvT1_: ; @_ZN7rocprim17ROCPRIM_400000_NS6detail17trampoline_kernelINS0_14default_configENS1_35adjacent_difference_config_selectorILb1EdEEZNS1_24adjacent_difference_implIS3_Lb1ELb0EPdN6thrust23THRUST_200600_302600_NS16discard_iteratorINS9_11use_defaultEEENS9_5minusIdEEEE10hipError_tPvRmT2_T3_mT4_P12ihipStream_tbEUlT_E_NS1_11comp_targetILNS1_3genE5ELNS1_11target_archE942ELNS1_3gpuE9ELNS1_3repE0EEENS1_30default_config_static_selectorELNS0_4arch9wavefront6targetE1EEEvT1_
; %bb.0:
	.section	.rodata,"a",@progbits
	.p2align	6, 0x0
	.amdhsa_kernel _ZN7rocprim17ROCPRIM_400000_NS6detail17trampoline_kernelINS0_14default_configENS1_35adjacent_difference_config_selectorILb1EdEEZNS1_24adjacent_difference_implIS3_Lb1ELb0EPdN6thrust23THRUST_200600_302600_NS16discard_iteratorINS9_11use_defaultEEENS9_5minusIdEEEE10hipError_tPvRmT2_T3_mT4_P12ihipStream_tbEUlT_E_NS1_11comp_targetILNS1_3genE5ELNS1_11target_archE942ELNS1_3gpuE9ELNS1_3repE0EEENS1_30default_config_static_selectorELNS0_4arch9wavefront6targetE1EEEvT1_
		.amdhsa_group_segment_fixed_size 0
		.amdhsa_private_segment_fixed_size 0
		.amdhsa_kernarg_size 64
		.amdhsa_user_sgpr_count 6
		.amdhsa_user_sgpr_private_segment_buffer 1
		.amdhsa_user_sgpr_dispatch_ptr 0
		.amdhsa_user_sgpr_queue_ptr 0
		.amdhsa_user_sgpr_kernarg_segment_ptr 1
		.amdhsa_user_sgpr_dispatch_id 0
		.amdhsa_user_sgpr_flat_scratch_init 0
		.amdhsa_user_sgpr_private_segment_size 0
		.amdhsa_uses_dynamic_stack 0
		.amdhsa_system_sgpr_private_segment_wavefront_offset 0
		.amdhsa_system_sgpr_workgroup_id_x 1
		.amdhsa_system_sgpr_workgroup_id_y 0
		.amdhsa_system_sgpr_workgroup_id_z 0
		.amdhsa_system_sgpr_workgroup_info 0
		.amdhsa_system_vgpr_workitem_id 0
		.amdhsa_next_free_vgpr 1
		.amdhsa_next_free_sgpr 0
		.amdhsa_reserve_vcc 0
		.amdhsa_reserve_flat_scratch 0
		.amdhsa_float_round_mode_32 0
		.amdhsa_float_round_mode_16_64 0
		.amdhsa_float_denorm_mode_32 3
		.amdhsa_float_denorm_mode_16_64 3
		.amdhsa_dx10_clamp 1
		.amdhsa_ieee_mode 1
		.amdhsa_fp16_overflow 0
		.amdhsa_exception_fp_ieee_invalid_op 0
		.amdhsa_exception_fp_denorm_src 0
		.amdhsa_exception_fp_ieee_div_zero 0
		.amdhsa_exception_fp_ieee_overflow 0
		.amdhsa_exception_fp_ieee_underflow 0
		.amdhsa_exception_fp_ieee_inexact 0
		.amdhsa_exception_int_div_zero 0
	.end_amdhsa_kernel
	.section	.text._ZN7rocprim17ROCPRIM_400000_NS6detail17trampoline_kernelINS0_14default_configENS1_35adjacent_difference_config_selectorILb1EdEEZNS1_24adjacent_difference_implIS3_Lb1ELb0EPdN6thrust23THRUST_200600_302600_NS16discard_iteratorINS9_11use_defaultEEENS9_5minusIdEEEE10hipError_tPvRmT2_T3_mT4_P12ihipStream_tbEUlT_E_NS1_11comp_targetILNS1_3genE5ELNS1_11target_archE942ELNS1_3gpuE9ELNS1_3repE0EEENS1_30default_config_static_selectorELNS0_4arch9wavefront6targetE1EEEvT1_,"axG",@progbits,_ZN7rocprim17ROCPRIM_400000_NS6detail17trampoline_kernelINS0_14default_configENS1_35adjacent_difference_config_selectorILb1EdEEZNS1_24adjacent_difference_implIS3_Lb1ELb0EPdN6thrust23THRUST_200600_302600_NS16discard_iteratorINS9_11use_defaultEEENS9_5minusIdEEEE10hipError_tPvRmT2_T3_mT4_P12ihipStream_tbEUlT_E_NS1_11comp_targetILNS1_3genE5ELNS1_11target_archE942ELNS1_3gpuE9ELNS1_3repE0EEENS1_30default_config_static_selectorELNS0_4arch9wavefront6targetE1EEEvT1_,comdat
.Lfunc_end784:
	.size	_ZN7rocprim17ROCPRIM_400000_NS6detail17trampoline_kernelINS0_14default_configENS1_35adjacent_difference_config_selectorILb1EdEEZNS1_24adjacent_difference_implIS3_Lb1ELb0EPdN6thrust23THRUST_200600_302600_NS16discard_iteratorINS9_11use_defaultEEENS9_5minusIdEEEE10hipError_tPvRmT2_T3_mT4_P12ihipStream_tbEUlT_E_NS1_11comp_targetILNS1_3genE5ELNS1_11target_archE942ELNS1_3gpuE9ELNS1_3repE0EEENS1_30default_config_static_selectorELNS0_4arch9wavefront6targetE1EEEvT1_, .Lfunc_end784-_ZN7rocprim17ROCPRIM_400000_NS6detail17trampoline_kernelINS0_14default_configENS1_35adjacent_difference_config_selectorILb1EdEEZNS1_24adjacent_difference_implIS3_Lb1ELb0EPdN6thrust23THRUST_200600_302600_NS16discard_iteratorINS9_11use_defaultEEENS9_5minusIdEEEE10hipError_tPvRmT2_T3_mT4_P12ihipStream_tbEUlT_E_NS1_11comp_targetILNS1_3genE5ELNS1_11target_archE942ELNS1_3gpuE9ELNS1_3repE0EEENS1_30default_config_static_selectorELNS0_4arch9wavefront6targetE1EEEvT1_
                                        ; -- End function
	.set _ZN7rocprim17ROCPRIM_400000_NS6detail17trampoline_kernelINS0_14default_configENS1_35adjacent_difference_config_selectorILb1EdEEZNS1_24adjacent_difference_implIS3_Lb1ELb0EPdN6thrust23THRUST_200600_302600_NS16discard_iteratorINS9_11use_defaultEEENS9_5minusIdEEEE10hipError_tPvRmT2_T3_mT4_P12ihipStream_tbEUlT_E_NS1_11comp_targetILNS1_3genE5ELNS1_11target_archE942ELNS1_3gpuE9ELNS1_3repE0EEENS1_30default_config_static_selectorELNS0_4arch9wavefront6targetE1EEEvT1_.num_vgpr, 0
	.set _ZN7rocprim17ROCPRIM_400000_NS6detail17trampoline_kernelINS0_14default_configENS1_35adjacent_difference_config_selectorILb1EdEEZNS1_24adjacent_difference_implIS3_Lb1ELb0EPdN6thrust23THRUST_200600_302600_NS16discard_iteratorINS9_11use_defaultEEENS9_5minusIdEEEE10hipError_tPvRmT2_T3_mT4_P12ihipStream_tbEUlT_E_NS1_11comp_targetILNS1_3genE5ELNS1_11target_archE942ELNS1_3gpuE9ELNS1_3repE0EEENS1_30default_config_static_selectorELNS0_4arch9wavefront6targetE1EEEvT1_.num_agpr, 0
	.set _ZN7rocprim17ROCPRIM_400000_NS6detail17trampoline_kernelINS0_14default_configENS1_35adjacent_difference_config_selectorILb1EdEEZNS1_24adjacent_difference_implIS3_Lb1ELb0EPdN6thrust23THRUST_200600_302600_NS16discard_iteratorINS9_11use_defaultEEENS9_5minusIdEEEE10hipError_tPvRmT2_T3_mT4_P12ihipStream_tbEUlT_E_NS1_11comp_targetILNS1_3genE5ELNS1_11target_archE942ELNS1_3gpuE9ELNS1_3repE0EEENS1_30default_config_static_selectorELNS0_4arch9wavefront6targetE1EEEvT1_.numbered_sgpr, 0
	.set _ZN7rocprim17ROCPRIM_400000_NS6detail17trampoline_kernelINS0_14default_configENS1_35adjacent_difference_config_selectorILb1EdEEZNS1_24adjacent_difference_implIS3_Lb1ELb0EPdN6thrust23THRUST_200600_302600_NS16discard_iteratorINS9_11use_defaultEEENS9_5minusIdEEEE10hipError_tPvRmT2_T3_mT4_P12ihipStream_tbEUlT_E_NS1_11comp_targetILNS1_3genE5ELNS1_11target_archE942ELNS1_3gpuE9ELNS1_3repE0EEENS1_30default_config_static_selectorELNS0_4arch9wavefront6targetE1EEEvT1_.num_named_barrier, 0
	.set _ZN7rocprim17ROCPRIM_400000_NS6detail17trampoline_kernelINS0_14default_configENS1_35adjacent_difference_config_selectorILb1EdEEZNS1_24adjacent_difference_implIS3_Lb1ELb0EPdN6thrust23THRUST_200600_302600_NS16discard_iteratorINS9_11use_defaultEEENS9_5minusIdEEEE10hipError_tPvRmT2_T3_mT4_P12ihipStream_tbEUlT_E_NS1_11comp_targetILNS1_3genE5ELNS1_11target_archE942ELNS1_3gpuE9ELNS1_3repE0EEENS1_30default_config_static_selectorELNS0_4arch9wavefront6targetE1EEEvT1_.private_seg_size, 0
	.set _ZN7rocprim17ROCPRIM_400000_NS6detail17trampoline_kernelINS0_14default_configENS1_35adjacent_difference_config_selectorILb1EdEEZNS1_24adjacent_difference_implIS3_Lb1ELb0EPdN6thrust23THRUST_200600_302600_NS16discard_iteratorINS9_11use_defaultEEENS9_5minusIdEEEE10hipError_tPvRmT2_T3_mT4_P12ihipStream_tbEUlT_E_NS1_11comp_targetILNS1_3genE5ELNS1_11target_archE942ELNS1_3gpuE9ELNS1_3repE0EEENS1_30default_config_static_selectorELNS0_4arch9wavefront6targetE1EEEvT1_.uses_vcc, 0
	.set _ZN7rocprim17ROCPRIM_400000_NS6detail17trampoline_kernelINS0_14default_configENS1_35adjacent_difference_config_selectorILb1EdEEZNS1_24adjacent_difference_implIS3_Lb1ELb0EPdN6thrust23THRUST_200600_302600_NS16discard_iteratorINS9_11use_defaultEEENS9_5minusIdEEEE10hipError_tPvRmT2_T3_mT4_P12ihipStream_tbEUlT_E_NS1_11comp_targetILNS1_3genE5ELNS1_11target_archE942ELNS1_3gpuE9ELNS1_3repE0EEENS1_30default_config_static_selectorELNS0_4arch9wavefront6targetE1EEEvT1_.uses_flat_scratch, 0
	.set _ZN7rocprim17ROCPRIM_400000_NS6detail17trampoline_kernelINS0_14default_configENS1_35adjacent_difference_config_selectorILb1EdEEZNS1_24adjacent_difference_implIS3_Lb1ELb0EPdN6thrust23THRUST_200600_302600_NS16discard_iteratorINS9_11use_defaultEEENS9_5minusIdEEEE10hipError_tPvRmT2_T3_mT4_P12ihipStream_tbEUlT_E_NS1_11comp_targetILNS1_3genE5ELNS1_11target_archE942ELNS1_3gpuE9ELNS1_3repE0EEENS1_30default_config_static_selectorELNS0_4arch9wavefront6targetE1EEEvT1_.has_dyn_sized_stack, 0
	.set _ZN7rocprim17ROCPRIM_400000_NS6detail17trampoline_kernelINS0_14default_configENS1_35adjacent_difference_config_selectorILb1EdEEZNS1_24adjacent_difference_implIS3_Lb1ELb0EPdN6thrust23THRUST_200600_302600_NS16discard_iteratorINS9_11use_defaultEEENS9_5minusIdEEEE10hipError_tPvRmT2_T3_mT4_P12ihipStream_tbEUlT_E_NS1_11comp_targetILNS1_3genE5ELNS1_11target_archE942ELNS1_3gpuE9ELNS1_3repE0EEENS1_30default_config_static_selectorELNS0_4arch9wavefront6targetE1EEEvT1_.has_recursion, 0
	.set _ZN7rocprim17ROCPRIM_400000_NS6detail17trampoline_kernelINS0_14default_configENS1_35adjacent_difference_config_selectorILb1EdEEZNS1_24adjacent_difference_implIS3_Lb1ELb0EPdN6thrust23THRUST_200600_302600_NS16discard_iteratorINS9_11use_defaultEEENS9_5minusIdEEEE10hipError_tPvRmT2_T3_mT4_P12ihipStream_tbEUlT_E_NS1_11comp_targetILNS1_3genE5ELNS1_11target_archE942ELNS1_3gpuE9ELNS1_3repE0EEENS1_30default_config_static_selectorELNS0_4arch9wavefront6targetE1EEEvT1_.has_indirect_call, 0
	.section	.AMDGPU.csdata,"",@progbits
; Kernel info:
; codeLenInByte = 0
; TotalNumSgprs: 4
; NumVgprs: 0
; ScratchSize: 0
; MemoryBound: 0
; FloatMode: 240
; IeeeMode: 1
; LDSByteSize: 0 bytes/workgroup (compile time only)
; SGPRBlocks: 0
; VGPRBlocks: 0
; NumSGPRsForWavesPerEU: 4
; NumVGPRsForWavesPerEU: 1
; Occupancy: 10
; WaveLimiterHint : 0
; COMPUTE_PGM_RSRC2:SCRATCH_EN: 0
; COMPUTE_PGM_RSRC2:USER_SGPR: 6
; COMPUTE_PGM_RSRC2:TRAP_HANDLER: 0
; COMPUTE_PGM_RSRC2:TGID_X_EN: 1
; COMPUTE_PGM_RSRC2:TGID_Y_EN: 0
; COMPUTE_PGM_RSRC2:TGID_Z_EN: 0
; COMPUTE_PGM_RSRC2:TIDIG_COMP_CNT: 0
	.section	.text._ZN7rocprim17ROCPRIM_400000_NS6detail17trampoline_kernelINS0_14default_configENS1_35adjacent_difference_config_selectorILb1EdEEZNS1_24adjacent_difference_implIS3_Lb1ELb0EPdN6thrust23THRUST_200600_302600_NS16discard_iteratorINS9_11use_defaultEEENS9_5minusIdEEEE10hipError_tPvRmT2_T3_mT4_P12ihipStream_tbEUlT_E_NS1_11comp_targetILNS1_3genE4ELNS1_11target_archE910ELNS1_3gpuE8ELNS1_3repE0EEENS1_30default_config_static_selectorELNS0_4arch9wavefront6targetE1EEEvT1_,"axG",@progbits,_ZN7rocprim17ROCPRIM_400000_NS6detail17trampoline_kernelINS0_14default_configENS1_35adjacent_difference_config_selectorILb1EdEEZNS1_24adjacent_difference_implIS3_Lb1ELb0EPdN6thrust23THRUST_200600_302600_NS16discard_iteratorINS9_11use_defaultEEENS9_5minusIdEEEE10hipError_tPvRmT2_T3_mT4_P12ihipStream_tbEUlT_E_NS1_11comp_targetILNS1_3genE4ELNS1_11target_archE910ELNS1_3gpuE8ELNS1_3repE0EEENS1_30default_config_static_selectorELNS0_4arch9wavefront6targetE1EEEvT1_,comdat
	.protected	_ZN7rocprim17ROCPRIM_400000_NS6detail17trampoline_kernelINS0_14default_configENS1_35adjacent_difference_config_selectorILb1EdEEZNS1_24adjacent_difference_implIS3_Lb1ELb0EPdN6thrust23THRUST_200600_302600_NS16discard_iteratorINS9_11use_defaultEEENS9_5minusIdEEEE10hipError_tPvRmT2_T3_mT4_P12ihipStream_tbEUlT_E_NS1_11comp_targetILNS1_3genE4ELNS1_11target_archE910ELNS1_3gpuE8ELNS1_3repE0EEENS1_30default_config_static_selectorELNS0_4arch9wavefront6targetE1EEEvT1_ ; -- Begin function _ZN7rocprim17ROCPRIM_400000_NS6detail17trampoline_kernelINS0_14default_configENS1_35adjacent_difference_config_selectorILb1EdEEZNS1_24adjacent_difference_implIS3_Lb1ELb0EPdN6thrust23THRUST_200600_302600_NS16discard_iteratorINS9_11use_defaultEEENS9_5minusIdEEEE10hipError_tPvRmT2_T3_mT4_P12ihipStream_tbEUlT_E_NS1_11comp_targetILNS1_3genE4ELNS1_11target_archE910ELNS1_3gpuE8ELNS1_3repE0EEENS1_30default_config_static_selectorELNS0_4arch9wavefront6targetE1EEEvT1_
	.globl	_ZN7rocprim17ROCPRIM_400000_NS6detail17trampoline_kernelINS0_14default_configENS1_35adjacent_difference_config_selectorILb1EdEEZNS1_24adjacent_difference_implIS3_Lb1ELb0EPdN6thrust23THRUST_200600_302600_NS16discard_iteratorINS9_11use_defaultEEENS9_5minusIdEEEE10hipError_tPvRmT2_T3_mT4_P12ihipStream_tbEUlT_E_NS1_11comp_targetILNS1_3genE4ELNS1_11target_archE910ELNS1_3gpuE8ELNS1_3repE0EEENS1_30default_config_static_selectorELNS0_4arch9wavefront6targetE1EEEvT1_
	.p2align	8
	.type	_ZN7rocprim17ROCPRIM_400000_NS6detail17trampoline_kernelINS0_14default_configENS1_35adjacent_difference_config_selectorILb1EdEEZNS1_24adjacent_difference_implIS3_Lb1ELb0EPdN6thrust23THRUST_200600_302600_NS16discard_iteratorINS9_11use_defaultEEENS9_5minusIdEEEE10hipError_tPvRmT2_T3_mT4_P12ihipStream_tbEUlT_E_NS1_11comp_targetILNS1_3genE4ELNS1_11target_archE910ELNS1_3gpuE8ELNS1_3repE0EEENS1_30default_config_static_selectorELNS0_4arch9wavefront6targetE1EEEvT1_,@function
_ZN7rocprim17ROCPRIM_400000_NS6detail17trampoline_kernelINS0_14default_configENS1_35adjacent_difference_config_selectorILb1EdEEZNS1_24adjacent_difference_implIS3_Lb1ELb0EPdN6thrust23THRUST_200600_302600_NS16discard_iteratorINS9_11use_defaultEEENS9_5minusIdEEEE10hipError_tPvRmT2_T3_mT4_P12ihipStream_tbEUlT_E_NS1_11comp_targetILNS1_3genE4ELNS1_11target_archE910ELNS1_3gpuE8ELNS1_3repE0EEENS1_30default_config_static_selectorELNS0_4arch9wavefront6targetE1EEEvT1_: ; @_ZN7rocprim17ROCPRIM_400000_NS6detail17trampoline_kernelINS0_14default_configENS1_35adjacent_difference_config_selectorILb1EdEEZNS1_24adjacent_difference_implIS3_Lb1ELb0EPdN6thrust23THRUST_200600_302600_NS16discard_iteratorINS9_11use_defaultEEENS9_5minusIdEEEE10hipError_tPvRmT2_T3_mT4_P12ihipStream_tbEUlT_E_NS1_11comp_targetILNS1_3genE4ELNS1_11target_archE910ELNS1_3gpuE8ELNS1_3repE0EEENS1_30default_config_static_selectorELNS0_4arch9wavefront6targetE1EEEvT1_
; %bb.0:
	.section	.rodata,"a",@progbits
	.p2align	6, 0x0
	.amdhsa_kernel _ZN7rocprim17ROCPRIM_400000_NS6detail17trampoline_kernelINS0_14default_configENS1_35adjacent_difference_config_selectorILb1EdEEZNS1_24adjacent_difference_implIS3_Lb1ELb0EPdN6thrust23THRUST_200600_302600_NS16discard_iteratorINS9_11use_defaultEEENS9_5minusIdEEEE10hipError_tPvRmT2_T3_mT4_P12ihipStream_tbEUlT_E_NS1_11comp_targetILNS1_3genE4ELNS1_11target_archE910ELNS1_3gpuE8ELNS1_3repE0EEENS1_30default_config_static_selectorELNS0_4arch9wavefront6targetE1EEEvT1_
		.amdhsa_group_segment_fixed_size 0
		.amdhsa_private_segment_fixed_size 0
		.amdhsa_kernarg_size 64
		.amdhsa_user_sgpr_count 6
		.amdhsa_user_sgpr_private_segment_buffer 1
		.amdhsa_user_sgpr_dispatch_ptr 0
		.amdhsa_user_sgpr_queue_ptr 0
		.amdhsa_user_sgpr_kernarg_segment_ptr 1
		.amdhsa_user_sgpr_dispatch_id 0
		.amdhsa_user_sgpr_flat_scratch_init 0
		.amdhsa_user_sgpr_private_segment_size 0
		.amdhsa_uses_dynamic_stack 0
		.amdhsa_system_sgpr_private_segment_wavefront_offset 0
		.amdhsa_system_sgpr_workgroup_id_x 1
		.amdhsa_system_sgpr_workgroup_id_y 0
		.amdhsa_system_sgpr_workgroup_id_z 0
		.amdhsa_system_sgpr_workgroup_info 0
		.amdhsa_system_vgpr_workitem_id 0
		.amdhsa_next_free_vgpr 1
		.amdhsa_next_free_sgpr 0
		.amdhsa_reserve_vcc 0
		.amdhsa_reserve_flat_scratch 0
		.amdhsa_float_round_mode_32 0
		.amdhsa_float_round_mode_16_64 0
		.amdhsa_float_denorm_mode_32 3
		.amdhsa_float_denorm_mode_16_64 3
		.amdhsa_dx10_clamp 1
		.amdhsa_ieee_mode 1
		.amdhsa_fp16_overflow 0
		.amdhsa_exception_fp_ieee_invalid_op 0
		.amdhsa_exception_fp_denorm_src 0
		.amdhsa_exception_fp_ieee_div_zero 0
		.amdhsa_exception_fp_ieee_overflow 0
		.amdhsa_exception_fp_ieee_underflow 0
		.amdhsa_exception_fp_ieee_inexact 0
		.amdhsa_exception_int_div_zero 0
	.end_amdhsa_kernel
	.section	.text._ZN7rocprim17ROCPRIM_400000_NS6detail17trampoline_kernelINS0_14default_configENS1_35adjacent_difference_config_selectorILb1EdEEZNS1_24adjacent_difference_implIS3_Lb1ELb0EPdN6thrust23THRUST_200600_302600_NS16discard_iteratorINS9_11use_defaultEEENS9_5minusIdEEEE10hipError_tPvRmT2_T3_mT4_P12ihipStream_tbEUlT_E_NS1_11comp_targetILNS1_3genE4ELNS1_11target_archE910ELNS1_3gpuE8ELNS1_3repE0EEENS1_30default_config_static_selectorELNS0_4arch9wavefront6targetE1EEEvT1_,"axG",@progbits,_ZN7rocprim17ROCPRIM_400000_NS6detail17trampoline_kernelINS0_14default_configENS1_35adjacent_difference_config_selectorILb1EdEEZNS1_24adjacent_difference_implIS3_Lb1ELb0EPdN6thrust23THRUST_200600_302600_NS16discard_iteratorINS9_11use_defaultEEENS9_5minusIdEEEE10hipError_tPvRmT2_T3_mT4_P12ihipStream_tbEUlT_E_NS1_11comp_targetILNS1_3genE4ELNS1_11target_archE910ELNS1_3gpuE8ELNS1_3repE0EEENS1_30default_config_static_selectorELNS0_4arch9wavefront6targetE1EEEvT1_,comdat
.Lfunc_end785:
	.size	_ZN7rocprim17ROCPRIM_400000_NS6detail17trampoline_kernelINS0_14default_configENS1_35adjacent_difference_config_selectorILb1EdEEZNS1_24adjacent_difference_implIS3_Lb1ELb0EPdN6thrust23THRUST_200600_302600_NS16discard_iteratorINS9_11use_defaultEEENS9_5minusIdEEEE10hipError_tPvRmT2_T3_mT4_P12ihipStream_tbEUlT_E_NS1_11comp_targetILNS1_3genE4ELNS1_11target_archE910ELNS1_3gpuE8ELNS1_3repE0EEENS1_30default_config_static_selectorELNS0_4arch9wavefront6targetE1EEEvT1_, .Lfunc_end785-_ZN7rocprim17ROCPRIM_400000_NS6detail17trampoline_kernelINS0_14default_configENS1_35adjacent_difference_config_selectorILb1EdEEZNS1_24adjacent_difference_implIS3_Lb1ELb0EPdN6thrust23THRUST_200600_302600_NS16discard_iteratorINS9_11use_defaultEEENS9_5minusIdEEEE10hipError_tPvRmT2_T3_mT4_P12ihipStream_tbEUlT_E_NS1_11comp_targetILNS1_3genE4ELNS1_11target_archE910ELNS1_3gpuE8ELNS1_3repE0EEENS1_30default_config_static_selectorELNS0_4arch9wavefront6targetE1EEEvT1_
                                        ; -- End function
	.set _ZN7rocprim17ROCPRIM_400000_NS6detail17trampoline_kernelINS0_14default_configENS1_35adjacent_difference_config_selectorILb1EdEEZNS1_24adjacent_difference_implIS3_Lb1ELb0EPdN6thrust23THRUST_200600_302600_NS16discard_iteratorINS9_11use_defaultEEENS9_5minusIdEEEE10hipError_tPvRmT2_T3_mT4_P12ihipStream_tbEUlT_E_NS1_11comp_targetILNS1_3genE4ELNS1_11target_archE910ELNS1_3gpuE8ELNS1_3repE0EEENS1_30default_config_static_selectorELNS0_4arch9wavefront6targetE1EEEvT1_.num_vgpr, 0
	.set _ZN7rocprim17ROCPRIM_400000_NS6detail17trampoline_kernelINS0_14default_configENS1_35adjacent_difference_config_selectorILb1EdEEZNS1_24adjacent_difference_implIS3_Lb1ELb0EPdN6thrust23THRUST_200600_302600_NS16discard_iteratorINS9_11use_defaultEEENS9_5minusIdEEEE10hipError_tPvRmT2_T3_mT4_P12ihipStream_tbEUlT_E_NS1_11comp_targetILNS1_3genE4ELNS1_11target_archE910ELNS1_3gpuE8ELNS1_3repE0EEENS1_30default_config_static_selectorELNS0_4arch9wavefront6targetE1EEEvT1_.num_agpr, 0
	.set _ZN7rocprim17ROCPRIM_400000_NS6detail17trampoline_kernelINS0_14default_configENS1_35adjacent_difference_config_selectorILb1EdEEZNS1_24adjacent_difference_implIS3_Lb1ELb0EPdN6thrust23THRUST_200600_302600_NS16discard_iteratorINS9_11use_defaultEEENS9_5minusIdEEEE10hipError_tPvRmT2_T3_mT4_P12ihipStream_tbEUlT_E_NS1_11comp_targetILNS1_3genE4ELNS1_11target_archE910ELNS1_3gpuE8ELNS1_3repE0EEENS1_30default_config_static_selectorELNS0_4arch9wavefront6targetE1EEEvT1_.numbered_sgpr, 0
	.set _ZN7rocprim17ROCPRIM_400000_NS6detail17trampoline_kernelINS0_14default_configENS1_35adjacent_difference_config_selectorILb1EdEEZNS1_24adjacent_difference_implIS3_Lb1ELb0EPdN6thrust23THRUST_200600_302600_NS16discard_iteratorINS9_11use_defaultEEENS9_5minusIdEEEE10hipError_tPvRmT2_T3_mT4_P12ihipStream_tbEUlT_E_NS1_11comp_targetILNS1_3genE4ELNS1_11target_archE910ELNS1_3gpuE8ELNS1_3repE0EEENS1_30default_config_static_selectorELNS0_4arch9wavefront6targetE1EEEvT1_.num_named_barrier, 0
	.set _ZN7rocprim17ROCPRIM_400000_NS6detail17trampoline_kernelINS0_14default_configENS1_35adjacent_difference_config_selectorILb1EdEEZNS1_24adjacent_difference_implIS3_Lb1ELb0EPdN6thrust23THRUST_200600_302600_NS16discard_iteratorINS9_11use_defaultEEENS9_5minusIdEEEE10hipError_tPvRmT2_T3_mT4_P12ihipStream_tbEUlT_E_NS1_11comp_targetILNS1_3genE4ELNS1_11target_archE910ELNS1_3gpuE8ELNS1_3repE0EEENS1_30default_config_static_selectorELNS0_4arch9wavefront6targetE1EEEvT1_.private_seg_size, 0
	.set _ZN7rocprim17ROCPRIM_400000_NS6detail17trampoline_kernelINS0_14default_configENS1_35adjacent_difference_config_selectorILb1EdEEZNS1_24adjacent_difference_implIS3_Lb1ELb0EPdN6thrust23THRUST_200600_302600_NS16discard_iteratorINS9_11use_defaultEEENS9_5minusIdEEEE10hipError_tPvRmT2_T3_mT4_P12ihipStream_tbEUlT_E_NS1_11comp_targetILNS1_3genE4ELNS1_11target_archE910ELNS1_3gpuE8ELNS1_3repE0EEENS1_30default_config_static_selectorELNS0_4arch9wavefront6targetE1EEEvT1_.uses_vcc, 0
	.set _ZN7rocprim17ROCPRIM_400000_NS6detail17trampoline_kernelINS0_14default_configENS1_35adjacent_difference_config_selectorILb1EdEEZNS1_24adjacent_difference_implIS3_Lb1ELb0EPdN6thrust23THRUST_200600_302600_NS16discard_iteratorINS9_11use_defaultEEENS9_5minusIdEEEE10hipError_tPvRmT2_T3_mT4_P12ihipStream_tbEUlT_E_NS1_11comp_targetILNS1_3genE4ELNS1_11target_archE910ELNS1_3gpuE8ELNS1_3repE0EEENS1_30default_config_static_selectorELNS0_4arch9wavefront6targetE1EEEvT1_.uses_flat_scratch, 0
	.set _ZN7rocprim17ROCPRIM_400000_NS6detail17trampoline_kernelINS0_14default_configENS1_35adjacent_difference_config_selectorILb1EdEEZNS1_24adjacent_difference_implIS3_Lb1ELb0EPdN6thrust23THRUST_200600_302600_NS16discard_iteratorINS9_11use_defaultEEENS9_5minusIdEEEE10hipError_tPvRmT2_T3_mT4_P12ihipStream_tbEUlT_E_NS1_11comp_targetILNS1_3genE4ELNS1_11target_archE910ELNS1_3gpuE8ELNS1_3repE0EEENS1_30default_config_static_selectorELNS0_4arch9wavefront6targetE1EEEvT1_.has_dyn_sized_stack, 0
	.set _ZN7rocprim17ROCPRIM_400000_NS6detail17trampoline_kernelINS0_14default_configENS1_35adjacent_difference_config_selectorILb1EdEEZNS1_24adjacent_difference_implIS3_Lb1ELb0EPdN6thrust23THRUST_200600_302600_NS16discard_iteratorINS9_11use_defaultEEENS9_5minusIdEEEE10hipError_tPvRmT2_T3_mT4_P12ihipStream_tbEUlT_E_NS1_11comp_targetILNS1_3genE4ELNS1_11target_archE910ELNS1_3gpuE8ELNS1_3repE0EEENS1_30default_config_static_selectorELNS0_4arch9wavefront6targetE1EEEvT1_.has_recursion, 0
	.set _ZN7rocprim17ROCPRIM_400000_NS6detail17trampoline_kernelINS0_14default_configENS1_35adjacent_difference_config_selectorILb1EdEEZNS1_24adjacent_difference_implIS3_Lb1ELb0EPdN6thrust23THRUST_200600_302600_NS16discard_iteratorINS9_11use_defaultEEENS9_5minusIdEEEE10hipError_tPvRmT2_T3_mT4_P12ihipStream_tbEUlT_E_NS1_11comp_targetILNS1_3genE4ELNS1_11target_archE910ELNS1_3gpuE8ELNS1_3repE0EEENS1_30default_config_static_selectorELNS0_4arch9wavefront6targetE1EEEvT1_.has_indirect_call, 0
	.section	.AMDGPU.csdata,"",@progbits
; Kernel info:
; codeLenInByte = 0
; TotalNumSgprs: 4
; NumVgprs: 0
; ScratchSize: 0
; MemoryBound: 0
; FloatMode: 240
; IeeeMode: 1
; LDSByteSize: 0 bytes/workgroup (compile time only)
; SGPRBlocks: 0
; VGPRBlocks: 0
; NumSGPRsForWavesPerEU: 4
; NumVGPRsForWavesPerEU: 1
; Occupancy: 10
; WaveLimiterHint : 0
; COMPUTE_PGM_RSRC2:SCRATCH_EN: 0
; COMPUTE_PGM_RSRC2:USER_SGPR: 6
; COMPUTE_PGM_RSRC2:TRAP_HANDLER: 0
; COMPUTE_PGM_RSRC2:TGID_X_EN: 1
; COMPUTE_PGM_RSRC2:TGID_Y_EN: 0
; COMPUTE_PGM_RSRC2:TGID_Z_EN: 0
; COMPUTE_PGM_RSRC2:TIDIG_COMP_CNT: 0
	.section	.text._ZN7rocprim17ROCPRIM_400000_NS6detail17trampoline_kernelINS0_14default_configENS1_35adjacent_difference_config_selectorILb1EdEEZNS1_24adjacent_difference_implIS3_Lb1ELb0EPdN6thrust23THRUST_200600_302600_NS16discard_iteratorINS9_11use_defaultEEENS9_5minusIdEEEE10hipError_tPvRmT2_T3_mT4_P12ihipStream_tbEUlT_E_NS1_11comp_targetILNS1_3genE3ELNS1_11target_archE908ELNS1_3gpuE7ELNS1_3repE0EEENS1_30default_config_static_selectorELNS0_4arch9wavefront6targetE1EEEvT1_,"axG",@progbits,_ZN7rocprim17ROCPRIM_400000_NS6detail17trampoline_kernelINS0_14default_configENS1_35adjacent_difference_config_selectorILb1EdEEZNS1_24adjacent_difference_implIS3_Lb1ELb0EPdN6thrust23THRUST_200600_302600_NS16discard_iteratorINS9_11use_defaultEEENS9_5minusIdEEEE10hipError_tPvRmT2_T3_mT4_P12ihipStream_tbEUlT_E_NS1_11comp_targetILNS1_3genE3ELNS1_11target_archE908ELNS1_3gpuE7ELNS1_3repE0EEENS1_30default_config_static_selectorELNS0_4arch9wavefront6targetE1EEEvT1_,comdat
	.protected	_ZN7rocprim17ROCPRIM_400000_NS6detail17trampoline_kernelINS0_14default_configENS1_35adjacent_difference_config_selectorILb1EdEEZNS1_24adjacent_difference_implIS3_Lb1ELb0EPdN6thrust23THRUST_200600_302600_NS16discard_iteratorINS9_11use_defaultEEENS9_5minusIdEEEE10hipError_tPvRmT2_T3_mT4_P12ihipStream_tbEUlT_E_NS1_11comp_targetILNS1_3genE3ELNS1_11target_archE908ELNS1_3gpuE7ELNS1_3repE0EEENS1_30default_config_static_selectorELNS0_4arch9wavefront6targetE1EEEvT1_ ; -- Begin function _ZN7rocprim17ROCPRIM_400000_NS6detail17trampoline_kernelINS0_14default_configENS1_35adjacent_difference_config_selectorILb1EdEEZNS1_24adjacent_difference_implIS3_Lb1ELb0EPdN6thrust23THRUST_200600_302600_NS16discard_iteratorINS9_11use_defaultEEENS9_5minusIdEEEE10hipError_tPvRmT2_T3_mT4_P12ihipStream_tbEUlT_E_NS1_11comp_targetILNS1_3genE3ELNS1_11target_archE908ELNS1_3gpuE7ELNS1_3repE0EEENS1_30default_config_static_selectorELNS0_4arch9wavefront6targetE1EEEvT1_
	.globl	_ZN7rocprim17ROCPRIM_400000_NS6detail17trampoline_kernelINS0_14default_configENS1_35adjacent_difference_config_selectorILb1EdEEZNS1_24adjacent_difference_implIS3_Lb1ELb0EPdN6thrust23THRUST_200600_302600_NS16discard_iteratorINS9_11use_defaultEEENS9_5minusIdEEEE10hipError_tPvRmT2_T3_mT4_P12ihipStream_tbEUlT_E_NS1_11comp_targetILNS1_3genE3ELNS1_11target_archE908ELNS1_3gpuE7ELNS1_3repE0EEENS1_30default_config_static_selectorELNS0_4arch9wavefront6targetE1EEEvT1_
	.p2align	8
	.type	_ZN7rocprim17ROCPRIM_400000_NS6detail17trampoline_kernelINS0_14default_configENS1_35adjacent_difference_config_selectorILb1EdEEZNS1_24adjacent_difference_implIS3_Lb1ELb0EPdN6thrust23THRUST_200600_302600_NS16discard_iteratorINS9_11use_defaultEEENS9_5minusIdEEEE10hipError_tPvRmT2_T3_mT4_P12ihipStream_tbEUlT_E_NS1_11comp_targetILNS1_3genE3ELNS1_11target_archE908ELNS1_3gpuE7ELNS1_3repE0EEENS1_30default_config_static_selectorELNS0_4arch9wavefront6targetE1EEEvT1_,@function
_ZN7rocprim17ROCPRIM_400000_NS6detail17trampoline_kernelINS0_14default_configENS1_35adjacent_difference_config_selectorILb1EdEEZNS1_24adjacent_difference_implIS3_Lb1ELb0EPdN6thrust23THRUST_200600_302600_NS16discard_iteratorINS9_11use_defaultEEENS9_5minusIdEEEE10hipError_tPvRmT2_T3_mT4_P12ihipStream_tbEUlT_E_NS1_11comp_targetILNS1_3genE3ELNS1_11target_archE908ELNS1_3gpuE7ELNS1_3repE0EEENS1_30default_config_static_selectorELNS0_4arch9wavefront6targetE1EEEvT1_: ; @_ZN7rocprim17ROCPRIM_400000_NS6detail17trampoline_kernelINS0_14default_configENS1_35adjacent_difference_config_selectorILb1EdEEZNS1_24adjacent_difference_implIS3_Lb1ELb0EPdN6thrust23THRUST_200600_302600_NS16discard_iteratorINS9_11use_defaultEEENS9_5minusIdEEEE10hipError_tPvRmT2_T3_mT4_P12ihipStream_tbEUlT_E_NS1_11comp_targetILNS1_3genE3ELNS1_11target_archE908ELNS1_3gpuE7ELNS1_3repE0EEENS1_30default_config_static_selectorELNS0_4arch9wavefront6targetE1EEEvT1_
; %bb.0:
	.section	.rodata,"a",@progbits
	.p2align	6, 0x0
	.amdhsa_kernel _ZN7rocprim17ROCPRIM_400000_NS6detail17trampoline_kernelINS0_14default_configENS1_35adjacent_difference_config_selectorILb1EdEEZNS1_24adjacent_difference_implIS3_Lb1ELb0EPdN6thrust23THRUST_200600_302600_NS16discard_iteratorINS9_11use_defaultEEENS9_5minusIdEEEE10hipError_tPvRmT2_T3_mT4_P12ihipStream_tbEUlT_E_NS1_11comp_targetILNS1_3genE3ELNS1_11target_archE908ELNS1_3gpuE7ELNS1_3repE0EEENS1_30default_config_static_selectorELNS0_4arch9wavefront6targetE1EEEvT1_
		.amdhsa_group_segment_fixed_size 0
		.amdhsa_private_segment_fixed_size 0
		.amdhsa_kernarg_size 64
		.amdhsa_user_sgpr_count 6
		.amdhsa_user_sgpr_private_segment_buffer 1
		.amdhsa_user_sgpr_dispatch_ptr 0
		.amdhsa_user_sgpr_queue_ptr 0
		.amdhsa_user_sgpr_kernarg_segment_ptr 1
		.amdhsa_user_sgpr_dispatch_id 0
		.amdhsa_user_sgpr_flat_scratch_init 0
		.amdhsa_user_sgpr_private_segment_size 0
		.amdhsa_uses_dynamic_stack 0
		.amdhsa_system_sgpr_private_segment_wavefront_offset 0
		.amdhsa_system_sgpr_workgroup_id_x 1
		.amdhsa_system_sgpr_workgroup_id_y 0
		.amdhsa_system_sgpr_workgroup_id_z 0
		.amdhsa_system_sgpr_workgroup_info 0
		.amdhsa_system_vgpr_workitem_id 0
		.amdhsa_next_free_vgpr 1
		.amdhsa_next_free_sgpr 0
		.amdhsa_reserve_vcc 0
		.amdhsa_reserve_flat_scratch 0
		.amdhsa_float_round_mode_32 0
		.amdhsa_float_round_mode_16_64 0
		.amdhsa_float_denorm_mode_32 3
		.amdhsa_float_denorm_mode_16_64 3
		.amdhsa_dx10_clamp 1
		.amdhsa_ieee_mode 1
		.amdhsa_fp16_overflow 0
		.amdhsa_exception_fp_ieee_invalid_op 0
		.amdhsa_exception_fp_denorm_src 0
		.amdhsa_exception_fp_ieee_div_zero 0
		.amdhsa_exception_fp_ieee_overflow 0
		.amdhsa_exception_fp_ieee_underflow 0
		.amdhsa_exception_fp_ieee_inexact 0
		.amdhsa_exception_int_div_zero 0
	.end_amdhsa_kernel
	.section	.text._ZN7rocprim17ROCPRIM_400000_NS6detail17trampoline_kernelINS0_14default_configENS1_35adjacent_difference_config_selectorILb1EdEEZNS1_24adjacent_difference_implIS3_Lb1ELb0EPdN6thrust23THRUST_200600_302600_NS16discard_iteratorINS9_11use_defaultEEENS9_5minusIdEEEE10hipError_tPvRmT2_T3_mT4_P12ihipStream_tbEUlT_E_NS1_11comp_targetILNS1_3genE3ELNS1_11target_archE908ELNS1_3gpuE7ELNS1_3repE0EEENS1_30default_config_static_selectorELNS0_4arch9wavefront6targetE1EEEvT1_,"axG",@progbits,_ZN7rocprim17ROCPRIM_400000_NS6detail17trampoline_kernelINS0_14default_configENS1_35adjacent_difference_config_selectorILb1EdEEZNS1_24adjacent_difference_implIS3_Lb1ELb0EPdN6thrust23THRUST_200600_302600_NS16discard_iteratorINS9_11use_defaultEEENS9_5minusIdEEEE10hipError_tPvRmT2_T3_mT4_P12ihipStream_tbEUlT_E_NS1_11comp_targetILNS1_3genE3ELNS1_11target_archE908ELNS1_3gpuE7ELNS1_3repE0EEENS1_30default_config_static_selectorELNS0_4arch9wavefront6targetE1EEEvT1_,comdat
.Lfunc_end786:
	.size	_ZN7rocprim17ROCPRIM_400000_NS6detail17trampoline_kernelINS0_14default_configENS1_35adjacent_difference_config_selectorILb1EdEEZNS1_24adjacent_difference_implIS3_Lb1ELb0EPdN6thrust23THRUST_200600_302600_NS16discard_iteratorINS9_11use_defaultEEENS9_5minusIdEEEE10hipError_tPvRmT2_T3_mT4_P12ihipStream_tbEUlT_E_NS1_11comp_targetILNS1_3genE3ELNS1_11target_archE908ELNS1_3gpuE7ELNS1_3repE0EEENS1_30default_config_static_selectorELNS0_4arch9wavefront6targetE1EEEvT1_, .Lfunc_end786-_ZN7rocprim17ROCPRIM_400000_NS6detail17trampoline_kernelINS0_14default_configENS1_35adjacent_difference_config_selectorILb1EdEEZNS1_24adjacent_difference_implIS3_Lb1ELb0EPdN6thrust23THRUST_200600_302600_NS16discard_iteratorINS9_11use_defaultEEENS9_5minusIdEEEE10hipError_tPvRmT2_T3_mT4_P12ihipStream_tbEUlT_E_NS1_11comp_targetILNS1_3genE3ELNS1_11target_archE908ELNS1_3gpuE7ELNS1_3repE0EEENS1_30default_config_static_selectorELNS0_4arch9wavefront6targetE1EEEvT1_
                                        ; -- End function
	.set _ZN7rocprim17ROCPRIM_400000_NS6detail17trampoline_kernelINS0_14default_configENS1_35adjacent_difference_config_selectorILb1EdEEZNS1_24adjacent_difference_implIS3_Lb1ELb0EPdN6thrust23THRUST_200600_302600_NS16discard_iteratorINS9_11use_defaultEEENS9_5minusIdEEEE10hipError_tPvRmT2_T3_mT4_P12ihipStream_tbEUlT_E_NS1_11comp_targetILNS1_3genE3ELNS1_11target_archE908ELNS1_3gpuE7ELNS1_3repE0EEENS1_30default_config_static_selectorELNS0_4arch9wavefront6targetE1EEEvT1_.num_vgpr, 0
	.set _ZN7rocprim17ROCPRIM_400000_NS6detail17trampoline_kernelINS0_14default_configENS1_35adjacent_difference_config_selectorILb1EdEEZNS1_24adjacent_difference_implIS3_Lb1ELb0EPdN6thrust23THRUST_200600_302600_NS16discard_iteratorINS9_11use_defaultEEENS9_5minusIdEEEE10hipError_tPvRmT2_T3_mT4_P12ihipStream_tbEUlT_E_NS1_11comp_targetILNS1_3genE3ELNS1_11target_archE908ELNS1_3gpuE7ELNS1_3repE0EEENS1_30default_config_static_selectorELNS0_4arch9wavefront6targetE1EEEvT1_.num_agpr, 0
	.set _ZN7rocprim17ROCPRIM_400000_NS6detail17trampoline_kernelINS0_14default_configENS1_35adjacent_difference_config_selectorILb1EdEEZNS1_24adjacent_difference_implIS3_Lb1ELb0EPdN6thrust23THRUST_200600_302600_NS16discard_iteratorINS9_11use_defaultEEENS9_5minusIdEEEE10hipError_tPvRmT2_T3_mT4_P12ihipStream_tbEUlT_E_NS1_11comp_targetILNS1_3genE3ELNS1_11target_archE908ELNS1_3gpuE7ELNS1_3repE0EEENS1_30default_config_static_selectorELNS0_4arch9wavefront6targetE1EEEvT1_.numbered_sgpr, 0
	.set _ZN7rocprim17ROCPRIM_400000_NS6detail17trampoline_kernelINS0_14default_configENS1_35adjacent_difference_config_selectorILb1EdEEZNS1_24adjacent_difference_implIS3_Lb1ELb0EPdN6thrust23THRUST_200600_302600_NS16discard_iteratorINS9_11use_defaultEEENS9_5minusIdEEEE10hipError_tPvRmT2_T3_mT4_P12ihipStream_tbEUlT_E_NS1_11comp_targetILNS1_3genE3ELNS1_11target_archE908ELNS1_3gpuE7ELNS1_3repE0EEENS1_30default_config_static_selectorELNS0_4arch9wavefront6targetE1EEEvT1_.num_named_barrier, 0
	.set _ZN7rocprim17ROCPRIM_400000_NS6detail17trampoline_kernelINS0_14default_configENS1_35adjacent_difference_config_selectorILb1EdEEZNS1_24adjacent_difference_implIS3_Lb1ELb0EPdN6thrust23THRUST_200600_302600_NS16discard_iteratorINS9_11use_defaultEEENS9_5minusIdEEEE10hipError_tPvRmT2_T3_mT4_P12ihipStream_tbEUlT_E_NS1_11comp_targetILNS1_3genE3ELNS1_11target_archE908ELNS1_3gpuE7ELNS1_3repE0EEENS1_30default_config_static_selectorELNS0_4arch9wavefront6targetE1EEEvT1_.private_seg_size, 0
	.set _ZN7rocprim17ROCPRIM_400000_NS6detail17trampoline_kernelINS0_14default_configENS1_35adjacent_difference_config_selectorILb1EdEEZNS1_24adjacent_difference_implIS3_Lb1ELb0EPdN6thrust23THRUST_200600_302600_NS16discard_iteratorINS9_11use_defaultEEENS9_5minusIdEEEE10hipError_tPvRmT2_T3_mT4_P12ihipStream_tbEUlT_E_NS1_11comp_targetILNS1_3genE3ELNS1_11target_archE908ELNS1_3gpuE7ELNS1_3repE0EEENS1_30default_config_static_selectorELNS0_4arch9wavefront6targetE1EEEvT1_.uses_vcc, 0
	.set _ZN7rocprim17ROCPRIM_400000_NS6detail17trampoline_kernelINS0_14default_configENS1_35adjacent_difference_config_selectorILb1EdEEZNS1_24adjacent_difference_implIS3_Lb1ELb0EPdN6thrust23THRUST_200600_302600_NS16discard_iteratorINS9_11use_defaultEEENS9_5minusIdEEEE10hipError_tPvRmT2_T3_mT4_P12ihipStream_tbEUlT_E_NS1_11comp_targetILNS1_3genE3ELNS1_11target_archE908ELNS1_3gpuE7ELNS1_3repE0EEENS1_30default_config_static_selectorELNS0_4arch9wavefront6targetE1EEEvT1_.uses_flat_scratch, 0
	.set _ZN7rocprim17ROCPRIM_400000_NS6detail17trampoline_kernelINS0_14default_configENS1_35adjacent_difference_config_selectorILb1EdEEZNS1_24adjacent_difference_implIS3_Lb1ELb0EPdN6thrust23THRUST_200600_302600_NS16discard_iteratorINS9_11use_defaultEEENS9_5minusIdEEEE10hipError_tPvRmT2_T3_mT4_P12ihipStream_tbEUlT_E_NS1_11comp_targetILNS1_3genE3ELNS1_11target_archE908ELNS1_3gpuE7ELNS1_3repE0EEENS1_30default_config_static_selectorELNS0_4arch9wavefront6targetE1EEEvT1_.has_dyn_sized_stack, 0
	.set _ZN7rocprim17ROCPRIM_400000_NS6detail17trampoline_kernelINS0_14default_configENS1_35adjacent_difference_config_selectorILb1EdEEZNS1_24adjacent_difference_implIS3_Lb1ELb0EPdN6thrust23THRUST_200600_302600_NS16discard_iteratorINS9_11use_defaultEEENS9_5minusIdEEEE10hipError_tPvRmT2_T3_mT4_P12ihipStream_tbEUlT_E_NS1_11comp_targetILNS1_3genE3ELNS1_11target_archE908ELNS1_3gpuE7ELNS1_3repE0EEENS1_30default_config_static_selectorELNS0_4arch9wavefront6targetE1EEEvT1_.has_recursion, 0
	.set _ZN7rocprim17ROCPRIM_400000_NS6detail17trampoline_kernelINS0_14default_configENS1_35adjacent_difference_config_selectorILb1EdEEZNS1_24adjacent_difference_implIS3_Lb1ELb0EPdN6thrust23THRUST_200600_302600_NS16discard_iteratorINS9_11use_defaultEEENS9_5minusIdEEEE10hipError_tPvRmT2_T3_mT4_P12ihipStream_tbEUlT_E_NS1_11comp_targetILNS1_3genE3ELNS1_11target_archE908ELNS1_3gpuE7ELNS1_3repE0EEENS1_30default_config_static_selectorELNS0_4arch9wavefront6targetE1EEEvT1_.has_indirect_call, 0
	.section	.AMDGPU.csdata,"",@progbits
; Kernel info:
; codeLenInByte = 0
; TotalNumSgprs: 4
; NumVgprs: 0
; ScratchSize: 0
; MemoryBound: 0
; FloatMode: 240
; IeeeMode: 1
; LDSByteSize: 0 bytes/workgroup (compile time only)
; SGPRBlocks: 0
; VGPRBlocks: 0
; NumSGPRsForWavesPerEU: 4
; NumVGPRsForWavesPerEU: 1
; Occupancy: 10
; WaveLimiterHint : 0
; COMPUTE_PGM_RSRC2:SCRATCH_EN: 0
; COMPUTE_PGM_RSRC2:USER_SGPR: 6
; COMPUTE_PGM_RSRC2:TRAP_HANDLER: 0
; COMPUTE_PGM_RSRC2:TGID_X_EN: 1
; COMPUTE_PGM_RSRC2:TGID_Y_EN: 0
; COMPUTE_PGM_RSRC2:TGID_Z_EN: 0
; COMPUTE_PGM_RSRC2:TIDIG_COMP_CNT: 0
	.section	.text._ZN7rocprim17ROCPRIM_400000_NS6detail17trampoline_kernelINS0_14default_configENS1_35adjacent_difference_config_selectorILb1EdEEZNS1_24adjacent_difference_implIS3_Lb1ELb0EPdN6thrust23THRUST_200600_302600_NS16discard_iteratorINS9_11use_defaultEEENS9_5minusIdEEEE10hipError_tPvRmT2_T3_mT4_P12ihipStream_tbEUlT_E_NS1_11comp_targetILNS1_3genE2ELNS1_11target_archE906ELNS1_3gpuE6ELNS1_3repE0EEENS1_30default_config_static_selectorELNS0_4arch9wavefront6targetE1EEEvT1_,"axG",@progbits,_ZN7rocprim17ROCPRIM_400000_NS6detail17trampoline_kernelINS0_14default_configENS1_35adjacent_difference_config_selectorILb1EdEEZNS1_24adjacent_difference_implIS3_Lb1ELb0EPdN6thrust23THRUST_200600_302600_NS16discard_iteratorINS9_11use_defaultEEENS9_5minusIdEEEE10hipError_tPvRmT2_T3_mT4_P12ihipStream_tbEUlT_E_NS1_11comp_targetILNS1_3genE2ELNS1_11target_archE906ELNS1_3gpuE6ELNS1_3repE0EEENS1_30default_config_static_selectorELNS0_4arch9wavefront6targetE1EEEvT1_,comdat
	.protected	_ZN7rocprim17ROCPRIM_400000_NS6detail17trampoline_kernelINS0_14default_configENS1_35adjacent_difference_config_selectorILb1EdEEZNS1_24adjacent_difference_implIS3_Lb1ELb0EPdN6thrust23THRUST_200600_302600_NS16discard_iteratorINS9_11use_defaultEEENS9_5minusIdEEEE10hipError_tPvRmT2_T3_mT4_P12ihipStream_tbEUlT_E_NS1_11comp_targetILNS1_3genE2ELNS1_11target_archE906ELNS1_3gpuE6ELNS1_3repE0EEENS1_30default_config_static_selectorELNS0_4arch9wavefront6targetE1EEEvT1_ ; -- Begin function _ZN7rocprim17ROCPRIM_400000_NS6detail17trampoline_kernelINS0_14default_configENS1_35adjacent_difference_config_selectorILb1EdEEZNS1_24adjacent_difference_implIS3_Lb1ELb0EPdN6thrust23THRUST_200600_302600_NS16discard_iteratorINS9_11use_defaultEEENS9_5minusIdEEEE10hipError_tPvRmT2_T3_mT4_P12ihipStream_tbEUlT_E_NS1_11comp_targetILNS1_3genE2ELNS1_11target_archE906ELNS1_3gpuE6ELNS1_3repE0EEENS1_30default_config_static_selectorELNS0_4arch9wavefront6targetE1EEEvT1_
	.globl	_ZN7rocprim17ROCPRIM_400000_NS6detail17trampoline_kernelINS0_14default_configENS1_35adjacent_difference_config_selectorILb1EdEEZNS1_24adjacent_difference_implIS3_Lb1ELb0EPdN6thrust23THRUST_200600_302600_NS16discard_iteratorINS9_11use_defaultEEENS9_5minusIdEEEE10hipError_tPvRmT2_T3_mT4_P12ihipStream_tbEUlT_E_NS1_11comp_targetILNS1_3genE2ELNS1_11target_archE906ELNS1_3gpuE6ELNS1_3repE0EEENS1_30default_config_static_selectorELNS0_4arch9wavefront6targetE1EEEvT1_
	.p2align	8
	.type	_ZN7rocprim17ROCPRIM_400000_NS6detail17trampoline_kernelINS0_14default_configENS1_35adjacent_difference_config_selectorILb1EdEEZNS1_24adjacent_difference_implIS3_Lb1ELb0EPdN6thrust23THRUST_200600_302600_NS16discard_iteratorINS9_11use_defaultEEENS9_5minusIdEEEE10hipError_tPvRmT2_T3_mT4_P12ihipStream_tbEUlT_E_NS1_11comp_targetILNS1_3genE2ELNS1_11target_archE906ELNS1_3gpuE6ELNS1_3repE0EEENS1_30default_config_static_selectorELNS0_4arch9wavefront6targetE1EEEvT1_,@function
_ZN7rocprim17ROCPRIM_400000_NS6detail17trampoline_kernelINS0_14default_configENS1_35adjacent_difference_config_selectorILb1EdEEZNS1_24adjacent_difference_implIS3_Lb1ELb0EPdN6thrust23THRUST_200600_302600_NS16discard_iteratorINS9_11use_defaultEEENS9_5minusIdEEEE10hipError_tPvRmT2_T3_mT4_P12ihipStream_tbEUlT_E_NS1_11comp_targetILNS1_3genE2ELNS1_11target_archE906ELNS1_3gpuE6ELNS1_3repE0EEENS1_30default_config_static_selectorELNS0_4arch9wavefront6targetE1EEEvT1_: ; @_ZN7rocprim17ROCPRIM_400000_NS6detail17trampoline_kernelINS0_14default_configENS1_35adjacent_difference_config_selectorILb1EdEEZNS1_24adjacent_difference_implIS3_Lb1ELb0EPdN6thrust23THRUST_200600_302600_NS16discard_iteratorINS9_11use_defaultEEENS9_5minusIdEEEE10hipError_tPvRmT2_T3_mT4_P12ihipStream_tbEUlT_E_NS1_11comp_targetILNS1_3genE2ELNS1_11target_archE906ELNS1_3gpuE6ELNS1_3repE0EEENS1_30default_config_static_selectorELNS0_4arch9wavefront6targetE1EEEvT1_
; %bb.0:
	s_load_dwordx4 s[12:15], s[4:5], 0x0
	s_load_dwordx2 s[2:3], s[4:5], 0x20
	s_load_dwordx4 s[8:11], s[4:5], 0x30
	s_mul_i32 s16, s6, 0x580
	s_mov_b32 s7, 0
	s_waitcnt lgkmcnt(0)
	s_lshl_b64 s[0:1], s[14:15], 3
	s_add_u32 s22, s12, s0
	s_addc_u32 s23, s13, s1
	s_mul_i32 s5, s3, 0xba2e8ba3
	s_mul_hi_u32 s12, s2, 0xba2e8ba3
	s_mul_hi_u32 s4, s3, 0xba2e8ba3
	s_add_u32 s5, s5, s12
	s_mul_i32 s1, s2, 0x2e8ba2e8
	s_addc_u32 s4, s4, 0
	s_mul_hi_u32 s0, s2, 0x2e8ba2e8
	s_add_u32 s1, s1, s5
	s_addc_u32 s0, s0, 0
	s_add_u32 s0, s4, s0
	s_addc_u32 s1, 0, 0
	s_mul_i32 s5, s3, 0x2e8ba2e8
	s_mul_hi_u32 s4, s3, 0x2e8ba2e8
	s_add_u32 s0, s5, s0
	s_addc_u32 s1, s4, s1
	s_lshr_b64 s[4:5], s[0:1], 8
	s_lshr_b32 s0, s1, 8
	s_mulk_i32 s0, 0x580
	s_mul_hi_u32 s1, s4, 0x580
	s_add_i32 s1, s1, s0
	s_mul_i32 s0, s4, 0x580
	s_sub_u32 s0, s2, s0
	s_subb_u32 s1, s3, s1
	s_cmp_lg_u64 s[0:1], 0
	s_cselect_b64 s[0:1], -1, 0
	v_cndmask_b32_e64 v1, 0, 1, s[0:1]
	v_readfirstlane_b32 s0, v1
	s_add_u32 s4, s4, s0
	s_addc_u32 s5, s5, 0
	s_add_u32 s12, s10, s6
	s_addc_u32 s13, s11, 0
	s_add_u32 s14, s4, -1
	s_addc_u32 s15, s5, -1
	v_mov_b32_e32 v1, s14
	v_mov_b32_e32 v2, s15
	v_cmp_ge_u64_e64 s[0:1], s[12:13], v[1:2]
	s_mov_b64 s[18:19], -1
	s_and_b64 vcc, exec, s[0:1]
	s_cbranch_vccz .LBB787_24
; %bb.1:
	s_mul_i32 s3, s14, 0xfffffa80
	s_mov_b32 s17, s7
	s_add_i32 s3, s3, s2
	s_lshl_b64 s[18:19], s[16:17], 3
	s_add_u32 s18, s22, s18
	s_addc_u32 s19, s23, s19
	v_cmp_gt_u32_e32 vcc, s3, v0
                                        ; implicit-def: $vgpr1_vgpr2
	s_and_saveexec_b64 s[20:21], vcc
	s_cbranch_execz .LBB787_3
; %bb.2:
	v_lshlrev_b32_e32 v1, 3, v0
	global_load_dwordx2 v[1:2], v1, s[18:19]
.LBB787_3:
	s_or_b64 exec, exec, s[20:21]
	v_or_b32_e32 v3, 0x80, v0
	v_cmp_gt_u32_e32 vcc, s3, v3
                                        ; implicit-def: $vgpr3_vgpr4
	s_and_saveexec_b64 s[20:21], vcc
	s_cbranch_execz .LBB787_5
; %bb.4:
	v_lshlrev_b32_e32 v3, 3, v0
	global_load_dwordx2 v[3:4], v3, s[18:19] offset:1024
.LBB787_5:
	s_or_b64 exec, exec, s[20:21]
	v_or_b32_e32 v5, 0x100, v0
	v_cmp_gt_u32_e32 vcc, s3, v5
                                        ; implicit-def: $vgpr5_vgpr6
	s_and_saveexec_b64 s[20:21], vcc
	s_cbranch_execz .LBB787_7
; %bb.6:
	v_lshlrev_b32_e32 v5, 3, v0
	global_load_dwordx2 v[5:6], v5, s[18:19] offset:2048
.LBB787_7:
	s_or_b64 exec, exec, s[20:21]
	v_or_b32_e32 v7, 0x180, v0
	v_cmp_gt_u32_e32 vcc, s3, v7
                                        ; implicit-def: $vgpr7_vgpr8
	s_and_saveexec_b64 s[20:21], vcc
	s_cbranch_execz .LBB787_9
; %bb.8:
	v_lshlrev_b32_e32 v7, 3, v0
	global_load_dwordx2 v[7:8], v7, s[18:19] offset:3072
.LBB787_9:
	s_or_b64 exec, exec, s[20:21]
	v_or_b32_e32 v11, 0x200, v0
	v_cmp_gt_u32_e32 vcc, s3, v11
                                        ; implicit-def: $vgpr9_vgpr10
	s_and_saveexec_b64 s[20:21], vcc
	s_cbranch_execz .LBB787_11
; %bb.10:
	v_lshlrev_b32_e32 v9, 3, v11
	global_load_dwordx2 v[9:10], v9, s[18:19]
.LBB787_11:
	s_or_b64 exec, exec, s[20:21]
	v_or_b32_e32 v13, 0x280, v0
	v_cmp_gt_u32_e32 vcc, s3, v13
                                        ; implicit-def: $vgpr11_vgpr12
	s_and_saveexec_b64 s[20:21], vcc
	s_cbranch_execz .LBB787_13
; %bb.12:
	v_lshlrev_b32_e32 v11, 3, v13
	global_load_dwordx2 v[11:12], v11, s[18:19]
.LBB787_13:
	s_or_b64 exec, exec, s[20:21]
	v_or_b32_e32 v15, 0x300, v0
	v_cmp_gt_u32_e32 vcc, s3, v15
                                        ; implicit-def: $vgpr13_vgpr14
	s_and_saveexec_b64 s[20:21], vcc
	s_cbranch_execz .LBB787_15
; %bb.14:
	v_lshlrev_b32_e32 v13, 3, v15
	global_load_dwordx2 v[13:14], v13, s[18:19]
.LBB787_15:
	s_or_b64 exec, exec, s[20:21]
	v_or_b32_e32 v17, 0x380, v0
	v_cmp_gt_u32_e32 vcc, s3, v17
                                        ; implicit-def: $vgpr15_vgpr16
	s_and_saveexec_b64 s[20:21], vcc
	s_cbranch_execz .LBB787_17
; %bb.16:
	v_lshlrev_b32_e32 v15, 3, v17
	global_load_dwordx2 v[15:16], v15, s[18:19]
.LBB787_17:
	s_or_b64 exec, exec, s[20:21]
	v_or_b32_e32 v19, 0x400, v0
	v_cmp_gt_u32_e32 vcc, s3, v19
                                        ; implicit-def: $vgpr17_vgpr18
	s_and_saveexec_b64 s[20:21], vcc
	s_cbranch_execz .LBB787_19
; %bb.18:
	v_lshlrev_b32_e32 v17, 3, v19
	global_load_dwordx2 v[17:18], v17, s[18:19]
.LBB787_19:
	s_or_b64 exec, exec, s[20:21]
	v_or_b32_e32 v21, 0x480, v0
	v_cmp_gt_u32_e32 vcc, s3, v21
                                        ; implicit-def: $vgpr19_vgpr20
	s_and_saveexec_b64 s[20:21], vcc
	s_cbranch_execz .LBB787_21
; %bb.20:
	v_lshlrev_b32_e32 v19, 3, v21
	global_load_dwordx2 v[19:20], v19, s[18:19]
.LBB787_21:
	s_or_b64 exec, exec, s[20:21]
	v_or_b32_e32 v23, 0x500, v0
	v_cmp_gt_u32_e32 vcc, s3, v23
                                        ; implicit-def: $vgpr21_vgpr22
	s_and_saveexec_b64 s[20:21], vcc
	s_cbranch_execz .LBB787_23
; %bb.22:
	v_lshlrev_b32_e32 v21, 3, v23
	global_load_dwordx2 v[21:22], v21, s[18:19]
.LBB787_23:
	s_or_b64 exec, exec, s[20:21]
	v_lshlrev_b32_e32 v23, 3, v0
	s_mov_b64 s[18:19], 0
	s_waitcnt vmcnt(0)
	ds_write2st64_b64 v23, v[1:2], v[3:4] offset1:2
	ds_write2st64_b64 v23, v[5:6], v[7:8] offset0:4 offset1:6
	ds_write2st64_b64 v23, v[9:10], v[11:12] offset0:8 offset1:10
	;; [unrolled: 1-line block ×4, first 2 shown]
	ds_write_b64 v23, v[21:22] offset:10240
	s_waitcnt lgkmcnt(0)
	s_barrier
.LBB787_24:
	s_and_b64 vcc, exec, s[18:19]
	v_lshlrev_b32_e32 v45, 3, v0
	s_cbranch_vccz .LBB787_26
; %bb.25:
	s_mov_b32 s17, 0
	s_lshl_b64 s[16:17], s[16:17], 3
	s_add_u32 s16, s22, s16
	s_addc_u32 s17, s23, s17
	v_mov_b32_e32 v1, s17
	v_add_co_u32_e32 v19, vcc, s16, v45
	v_addc_co_u32_e32 v20, vcc, 0, v1, vcc
	v_add_co_u32_e32 v9, vcc, 0x1000, v19
	v_addc_co_u32_e32 v10, vcc, 0, v20, vcc
	global_load_dwordx2 v[1:2], v45, s[16:17]
	global_load_dwordx2 v[3:4], v45, s[16:17] offset:1024
	global_load_dwordx2 v[5:6], v45, s[16:17] offset:2048
	;; [unrolled: 1-line block ×3, first 2 shown]
	global_load_dwordx2 v[11:12], v[9:10], off
	global_load_dwordx2 v[13:14], v[9:10], off offset:1024
	global_load_dwordx2 v[15:16], v[9:10], off offset:2048
	;; [unrolled: 1-line block ×3, first 2 shown]
	v_add_co_u32_e32 v9, vcc, 0x2000, v19
	v_addc_co_u32_e32 v10, vcc, 0, v20, vcc
	global_load_dwordx2 v[19:20], v[9:10], off
	global_load_dwordx2 v[21:22], v[9:10], off offset:1024
	global_load_dwordx2 v[23:24], v[9:10], off offset:2048
	s_waitcnt vmcnt(9)
	ds_write2st64_b64 v45, v[1:2], v[3:4] offset1:2
	s_waitcnt vmcnt(7)
	ds_write2st64_b64 v45, v[5:6], v[7:8] offset0:4 offset1:6
	s_waitcnt vmcnt(5)
	ds_write2st64_b64 v45, v[11:12], v[13:14] offset0:8 offset1:10
	;; [unrolled: 2-line block ×4, first 2 shown]
	s_waitcnt vmcnt(0)
	ds_write_b64 v45, v[23:24] offset:10240
	s_waitcnt lgkmcnt(0)
	s_barrier
.LBB787_26:
	v_mul_u32_u24_e32 v21, 0x58, v0
	ds_read2_b64 v[1:4], v21 offset1:1
	ds_read2_b64 v[5:8], v21 offset0:2 offset1:3
	ds_read2_b64 v[9:12], v21 offset0:4 offset1:5
	;; [unrolled: 1-line block ×4, first 2 shown]
	ds_read_b64 v[27:28], v21 offset:80
	s_cmp_eq_u64 s[12:13], 0
	s_waitcnt lgkmcnt(0)
	s_barrier
	s_cbranch_scc1 .LBB787_31
; %bb.27:
	s_lshl_b64 s[10:11], s[10:11], 3
	s_add_u32 s3, s8, s10
	s_addc_u32 s8, s9, s11
	s_lshl_b64 s[6:7], s[6:7], 3
	s_add_u32 s3, s3, s6
	s_addc_u32 s7, s8, s7
	s_add_u32 s6, s3, -8
	s_addc_u32 s7, s7, -1
	s_load_dwordx2 s[6:7], s[6:7], 0x0
	s_cmp_eq_u64 s[12:13], s[14:15]
	s_cbranch_scc1 .LBB787_32
; %bb.28:
	s_waitcnt lgkmcnt(0)
	v_mov_b32_e32 v44, s7
	v_cmp_ne_u32_e32 vcc, 0, v0
	v_mov_b32_e32 v43, s6
	ds_write_b64 v45, v[27:28]
	s_waitcnt lgkmcnt(0)
	s_barrier
	s_and_saveexec_b64 s[8:9], vcc
; %bb.29:
	v_add_u32_e32 v21, -8, v45
	ds_read_b64 v[43:44], v21
; %bb.30:
	s_or_b64 exec, exec, s[8:9]
	v_add_f64 v[21:22], v[27:28], -v[19:20]
	v_add_f64 v[23:24], v[19:20], -v[17:18]
	v_add_f64 v[25:26], v[17:18], -v[15:16]
	v_add_f64 v[29:30], v[15:16], -v[13:14]
	v_add_f64 v[31:32], v[13:14], -v[11:12]
	v_add_f64 v[35:36], v[11:12], -v[9:10]
	v_add_f64 v[33:34], v[9:10], -v[7:8]
	v_add_f64 v[39:40], v[7:8], -v[5:6]
	v_add_f64 v[37:38], v[5:6], -v[3:4]
	v_add_f64 v[41:42], v[3:4], -v[1:2]
	s_waitcnt lgkmcnt(0)
	v_add_f64 v[43:44], v[1:2], -v[43:44]
	s_branch .LBB787_36
.LBB787_31:
                                        ; implicit-def: $vgpr43_vgpr44
                                        ; implicit-def: $vgpr37_vgpr38
                                        ; implicit-def: $vgpr33_vgpr34
                                        ; implicit-def: $vgpr31_vgpr32
                                        ; implicit-def: $vgpr25_vgpr26
                                        ; implicit-def: $vgpr21_vgpr22
                                        ; implicit-def: $vgpr23_vgpr24
                                        ; implicit-def: $vgpr29_vgpr30
                                        ; implicit-def: $vgpr35_vgpr36
                                        ; implicit-def: $vgpr39_vgpr40
                                        ; implicit-def: $vgpr41_vgpr42
	s_branch .LBB787_37
.LBB787_32:
                                        ; implicit-def: $vgpr43_vgpr44
                                        ; implicit-def: $vgpr37_vgpr38
                                        ; implicit-def: $vgpr33_vgpr34
                                        ; implicit-def: $vgpr31_vgpr32
                                        ; implicit-def: $vgpr25_vgpr26
                                        ; implicit-def: $vgpr21_vgpr22
                                        ; implicit-def: $vgpr23_vgpr24
                                        ; implicit-def: $vgpr29_vgpr30
                                        ; implicit-def: $vgpr35_vgpr36
                                        ; implicit-def: $vgpr39_vgpr40
                                        ; implicit-def: $vgpr41_vgpr42
	s_cbranch_execz .LBB787_36
; %bb.33:
	s_waitcnt lgkmcnt(0)
	v_mov_b32_e32 v38, s7
	v_mul_u32_u24_e32 v43, 11, v0
	v_cmp_ne_u32_e32 vcc, 0, v0
	v_mov_b32_e32 v37, s6
	ds_write_b64 v45, v[27:28]
	s_waitcnt lgkmcnt(0)
	s_barrier
	s_and_saveexec_b64 s[6:7], vcc
; %bb.34:
	v_add_u32_e32 v21, -8, v45
	ds_read_b64 v[37:38], v21
; %bb.35:
	s_or_b64 exec, exec, s[6:7]
	v_add_f64 v[21:22], v[27:28], -v[19:20]
	v_add_f64 v[23:24], v[19:20], -v[17:18]
	;; [unrolled: 1-line block ×3, first 2 shown]
	s_mul_i32 s3, s12, 0xfffffa80
	v_add_u32_e32 v29, 10, v43
	s_add_i32 s3, s3, s2
	v_cmp_gt_u32_e32 vcc, s3, v29
	v_add_u32_e32 v29, 9, v43
	v_cndmask_b32_e32 v22, v28, v22, vcc
	v_cndmask_b32_e32 v21, v27, v21, vcc
	v_cmp_gt_u32_e32 vcc, s3, v29
	v_add_f64 v[29:30], v[15:16], -v[13:14]
	v_add_u32_e32 v31, 8, v43
	v_cndmask_b32_e32 v24, v20, v24, vcc
	v_cndmask_b32_e32 v23, v19, v23, vcc
	v_cmp_gt_u32_e32 vcc, s3, v31
	v_add_f64 v[31:32], v[13:14], -v[11:12]
	;; [unrolled: 5-line block ×3, first 2 shown]
	v_add_f64 v[39:40], v[9:10], -v[7:8]
	v_add_f64 v[41:42], v[7:8], -v[5:6]
	v_add_u32_e32 v35, 6, v43
	v_cndmask_b32_e32 v30, v16, v30, vcc
	v_cndmask_b32_e32 v29, v15, v29, vcc
	v_cmp_gt_u32_e32 vcc, s3, v35
	v_add_u32_e32 v35, 5, v43
	v_cndmask_b32_e32 v32, v14, v32, vcc
	v_cndmask_b32_e32 v31, v13, v31, vcc
	v_cmp_gt_u32_e32 vcc, s3, v35
	v_cndmask_b32_e32 v35, v11, v33, vcc
	v_add_u32_e32 v33, 4, v43
	v_cndmask_b32_e32 v36, v12, v34, vcc
	v_cmp_gt_u32_e32 vcc, s3, v33
	v_cndmask_b32_e32 v33, v9, v39, vcc
	v_add_u32_e32 v39, 3, v43
	v_cndmask_b32_e32 v34, v10, v40, vcc
	v_add_f64 v[46:47], v[5:6], -v[3:4]
	v_cmp_gt_u32_e32 vcc, s3, v39
	v_cndmask_b32_e32 v40, v8, v42, vcc
	v_cndmask_b32_e32 v39, v7, v41, vcc
	v_add_f64 v[41:42], v[3:4], -v[1:2]
	s_waitcnt lgkmcnt(0)
	v_add_f64 v[48:49], v[1:2], -v[37:38]
	v_add_u32_e32 v44, 2, v43
	v_cmp_gt_u32_e32 vcc, s3, v44
	v_add_u32_e32 v44, 1, v43
	v_cndmask_b32_e32 v38, v6, v47, vcc
	v_cndmask_b32_e32 v37, v5, v46, vcc
	v_cmp_gt_u32_e32 vcc, s3, v44
	v_cndmask_b32_e32 v42, v4, v42, vcc
	v_cndmask_b32_e32 v41, v3, v41, vcc
	v_cmp_gt_u32_e32 vcc, s3, v43
	v_cndmask_b32_e32 v44, v2, v49, vcc
	v_cndmask_b32_e32 v43, v1, v48, vcc
.LBB787_36:
	s_waitcnt lgkmcnt(0)
	s_cbranch_execnz .LBB787_46
.LBB787_37:
	v_add_f64 v[21:22], v[27:28], -v[19:20]
	v_add_f64 v[23:24], v[19:20], -v[17:18]
	;; [unrolled: 1-line block ×10, first 2 shown]
	s_cmp_eq_u64 s[4:5], 1
	v_cmp_ne_u32_e32 vcc, 0, v0
	s_cbranch_scc1 .LBB787_41
; %bb.38:
	v_mov_b32_e32 v44, v2
	v_mov_b32_e32 v46, 0
	;; [unrolled: 1-line block ×3, first 2 shown]
	ds_write_b64 v45, v[27:28]
	s_waitcnt lgkmcnt(0)
	s_barrier
	s_and_saveexec_b64 s[4:5], vcc
	s_cbranch_execz .LBB787_40
; %bb.39:
	v_add_u32_e32 v43, -8, v45
	ds_read_b64 v[43:44], v43
	v_mov_b32_e32 v46, v0
	s_waitcnt lgkmcnt(0)
	v_add_f64 v[43:44], v[1:2], -v[43:44]
.LBB787_40:
	s_or_b64 exec, exec, s[4:5]
	s_cbranch_execz .LBB787_42
	s_branch .LBB787_45
.LBB787_41:
                                        ; implicit-def: $vgpr46
                                        ; implicit-def: $vgpr43_vgpr44
.LBB787_42:
	v_mul_u32_u24_e32 v43, 11, v0
	v_add_u32_e32 v44, 10, v43
	v_cmp_gt_u32_e32 vcc, s2, v44
	ds_write_b64 v45, v[27:28]
	v_cndmask_b32_e32 v21, v27, v21, vcc
	v_add_u32_e32 v27, 9, v43
	v_cndmask_b32_e32 v22, v28, v22, vcc
	v_cmp_gt_u32_e32 vcc, s2, v27
	v_cndmask_b32_e32 v23, v19, v23, vcc
	v_add_u32_e32 v19, 8, v43
	v_cndmask_b32_e32 v24, v20, v24, vcc
	v_cmp_gt_u32_e32 vcc, s2, v19
	;; [unrolled: 4-line block ×9, first 2 shown]
	v_cndmask_b32_e32 v42, v4, v42, vcc
	v_cndmask_b32_e32 v41, v3, v41, vcc
	v_cmp_ne_u32_e32 vcc, 0, v0
	v_cmp_gt_u32_e64 s[2:3], s2, v43
	s_and_b64 s[4:5], vcc, s[2:3]
	s_waitcnt lgkmcnt(0)
	s_barrier
	s_and_saveexec_b64 s[2:3], s[4:5]
	s_cbranch_execz .LBB787_44
; %bb.43:
	v_add_u32_e32 v3, -8, v45
	ds_read_b64 v[3:4], v3
	s_waitcnt lgkmcnt(0)
	v_add_f64 v[1:2], v[1:2], -v[3:4]
.LBB787_44:
	s_or_b64 exec, exec, s[2:3]
	v_mov_b32_e32 v44, v2
	v_mov_b32_e32 v43, v1
	v_mov_b32_e32 v46, v0
.LBB787_45:
	v_mov_b32_e32 v0, v46
.LBB787_46:
	v_mul_u32_u24_e32 v0, 0x58, v0
	s_mov_b64 s[2:3], -1
	s_and_b64 vcc, exec, s[0:1]
	s_barrier
	ds_write2_b64 v0, v[43:44], v[41:42] offset1:1
	ds_write2_b64 v0, v[37:38], v[39:40] offset0:2 offset1:3
	ds_write2_b64 v0, v[33:34], v[35:36] offset0:4 offset1:5
	;; [unrolled: 1-line block ×4, first 2 shown]
	ds_write_b64 v0, v[21:22] offset:80
	s_waitcnt lgkmcnt(0)
	s_cbranch_vccnz .LBB787_49
; %bb.47:
	s_andn2_b64 vcc, exec, s[2:3]
	s_cbranch_vccz .LBB787_50
.LBB787_48:
	s_endpgm
.LBB787_49:
	s_barrier
	s_cbranch_execnz .LBB787_48
.LBB787_50:
	s_barrier
	s_endpgm
	.section	.rodata,"a",@progbits
	.p2align	6, 0x0
	.amdhsa_kernel _ZN7rocprim17ROCPRIM_400000_NS6detail17trampoline_kernelINS0_14default_configENS1_35adjacent_difference_config_selectorILb1EdEEZNS1_24adjacent_difference_implIS3_Lb1ELb0EPdN6thrust23THRUST_200600_302600_NS16discard_iteratorINS9_11use_defaultEEENS9_5minusIdEEEE10hipError_tPvRmT2_T3_mT4_P12ihipStream_tbEUlT_E_NS1_11comp_targetILNS1_3genE2ELNS1_11target_archE906ELNS1_3gpuE6ELNS1_3repE0EEENS1_30default_config_static_selectorELNS0_4arch9wavefront6targetE1EEEvT1_
		.amdhsa_group_segment_fixed_size 11264
		.amdhsa_private_segment_fixed_size 0
		.amdhsa_kernarg_size 64
		.amdhsa_user_sgpr_count 6
		.amdhsa_user_sgpr_private_segment_buffer 1
		.amdhsa_user_sgpr_dispatch_ptr 0
		.amdhsa_user_sgpr_queue_ptr 0
		.amdhsa_user_sgpr_kernarg_segment_ptr 1
		.amdhsa_user_sgpr_dispatch_id 0
		.amdhsa_user_sgpr_flat_scratch_init 0
		.amdhsa_user_sgpr_private_segment_size 0
		.amdhsa_uses_dynamic_stack 0
		.amdhsa_system_sgpr_private_segment_wavefront_offset 0
		.amdhsa_system_sgpr_workgroup_id_x 1
		.amdhsa_system_sgpr_workgroup_id_y 0
		.amdhsa_system_sgpr_workgroup_id_z 0
		.amdhsa_system_sgpr_workgroup_info 0
		.amdhsa_system_vgpr_workitem_id 0
		.amdhsa_next_free_vgpr 65
		.amdhsa_next_free_sgpr 98
		.amdhsa_reserve_vcc 1
		.amdhsa_reserve_flat_scratch 0
		.amdhsa_float_round_mode_32 0
		.amdhsa_float_round_mode_16_64 0
		.amdhsa_float_denorm_mode_32 3
		.amdhsa_float_denorm_mode_16_64 3
		.amdhsa_dx10_clamp 1
		.amdhsa_ieee_mode 1
		.amdhsa_fp16_overflow 0
		.amdhsa_exception_fp_ieee_invalid_op 0
		.amdhsa_exception_fp_denorm_src 0
		.amdhsa_exception_fp_ieee_div_zero 0
		.amdhsa_exception_fp_ieee_overflow 0
		.amdhsa_exception_fp_ieee_underflow 0
		.amdhsa_exception_fp_ieee_inexact 0
		.amdhsa_exception_int_div_zero 0
	.end_amdhsa_kernel
	.section	.text._ZN7rocprim17ROCPRIM_400000_NS6detail17trampoline_kernelINS0_14default_configENS1_35adjacent_difference_config_selectorILb1EdEEZNS1_24adjacent_difference_implIS3_Lb1ELb0EPdN6thrust23THRUST_200600_302600_NS16discard_iteratorINS9_11use_defaultEEENS9_5minusIdEEEE10hipError_tPvRmT2_T3_mT4_P12ihipStream_tbEUlT_E_NS1_11comp_targetILNS1_3genE2ELNS1_11target_archE906ELNS1_3gpuE6ELNS1_3repE0EEENS1_30default_config_static_selectorELNS0_4arch9wavefront6targetE1EEEvT1_,"axG",@progbits,_ZN7rocprim17ROCPRIM_400000_NS6detail17trampoline_kernelINS0_14default_configENS1_35adjacent_difference_config_selectorILb1EdEEZNS1_24adjacent_difference_implIS3_Lb1ELb0EPdN6thrust23THRUST_200600_302600_NS16discard_iteratorINS9_11use_defaultEEENS9_5minusIdEEEE10hipError_tPvRmT2_T3_mT4_P12ihipStream_tbEUlT_E_NS1_11comp_targetILNS1_3genE2ELNS1_11target_archE906ELNS1_3gpuE6ELNS1_3repE0EEENS1_30default_config_static_selectorELNS0_4arch9wavefront6targetE1EEEvT1_,comdat
.Lfunc_end787:
	.size	_ZN7rocprim17ROCPRIM_400000_NS6detail17trampoline_kernelINS0_14default_configENS1_35adjacent_difference_config_selectorILb1EdEEZNS1_24adjacent_difference_implIS3_Lb1ELb0EPdN6thrust23THRUST_200600_302600_NS16discard_iteratorINS9_11use_defaultEEENS9_5minusIdEEEE10hipError_tPvRmT2_T3_mT4_P12ihipStream_tbEUlT_E_NS1_11comp_targetILNS1_3genE2ELNS1_11target_archE906ELNS1_3gpuE6ELNS1_3repE0EEENS1_30default_config_static_selectorELNS0_4arch9wavefront6targetE1EEEvT1_, .Lfunc_end787-_ZN7rocprim17ROCPRIM_400000_NS6detail17trampoline_kernelINS0_14default_configENS1_35adjacent_difference_config_selectorILb1EdEEZNS1_24adjacent_difference_implIS3_Lb1ELb0EPdN6thrust23THRUST_200600_302600_NS16discard_iteratorINS9_11use_defaultEEENS9_5minusIdEEEE10hipError_tPvRmT2_T3_mT4_P12ihipStream_tbEUlT_E_NS1_11comp_targetILNS1_3genE2ELNS1_11target_archE906ELNS1_3gpuE6ELNS1_3repE0EEENS1_30default_config_static_selectorELNS0_4arch9wavefront6targetE1EEEvT1_
                                        ; -- End function
	.set _ZN7rocprim17ROCPRIM_400000_NS6detail17trampoline_kernelINS0_14default_configENS1_35adjacent_difference_config_selectorILb1EdEEZNS1_24adjacent_difference_implIS3_Lb1ELb0EPdN6thrust23THRUST_200600_302600_NS16discard_iteratorINS9_11use_defaultEEENS9_5minusIdEEEE10hipError_tPvRmT2_T3_mT4_P12ihipStream_tbEUlT_E_NS1_11comp_targetILNS1_3genE2ELNS1_11target_archE906ELNS1_3gpuE6ELNS1_3repE0EEENS1_30default_config_static_selectorELNS0_4arch9wavefront6targetE1EEEvT1_.num_vgpr, 50
	.set _ZN7rocprim17ROCPRIM_400000_NS6detail17trampoline_kernelINS0_14default_configENS1_35adjacent_difference_config_selectorILb1EdEEZNS1_24adjacent_difference_implIS3_Lb1ELb0EPdN6thrust23THRUST_200600_302600_NS16discard_iteratorINS9_11use_defaultEEENS9_5minusIdEEEE10hipError_tPvRmT2_T3_mT4_P12ihipStream_tbEUlT_E_NS1_11comp_targetILNS1_3genE2ELNS1_11target_archE906ELNS1_3gpuE6ELNS1_3repE0EEENS1_30default_config_static_selectorELNS0_4arch9wavefront6targetE1EEEvT1_.num_agpr, 0
	.set _ZN7rocprim17ROCPRIM_400000_NS6detail17trampoline_kernelINS0_14default_configENS1_35adjacent_difference_config_selectorILb1EdEEZNS1_24adjacent_difference_implIS3_Lb1ELb0EPdN6thrust23THRUST_200600_302600_NS16discard_iteratorINS9_11use_defaultEEENS9_5minusIdEEEE10hipError_tPvRmT2_T3_mT4_P12ihipStream_tbEUlT_E_NS1_11comp_targetILNS1_3genE2ELNS1_11target_archE906ELNS1_3gpuE6ELNS1_3repE0EEENS1_30default_config_static_selectorELNS0_4arch9wavefront6targetE1EEEvT1_.numbered_sgpr, 24
	.set _ZN7rocprim17ROCPRIM_400000_NS6detail17trampoline_kernelINS0_14default_configENS1_35adjacent_difference_config_selectorILb1EdEEZNS1_24adjacent_difference_implIS3_Lb1ELb0EPdN6thrust23THRUST_200600_302600_NS16discard_iteratorINS9_11use_defaultEEENS9_5minusIdEEEE10hipError_tPvRmT2_T3_mT4_P12ihipStream_tbEUlT_E_NS1_11comp_targetILNS1_3genE2ELNS1_11target_archE906ELNS1_3gpuE6ELNS1_3repE0EEENS1_30default_config_static_selectorELNS0_4arch9wavefront6targetE1EEEvT1_.num_named_barrier, 0
	.set _ZN7rocprim17ROCPRIM_400000_NS6detail17trampoline_kernelINS0_14default_configENS1_35adjacent_difference_config_selectorILb1EdEEZNS1_24adjacent_difference_implIS3_Lb1ELb0EPdN6thrust23THRUST_200600_302600_NS16discard_iteratorINS9_11use_defaultEEENS9_5minusIdEEEE10hipError_tPvRmT2_T3_mT4_P12ihipStream_tbEUlT_E_NS1_11comp_targetILNS1_3genE2ELNS1_11target_archE906ELNS1_3gpuE6ELNS1_3repE0EEENS1_30default_config_static_selectorELNS0_4arch9wavefront6targetE1EEEvT1_.private_seg_size, 0
	.set _ZN7rocprim17ROCPRIM_400000_NS6detail17trampoline_kernelINS0_14default_configENS1_35adjacent_difference_config_selectorILb1EdEEZNS1_24adjacent_difference_implIS3_Lb1ELb0EPdN6thrust23THRUST_200600_302600_NS16discard_iteratorINS9_11use_defaultEEENS9_5minusIdEEEE10hipError_tPvRmT2_T3_mT4_P12ihipStream_tbEUlT_E_NS1_11comp_targetILNS1_3genE2ELNS1_11target_archE906ELNS1_3gpuE6ELNS1_3repE0EEENS1_30default_config_static_selectorELNS0_4arch9wavefront6targetE1EEEvT1_.uses_vcc, 1
	.set _ZN7rocprim17ROCPRIM_400000_NS6detail17trampoline_kernelINS0_14default_configENS1_35adjacent_difference_config_selectorILb1EdEEZNS1_24adjacent_difference_implIS3_Lb1ELb0EPdN6thrust23THRUST_200600_302600_NS16discard_iteratorINS9_11use_defaultEEENS9_5minusIdEEEE10hipError_tPvRmT2_T3_mT4_P12ihipStream_tbEUlT_E_NS1_11comp_targetILNS1_3genE2ELNS1_11target_archE906ELNS1_3gpuE6ELNS1_3repE0EEENS1_30default_config_static_selectorELNS0_4arch9wavefront6targetE1EEEvT1_.uses_flat_scratch, 0
	.set _ZN7rocprim17ROCPRIM_400000_NS6detail17trampoline_kernelINS0_14default_configENS1_35adjacent_difference_config_selectorILb1EdEEZNS1_24adjacent_difference_implIS3_Lb1ELb0EPdN6thrust23THRUST_200600_302600_NS16discard_iteratorINS9_11use_defaultEEENS9_5minusIdEEEE10hipError_tPvRmT2_T3_mT4_P12ihipStream_tbEUlT_E_NS1_11comp_targetILNS1_3genE2ELNS1_11target_archE906ELNS1_3gpuE6ELNS1_3repE0EEENS1_30default_config_static_selectorELNS0_4arch9wavefront6targetE1EEEvT1_.has_dyn_sized_stack, 0
	.set _ZN7rocprim17ROCPRIM_400000_NS6detail17trampoline_kernelINS0_14default_configENS1_35adjacent_difference_config_selectorILb1EdEEZNS1_24adjacent_difference_implIS3_Lb1ELb0EPdN6thrust23THRUST_200600_302600_NS16discard_iteratorINS9_11use_defaultEEENS9_5minusIdEEEE10hipError_tPvRmT2_T3_mT4_P12ihipStream_tbEUlT_E_NS1_11comp_targetILNS1_3genE2ELNS1_11target_archE906ELNS1_3gpuE6ELNS1_3repE0EEENS1_30default_config_static_selectorELNS0_4arch9wavefront6targetE1EEEvT1_.has_recursion, 0
	.set _ZN7rocprim17ROCPRIM_400000_NS6detail17trampoline_kernelINS0_14default_configENS1_35adjacent_difference_config_selectorILb1EdEEZNS1_24adjacent_difference_implIS3_Lb1ELb0EPdN6thrust23THRUST_200600_302600_NS16discard_iteratorINS9_11use_defaultEEENS9_5minusIdEEEE10hipError_tPvRmT2_T3_mT4_P12ihipStream_tbEUlT_E_NS1_11comp_targetILNS1_3genE2ELNS1_11target_archE906ELNS1_3gpuE6ELNS1_3repE0EEENS1_30default_config_static_selectorELNS0_4arch9wavefront6targetE1EEEvT1_.has_indirect_call, 0
	.section	.AMDGPU.csdata,"",@progbits
; Kernel info:
; codeLenInByte = 2104
; TotalNumSgprs: 28
; NumVgprs: 50
; ScratchSize: 0
; MemoryBound: 0
; FloatMode: 240
; IeeeMode: 1
; LDSByteSize: 11264 bytes/workgroup (compile time only)
; SGPRBlocks: 12
; VGPRBlocks: 16
; NumSGPRsForWavesPerEU: 102
; NumVGPRsForWavesPerEU: 65
; Occupancy: 3
; WaveLimiterHint : 1
; COMPUTE_PGM_RSRC2:SCRATCH_EN: 0
; COMPUTE_PGM_RSRC2:USER_SGPR: 6
; COMPUTE_PGM_RSRC2:TRAP_HANDLER: 0
; COMPUTE_PGM_RSRC2:TGID_X_EN: 1
; COMPUTE_PGM_RSRC2:TGID_Y_EN: 0
; COMPUTE_PGM_RSRC2:TGID_Z_EN: 0
; COMPUTE_PGM_RSRC2:TIDIG_COMP_CNT: 0
	.section	.text._ZN7rocprim17ROCPRIM_400000_NS6detail17trampoline_kernelINS0_14default_configENS1_35adjacent_difference_config_selectorILb1EdEEZNS1_24adjacent_difference_implIS3_Lb1ELb0EPdN6thrust23THRUST_200600_302600_NS16discard_iteratorINS9_11use_defaultEEENS9_5minusIdEEEE10hipError_tPvRmT2_T3_mT4_P12ihipStream_tbEUlT_E_NS1_11comp_targetILNS1_3genE9ELNS1_11target_archE1100ELNS1_3gpuE3ELNS1_3repE0EEENS1_30default_config_static_selectorELNS0_4arch9wavefront6targetE1EEEvT1_,"axG",@progbits,_ZN7rocprim17ROCPRIM_400000_NS6detail17trampoline_kernelINS0_14default_configENS1_35adjacent_difference_config_selectorILb1EdEEZNS1_24adjacent_difference_implIS3_Lb1ELb0EPdN6thrust23THRUST_200600_302600_NS16discard_iteratorINS9_11use_defaultEEENS9_5minusIdEEEE10hipError_tPvRmT2_T3_mT4_P12ihipStream_tbEUlT_E_NS1_11comp_targetILNS1_3genE9ELNS1_11target_archE1100ELNS1_3gpuE3ELNS1_3repE0EEENS1_30default_config_static_selectorELNS0_4arch9wavefront6targetE1EEEvT1_,comdat
	.protected	_ZN7rocprim17ROCPRIM_400000_NS6detail17trampoline_kernelINS0_14default_configENS1_35adjacent_difference_config_selectorILb1EdEEZNS1_24adjacent_difference_implIS3_Lb1ELb0EPdN6thrust23THRUST_200600_302600_NS16discard_iteratorINS9_11use_defaultEEENS9_5minusIdEEEE10hipError_tPvRmT2_T3_mT4_P12ihipStream_tbEUlT_E_NS1_11comp_targetILNS1_3genE9ELNS1_11target_archE1100ELNS1_3gpuE3ELNS1_3repE0EEENS1_30default_config_static_selectorELNS0_4arch9wavefront6targetE1EEEvT1_ ; -- Begin function _ZN7rocprim17ROCPRIM_400000_NS6detail17trampoline_kernelINS0_14default_configENS1_35adjacent_difference_config_selectorILb1EdEEZNS1_24adjacent_difference_implIS3_Lb1ELb0EPdN6thrust23THRUST_200600_302600_NS16discard_iteratorINS9_11use_defaultEEENS9_5minusIdEEEE10hipError_tPvRmT2_T3_mT4_P12ihipStream_tbEUlT_E_NS1_11comp_targetILNS1_3genE9ELNS1_11target_archE1100ELNS1_3gpuE3ELNS1_3repE0EEENS1_30default_config_static_selectorELNS0_4arch9wavefront6targetE1EEEvT1_
	.globl	_ZN7rocprim17ROCPRIM_400000_NS6detail17trampoline_kernelINS0_14default_configENS1_35adjacent_difference_config_selectorILb1EdEEZNS1_24adjacent_difference_implIS3_Lb1ELb0EPdN6thrust23THRUST_200600_302600_NS16discard_iteratorINS9_11use_defaultEEENS9_5minusIdEEEE10hipError_tPvRmT2_T3_mT4_P12ihipStream_tbEUlT_E_NS1_11comp_targetILNS1_3genE9ELNS1_11target_archE1100ELNS1_3gpuE3ELNS1_3repE0EEENS1_30default_config_static_selectorELNS0_4arch9wavefront6targetE1EEEvT1_
	.p2align	8
	.type	_ZN7rocprim17ROCPRIM_400000_NS6detail17trampoline_kernelINS0_14default_configENS1_35adjacent_difference_config_selectorILb1EdEEZNS1_24adjacent_difference_implIS3_Lb1ELb0EPdN6thrust23THRUST_200600_302600_NS16discard_iteratorINS9_11use_defaultEEENS9_5minusIdEEEE10hipError_tPvRmT2_T3_mT4_P12ihipStream_tbEUlT_E_NS1_11comp_targetILNS1_3genE9ELNS1_11target_archE1100ELNS1_3gpuE3ELNS1_3repE0EEENS1_30default_config_static_selectorELNS0_4arch9wavefront6targetE1EEEvT1_,@function
_ZN7rocprim17ROCPRIM_400000_NS6detail17trampoline_kernelINS0_14default_configENS1_35adjacent_difference_config_selectorILb1EdEEZNS1_24adjacent_difference_implIS3_Lb1ELb0EPdN6thrust23THRUST_200600_302600_NS16discard_iteratorINS9_11use_defaultEEENS9_5minusIdEEEE10hipError_tPvRmT2_T3_mT4_P12ihipStream_tbEUlT_E_NS1_11comp_targetILNS1_3genE9ELNS1_11target_archE1100ELNS1_3gpuE3ELNS1_3repE0EEENS1_30default_config_static_selectorELNS0_4arch9wavefront6targetE1EEEvT1_: ; @_ZN7rocprim17ROCPRIM_400000_NS6detail17trampoline_kernelINS0_14default_configENS1_35adjacent_difference_config_selectorILb1EdEEZNS1_24adjacent_difference_implIS3_Lb1ELb0EPdN6thrust23THRUST_200600_302600_NS16discard_iteratorINS9_11use_defaultEEENS9_5minusIdEEEE10hipError_tPvRmT2_T3_mT4_P12ihipStream_tbEUlT_E_NS1_11comp_targetILNS1_3genE9ELNS1_11target_archE1100ELNS1_3gpuE3ELNS1_3repE0EEENS1_30default_config_static_selectorELNS0_4arch9wavefront6targetE1EEEvT1_
; %bb.0:
	.section	.rodata,"a",@progbits
	.p2align	6, 0x0
	.amdhsa_kernel _ZN7rocprim17ROCPRIM_400000_NS6detail17trampoline_kernelINS0_14default_configENS1_35adjacent_difference_config_selectorILb1EdEEZNS1_24adjacent_difference_implIS3_Lb1ELb0EPdN6thrust23THRUST_200600_302600_NS16discard_iteratorINS9_11use_defaultEEENS9_5minusIdEEEE10hipError_tPvRmT2_T3_mT4_P12ihipStream_tbEUlT_E_NS1_11comp_targetILNS1_3genE9ELNS1_11target_archE1100ELNS1_3gpuE3ELNS1_3repE0EEENS1_30default_config_static_selectorELNS0_4arch9wavefront6targetE1EEEvT1_
		.amdhsa_group_segment_fixed_size 0
		.amdhsa_private_segment_fixed_size 0
		.amdhsa_kernarg_size 64
		.amdhsa_user_sgpr_count 6
		.amdhsa_user_sgpr_private_segment_buffer 1
		.amdhsa_user_sgpr_dispatch_ptr 0
		.amdhsa_user_sgpr_queue_ptr 0
		.amdhsa_user_sgpr_kernarg_segment_ptr 1
		.amdhsa_user_sgpr_dispatch_id 0
		.amdhsa_user_sgpr_flat_scratch_init 0
		.amdhsa_user_sgpr_private_segment_size 0
		.amdhsa_uses_dynamic_stack 0
		.amdhsa_system_sgpr_private_segment_wavefront_offset 0
		.amdhsa_system_sgpr_workgroup_id_x 1
		.amdhsa_system_sgpr_workgroup_id_y 0
		.amdhsa_system_sgpr_workgroup_id_z 0
		.amdhsa_system_sgpr_workgroup_info 0
		.amdhsa_system_vgpr_workitem_id 0
		.amdhsa_next_free_vgpr 1
		.amdhsa_next_free_sgpr 0
		.amdhsa_reserve_vcc 0
		.amdhsa_reserve_flat_scratch 0
		.amdhsa_float_round_mode_32 0
		.amdhsa_float_round_mode_16_64 0
		.amdhsa_float_denorm_mode_32 3
		.amdhsa_float_denorm_mode_16_64 3
		.amdhsa_dx10_clamp 1
		.amdhsa_ieee_mode 1
		.amdhsa_fp16_overflow 0
		.amdhsa_exception_fp_ieee_invalid_op 0
		.amdhsa_exception_fp_denorm_src 0
		.amdhsa_exception_fp_ieee_div_zero 0
		.amdhsa_exception_fp_ieee_overflow 0
		.amdhsa_exception_fp_ieee_underflow 0
		.amdhsa_exception_fp_ieee_inexact 0
		.amdhsa_exception_int_div_zero 0
	.end_amdhsa_kernel
	.section	.text._ZN7rocprim17ROCPRIM_400000_NS6detail17trampoline_kernelINS0_14default_configENS1_35adjacent_difference_config_selectorILb1EdEEZNS1_24adjacent_difference_implIS3_Lb1ELb0EPdN6thrust23THRUST_200600_302600_NS16discard_iteratorINS9_11use_defaultEEENS9_5minusIdEEEE10hipError_tPvRmT2_T3_mT4_P12ihipStream_tbEUlT_E_NS1_11comp_targetILNS1_3genE9ELNS1_11target_archE1100ELNS1_3gpuE3ELNS1_3repE0EEENS1_30default_config_static_selectorELNS0_4arch9wavefront6targetE1EEEvT1_,"axG",@progbits,_ZN7rocprim17ROCPRIM_400000_NS6detail17trampoline_kernelINS0_14default_configENS1_35adjacent_difference_config_selectorILb1EdEEZNS1_24adjacent_difference_implIS3_Lb1ELb0EPdN6thrust23THRUST_200600_302600_NS16discard_iteratorINS9_11use_defaultEEENS9_5minusIdEEEE10hipError_tPvRmT2_T3_mT4_P12ihipStream_tbEUlT_E_NS1_11comp_targetILNS1_3genE9ELNS1_11target_archE1100ELNS1_3gpuE3ELNS1_3repE0EEENS1_30default_config_static_selectorELNS0_4arch9wavefront6targetE1EEEvT1_,comdat
.Lfunc_end788:
	.size	_ZN7rocprim17ROCPRIM_400000_NS6detail17trampoline_kernelINS0_14default_configENS1_35adjacent_difference_config_selectorILb1EdEEZNS1_24adjacent_difference_implIS3_Lb1ELb0EPdN6thrust23THRUST_200600_302600_NS16discard_iteratorINS9_11use_defaultEEENS9_5minusIdEEEE10hipError_tPvRmT2_T3_mT4_P12ihipStream_tbEUlT_E_NS1_11comp_targetILNS1_3genE9ELNS1_11target_archE1100ELNS1_3gpuE3ELNS1_3repE0EEENS1_30default_config_static_selectorELNS0_4arch9wavefront6targetE1EEEvT1_, .Lfunc_end788-_ZN7rocprim17ROCPRIM_400000_NS6detail17trampoline_kernelINS0_14default_configENS1_35adjacent_difference_config_selectorILb1EdEEZNS1_24adjacent_difference_implIS3_Lb1ELb0EPdN6thrust23THRUST_200600_302600_NS16discard_iteratorINS9_11use_defaultEEENS9_5minusIdEEEE10hipError_tPvRmT2_T3_mT4_P12ihipStream_tbEUlT_E_NS1_11comp_targetILNS1_3genE9ELNS1_11target_archE1100ELNS1_3gpuE3ELNS1_3repE0EEENS1_30default_config_static_selectorELNS0_4arch9wavefront6targetE1EEEvT1_
                                        ; -- End function
	.set _ZN7rocprim17ROCPRIM_400000_NS6detail17trampoline_kernelINS0_14default_configENS1_35adjacent_difference_config_selectorILb1EdEEZNS1_24adjacent_difference_implIS3_Lb1ELb0EPdN6thrust23THRUST_200600_302600_NS16discard_iteratorINS9_11use_defaultEEENS9_5minusIdEEEE10hipError_tPvRmT2_T3_mT4_P12ihipStream_tbEUlT_E_NS1_11comp_targetILNS1_3genE9ELNS1_11target_archE1100ELNS1_3gpuE3ELNS1_3repE0EEENS1_30default_config_static_selectorELNS0_4arch9wavefront6targetE1EEEvT1_.num_vgpr, 0
	.set _ZN7rocprim17ROCPRIM_400000_NS6detail17trampoline_kernelINS0_14default_configENS1_35adjacent_difference_config_selectorILb1EdEEZNS1_24adjacent_difference_implIS3_Lb1ELb0EPdN6thrust23THRUST_200600_302600_NS16discard_iteratorINS9_11use_defaultEEENS9_5minusIdEEEE10hipError_tPvRmT2_T3_mT4_P12ihipStream_tbEUlT_E_NS1_11comp_targetILNS1_3genE9ELNS1_11target_archE1100ELNS1_3gpuE3ELNS1_3repE0EEENS1_30default_config_static_selectorELNS0_4arch9wavefront6targetE1EEEvT1_.num_agpr, 0
	.set _ZN7rocprim17ROCPRIM_400000_NS6detail17trampoline_kernelINS0_14default_configENS1_35adjacent_difference_config_selectorILb1EdEEZNS1_24adjacent_difference_implIS3_Lb1ELb0EPdN6thrust23THRUST_200600_302600_NS16discard_iteratorINS9_11use_defaultEEENS9_5minusIdEEEE10hipError_tPvRmT2_T3_mT4_P12ihipStream_tbEUlT_E_NS1_11comp_targetILNS1_3genE9ELNS1_11target_archE1100ELNS1_3gpuE3ELNS1_3repE0EEENS1_30default_config_static_selectorELNS0_4arch9wavefront6targetE1EEEvT1_.numbered_sgpr, 0
	.set _ZN7rocprim17ROCPRIM_400000_NS6detail17trampoline_kernelINS0_14default_configENS1_35adjacent_difference_config_selectorILb1EdEEZNS1_24adjacent_difference_implIS3_Lb1ELb0EPdN6thrust23THRUST_200600_302600_NS16discard_iteratorINS9_11use_defaultEEENS9_5minusIdEEEE10hipError_tPvRmT2_T3_mT4_P12ihipStream_tbEUlT_E_NS1_11comp_targetILNS1_3genE9ELNS1_11target_archE1100ELNS1_3gpuE3ELNS1_3repE0EEENS1_30default_config_static_selectorELNS0_4arch9wavefront6targetE1EEEvT1_.num_named_barrier, 0
	.set _ZN7rocprim17ROCPRIM_400000_NS6detail17trampoline_kernelINS0_14default_configENS1_35adjacent_difference_config_selectorILb1EdEEZNS1_24adjacent_difference_implIS3_Lb1ELb0EPdN6thrust23THRUST_200600_302600_NS16discard_iteratorINS9_11use_defaultEEENS9_5minusIdEEEE10hipError_tPvRmT2_T3_mT4_P12ihipStream_tbEUlT_E_NS1_11comp_targetILNS1_3genE9ELNS1_11target_archE1100ELNS1_3gpuE3ELNS1_3repE0EEENS1_30default_config_static_selectorELNS0_4arch9wavefront6targetE1EEEvT1_.private_seg_size, 0
	.set _ZN7rocprim17ROCPRIM_400000_NS6detail17trampoline_kernelINS0_14default_configENS1_35adjacent_difference_config_selectorILb1EdEEZNS1_24adjacent_difference_implIS3_Lb1ELb0EPdN6thrust23THRUST_200600_302600_NS16discard_iteratorINS9_11use_defaultEEENS9_5minusIdEEEE10hipError_tPvRmT2_T3_mT4_P12ihipStream_tbEUlT_E_NS1_11comp_targetILNS1_3genE9ELNS1_11target_archE1100ELNS1_3gpuE3ELNS1_3repE0EEENS1_30default_config_static_selectorELNS0_4arch9wavefront6targetE1EEEvT1_.uses_vcc, 0
	.set _ZN7rocprim17ROCPRIM_400000_NS6detail17trampoline_kernelINS0_14default_configENS1_35adjacent_difference_config_selectorILb1EdEEZNS1_24adjacent_difference_implIS3_Lb1ELb0EPdN6thrust23THRUST_200600_302600_NS16discard_iteratorINS9_11use_defaultEEENS9_5minusIdEEEE10hipError_tPvRmT2_T3_mT4_P12ihipStream_tbEUlT_E_NS1_11comp_targetILNS1_3genE9ELNS1_11target_archE1100ELNS1_3gpuE3ELNS1_3repE0EEENS1_30default_config_static_selectorELNS0_4arch9wavefront6targetE1EEEvT1_.uses_flat_scratch, 0
	.set _ZN7rocprim17ROCPRIM_400000_NS6detail17trampoline_kernelINS0_14default_configENS1_35adjacent_difference_config_selectorILb1EdEEZNS1_24adjacent_difference_implIS3_Lb1ELb0EPdN6thrust23THRUST_200600_302600_NS16discard_iteratorINS9_11use_defaultEEENS9_5minusIdEEEE10hipError_tPvRmT2_T3_mT4_P12ihipStream_tbEUlT_E_NS1_11comp_targetILNS1_3genE9ELNS1_11target_archE1100ELNS1_3gpuE3ELNS1_3repE0EEENS1_30default_config_static_selectorELNS0_4arch9wavefront6targetE1EEEvT1_.has_dyn_sized_stack, 0
	.set _ZN7rocprim17ROCPRIM_400000_NS6detail17trampoline_kernelINS0_14default_configENS1_35adjacent_difference_config_selectorILb1EdEEZNS1_24adjacent_difference_implIS3_Lb1ELb0EPdN6thrust23THRUST_200600_302600_NS16discard_iteratorINS9_11use_defaultEEENS9_5minusIdEEEE10hipError_tPvRmT2_T3_mT4_P12ihipStream_tbEUlT_E_NS1_11comp_targetILNS1_3genE9ELNS1_11target_archE1100ELNS1_3gpuE3ELNS1_3repE0EEENS1_30default_config_static_selectorELNS0_4arch9wavefront6targetE1EEEvT1_.has_recursion, 0
	.set _ZN7rocprim17ROCPRIM_400000_NS6detail17trampoline_kernelINS0_14default_configENS1_35adjacent_difference_config_selectorILb1EdEEZNS1_24adjacent_difference_implIS3_Lb1ELb0EPdN6thrust23THRUST_200600_302600_NS16discard_iteratorINS9_11use_defaultEEENS9_5minusIdEEEE10hipError_tPvRmT2_T3_mT4_P12ihipStream_tbEUlT_E_NS1_11comp_targetILNS1_3genE9ELNS1_11target_archE1100ELNS1_3gpuE3ELNS1_3repE0EEENS1_30default_config_static_selectorELNS0_4arch9wavefront6targetE1EEEvT1_.has_indirect_call, 0
	.section	.AMDGPU.csdata,"",@progbits
; Kernel info:
; codeLenInByte = 0
; TotalNumSgprs: 4
; NumVgprs: 0
; ScratchSize: 0
; MemoryBound: 0
; FloatMode: 240
; IeeeMode: 1
; LDSByteSize: 0 bytes/workgroup (compile time only)
; SGPRBlocks: 0
; VGPRBlocks: 0
; NumSGPRsForWavesPerEU: 4
; NumVGPRsForWavesPerEU: 1
; Occupancy: 10
; WaveLimiterHint : 0
; COMPUTE_PGM_RSRC2:SCRATCH_EN: 0
; COMPUTE_PGM_RSRC2:USER_SGPR: 6
; COMPUTE_PGM_RSRC2:TRAP_HANDLER: 0
; COMPUTE_PGM_RSRC2:TGID_X_EN: 1
; COMPUTE_PGM_RSRC2:TGID_Y_EN: 0
; COMPUTE_PGM_RSRC2:TGID_Z_EN: 0
; COMPUTE_PGM_RSRC2:TIDIG_COMP_CNT: 0
	.section	.text._ZN7rocprim17ROCPRIM_400000_NS6detail17trampoline_kernelINS0_14default_configENS1_35adjacent_difference_config_selectorILb1EdEEZNS1_24adjacent_difference_implIS3_Lb1ELb0EPdN6thrust23THRUST_200600_302600_NS16discard_iteratorINS9_11use_defaultEEENS9_5minusIdEEEE10hipError_tPvRmT2_T3_mT4_P12ihipStream_tbEUlT_E_NS1_11comp_targetILNS1_3genE8ELNS1_11target_archE1030ELNS1_3gpuE2ELNS1_3repE0EEENS1_30default_config_static_selectorELNS0_4arch9wavefront6targetE1EEEvT1_,"axG",@progbits,_ZN7rocprim17ROCPRIM_400000_NS6detail17trampoline_kernelINS0_14default_configENS1_35adjacent_difference_config_selectorILb1EdEEZNS1_24adjacent_difference_implIS3_Lb1ELb0EPdN6thrust23THRUST_200600_302600_NS16discard_iteratorINS9_11use_defaultEEENS9_5minusIdEEEE10hipError_tPvRmT2_T3_mT4_P12ihipStream_tbEUlT_E_NS1_11comp_targetILNS1_3genE8ELNS1_11target_archE1030ELNS1_3gpuE2ELNS1_3repE0EEENS1_30default_config_static_selectorELNS0_4arch9wavefront6targetE1EEEvT1_,comdat
	.protected	_ZN7rocprim17ROCPRIM_400000_NS6detail17trampoline_kernelINS0_14default_configENS1_35adjacent_difference_config_selectorILb1EdEEZNS1_24adjacent_difference_implIS3_Lb1ELb0EPdN6thrust23THRUST_200600_302600_NS16discard_iteratorINS9_11use_defaultEEENS9_5minusIdEEEE10hipError_tPvRmT2_T3_mT4_P12ihipStream_tbEUlT_E_NS1_11comp_targetILNS1_3genE8ELNS1_11target_archE1030ELNS1_3gpuE2ELNS1_3repE0EEENS1_30default_config_static_selectorELNS0_4arch9wavefront6targetE1EEEvT1_ ; -- Begin function _ZN7rocprim17ROCPRIM_400000_NS6detail17trampoline_kernelINS0_14default_configENS1_35adjacent_difference_config_selectorILb1EdEEZNS1_24adjacent_difference_implIS3_Lb1ELb0EPdN6thrust23THRUST_200600_302600_NS16discard_iteratorINS9_11use_defaultEEENS9_5minusIdEEEE10hipError_tPvRmT2_T3_mT4_P12ihipStream_tbEUlT_E_NS1_11comp_targetILNS1_3genE8ELNS1_11target_archE1030ELNS1_3gpuE2ELNS1_3repE0EEENS1_30default_config_static_selectorELNS0_4arch9wavefront6targetE1EEEvT1_
	.globl	_ZN7rocprim17ROCPRIM_400000_NS6detail17trampoline_kernelINS0_14default_configENS1_35adjacent_difference_config_selectorILb1EdEEZNS1_24adjacent_difference_implIS3_Lb1ELb0EPdN6thrust23THRUST_200600_302600_NS16discard_iteratorINS9_11use_defaultEEENS9_5minusIdEEEE10hipError_tPvRmT2_T3_mT4_P12ihipStream_tbEUlT_E_NS1_11comp_targetILNS1_3genE8ELNS1_11target_archE1030ELNS1_3gpuE2ELNS1_3repE0EEENS1_30default_config_static_selectorELNS0_4arch9wavefront6targetE1EEEvT1_
	.p2align	8
	.type	_ZN7rocprim17ROCPRIM_400000_NS6detail17trampoline_kernelINS0_14default_configENS1_35adjacent_difference_config_selectorILb1EdEEZNS1_24adjacent_difference_implIS3_Lb1ELb0EPdN6thrust23THRUST_200600_302600_NS16discard_iteratorINS9_11use_defaultEEENS9_5minusIdEEEE10hipError_tPvRmT2_T3_mT4_P12ihipStream_tbEUlT_E_NS1_11comp_targetILNS1_3genE8ELNS1_11target_archE1030ELNS1_3gpuE2ELNS1_3repE0EEENS1_30default_config_static_selectorELNS0_4arch9wavefront6targetE1EEEvT1_,@function
_ZN7rocprim17ROCPRIM_400000_NS6detail17trampoline_kernelINS0_14default_configENS1_35adjacent_difference_config_selectorILb1EdEEZNS1_24adjacent_difference_implIS3_Lb1ELb0EPdN6thrust23THRUST_200600_302600_NS16discard_iteratorINS9_11use_defaultEEENS9_5minusIdEEEE10hipError_tPvRmT2_T3_mT4_P12ihipStream_tbEUlT_E_NS1_11comp_targetILNS1_3genE8ELNS1_11target_archE1030ELNS1_3gpuE2ELNS1_3repE0EEENS1_30default_config_static_selectorELNS0_4arch9wavefront6targetE1EEEvT1_: ; @_ZN7rocprim17ROCPRIM_400000_NS6detail17trampoline_kernelINS0_14default_configENS1_35adjacent_difference_config_selectorILb1EdEEZNS1_24adjacent_difference_implIS3_Lb1ELb0EPdN6thrust23THRUST_200600_302600_NS16discard_iteratorINS9_11use_defaultEEENS9_5minusIdEEEE10hipError_tPvRmT2_T3_mT4_P12ihipStream_tbEUlT_E_NS1_11comp_targetILNS1_3genE8ELNS1_11target_archE1030ELNS1_3gpuE2ELNS1_3repE0EEENS1_30default_config_static_selectorELNS0_4arch9wavefront6targetE1EEEvT1_
; %bb.0:
	.section	.rodata,"a",@progbits
	.p2align	6, 0x0
	.amdhsa_kernel _ZN7rocprim17ROCPRIM_400000_NS6detail17trampoline_kernelINS0_14default_configENS1_35adjacent_difference_config_selectorILb1EdEEZNS1_24adjacent_difference_implIS3_Lb1ELb0EPdN6thrust23THRUST_200600_302600_NS16discard_iteratorINS9_11use_defaultEEENS9_5minusIdEEEE10hipError_tPvRmT2_T3_mT4_P12ihipStream_tbEUlT_E_NS1_11comp_targetILNS1_3genE8ELNS1_11target_archE1030ELNS1_3gpuE2ELNS1_3repE0EEENS1_30default_config_static_selectorELNS0_4arch9wavefront6targetE1EEEvT1_
		.amdhsa_group_segment_fixed_size 0
		.amdhsa_private_segment_fixed_size 0
		.amdhsa_kernarg_size 64
		.amdhsa_user_sgpr_count 6
		.amdhsa_user_sgpr_private_segment_buffer 1
		.amdhsa_user_sgpr_dispatch_ptr 0
		.amdhsa_user_sgpr_queue_ptr 0
		.amdhsa_user_sgpr_kernarg_segment_ptr 1
		.amdhsa_user_sgpr_dispatch_id 0
		.amdhsa_user_sgpr_flat_scratch_init 0
		.amdhsa_user_sgpr_private_segment_size 0
		.amdhsa_uses_dynamic_stack 0
		.amdhsa_system_sgpr_private_segment_wavefront_offset 0
		.amdhsa_system_sgpr_workgroup_id_x 1
		.amdhsa_system_sgpr_workgroup_id_y 0
		.amdhsa_system_sgpr_workgroup_id_z 0
		.amdhsa_system_sgpr_workgroup_info 0
		.amdhsa_system_vgpr_workitem_id 0
		.amdhsa_next_free_vgpr 1
		.amdhsa_next_free_sgpr 0
		.amdhsa_reserve_vcc 0
		.amdhsa_reserve_flat_scratch 0
		.amdhsa_float_round_mode_32 0
		.amdhsa_float_round_mode_16_64 0
		.amdhsa_float_denorm_mode_32 3
		.amdhsa_float_denorm_mode_16_64 3
		.amdhsa_dx10_clamp 1
		.amdhsa_ieee_mode 1
		.amdhsa_fp16_overflow 0
		.amdhsa_exception_fp_ieee_invalid_op 0
		.amdhsa_exception_fp_denorm_src 0
		.amdhsa_exception_fp_ieee_div_zero 0
		.amdhsa_exception_fp_ieee_overflow 0
		.amdhsa_exception_fp_ieee_underflow 0
		.amdhsa_exception_fp_ieee_inexact 0
		.amdhsa_exception_int_div_zero 0
	.end_amdhsa_kernel
	.section	.text._ZN7rocprim17ROCPRIM_400000_NS6detail17trampoline_kernelINS0_14default_configENS1_35adjacent_difference_config_selectorILb1EdEEZNS1_24adjacent_difference_implIS3_Lb1ELb0EPdN6thrust23THRUST_200600_302600_NS16discard_iteratorINS9_11use_defaultEEENS9_5minusIdEEEE10hipError_tPvRmT2_T3_mT4_P12ihipStream_tbEUlT_E_NS1_11comp_targetILNS1_3genE8ELNS1_11target_archE1030ELNS1_3gpuE2ELNS1_3repE0EEENS1_30default_config_static_selectorELNS0_4arch9wavefront6targetE1EEEvT1_,"axG",@progbits,_ZN7rocprim17ROCPRIM_400000_NS6detail17trampoline_kernelINS0_14default_configENS1_35adjacent_difference_config_selectorILb1EdEEZNS1_24adjacent_difference_implIS3_Lb1ELb0EPdN6thrust23THRUST_200600_302600_NS16discard_iteratorINS9_11use_defaultEEENS9_5minusIdEEEE10hipError_tPvRmT2_T3_mT4_P12ihipStream_tbEUlT_E_NS1_11comp_targetILNS1_3genE8ELNS1_11target_archE1030ELNS1_3gpuE2ELNS1_3repE0EEENS1_30default_config_static_selectorELNS0_4arch9wavefront6targetE1EEEvT1_,comdat
.Lfunc_end789:
	.size	_ZN7rocprim17ROCPRIM_400000_NS6detail17trampoline_kernelINS0_14default_configENS1_35adjacent_difference_config_selectorILb1EdEEZNS1_24adjacent_difference_implIS3_Lb1ELb0EPdN6thrust23THRUST_200600_302600_NS16discard_iteratorINS9_11use_defaultEEENS9_5minusIdEEEE10hipError_tPvRmT2_T3_mT4_P12ihipStream_tbEUlT_E_NS1_11comp_targetILNS1_3genE8ELNS1_11target_archE1030ELNS1_3gpuE2ELNS1_3repE0EEENS1_30default_config_static_selectorELNS0_4arch9wavefront6targetE1EEEvT1_, .Lfunc_end789-_ZN7rocprim17ROCPRIM_400000_NS6detail17trampoline_kernelINS0_14default_configENS1_35adjacent_difference_config_selectorILb1EdEEZNS1_24adjacent_difference_implIS3_Lb1ELb0EPdN6thrust23THRUST_200600_302600_NS16discard_iteratorINS9_11use_defaultEEENS9_5minusIdEEEE10hipError_tPvRmT2_T3_mT4_P12ihipStream_tbEUlT_E_NS1_11comp_targetILNS1_3genE8ELNS1_11target_archE1030ELNS1_3gpuE2ELNS1_3repE0EEENS1_30default_config_static_selectorELNS0_4arch9wavefront6targetE1EEEvT1_
                                        ; -- End function
	.set _ZN7rocprim17ROCPRIM_400000_NS6detail17trampoline_kernelINS0_14default_configENS1_35adjacent_difference_config_selectorILb1EdEEZNS1_24adjacent_difference_implIS3_Lb1ELb0EPdN6thrust23THRUST_200600_302600_NS16discard_iteratorINS9_11use_defaultEEENS9_5minusIdEEEE10hipError_tPvRmT2_T3_mT4_P12ihipStream_tbEUlT_E_NS1_11comp_targetILNS1_3genE8ELNS1_11target_archE1030ELNS1_3gpuE2ELNS1_3repE0EEENS1_30default_config_static_selectorELNS0_4arch9wavefront6targetE1EEEvT1_.num_vgpr, 0
	.set _ZN7rocprim17ROCPRIM_400000_NS6detail17trampoline_kernelINS0_14default_configENS1_35adjacent_difference_config_selectorILb1EdEEZNS1_24adjacent_difference_implIS3_Lb1ELb0EPdN6thrust23THRUST_200600_302600_NS16discard_iteratorINS9_11use_defaultEEENS9_5minusIdEEEE10hipError_tPvRmT2_T3_mT4_P12ihipStream_tbEUlT_E_NS1_11comp_targetILNS1_3genE8ELNS1_11target_archE1030ELNS1_3gpuE2ELNS1_3repE0EEENS1_30default_config_static_selectorELNS0_4arch9wavefront6targetE1EEEvT1_.num_agpr, 0
	.set _ZN7rocprim17ROCPRIM_400000_NS6detail17trampoline_kernelINS0_14default_configENS1_35adjacent_difference_config_selectorILb1EdEEZNS1_24adjacent_difference_implIS3_Lb1ELb0EPdN6thrust23THRUST_200600_302600_NS16discard_iteratorINS9_11use_defaultEEENS9_5minusIdEEEE10hipError_tPvRmT2_T3_mT4_P12ihipStream_tbEUlT_E_NS1_11comp_targetILNS1_3genE8ELNS1_11target_archE1030ELNS1_3gpuE2ELNS1_3repE0EEENS1_30default_config_static_selectorELNS0_4arch9wavefront6targetE1EEEvT1_.numbered_sgpr, 0
	.set _ZN7rocprim17ROCPRIM_400000_NS6detail17trampoline_kernelINS0_14default_configENS1_35adjacent_difference_config_selectorILb1EdEEZNS1_24adjacent_difference_implIS3_Lb1ELb0EPdN6thrust23THRUST_200600_302600_NS16discard_iteratorINS9_11use_defaultEEENS9_5minusIdEEEE10hipError_tPvRmT2_T3_mT4_P12ihipStream_tbEUlT_E_NS1_11comp_targetILNS1_3genE8ELNS1_11target_archE1030ELNS1_3gpuE2ELNS1_3repE0EEENS1_30default_config_static_selectorELNS0_4arch9wavefront6targetE1EEEvT1_.num_named_barrier, 0
	.set _ZN7rocprim17ROCPRIM_400000_NS6detail17trampoline_kernelINS0_14default_configENS1_35adjacent_difference_config_selectorILb1EdEEZNS1_24adjacent_difference_implIS3_Lb1ELb0EPdN6thrust23THRUST_200600_302600_NS16discard_iteratorINS9_11use_defaultEEENS9_5minusIdEEEE10hipError_tPvRmT2_T3_mT4_P12ihipStream_tbEUlT_E_NS1_11comp_targetILNS1_3genE8ELNS1_11target_archE1030ELNS1_3gpuE2ELNS1_3repE0EEENS1_30default_config_static_selectorELNS0_4arch9wavefront6targetE1EEEvT1_.private_seg_size, 0
	.set _ZN7rocprim17ROCPRIM_400000_NS6detail17trampoline_kernelINS0_14default_configENS1_35adjacent_difference_config_selectorILb1EdEEZNS1_24adjacent_difference_implIS3_Lb1ELb0EPdN6thrust23THRUST_200600_302600_NS16discard_iteratorINS9_11use_defaultEEENS9_5minusIdEEEE10hipError_tPvRmT2_T3_mT4_P12ihipStream_tbEUlT_E_NS1_11comp_targetILNS1_3genE8ELNS1_11target_archE1030ELNS1_3gpuE2ELNS1_3repE0EEENS1_30default_config_static_selectorELNS0_4arch9wavefront6targetE1EEEvT1_.uses_vcc, 0
	.set _ZN7rocprim17ROCPRIM_400000_NS6detail17trampoline_kernelINS0_14default_configENS1_35adjacent_difference_config_selectorILb1EdEEZNS1_24adjacent_difference_implIS3_Lb1ELb0EPdN6thrust23THRUST_200600_302600_NS16discard_iteratorINS9_11use_defaultEEENS9_5minusIdEEEE10hipError_tPvRmT2_T3_mT4_P12ihipStream_tbEUlT_E_NS1_11comp_targetILNS1_3genE8ELNS1_11target_archE1030ELNS1_3gpuE2ELNS1_3repE0EEENS1_30default_config_static_selectorELNS0_4arch9wavefront6targetE1EEEvT1_.uses_flat_scratch, 0
	.set _ZN7rocprim17ROCPRIM_400000_NS6detail17trampoline_kernelINS0_14default_configENS1_35adjacent_difference_config_selectorILb1EdEEZNS1_24adjacent_difference_implIS3_Lb1ELb0EPdN6thrust23THRUST_200600_302600_NS16discard_iteratorINS9_11use_defaultEEENS9_5minusIdEEEE10hipError_tPvRmT2_T3_mT4_P12ihipStream_tbEUlT_E_NS1_11comp_targetILNS1_3genE8ELNS1_11target_archE1030ELNS1_3gpuE2ELNS1_3repE0EEENS1_30default_config_static_selectorELNS0_4arch9wavefront6targetE1EEEvT1_.has_dyn_sized_stack, 0
	.set _ZN7rocprim17ROCPRIM_400000_NS6detail17trampoline_kernelINS0_14default_configENS1_35adjacent_difference_config_selectorILb1EdEEZNS1_24adjacent_difference_implIS3_Lb1ELb0EPdN6thrust23THRUST_200600_302600_NS16discard_iteratorINS9_11use_defaultEEENS9_5minusIdEEEE10hipError_tPvRmT2_T3_mT4_P12ihipStream_tbEUlT_E_NS1_11comp_targetILNS1_3genE8ELNS1_11target_archE1030ELNS1_3gpuE2ELNS1_3repE0EEENS1_30default_config_static_selectorELNS0_4arch9wavefront6targetE1EEEvT1_.has_recursion, 0
	.set _ZN7rocprim17ROCPRIM_400000_NS6detail17trampoline_kernelINS0_14default_configENS1_35adjacent_difference_config_selectorILb1EdEEZNS1_24adjacent_difference_implIS3_Lb1ELb0EPdN6thrust23THRUST_200600_302600_NS16discard_iteratorINS9_11use_defaultEEENS9_5minusIdEEEE10hipError_tPvRmT2_T3_mT4_P12ihipStream_tbEUlT_E_NS1_11comp_targetILNS1_3genE8ELNS1_11target_archE1030ELNS1_3gpuE2ELNS1_3repE0EEENS1_30default_config_static_selectorELNS0_4arch9wavefront6targetE1EEEvT1_.has_indirect_call, 0
	.section	.AMDGPU.csdata,"",@progbits
; Kernel info:
; codeLenInByte = 0
; TotalNumSgprs: 4
; NumVgprs: 0
; ScratchSize: 0
; MemoryBound: 0
; FloatMode: 240
; IeeeMode: 1
; LDSByteSize: 0 bytes/workgroup (compile time only)
; SGPRBlocks: 0
; VGPRBlocks: 0
; NumSGPRsForWavesPerEU: 4
; NumVGPRsForWavesPerEU: 1
; Occupancy: 10
; WaveLimiterHint : 0
; COMPUTE_PGM_RSRC2:SCRATCH_EN: 0
; COMPUTE_PGM_RSRC2:USER_SGPR: 6
; COMPUTE_PGM_RSRC2:TRAP_HANDLER: 0
; COMPUTE_PGM_RSRC2:TGID_X_EN: 1
; COMPUTE_PGM_RSRC2:TGID_Y_EN: 0
; COMPUTE_PGM_RSRC2:TGID_Z_EN: 0
; COMPUTE_PGM_RSRC2:TIDIG_COMP_CNT: 0
	.section	.text._ZN7rocprim17ROCPRIM_400000_NS6detail17trampoline_kernelINS0_14default_configENS1_25transform_config_selectorIfLb0EEEZNS1_14transform_implILb0ES3_S5_NS0_18transform_iteratorINS0_17counting_iteratorImlEEZNS1_24adjacent_difference_implIS3_Lb1ELb0EPfN6thrust23THRUST_200600_302600_NS16discard_iteratorINSD_11use_defaultEEENSD_5minusIfEEEE10hipError_tPvRmT2_T3_mT4_P12ihipStream_tbEUlmE_fEESB_NS0_8identityIvEEEESJ_SM_SN_mSO_SQ_bEUlT_E_NS1_11comp_targetILNS1_3genE0ELNS1_11target_archE4294967295ELNS1_3gpuE0ELNS1_3repE0EEENS1_30default_config_static_selectorELNS0_4arch9wavefront6targetE1EEEvT1_,"axG",@progbits,_ZN7rocprim17ROCPRIM_400000_NS6detail17trampoline_kernelINS0_14default_configENS1_25transform_config_selectorIfLb0EEEZNS1_14transform_implILb0ES3_S5_NS0_18transform_iteratorINS0_17counting_iteratorImlEEZNS1_24adjacent_difference_implIS3_Lb1ELb0EPfN6thrust23THRUST_200600_302600_NS16discard_iteratorINSD_11use_defaultEEENSD_5minusIfEEEE10hipError_tPvRmT2_T3_mT4_P12ihipStream_tbEUlmE_fEESB_NS0_8identityIvEEEESJ_SM_SN_mSO_SQ_bEUlT_E_NS1_11comp_targetILNS1_3genE0ELNS1_11target_archE4294967295ELNS1_3gpuE0ELNS1_3repE0EEENS1_30default_config_static_selectorELNS0_4arch9wavefront6targetE1EEEvT1_,comdat
	.protected	_ZN7rocprim17ROCPRIM_400000_NS6detail17trampoline_kernelINS0_14default_configENS1_25transform_config_selectorIfLb0EEEZNS1_14transform_implILb0ES3_S5_NS0_18transform_iteratorINS0_17counting_iteratorImlEEZNS1_24adjacent_difference_implIS3_Lb1ELb0EPfN6thrust23THRUST_200600_302600_NS16discard_iteratorINSD_11use_defaultEEENSD_5minusIfEEEE10hipError_tPvRmT2_T3_mT4_P12ihipStream_tbEUlmE_fEESB_NS0_8identityIvEEEESJ_SM_SN_mSO_SQ_bEUlT_E_NS1_11comp_targetILNS1_3genE0ELNS1_11target_archE4294967295ELNS1_3gpuE0ELNS1_3repE0EEENS1_30default_config_static_selectorELNS0_4arch9wavefront6targetE1EEEvT1_ ; -- Begin function _ZN7rocprim17ROCPRIM_400000_NS6detail17trampoline_kernelINS0_14default_configENS1_25transform_config_selectorIfLb0EEEZNS1_14transform_implILb0ES3_S5_NS0_18transform_iteratorINS0_17counting_iteratorImlEEZNS1_24adjacent_difference_implIS3_Lb1ELb0EPfN6thrust23THRUST_200600_302600_NS16discard_iteratorINSD_11use_defaultEEENSD_5minusIfEEEE10hipError_tPvRmT2_T3_mT4_P12ihipStream_tbEUlmE_fEESB_NS0_8identityIvEEEESJ_SM_SN_mSO_SQ_bEUlT_E_NS1_11comp_targetILNS1_3genE0ELNS1_11target_archE4294967295ELNS1_3gpuE0ELNS1_3repE0EEENS1_30default_config_static_selectorELNS0_4arch9wavefront6targetE1EEEvT1_
	.globl	_ZN7rocprim17ROCPRIM_400000_NS6detail17trampoline_kernelINS0_14default_configENS1_25transform_config_selectorIfLb0EEEZNS1_14transform_implILb0ES3_S5_NS0_18transform_iteratorINS0_17counting_iteratorImlEEZNS1_24adjacent_difference_implIS3_Lb1ELb0EPfN6thrust23THRUST_200600_302600_NS16discard_iteratorINSD_11use_defaultEEENSD_5minusIfEEEE10hipError_tPvRmT2_T3_mT4_P12ihipStream_tbEUlmE_fEESB_NS0_8identityIvEEEESJ_SM_SN_mSO_SQ_bEUlT_E_NS1_11comp_targetILNS1_3genE0ELNS1_11target_archE4294967295ELNS1_3gpuE0ELNS1_3repE0EEENS1_30default_config_static_selectorELNS0_4arch9wavefront6targetE1EEEvT1_
	.p2align	8
	.type	_ZN7rocprim17ROCPRIM_400000_NS6detail17trampoline_kernelINS0_14default_configENS1_25transform_config_selectorIfLb0EEEZNS1_14transform_implILb0ES3_S5_NS0_18transform_iteratorINS0_17counting_iteratorImlEEZNS1_24adjacent_difference_implIS3_Lb1ELb0EPfN6thrust23THRUST_200600_302600_NS16discard_iteratorINSD_11use_defaultEEENSD_5minusIfEEEE10hipError_tPvRmT2_T3_mT4_P12ihipStream_tbEUlmE_fEESB_NS0_8identityIvEEEESJ_SM_SN_mSO_SQ_bEUlT_E_NS1_11comp_targetILNS1_3genE0ELNS1_11target_archE4294967295ELNS1_3gpuE0ELNS1_3repE0EEENS1_30default_config_static_selectorELNS0_4arch9wavefront6targetE1EEEvT1_,@function
_ZN7rocprim17ROCPRIM_400000_NS6detail17trampoline_kernelINS0_14default_configENS1_25transform_config_selectorIfLb0EEEZNS1_14transform_implILb0ES3_S5_NS0_18transform_iteratorINS0_17counting_iteratorImlEEZNS1_24adjacent_difference_implIS3_Lb1ELb0EPfN6thrust23THRUST_200600_302600_NS16discard_iteratorINSD_11use_defaultEEENSD_5minusIfEEEE10hipError_tPvRmT2_T3_mT4_P12ihipStream_tbEUlmE_fEESB_NS0_8identityIvEEEESJ_SM_SN_mSO_SQ_bEUlT_E_NS1_11comp_targetILNS1_3genE0ELNS1_11target_archE4294967295ELNS1_3gpuE0ELNS1_3repE0EEENS1_30default_config_static_selectorELNS0_4arch9wavefront6targetE1EEEvT1_: ; @_ZN7rocprim17ROCPRIM_400000_NS6detail17trampoline_kernelINS0_14default_configENS1_25transform_config_selectorIfLb0EEEZNS1_14transform_implILb0ES3_S5_NS0_18transform_iteratorINS0_17counting_iteratorImlEEZNS1_24adjacent_difference_implIS3_Lb1ELb0EPfN6thrust23THRUST_200600_302600_NS16discard_iteratorINSD_11use_defaultEEENSD_5minusIfEEEE10hipError_tPvRmT2_T3_mT4_P12ihipStream_tbEUlmE_fEESB_NS0_8identityIvEEEESJ_SM_SN_mSO_SQ_bEUlT_E_NS1_11comp_targetILNS1_3genE0ELNS1_11target_archE4294967295ELNS1_3gpuE0ELNS1_3repE0EEENS1_30default_config_static_selectorELNS0_4arch9wavefront6targetE1EEEvT1_
; %bb.0:
	.section	.rodata,"a",@progbits
	.p2align	6, 0x0
	.amdhsa_kernel _ZN7rocprim17ROCPRIM_400000_NS6detail17trampoline_kernelINS0_14default_configENS1_25transform_config_selectorIfLb0EEEZNS1_14transform_implILb0ES3_S5_NS0_18transform_iteratorINS0_17counting_iteratorImlEEZNS1_24adjacent_difference_implIS3_Lb1ELb0EPfN6thrust23THRUST_200600_302600_NS16discard_iteratorINSD_11use_defaultEEENSD_5minusIfEEEE10hipError_tPvRmT2_T3_mT4_P12ihipStream_tbEUlmE_fEESB_NS0_8identityIvEEEESJ_SM_SN_mSO_SQ_bEUlT_E_NS1_11comp_targetILNS1_3genE0ELNS1_11target_archE4294967295ELNS1_3gpuE0ELNS1_3repE0EEENS1_30default_config_static_selectorELNS0_4arch9wavefront6targetE1EEEvT1_
		.amdhsa_group_segment_fixed_size 0
		.amdhsa_private_segment_fixed_size 0
		.amdhsa_kernarg_size 56
		.amdhsa_user_sgpr_count 6
		.amdhsa_user_sgpr_private_segment_buffer 1
		.amdhsa_user_sgpr_dispatch_ptr 0
		.amdhsa_user_sgpr_queue_ptr 0
		.amdhsa_user_sgpr_kernarg_segment_ptr 1
		.amdhsa_user_sgpr_dispatch_id 0
		.amdhsa_user_sgpr_flat_scratch_init 0
		.amdhsa_user_sgpr_private_segment_size 0
		.amdhsa_uses_dynamic_stack 0
		.amdhsa_system_sgpr_private_segment_wavefront_offset 0
		.amdhsa_system_sgpr_workgroup_id_x 1
		.amdhsa_system_sgpr_workgroup_id_y 0
		.amdhsa_system_sgpr_workgroup_id_z 0
		.amdhsa_system_sgpr_workgroup_info 0
		.amdhsa_system_vgpr_workitem_id 0
		.amdhsa_next_free_vgpr 1
		.amdhsa_next_free_sgpr 0
		.amdhsa_reserve_vcc 0
		.amdhsa_reserve_flat_scratch 0
		.amdhsa_float_round_mode_32 0
		.amdhsa_float_round_mode_16_64 0
		.amdhsa_float_denorm_mode_32 3
		.amdhsa_float_denorm_mode_16_64 3
		.amdhsa_dx10_clamp 1
		.amdhsa_ieee_mode 1
		.amdhsa_fp16_overflow 0
		.amdhsa_exception_fp_ieee_invalid_op 0
		.amdhsa_exception_fp_denorm_src 0
		.amdhsa_exception_fp_ieee_div_zero 0
		.amdhsa_exception_fp_ieee_overflow 0
		.amdhsa_exception_fp_ieee_underflow 0
		.amdhsa_exception_fp_ieee_inexact 0
		.amdhsa_exception_int_div_zero 0
	.end_amdhsa_kernel
	.section	.text._ZN7rocprim17ROCPRIM_400000_NS6detail17trampoline_kernelINS0_14default_configENS1_25transform_config_selectorIfLb0EEEZNS1_14transform_implILb0ES3_S5_NS0_18transform_iteratorINS0_17counting_iteratorImlEEZNS1_24adjacent_difference_implIS3_Lb1ELb0EPfN6thrust23THRUST_200600_302600_NS16discard_iteratorINSD_11use_defaultEEENSD_5minusIfEEEE10hipError_tPvRmT2_T3_mT4_P12ihipStream_tbEUlmE_fEESB_NS0_8identityIvEEEESJ_SM_SN_mSO_SQ_bEUlT_E_NS1_11comp_targetILNS1_3genE0ELNS1_11target_archE4294967295ELNS1_3gpuE0ELNS1_3repE0EEENS1_30default_config_static_selectorELNS0_4arch9wavefront6targetE1EEEvT1_,"axG",@progbits,_ZN7rocprim17ROCPRIM_400000_NS6detail17trampoline_kernelINS0_14default_configENS1_25transform_config_selectorIfLb0EEEZNS1_14transform_implILb0ES3_S5_NS0_18transform_iteratorINS0_17counting_iteratorImlEEZNS1_24adjacent_difference_implIS3_Lb1ELb0EPfN6thrust23THRUST_200600_302600_NS16discard_iteratorINSD_11use_defaultEEENSD_5minusIfEEEE10hipError_tPvRmT2_T3_mT4_P12ihipStream_tbEUlmE_fEESB_NS0_8identityIvEEEESJ_SM_SN_mSO_SQ_bEUlT_E_NS1_11comp_targetILNS1_3genE0ELNS1_11target_archE4294967295ELNS1_3gpuE0ELNS1_3repE0EEENS1_30default_config_static_selectorELNS0_4arch9wavefront6targetE1EEEvT1_,comdat
.Lfunc_end790:
	.size	_ZN7rocprim17ROCPRIM_400000_NS6detail17trampoline_kernelINS0_14default_configENS1_25transform_config_selectorIfLb0EEEZNS1_14transform_implILb0ES3_S5_NS0_18transform_iteratorINS0_17counting_iteratorImlEEZNS1_24adjacent_difference_implIS3_Lb1ELb0EPfN6thrust23THRUST_200600_302600_NS16discard_iteratorINSD_11use_defaultEEENSD_5minusIfEEEE10hipError_tPvRmT2_T3_mT4_P12ihipStream_tbEUlmE_fEESB_NS0_8identityIvEEEESJ_SM_SN_mSO_SQ_bEUlT_E_NS1_11comp_targetILNS1_3genE0ELNS1_11target_archE4294967295ELNS1_3gpuE0ELNS1_3repE0EEENS1_30default_config_static_selectorELNS0_4arch9wavefront6targetE1EEEvT1_, .Lfunc_end790-_ZN7rocprim17ROCPRIM_400000_NS6detail17trampoline_kernelINS0_14default_configENS1_25transform_config_selectorIfLb0EEEZNS1_14transform_implILb0ES3_S5_NS0_18transform_iteratorINS0_17counting_iteratorImlEEZNS1_24adjacent_difference_implIS3_Lb1ELb0EPfN6thrust23THRUST_200600_302600_NS16discard_iteratorINSD_11use_defaultEEENSD_5minusIfEEEE10hipError_tPvRmT2_T3_mT4_P12ihipStream_tbEUlmE_fEESB_NS0_8identityIvEEEESJ_SM_SN_mSO_SQ_bEUlT_E_NS1_11comp_targetILNS1_3genE0ELNS1_11target_archE4294967295ELNS1_3gpuE0ELNS1_3repE0EEENS1_30default_config_static_selectorELNS0_4arch9wavefront6targetE1EEEvT1_
                                        ; -- End function
	.set _ZN7rocprim17ROCPRIM_400000_NS6detail17trampoline_kernelINS0_14default_configENS1_25transform_config_selectorIfLb0EEEZNS1_14transform_implILb0ES3_S5_NS0_18transform_iteratorINS0_17counting_iteratorImlEEZNS1_24adjacent_difference_implIS3_Lb1ELb0EPfN6thrust23THRUST_200600_302600_NS16discard_iteratorINSD_11use_defaultEEENSD_5minusIfEEEE10hipError_tPvRmT2_T3_mT4_P12ihipStream_tbEUlmE_fEESB_NS0_8identityIvEEEESJ_SM_SN_mSO_SQ_bEUlT_E_NS1_11comp_targetILNS1_3genE0ELNS1_11target_archE4294967295ELNS1_3gpuE0ELNS1_3repE0EEENS1_30default_config_static_selectorELNS0_4arch9wavefront6targetE1EEEvT1_.num_vgpr, 0
	.set _ZN7rocprim17ROCPRIM_400000_NS6detail17trampoline_kernelINS0_14default_configENS1_25transform_config_selectorIfLb0EEEZNS1_14transform_implILb0ES3_S5_NS0_18transform_iteratorINS0_17counting_iteratorImlEEZNS1_24adjacent_difference_implIS3_Lb1ELb0EPfN6thrust23THRUST_200600_302600_NS16discard_iteratorINSD_11use_defaultEEENSD_5minusIfEEEE10hipError_tPvRmT2_T3_mT4_P12ihipStream_tbEUlmE_fEESB_NS0_8identityIvEEEESJ_SM_SN_mSO_SQ_bEUlT_E_NS1_11comp_targetILNS1_3genE0ELNS1_11target_archE4294967295ELNS1_3gpuE0ELNS1_3repE0EEENS1_30default_config_static_selectorELNS0_4arch9wavefront6targetE1EEEvT1_.num_agpr, 0
	.set _ZN7rocprim17ROCPRIM_400000_NS6detail17trampoline_kernelINS0_14default_configENS1_25transform_config_selectorIfLb0EEEZNS1_14transform_implILb0ES3_S5_NS0_18transform_iteratorINS0_17counting_iteratorImlEEZNS1_24adjacent_difference_implIS3_Lb1ELb0EPfN6thrust23THRUST_200600_302600_NS16discard_iteratorINSD_11use_defaultEEENSD_5minusIfEEEE10hipError_tPvRmT2_T3_mT4_P12ihipStream_tbEUlmE_fEESB_NS0_8identityIvEEEESJ_SM_SN_mSO_SQ_bEUlT_E_NS1_11comp_targetILNS1_3genE0ELNS1_11target_archE4294967295ELNS1_3gpuE0ELNS1_3repE0EEENS1_30default_config_static_selectorELNS0_4arch9wavefront6targetE1EEEvT1_.numbered_sgpr, 0
	.set _ZN7rocprim17ROCPRIM_400000_NS6detail17trampoline_kernelINS0_14default_configENS1_25transform_config_selectorIfLb0EEEZNS1_14transform_implILb0ES3_S5_NS0_18transform_iteratorINS0_17counting_iteratorImlEEZNS1_24adjacent_difference_implIS3_Lb1ELb0EPfN6thrust23THRUST_200600_302600_NS16discard_iteratorINSD_11use_defaultEEENSD_5minusIfEEEE10hipError_tPvRmT2_T3_mT4_P12ihipStream_tbEUlmE_fEESB_NS0_8identityIvEEEESJ_SM_SN_mSO_SQ_bEUlT_E_NS1_11comp_targetILNS1_3genE0ELNS1_11target_archE4294967295ELNS1_3gpuE0ELNS1_3repE0EEENS1_30default_config_static_selectorELNS0_4arch9wavefront6targetE1EEEvT1_.num_named_barrier, 0
	.set _ZN7rocprim17ROCPRIM_400000_NS6detail17trampoline_kernelINS0_14default_configENS1_25transform_config_selectorIfLb0EEEZNS1_14transform_implILb0ES3_S5_NS0_18transform_iteratorINS0_17counting_iteratorImlEEZNS1_24adjacent_difference_implIS3_Lb1ELb0EPfN6thrust23THRUST_200600_302600_NS16discard_iteratorINSD_11use_defaultEEENSD_5minusIfEEEE10hipError_tPvRmT2_T3_mT4_P12ihipStream_tbEUlmE_fEESB_NS0_8identityIvEEEESJ_SM_SN_mSO_SQ_bEUlT_E_NS1_11comp_targetILNS1_3genE0ELNS1_11target_archE4294967295ELNS1_3gpuE0ELNS1_3repE0EEENS1_30default_config_static_selectorELNS0_4arch9wavefront6targetE1EEEvT1_.private_seg_size, 0
	.set _ZN7rocprim17ROCPRIM_400000_NS6detail17trampoline_kernelINS0_14default_configENS1_25transform_config_selectorIfLb0EEEZNS1_14transform_implILb0ES3_S5_NS0_18transform_iteratorINS0_17counting_iteratorImlEEZNS1_24adjacent_difference_implIS3_Lb1ELb0EPfN6thrust23THRUST_200600_302600_NS16discard_iteratorINSD_11use_defaultEEENSD_5minusIfEEEE10hipError_tPvRmT2_T3_mT4_P12ihipStream_tbEUlmE_fEESB_NS0_8identityIvEEEESJ_SM_SN_mSO_SQ_bEUlT_E_NS1_11comp_targetILNS1_3genE0ELNS1_11target_archE4294967295ELNS1_3gpuE0ELNS1_3repE0EEENS1_30default_config_static_selectorELNS0_4arch9wavefront6targetE1EEEvT1_.uses_vcc, 0
	.set _ZN7rocprim17ROCPRIM_400000_NS6detail17trampoline_kernelINS0_14default_configENS1_25transform_config_selectorIfLb0EEEZNS1_14transform_implILb0ES3_S5_NS0_18transform_iteratorINS0_17counting_iteratorImlEEZNS1_24adjacent_difference_implIS3_Lb1ELb0EPfN6thrust23THRUST_200600_302600_NS16discard_iteratorINSD_11use_defaultEEENSD_5minusIfEEEE10hipError_tPvRmT2_T3_mT4_P12ihipStream_tbEUlmE_fEESB_NS0_8identityIvEEEESJ_SM_SN_mSO_SQ_bEUlT_E_NS1_11comp_targetILNS1_3genE0ELNS1_11target_archE4294967295ELNS1_3gpuE0ELNS1_3repE0EEENS1_30default_config_static_selectorELNS0_4arch9wavefront6targetE1EEEvT1_.uses_flat_scratch, 0
	.set _ZN7rocprim17ROCPRIM_400000_NS6detail17trampoline_kernelINS0_14default_configENS1_25transform_config_selectorIfLb0EEEZNS1_14transform_implILb0ES3_S5_NS0_18transform_iteratorINS0_17counting_iteratorImlEEZNS1_24adjacent_difference_implIS3_Lb1ELb0EPfN6thrust23THRUST_200600_302600_NS16discard_iteratorINSD_11use_defaultEEENSD_5minusIfEEEE10hipError_tPvRmT2_T3_mT4_P12ihipStream_tbEUlmE_fEESB_NS0_8identityIvEEEESJ_SM_SN_mSO_SQ_bEUlT_E_NS1_11comp_targetILNS1_3genE0ELNS1_11target_archE4294967295ELNS1_3gpuE0ELNS1_3repE0EEENS1_30default_config_static_selectorELNS0_4arch9wavefront6targetE1EEEvT1_.has_dyn_sized_stack, 0
	.set _ZN7rocprim17ROCPRIM_400000_NS6detail17trampoline_kernelINS0_14default_configENS1_25transform_config_selectorIfLb0EEEZNS1_14transform_implILb0ES3_S5_NS0_18transform_iteratorINS0_17counting_iteratorImlEEZNS1_24adjacent_difference_implIS3_Lb1ELb0EPfN6thrust23THRUST_200600_302600_NS16discard_iteratorINSD_11use_defaultEEENSD_5minusIfEEEE10hipError_tPvRmT2_T3_mT4_P12ihipStream_tbEUlmE_fEESB_NS0_8identityIvEEEESJ_SM_SN_mSO_SQ_bEUlT_E_NS1_11comp_targetILNS1_3genE0ELNS1_11target_archE4294967295ELNS1_3gpuE0ELNS1_3repE0EEENS1_30default_config_static_selectorELNS0_4arch9wavefront6targetE1EEEvT1_.has_recursion, 0
	.set _ZN7rocprim17ROCPRIM_400000_NS6detail17trampoline_kernelINS0_14default_configENS1_25transform_config_selectorIfLb0EEEZNS1_14transform_implILb0ES3_S5_NS0_18transform_iteratorINS0_17counting_iteratorImlEEZNS1_24adjacent_difference_implIS3_Lb1ELb0EPfN6thrust23THRUST_200600_302600_NS16discard_iteratorINSD_11use_defaultEEENSD_5minusIfEEEE10hipError_tPvRmT2_T3_mT4_P12ihipStream_tbEUlmE_fEESB_NS0_8identityIvEEEESJ_SM_SN_mSO_SQ_bEUlT_E_NS1_11comp_targetILNS1_3genE0ELNS1_11target_archE4294967295ELNS1_3gpuE0ELNS1_3repE0EEENS1_30default_config_static_selectorELNS0_4arch9wavefront6targetE1EEEvT1_.has_indirect_call, 0
	.section	.AMDGPU.csdata,"",@progbits
; Kernel info:
; codeLenInByte = 0
; TotalNumSgprs: 4
; NumVgprs: 0
; ScratchSize: 0
; MemoryBound: 0
; FloatMode: 240
; IeeeMode: 1
; LDSByteSize: 0 bytes/workgroup (compile time only)
; SGPRBlocks: 0
; VGPRBlocks: 0
; NumSGPRsForWavesPerEU: 4
; NumVGPRsForWavesPerEU: 1
; Occupancy: 10
; WaveLimiterHint : 0
; COMPUTE_PGM_RSRC2:SCRATCH_EN: 0
; COMPUTE_PGM_RSRC2:USER_SGPR: 6
; COMPUTE_PGM_RSRC2:TRAP_HANDLER: 0
; COMPUTE_PGM_RSRC2:TGID_X_EN: 1
; COMPUTE_PGM_RSRC2:TGID_Y_EN: 0
; COMPUTE_PGM_RSRC2:TGID_Z_EN: 0
; COMPUTE_PGM_RSRC2:TIDIG_COMP_CNT: 0
	.section	.text._ZN7rocprim17ROCPRIM_400000_NS6detail17trampoline_kernelINS0_14default_configENS1_25transform_config_selectorIfLb0EEEZNS1_14transform_implILb0ES3_S5_NS0_18transform_iteratorINS0_17counting_iteratorImlEEZNS1_24adjacent_difference_implIS3_Lb1ELb0EPfN6thrust23THRUST_200600_302600_NS16discard_iteratorINSD_11use_defaultEEENSD_5minusIfEEEE10hipError_tPvRmT2_T3_mT4_P12ihipStream_tbEUlmE_fEESB_NS0_8identityIvEEEESJ_SM_SN_mSO_SQ_bEUlT_E_NS1_11comp_targetILNS1_3genE5ELNS1_11target_archE942ELNS1_3gpuE9ELNS1_3repE0EEENS1_30default_config_static_selectorELNS0_4arch9wavefront6targetE1EEEvT1_,"axG",@progbits,_ZN7rocprim17ROCPRIM_400000_NS6detail17trampoline_kernelINS0_14default_configENS1_25transform_config_selectorIfLb0EEEZNS1_14transform_implILb0ES3_S5_NS0_18transform_iteratorINS0_17counting_iteratorImlEEZNS1_24adjacent_difference_implIS3_Lb1ELb0EPfN6thrust23THRUST_200600_302600_NS16discard_iteratorINSD_11use_defaultEEENSD_5minusIfEEEE10hipError_tPvRmT2_T3_mT4_P12ihipStream_tbEUlmE_fEESB_NS0_8identityIvEEEESJ_SM_SN_mSO_SQ_bEUlT_E_NS1_11comp_targetILNS1_3genE5ELNS1_11target_archE942ELNS1_3gpuE9ELNS1_3repE0EEENS1_30default_config_static_selectorELNS0_4arch9wavefront6targetE1EEEvT1_,comdat
	.protected	_ZN7rocprim17ROCPRIM_400000_NS6detail17trampoline_kernelINS0_14default_configENS1_25transform_config_selectorIfLb0EEEZNS1_14transform_implILb0ES3_S5_NS0_18transform_iteratorINS0_17counting_iteratorImlEEZNS1_24adjacent_difference_implIS3_Lb1ELb0EPfN6thrust23THRUST_200600_302600_NS16discard_iteratorINSD_11use_defaultEEENSD_5minusIfEEEE10hipError_tPvRmT2_T3_mT4_P12ihipStream_tbEUlmE_fEESB_NS0_8identityIvEEEESJ_SM_SN_mSO_SQ_bEUlT_E_NS1_11comp_targetILNS1_3genE5ELNS1_11target_archE942ELNS1_3gpuE9ELNS1_3repE0EEENS1_30default_config_static_selectorELNS0_4arch9wavefront6targetE1EEEvT1_ ; -- Begin function _ZN7rocprim17ROCPRIM_400000_NS6detail17trampoline_kernelINS0_14default_configENS1_25transform_config_selectorIfLb0EEEZNS1_14transform_implILb0ES3_S5_NS0_18transform_iteratorINS0_17counting_iteratorImlEEZNS1_24adjacent_difference_implIS3_Lb1ELb0EPfN6thrust23THRUST_200600_302600_NS16discard_iteratorINSD_11use_defaultEEENSD_5minusIfEEEE10hipError_tPvRmT2_T3_mT4_P12ihipStream_tbEUlmE_fEESB_NS0_8identityIvEEEESJ_SM_SN_mSO_SQ_bEUlT_E_NS1_11comp_targetILNS1_3genE5ELNS1_11target_archE942ELNS1_3gpuE9ELNS1_3repE0EEENS1_30default_config_static_selectorELNS0_4arch9wavefront6targetE1EEEvT1_
	.globl	_ZN7rocprim17ROCPRIM_400000_NS6detail17trampoline_kernelINS0_14default_configENS1_25transform_config_selectorIfLb0EEEZNS1_14transform_implILb0ES3_S5_NS0_18transform_iteratorINS0_17counting_iteratorImlEEZNS1_24adjacent_difference_implIS3_Lb1ELb0EPfN6thrust23THRUST_200600_302600_NS16discard_iteratorINSD_11use_defaultEEENSD_5minusIfEEEE10hipError_tPvRmT2_T3_mT4_P12ihipStream_tbEUlmE_fEESB_NS0_8identityIvEEEESJ_SM_SN_mSO_SQ_bEUlT_E_NS1_11comp_targetILNS1_3genE5ELNS1_11target_archE942ELNS1_3gpuE9ELNS1_3repE0EEENS1_30default_config_static_selectorELNS0_4arch9wavefront6targetE1EEEvT1_
	.p2align	8
	.type	_ZN7rocprim17ROCPRIM_400000_NS6detail17trampoline_kernelINS0_14default_configENS1_25transform_config_selectorIfLb0EEEZNS1_14transform_implILb0ES3_S5_NS0_18transform_iteratorINS0_17counting_iteratorImlEEZNS1_24adjacent_difference_implIS3_Lb1ELb0EPfN6thrust23THRUST_200600_302600_NS16discard_iteratorINSD_11use_defaultEEENSD_5minusIfEEEE10hipError_tPvRmT2_T3_mT4_P12ihipStream_tbEUlmE_fEESB_NS0_8identityIvEEEESJ_SM_SN_mSO_SQ_bEUlT_E_NS1_11comp_targetILNS1_3genE5ELNS1_11target_archE942ELNS1_3gpuE9ELNS1_3repE0EEENS1_30default_config_static_selectorELNS0_4arch9wavefront6targetE1EEEvT1_,@function
_ZN7rocprim17ROCPRIM_400000_NS6detail17trampoline_kernelINS0_14default_configENS1_25transform_config_selectorIfLb0EEEZNS1_14transform_implILb0ES3_S5_NS0_18transform_iteratorINS0_17counting_iteratorImlEEZNS1_24adjacent_difference_implIS3_Lb1ELb0EPfN6thrust23THRUST_200600_302600_NS16discard_iteratorINSD_11use_defaultEEENSD_5minusIfEEEE10hipError_tPvRmT2_T3_mT4_P12ihipStream_tbEUlmE_fEESB_NS0_8identityIvEEEESJ_SM_SN_mSO_SQ_bEUlT_E_NS1_11comp_targetILNS1_3genE5ELNS1_11target_archE942ELNS1_3gpuE9ELNS1_3repE0EEENS1_30default_config_static_selectorELNS0_4arch9wavefront6targetE1EEEvT1_: ; @_ZN7rocprim17ROCPRIM_400000_NS6detail17trampoline_kernelINS0_14default_configENS1_25transform_config_selectorIfLb0EEEZNS1_14transform_implILb0ES3_S5_NS0_18transform_iteratorINS0_17counting_iteratorImlEEZNS1_24adjacent_difference_implIS3_Lb1ELb0EPfN6thrust23THRUST_200600_302600_NS16discard_iteratorINSD_11use_defaultEEENSD_5minusIfEEEE10hipError_tPvRmT2_T3_mT4_P12ihipStream_tbEUlmE_fEESB_NS0_8identityIvEEEESJ_SM_SN_mSO_SQ_bEUlT_E_NS1_11comp_targetILNS1_3genE5ELNS1_11target_archE942ELNS1_3gpuE9ELNS1_3repE0EEENS1_30default_config_static_selectorELNS0_4arch9wavefront6targetE1EEEvT1_
; %bb.0:
	.section	.rodata,"a",@progbits
	.p2align	6, 0x0
	.amdhsa_kernel _ZN7rocprim17ROCPRIM_400000_NS6detail17trampoline_kernelINS0_14default_configENS1_25transform_config_selectorIfLb0EEEZNS1_14transform_implILb0ES3_S5_NS0_18transform_iteratorINS0_17counting_iteratorImlEEZNS1_24adjacent_difference_implIS3_Lb1ELb0EPfN6thrust23THRUST_200600_302600_NS16discard_iteratorINSD_11use_defaultEEENSD_5minusIfEEEE10hipError_tPvRmT2_T3_mT4_P12ihipStream_tbEUlmE_fEESB_NS0_8identityIvEEEESJ_SM_SN_mSO_SQ_bEUlT_E_NS1_11comp_targetILNS1_3genE5ELNS1_11target_archE942ELNS1_3gpuE9ELNS1_3repE0EEENS1_30default_config_static_selectorELNS0_4arch9wavefront6targetE1EEEvT1_
		.amdhsa_group_segment_fixed_size 0
		.amdhsa_private_segment_fixed_size 0
		.amdhsa_kernarg_size 56
		.amdhsa_user_sgpr_count 6
		.amdhsa_user_sgpr_private_segment_buffer 1
		.amdhsa_user_sgpr_dispatch_ptr 0
		.amdhsa_user_sgpr_queue_ptr 0
		.amdhsa_user_sgpr_kernarg_segment_ptr 1
		.amdhsa_user_sgpr_dispatch_id 0
		.amdhsa_user_sgpr_flat_scratch_init 0
		.amdhsa_user_sgpr_private_segment_size 0
		.amdhsa_uses_dynamic_stack 0
		.amdhsa_system_sgpr_private_segment_wavefront_offset 0
		.amdhsa_system_sgpr_workgroup_id_x 1
		.amdhsa_system_sgpr_workgroup_id_y 0
		.amdhsa_system_sgpr_workgroup_id_z 0
		.amdhsa_system_sgpr_workgroup_info 0
		.amdhsa_system_vgpr_workitem_id 0
		.amdhsa_next_free_vgpr 1
		.amdhsa_next_free_sgpr 0
		.amdhsa_reserve_vcc 0
		.amdhsa_reserve_flat_scratch 0
		.amdhsa_float_round_mode_32 0
		.amdhsa_float_round_mode_16_64 0
		.amdhsa_float_denorm_mode_32 3
		.amdhsa_float_denorm_mode_16_64 3
		.amdhsa_dx10_clamp 1
		.amdhsa_ieee_mode 1
		.amdhsa_fp16_overflow 0
		.amdhsa_exception_fp_ieee_invalid_op 0
		.amdhsa_exception_fp_denorm_src 0
		.amdhsa_exception_fp_ieee_div_zero 0
		.amdhsa_exception_fp_ieee_overflow 0
		.amdhsa_exception_fp_ieee_underflow 0
		.amdhsa_exception_fp_ieee_inexact 0
		.amdhsa_exception_int_div_zero 0
	.end_amdhsa_kernel
	.section	.text._ZN7rocprim17ROCPRIM_400000_NS6detail17trampoline_kernelINS0_14default_configENS1_25transform_config_selectorIfLb0EEEZNS1_14transform_implILb0ES3_S5_NS0_18transform_iteratorINS0_17counting_iteratorImlEEZNS1_24adjacent_difference_implIS3_Lb1ELb0EPfN6thrust23THRUST_200600_302600_NS16discard_iteratorINSD_11use_defaultEEENSD_5minusIfEEEE10hipError_tPvRmT2_T3_mT4_P12ihipStream_tbEUlmE_fEESB_NS0_8identityIvEEEESJ_SM_SN_mSO_SQ_bEUlT_E_NS1_11comp_targetILNS1_3genE5ELNS1_11target_archE942ELNS1_3gpuE9ELNS1_3repE0EEENS1_30default_config_static_selectorELNS0_4arch9wavefront6targetE1EEEvT1_,"axG",@progbits,_ZN7rocprim17ROCPRIM_400000_NS6detail17trampoline_kernelINS0_14default_configENS1_25transform_config_selectorIfLb0EEEZNS1_14transform_implILb0ES3_S5_NS0_18transform_iteratorINS0_17counting_iteratorImlEEZNS1_24adjacent_difference_implIS3_Lb1ELb0EPfN6thrust23THRUST_200600_302600_NS16discard_iteratorINSD_11use_defaultEEENSD_5minusIfEEEE10hipError_tPvRmT2_T3_mT4_P12ihipStream_tbEUlmE_fEESB_NS0_8identityIvEEEESJ_SM_SN_mSO_SQ_bEUlT_E_NS1_11comp_targetILNS1_3genE5ELNS1_11target_archE942ELNS1_3gpuE9ELNS1_3repE0EEENS1_30default_config_static_selectorELNS0_4arch9wavefront6targetE1EEEvT1_,comdat
.Lfunc_end791:
	.size	_ZN7rocprim17ROCPRIM_400000_NS6detail17trampoline_kernelINS0_14default_configENS1_25transform_config_selectorIfLb0EEEZNS1_14transform_implILb0ES3_S5_NS0_18transform_iteratorINS0_17counting_iteratorImlEEZNS1_24adjacent_difference_implIS3_Lb1ELb0EPfN6thrust23THRUST_200600_302600_NS16discard_iteratorINSD_11use_defaultEEENSD_5minusIfEEEE10hipError_tPvRmT2_T3_mT4_P12ihipStream_tbEUlmE_fEESB_NS0_8identityIvEEEESJ_SM_SN_mSO_SQ_bEUlT_E_NS1_11comp_targetILNS1_3genE5ELNS1_11target_archE942ELNS1_3gpuE9ELNS1_3repE0EEENS1_30default_config_static_selectorELNS0_4arch9wavefront6targetE1EEEvT1_, .Lfunc_end791-_ZN7rocprim17ROCPRIM_400000_NS6detail17trampoline_kernelINS0_14default_configENS1_25transform_config_selectorIfLb0EEEZNS1_14transform_implILb0ES3_S5_NS0_18transform_iteratorINS0_17counting_iteratorImlEEZNS1_24adjacent_difference_implIS3_Lb1ELb0EPfN6thrust23THRUST_200600_302600_NS16discard_iteratorINSD_11use_defaultEEENSD_5minusIfEEEE10hipError_tPvRmT2_T3_mT4_P12ihipStream_tbEUlmE_fEESB_NS0_8identityIvEEEESJ_SM_SN_mSO_SQ_bEUlT_E_NS1_11comp_targetILNS1_3genE5ELNS1_11target_archE942ELNS1_3gpuE9ELNS1_3repE0EEENS1_30default_config_static_selectorELNS0_4arch9wavefront6targetE1EEEvT1_
                                        ; -- End function
	.set _ZN7rocprim17ROCPRIM_400000_NS6detail17trampoline_kernelINS0_14default_configENS1_25transform_config_selectorIfLb0EEEZNS1_14transform_implILb0ES3_S5_NS0_18transform_iteratorINS0_17counting_iteratorImlEEZNS1_24adjacent_difference_implIS3_Lb1ELb0EPfN6thrust23THRUST_200600_302600_NS16discard_iteratorINSD_11use_defaultEEENSD_5minusIfEEEE10hipError_tPvRmT2_T3_mT4_P12ihipStream_tbEUlmE_fEESB_NS0_8identityIvEEEESJ_SM_SN_mSO_SQ_bEUlT_E_NS1_11comp_targetILNS1_3genE5ELNS1_11target_archE942ELNS1_3gpuE9ELNS1_3repE0EEENS1_30default_config_static_selectorELNS0_4arch9wavefront6targetE1EEEvT1_.num_vgpr, 0
	.set _ZN7rocprim17ROCPRIM_400000_NS6detail17trampoline_kernelINS0_14default_configENS1_25transform_config_selectorIfLb0EEEZNS1_14transform_implILb0ES3_S5_NS0_18transform_iteratorINS0_17counting_iteratorImlEEZNS1_24adjacent_difference_implIS3_Lb1ELb0EPfN6thrust23THRUST_200600_302600_NS16discard_iteratorINSD_11use_defaultEEENSD_5minusIfEEEE10hipError_tPvRmT2_T3_mT4_P12ihipStream_tbEUlmE_fEESB_NS0_8identityIvEEEESJ_SM_SN_mSO_SQ_bEUlT_E_NS1_11comp_targetILNS1_3genE5ELNS1_11target_archE942ELNS1_3gpuE9ELNS1_3repE0EEENS1_30default_config_static_selectorELNS0_4arch9wavefront6targetE1EEEvT1_.num_agpr, 0
	.set _ZN7rocprim17ROCPRIM_400000_NS6detail17trampoline_kernelINS0_14default_configENS1_25transform_config_selectorIfLb0EEEZNS1_14transform_implILb0ES3_S5_NS0_18transform_iteratorINS0_17counting_iteratorImlEEZNS1_24adjacent_difference_implIS3_Lb1ELb0EPfN6thrust23THRUST_200600_302600_NS16discard_iteratorINSD_11use_defaultEEENSD_5minusIfEEEE10hipError_tPvRmT2_T3_mT4_P12ihipStream_tbEUlmE_fEESB_NS0_8identityIvEEEESJ_SM_SN_mSO_SQ_bEUlT_E_NS1_11comp_targetILNS1_3genE5ELNS1_11target_archE942ELNS1_3gpuE9ELNS1_3repE0EEENS1_30default_config_static_selectorELNS0_4arch9wavefront6targetE1EEEvT1_.numbered_sgpr, 0
	.set _ZN7rocprim17ROCPRIM_400000_NS6detail17trampoline_kernelINS0_14default_configENS1_25transform_config_selectorIfLb0EEEZNS1_14transform_implILb0ES3_S5_NS0_18transform_iteratorINS0_17counting_iteratorImlEEZNS1_24adjacent_difference_implIS3_Lb1ELb0EPfN6thrust23THRUST_200600_302600_NS16discard_iteratorINSD_11use_defaultEEENSD_5minusIfEEEE10hipError_tPvRmT2_T3_mT4_P12ihipStream_tbEUlmE_fEESB_NS0_8identityIvEEEESJ_SM_SN_mSO_SQ_bEUlT_E_NS1_11comp_targetILNS1_3genE5ELNS1_11target_archE942ELNS1_3gpuE9ELNS1_3repE0EEENS1_30default_config_static_selectorELNS0_4arch9wavefront6targetE1EEEvT1_.num_named_barrier, 0
	.set _ZN7rocprim17ROCPRIM_400000_NS6detail17trampoline_kernelINS0_14default_configENS1_25transform_config_selectorIfLb0EEEZNS1_14transform_implILb0ES3_S5_NS0_18transform_iteratorINS0_17counting_iteratorImlEEZNS1_24adjacent_difference_implIS3_Lb1ELb0EPfN6thrust23THRUST_200600_302600_NS16discard_iteratorINSD_11use_defaultEEENSD_5minusIfEEEE10hipError_tPvRmT2_T3_mT4_P12ihipStream_tbEUlmE_fEESB_NS0_8identityIvEEEESJ_SM_SN_mSO_SQ_bEUlT_E_NS1_11comp_targetILNS1_3genE5ELNS1_11target_archE942ELNS1_3gpuE9ELNS1_3repE0EEENS1_30default_config_static_selectorELNS0_4arch9wavefront6targetE1EEEvT1_.private_seg_size, 0
	.set _ZN7rocprim17ROCPRIM_400000_NS6detail17trampoline_kernelINS0_14default_configENS1_25transform_config_selectorIfLb0EEEZNS1_14transform_implILb0ES3_S5_NS0_18transform_iteratorINS0_17counting_iteratorImlEEZNS1_24adjacent_difference_implIS3_Lb1ELb0EPfN6thrust23THRUST_200600_302600_NS16discard_iteratorINSD_11use_defaultEEENSD_5minusIfEEEE10hipError_tPvRmT2_T3_mT4_P12ihipStream_tbEUlmE_fEESB_NS0_8identityIvEEEESJ_SM_SN_mSO_SQ_bEUlT_E_NS1_11comp_targetILNS1_3genE5ELNS1_11target_archE942ELNS1_3gpuE9ELNS1_3repE0EEENS1_30default_config_static_selectorELNS0_4arch9wavefront6targetE1EEEvT1_.uses_vcc, 0
	.set _ZN7rocprim17ROCPRIM_400000_NS6detail17trampoline_kernelINS0_14default_configENS1_25transform_config_selectorIfLb0EEEZNS1_14transform_implILb0ES3_S5_NS0_18transform_iteratorINS0_17counting_iteratorImlEEZNS1_24adjacent_difference_implIS3_Lb1ELb0EPfN6thrust23THRUST_200600_302600_NS16discard_iteratorINSD_11use_defaultEEENSD_5minusIfEEEE10hipError_tPvRmT2_T3_mT4_P12ihipStream_tbEUlmE_fEESB_NS0_8identityIvEEEESJ_SM_SN_mSO_SQ_bEUlT_E_NS1_11comp_targetILNS1_3genE5ELNS1_11target_archE942ELNS1_3gpuE9ELNS1_3repE0EEENS1_30default_config_static_selectorELNS0_4arch9wavefront6targetE1EEEvT1_.uses_flat_scratch, 0
	.set _ZN7rocprim17ROCPRIM_400000_NS6detail17trampoline_kernelINS0_14default_configENS1_25transform_config_selectorIfLb0EEEZNS1_14transform_implILb0ES3_S5_NS0_18transform_iteratorINS0_17counting_iteratorImlEEZNS1_24adjacent_difference_implIS3_Lb1ELb0EPfN6thrust23THRUST_200600_302600_NS16discard_iteratorINSD_11use_defaultEEENSD_5minusIfEEEE10hipError_tPvRmT2_T3_mT4_P12ihipStream_tbEUlmE_fEESB_NS0_8identityIvEEEESJ_SM_SN_mSO_SQ_bEUlT_E_NS1_11comp_targetILNS1_3genE5ELNS1_11target_archE942ELNS1_3gpuE9ELNS1_3repE0EEENS1_30default_config_static_selectorELNS0_4arch9wavefront6targetE1EEEvT1_.has_dyn_sized_stack, 0
	.set _ZN7rocprim17ROCPRIM_400000_NS6detail17trampoline_kernelINS0_14default_configENS1_25transform_config_selectorIfLb0EEEZNS1_14transform_implILb0ES3_S5_NS0_18transform_iteratorINS0_17counting_iteratorImlEEZNS1_24adjacent_difference_implIS3_Lb1ELb0EPfN6thrust23THRUST_200600_302600_NS16discard_iteratorINSD_11use_defaultEEENSD_5minusIfEEEE10hipError_tPvRmT2_T3_mT4_P12ihipStream_tbEUlmE_fEESB_NS0_8identityIvEEEESJ_SM_SN_mSO_SQ_bEUlT_E_NS1_11comp_targetILNS1_3genE5ELNS1_11target_archE942ELNS1_3gpuE9ELNS1_3repE0EEENS1_30default_config_static_selectorELNS0_4arch9wavefront6targetE1EEEvT1_.has_recursion, 0
	.set _ZN7rocprim17ROCPRIM_400000_NS6detail17trampoline_kernelINS0_14default_configENS1_25transform_config_selectorIfLb0EEEZNS1_14transform_implILb0ES3_S5_NS0_18transform_iteratorINS0_17counting_iteratorImlEEZNS1_24adjacent_difference_implIS3_Lb1ELb0EPfN6thrust23THRUST_200600_302600_NS16discard_iteratorINSD_11use_defaultEEENSD_5minusIfEEEE10hipError_tPvRmT2_T3_mT4_P12ihipStream_tbEUlmE_fEESB_NS0_8identityIvEEEESJ_SM_SN_mSO_SQ_bEUlT_E_NS1_11comp_targetILNS1_3genE5ELNS1_11target_archE942ELNS1_3gpuE9ELNS1_3repE0EEENS1_30default_config_static_selectorELNS0_4arch9wavefront6targetE1EEEvT1_.has_indirect_call, 0
	.section	.AMDGPU.csdata,"",@progbits
; Kernel info:
; codeLenInByte = 0
; TotalNumSgprs: 4
; NumVgprs: 0
; ScratchSize: 0
; MemoryBound: 0
; FloatMode: 240
; IeeeMode: 1
; LDSByteSize: 0 bytes/workgroup (compile time only)
; SGPRBlocks: 0
; VGPRBlocks: 0
; NumSGPRsForWavesPerEU: 4
; NumVGPRsForWavesPerEU: 1
; Occupancy: 10
; WaveLimiterHint : 0
; COMPUTE_PGM_RSRC2:SCRATCH_EN: 0
; COMPUTE_PGM_RSRC2:USER_SGPR: 6
; COMPUTE_PGM_RSRC2:TRAP_HANDLER: 0
; COMPUTE_PGM_RSRC2:TGID_X_EN: 1
; COMPUTE_PGM_RSRC2:TGID_Y_EN: 0
; COMPUTE_PGM_RSRC2:TGID_Z_EN: 0
; COMPUTE_PGM_RSRC2:TIDIG_COMP_CNT: 0
	.section	.text._ZN7rocprim17ROCPRIM_400000_NS6detail17trampoline_kernelINS0_14default_configENS1_25transform_config_selectorIfLb0EEEZNS1_14transform_implILb0ES3_S5_NS0_18transform_iteratorINS0_17counting_iteratorImlEEZNS1_24adjacent_difference_implIS3_Lb1ELb0EPfN6thrust23THRUST_200600_302600_NS16discard_iteratorINSD_11use_defaultEEENSD_5minusIfEEEE10hipError_tPvRmT2_T3_mT4_P12ihipStream_tbEUlmE_fEESB_NS0_8identityIvEEEESJ_SM_SN_mSO_SQ_bEUlT_E_NS1_11comp_targetILNS1_3genE4ELNS1_11target_archE910ELNS1_3gpuE8ELNS1_3repE0EEENS1_30default_config_static_selectorELNS0_4arch9wavefront6targetE1EEEvT1_,"axG",@progbits,_ZN7rocprim17ROCPRIM_400000_NS6detail17trampoline_kernelINS0_14default_configENS1_25transform_config_selectorIfLb0EEEZNS1_14transform_implILb0ES3_S5_NS0_18transform_iteratorINS0_17counting_iteratorImlEEZNS1_24adjacent_difference_implIS3_Lb1ELb0EPfN6thrust23THRUST_200600_302600_NS16discard_iteratorINSD_11use_defaultEEENSD_5minusIfEEEE10hipError_tPvRmT2_T3_mT4_P12ihipStream_tbEUlmE_fEESB_NS0_8identityIvEEEESJ_SM_SN_mSO_SQ_bEUlT_E_NS1_11comp_targetILNS1_3genE4ELNS1_11target_archE910ELNS1_3gpuE8ELNS1_3repE0EEENS1_30default_config_static_selectorELNS0_4arch9wavefront6targetE1EEEvT1_,comdat
	.protected	_ZN7rocprim17ROCPRIM_400000_NS6detail17trampoline_kernelINS0_14default_configENS1_25transform_config_selectorIfLb0EEEZNS1_14transform_implILb0ES3_S5_NS0_18transform_iteratorINS0_17counting_iteratorImlEEZNS1_24adjacent_difference_implIS3_Lb1ELb0EPfN6thrust23THRUST_200600_302600_NS16discard_iteratorINSD_11use_defaultEEENSD_5minusIfEEEE10hipError_tPvRmT2_T3_mT4_P12ihipStream_tbEUlmE_fEESB_NS0_8identityIvEEEESJ_SM_SN_mSO_SQ_bEUlT_E_NS1_11comp_targetILNS1_3genE4ELNS1_11target_archE910ELNS1_3gpuE8ELNS1_3repE0EEENS1_30default_config_static_selectorELNS0_4arch9wavefront6targetE1EEEvT1_ ; -- Begin function _ZN7rocprim17ROCPRIM_400000_NS6detail17trampoline_kernelINS0_14default_configENS1_25transform_config_selectorIfLb0EEEZNS1_14transform_implILb0ES3_S5_NS0_18transform_iteratorINS0_17counting_iteratorImlEEZNS1_24adjacent_difference_implIS3_Lb1ELb0EPfN6thrust23THRUST_200600_302600_NS16discard_iteratorINSD_11use_defaultEEENSD_5minusIfEEEE10hipError_tPvRmT2_T3_mT4_P12ihipStream_tbEUlmE_fEESB_NS0_8identityIvEEEESJ_SM_SN_mSO_SQ_bEUlT_E_NS1_11comp_targetILNS1_3genE4ELNS1_11target_archE910ELNS1_3gpuE8ELNS1_3repE0EEENS1_30default_config_static_selectorELNS0_4arch9wavefront6targetE1EEEvT1_
	.globl	_ZN7rocprim17ROCPRIM_400000_NS6detail17trampoline_kernelINS0_14default_configENS1_25transform_config_selectorIfLb0EEEZNS1_14transform_implILb0ES3_S5_NS0_18transform_iteratorINS0_17counting_iteratorImlEEZNS1_24adjacent_difference_implIS3_Lb1ELb0EPfN6thrust23THRUST_200600_302600_NS16discard_iteratorINSD_11use_defaultEEENSD_5minusIfEEEE10hipError_tPvRmT2_T3_mT4_P12ihipStream_tbEUlmE_fEESB_NS0_8identityIvEEEESJ_SM_SN_mSO_SQ_bEUlT_E_NS1_11comp_targetILNS1_3genE4ELNS1_11target_archE910ELNS1_3gpuE8ELNS1_3repE0EEENS1_30default_config_static_selectorELNS0_4arch9wavefront6targetE1EEEvT1_
	.p2align	8
	.type	_ZN7rocprim17ROCPRIM_400000_NS6detail17trampoline_kernelINS0_14default_configENS1_25transform_config_selectorIfLb0EEEZNS1_14transform_implILb0ES3_S5_NS0_18transform_iteratorINS0_17counting_iteratorImlEEZNS1_24adjacent_difference_implIS3_Lb1ELb0EPfN6thrust23THRUST_200600_302600_NS16discard_iteratorINSD_11use_defaultEEENSD_5minusIfEEEE10hipError_tPvRmT2_T3_mT4_P12ihipStream_tbEUlmE_fEESB_NS0_8identityIvEEEESJ_SM_SN_mSO_SQ_bEUlT_E_NS1_11comp_targetILNS1_3genE4ELNS1_11target_archE910ELNS1_3gpuE8ELNS1_3repE0EEENS1_30default_config_static_selectorELNS0_4arch9wavefront6targetE1EEEvT1_,@function
_ZN7rocprim17ROCPRIM_400000_NS6detail17trampoline_kernelINS0_14default_configENS1_25transform_config_selectorIfLb0EEEZNS1_14transform_implILb0ES3_S5_NS0_18transform_iteratorINS0_17counting_iteratorImlEEZNS1_24adjacent_difference_implIS3_Lb1ELb0EPfN6thrust23THRUST_200600_302600_NS16discard_iteratorINSD_11use_defaultEEENSD_5minusIfEEEE10hipError_tPvRmT2_T3_mT4_P12ihipStream_tbEUlmE_fEESB_NS0_8identityIvEEEESJ_SM_SN_mSO_SQ_bEUlT_E_NS1_11comp_targetILNS1_3genE4ELNS1_11target_archE910ELNS1_3gpuE8ELNS1_3repE0EEENS1_30default_config_static_selectorELNS0_4arch9wavefront6targetE1EEEvT1_: ; @_ZN7rocprim17ROCPRIM_400000_NS6detail17trampoline_kernelINS0_14default_configENS1_25transform_config_selectorIfLb0EEEZNS1_14transform_implILb0ES3_S5_NS0_18transform_iteratorINS0_17counting_iteratorImlEEZNS1_24adjacent_difference_implIS3_Lb1ELb0EPfN6thrust23THRUST_200600_302600_NS16discard_iteratorINSD_11use_defaultEEENSD_5minusIfEEEE10hipError_tPvRmT2_T3_mT4_P12ihipStream_tbEUlmE_fEESB_NS0_8identityIvEEEESJ_SM_SN_mSO_SQ_bEUlT_E_NS1_11comp_targetILNS1_3genE4ELNS1_11target_archE910ELNS1_3gpuE8ELNS1_3repE0EEENS1_30default_config_static_selectorELNS0_4arch9wavefront6targetE1EEEvT1_
; %bb.0:
	.section	.rodata,"a",@progbits
	.p2align	6, 0x0
	.amdhsa_kernel _ZN7rocprim17ROCPRIM_400000_NS6detail17trampoline_kernelINS0_14default_configENS1_25transform_config_selectorIfLb0EEEZNS1_14transform_implILb0ES3_S5_NS0_18transform_iteratorINS0_17counting_iteratorImlEEZNS1_24adjacent_difference_implIS3_Lb1ELb0EPfN6thrust23THRUST_200600_302600_NS16discard_iteratorINSD_11use_defaultEEENSD_5minusIfEEEE10hipError_tPvRmT2_T3_mT4_P12ihipStream_tbEUlmE_fEESB_NS0_8identityIvEEEESJ_SM_SN_mSO_SQ_bEUlT_E_NS1_11comp_targetILNS1_3genE4ELNS1_11target_archE910ELNS1_3gpuE8ELNS1_3repE0EEENS1_30default_config_static_selectorELNS0_4arch9wavefront6targetE1EEEvT1_
		.amdhsa_group_segment_fixed_size 0
		.amdhsa_private_segment_fixed_size 0
		.amdhsa_kernarg_size 56
		.amdhsa_user_sgpr_count 6
		.amdhsa_user_sgpr_private_segment_buffer 1
		.amdhsa_user_sgpr_dispatch_ptr 0
		.amdhsa_user_sgpr_queue_ptr 0
		.amdhsa_user_sgpr_kernarg_segment_ptr 1
		.amdhsa_user_sgpr_dispatch_id 0
		.amdhsa_user_sgpr_flat_scratch_init 0
		.amdhsa_user_sgpr_private_segment_size 0
		.amdhsa_uses_dynamic_stack 0
		.amdhsa_system_sgpr_private_segment_wavefront_offset 0
		.amdhsa_system_sgpr_workgroup_id_x 1
		.amdhsa_system_sgpr_workgroup_id_y 0
		.amdhsa_system_sgpr_workgroup_id_z 0
		.amdhsa_system_sgpr_workgroup_info 0
		.amdhsa_system_vgpr_workitem_id 0
		.amdhsa_next_free_vgpr 1
		.amdhsa_next_free_sgpr 0
		.amdhsa_reserve_vcc 0
		.amdhsa_reserve_flat_scratch 0
		.amdhsa_float_round_mode_32 0
		.amdhsa_float_round_mode_16_64 0
		.amdhsa_float_denorm_mode_32 3
		.amdhsa_float_denorm_mode_16_64 3
		.amdhsa_dx10_clamp 1
		.amdhsa_ieee_mode 1
		.amdhsa_fp16_overflow 0
		.amdhsa_exception_fp_ieee_invalid_op 0
		.amdhsa_exception_fp_denorm_src 0
		.amdhsa_exception_fp_ieee_div_zero 0
		.amdhsa_exception_fp_ieee_overflow 0
		.amdhsa_exception_fp_ieee_underflow 0
		.amdhsa_exception_fp_ieee_inexact 0
		.amdhsa_exception_int_div_zero 0
	.end_amdhsa_kernel
	.section	.text._ZN7rocprim17ROCPRIM_400000_NS6detail17trampoline_kernelINS0_14default_configENS1_25transform_config_selectorIfLb0EEEZNS1_14transform_implILb0ES3_S5_NS0_18transform_iteratorINS0_17counting_iteratorImlEEZNS1_24adjacent_difference_implIS3_Lb1ELb0EPfN6thrust23THRUST_200600_302600_NS16discard_iteratorINSD_11use_defaultEEENSD_5minusIfEEEE10hipError_tPvRmT2_T3_mT4_P12ihipStream_tbEUlmE_fEESB_NS0_8identityIvEEEESJ_SM_SN_mSO_SQ_bEUlT_E_NS1_11comp_targetILNS1_3genE4ELNS1_11target_archE910ELNS1_3gpuE8ELNS1_3repE0EEENS1_30default_config_static_selectorELNS0_4arch9wavefront6targetE1EEEvT1_,"axG",@progbits,_ZN7rocprim17ROCPRIM_400000_NS6detail17trampoline_kernelINS0_14default_configENS1_25transform_config_selectorIfLb0EEEZNS1_14transform_implILb0ES3_S5_NS0_18transform_iteratorINS0_17counting_iteratorImlEEZNS1_24adjacent_difference_implIS3_Lb1ELb0EPfN6thrust23THRUST_200600_302600_NS16discard_iteratorINSD_11use_defaultEEENSD_5minusIfEEEE10hipError_tPvRmT2_T3_mT4_P12ihipStream_tbEUlmE_fEESB_NS0_8identityIvEEEESJ_SM_SN_mSO_SQ_bEUlT_E_NS1_11comp_targetILNS1_3genE4ELNS1_11target_archE910ELNS1_3gpuE8ELNS1_3repE0EEENS1_30default_config_static_selectorELNS0_4arch9wavefront6targetE1EEEvT1_,comdat
.Lfunc_end792:
	.size	_ZN7rocprim17ROCPRIM_400000_NS6detail17trampoline_kernelINS0_14default_configENS1_25transform_config_selectorIfLb0EEEZNS1_14transform_implILb0ES3_S5_NS0_18transform_iteratorINS0_17counting_iteratorImlEEZNS1_24adjacent_difference_implIS3_Lb1ELb0EPfN6thrust23THRUST_200600_302600_NS16discard_iteratorINSD_11use_defaultEEENSD_5minusIfEEEE10hipError_tPvRmT2_T3_mT4_P12ihipStream_tbEUlmE_fEESB_NS0_8identityIvEEEESJ_SM_SN_mSO_SQ_bEUlT_E_NS1_11comp_targetILNS1_3genE4ELNS1_11target_archE910ELNS1_3gpuE8ELNS1_3repE0EEENS1_30default_config_static_selectorELNS0_4arch9wavefront6targetE1EEEvT1_, .Lfunc_end792-_ZN7rocprim17ROCPRIM_400000_NS6detail17trampoline_kernelINS0_14default_configENS1_25transform_config_selectorIfLb0EEEZNS1_14transform_implILb0ES3_S5_NS0_18transform_iteratorINS0_17counting_iteratorImlEEZNS1_24adjacent_difference_implIS3_Lb1ELb0EPfN6thrust23THRUST_200600_302600_NS16discard_iteratorINSD_11use_defaultEEENSD_5minusIfEEEE10hipError_tPvRmT2_T3_mT4_P12ihipStream_tbEUlmE_fEESB_NS0_8identityIvEEEESJ_SM_SN_mSO_SQ_bEUlT_E_NS1_11comp_targetILNS1_3genE4ELNS1_11target_archE910ELNS1_3gpuE8ELNS1_3repE0EEENS1_30default_config_static_selectorELNS0_4arch9wavefront6targetE1EEEvT1_
                                        ; -- End function
	.set _ZN7rocprim17ROCPRIM_400000_NS6detail17trampoline_kernelINS0_14default_configENS1_25transform_config_selectorIfLb0EEEZNS1_14transform_implILb0ES3_S5_NS0_18transform_iteratorINS0_17counting_iteratorImlEEZNS1_24adjacent_difference_implIS3_Lb1ELb0EPfN6thrust23THRUST_200600_302600_NS16discard_iteratorINSD_11use_defaultEEENSD_5minusIfEEEE10hipError_tPvRmT2_T3_mT4_P12ihipStream_tbEUlmE_fEESB_NS0_8identityIvEEEESJ_SM_SN_mSO_SQ_bEUlT_E_NS1_11comp_targetILNS1_3genE4ELNS1_11target_archE910ELNS1_3gpuE8ELNS1_3repE0EEENS1_30default_config_static_selectorELNS0_4arch9wavefront6targetE1EEEvT1_.num_vgpr, 0
	.set _ZN7rocprim17ROCPRIM_400000_NS6detail17trampoline_kernelINS0_14default_configENS1_25transform_config_selectorIfLb0EEEZNS1_14transform_implILb0ES3_S5_NS0_18transform_iteratorINS0_17counting_iteratorImlEEZNS1_24adjacent_difference_implIS3_Lb1ELb0EPfN6thrust23THRUST_200600_302600_NS16discard_iteratorINSD_11use_defaultEEENSD_5minusIfEEEE10hipError_tPvRmT2_T3_mT4_P12ihipStream_tbEUlmE_fEESB_NS0_8identityIvEEEESJ_SM_SN_mSO_SQ_bEUlT_E_NS1_11comp_targetILNS1_3genE4ELNS1_11target_archE910ELNS1_3gpuE8ELNS1_3repE0EEENS1_30default_config_static_selectorELNS0_4arch9wavefront6targetE1EEEvT1_.num_agpr, 0
	.set _ZN7rocprim17ROCPRIM_400000_NS6detail17trampoline_kernelINS0_14default_configENS1_25transform_config_selectorIfLb0EEEZNS1_14transform_implILb0ES3_S5_NS0_18transform_iteratorINS0_17counting_iteratorImlEEZNS1_24adjacent_difference_implIS3_Lb1ELb0EPfN6thrust23THRUST_200600_302600_NS16discard_iteratorINSD_11use_defaultEEENSD_5minusIfEEEE10hipError_tPvRmT2_T3_mT4_P12ihipStream_tbEUlmE_fEESB_NS0_8identityIvEEEESJ_SM_SN_mSO_SQ_bEUlT_E_NS1_11comp_targetILNS1_3genE4ELNS1_11target_archE910ELNS1_3gpuE8ELNS1_3repE0EEENS1_30default_config_static_selectorELNS0_4arch9wavefront6targetE1EEEvT1_.numbered_sgpr, 0
	.set _ZN7rocprim17ROCPRIM_400000_NS6detail17trampoline_kernelINS0_14default_configENS1_25transform_config_selectorIfLb0EEEZNS1_14transform_implILb0ES3_S5_NS0_18transform_iteratorINS0_17counting_iteratorImlEEZNS1_24adjacent_difference_implIS3_Lb1ELb0EPfN6thrust23THRUST_200600_302600_NS16discard_iteratorINSD_11use_defaultEEENSD_5minusIfEEEE10hipError_tPvRmT2_T3_mT4_P12ihipStream_tbEUlmE_fEESB_NS0_8identityIvEEEESJ_SM_SN_mSO_SQ_bEUlT_E_NS1_11comp_targetILNS1_3genE4ELNS1_11target_archE910ELNS1_3gpuE8ELNS1_3repE0EEENS1_30default_config_static_selectorELNS0_4arch9wavefront6targetE1EEEvT1_.num_named_barrier, 0
	.set _ZN7rocprim17ROCPRIM_400000_NS6detail17trampoline_kernelINS0_14default_configENS1_25transform_config_selectorIfLb0EEEZNS1_14transform_implILb0ES3_S5_NS0_18transform_iteratorINS0_17counting_iteratorImlEEZNS1_24adjacent_difference_implIS3_Lb1ELb0EPfN6thrust23THRUST_200600_302600_NS16discard_iteratorINSD_11use_defaultEEENSD_5minusIfEEEE10hipError_tPvRmT2_T3_mT4_P12ihipStream_tbEUlmE_fEESB_NS0_8identityIvEEEESJ_SM_SN_mSO_SQ_bEUlT_E_NS1_11comp_targetILNS1_3genE4ELNS1_11target_archE910ELNS1_3gpuE8ELNS1_3repE0EEENS1_30default_config_static_selectorELNS0_4arch9wavefront6targetE1EEEvT1_.private_seg_size, 0
	.set _ZN7rocprim17ROCPRIM_400000_NS6detail17trampoline_kernelINS0_14default_configENS1_25transform_config_selectorIfLb0EEEZNS1_14transform_implILb0ES3_S5_NS0_18transform_iteratorINS0_17counting_iteratorImlEEZNS1_24adjacent_difference_implIS3_Lb1ELb0EPfN6thrust23THRUST_200600_302600_NS16discard_iteratorINSD_11use_defaultEEENSD_5minusIfEEEE10hipError_tPvRmT2_T3_mT4_P12ihipStream_tbEUlmE_fEESB_NS0_8identityIvEEEESJ_SM_SN_mSO_SQ_bEUlT_E_NS1_11comp_targetILNS1_3genE4ELNS1_11target_archE910ELNS1_3gpuE8ELNS1_3repE0EEENS1_30default_config_static_selectorELNS0_4arch9wavefront6targetE1EEEvT1_.uses_vcc, 0
	.set _ZN7rocprim17ROCPRIM_400000_NS6detail17trampoline_kernelINS0_14default_configENS1_25transform_config_selectorIfLb0EEEZNS1_14transform_implILb0ES3_S5_NS0_18transform_iteratorINS0_17counting_iteratorImlEEZNS1_24adjacent_difference_implIS3_Lb1ELb0EPfN6thrust23THRUST_200600_302600_NS16discard_iteratorINSD_11use_defaultEEENSD_5minusIfEEEE10hipError_tPvRmT2_T3_mT4_P12ihipStream_tbEUlmE_fEESB_NS0_8identityIvEEEESJ_SM_SN_mSO_SQ_bEUlT_E_NS1_11comp_targetILNS1_3genE4ELNS1_11target_archE910ELNS1_3gpuE8ELNS1_3repE0EEENS1_30default_config_static_selectorELNS0_4arch9wavefront6targetE1EEEvT1_.uses_flat_scratch, 0
	.set _ZN7rocprim17ROCPRIM_400000_NS6detail17trampoline_kernelINS0_14default_configENS1_25transform_config_selectorIfLb0EEEZNS1_14transform_implILb0ES3_S5_NS0_18transform_iteratorINS0_17counting_iteratorImlEEZNS1_24adjacent_difference_implIS3_Lb1ELb0EPfN6thrust23THRUST_200600_302600_NS16discard_iteratorINSD_11use_defaultEEENSD_5minusIfEEEE10hipError_tPvRmT2_T3_mT4_P12ihipStream_tbEUlmE_fEESB_NS0_8identityIvEEEESJ_SM_SN_mSO_SQ_bEUlT_E_NS1_11comp_targetILNS1_3genE4ELNS1_11target_archE910ELNS1_3gpuE8ELNS1_3repE0EEENS1_30default_config_static_selectorELNS0_4arch9wavefront6targetE1EEEvT1_.has_dyn_sized_stack, 0
	.set _ZN7rocprim17ROCPRIM_400000_NS6detail17trampoline_kernelINS0_14default_configENS1_25transform_config_selectorIfLb0EEEZNS1_14transform_implILb0ES3_S5_NS0_18transform_iteratorINS0_17counting_iteratorImlEEZNS1_24adjacent_difference_implIS3_Lb1ELb0EPfN6thrust23THRUST_200600_302600_NS16discard_iteratorINSD_11use_defaultEEENSD_5minusIfEEEE10hipError_tPvRmT2_T3_mT4_P12ihipStream_tbEUlmE_fEESB_NS0_8identityIvEEEESJ_SM_SN_mSO_SQ_bEUlT_E_NS1_11comp_targetILNS1_3genE4ELNS1_11target_archE910ELNS1_3gpuE8ELNS1_3repE0EEENS1_30default_config_static_selectorELNS0_4arch9wavefront6targetE1EEEvT1_.has_recursion, 0
	.set _ZN7rocprim17ROCPRIM_400000_NS6detail17trampoline_kernelINS0_14default_configENS1_25transform_config_selectorIfLb0EEEZNS1_14transform_implILb0ES3_S5_NS0_18transform_iteratorINS0_17counting_iteratorImlEEZNS1_24adjacent_difference_implIS3_Lb1ELb0EPfN6thrust23THRUST_200600_302600_NS16discard_iteratorINSD_11use_defaultEEENSD_5minusIfEEEE10hipError_tPvRmT2_T3_mT4_P12ihipStream_tbEUlmE_fEESB_NS0_8identityIvEEEESJ_SM_SN_mSO_SQ_bEUlT_E_NS1_11comp_targetILNS1_3genE4ELNS1_11target_archE910ELNS1_3gpuE8ELNS1_3repE0EEENS1_30default_config_static_selectorELNS0_4arch9wavefront6targetE1EEEvT1_.has_indirect_call, 0
	.section	.AMDGPU.csdata,"",@progbits
; Kernel info:
; codeLenInByte = 0
; TotalNumSgprs: 4
; NumVgprs: 0
; ScratchSize: 0
; MemoryBound: 0
; FloatMode: 240
; IeeeMode: 1
; LDSByteSize: 0 bytes/workgroup (compile time only)
; SGPRBlocks: 0
; VGPRBlocks: 0
; NumSGPRsForWavesPerEU: 4
; NumVGPRsForWavesPerEU: 1
; Occupancy: 10
; WaveLimiterHint : 0
; COMPUTE_PGM_RSRC2:SCRATCH_EN: 0
; COMPUTE_PGM_RSRC2:USER_SGPR: 6
; COMPUTE_PGM_RSRC2:TRAP_HANDLER: 0
; COMPUTE_PGM_RSRC2:TGID_X_EN: 1
; COMPUTE_PGM_RSRC2:TGID_Y_EN: 0
; COMPUTE_PGM_RSRC2:TGID_Z_EN: 0
; COMPUTE_PGM_RSRC2:TIDIG_COMP_CNT: 0
	.section	.text._ZN7rocprim17ROCPRIM_400000_NS6detail17trampoline_kernelINS0_14default_configENS1_25transform_config_selectorIfLb0EEEZNS1_14transform_implILb0ES3_S5_NS0_18transform_iteratorINS0_17counting_iteratorImlEEZNS1_24adjacent_difference_implIS3_Lb1ELb0EPfN6thrust23THRUST_200600_302600_NS16discard_iteratorINSD_11use_defaultEEENSD_5minusIfEEEE10hipError_tPvRmT2_T3_mT4_P12ihipStream_tbEUlmE_fEESB_NS0_8identityIvEEEESJ_SM_SN_mSO_SQ_bEUlT_E_NS1_11comp_targetILNS1_3genE3ELNS1_11target_archE908ELNS1_3gpuE7ELNS1_3repE0EEENS1_30default_config_static_selectorELNS0_4arch9wavefront6targetE1EEEvT1_,"axG",@progbits,_ZN7rocprim17ROCPRIM_400000_NS6detail17trampoline_kernelINS0_14default_configENS1_25transform_config_selectorIfLb0EEEZNS1_14transform_implILb0ES3_S5_NS0_18transform_iteratorINS0_17counting_iteratorImlEEZNS1_24adjacent_difference_implIS3_Lb1ELb0EPfN6thrust23THRUST_200600_302600_NS16discard_iteratorINSD_11use_defaultEEENSD_5minusIfEEEE10hipError_tPvRmT2_T3_mT4_P12ihipStream_tbEUlmE_fEESB_NS0_8identityIvEEEESJ_SM_SN_mSO_SQ_bEUlT_E_NS1_11comp_targetILNS1_3genE3ELNS1_11target_archE908ELNS1_3gpuE7ELNS1_3repE0EEENS1_30default_config_static_selectorELNS0_4arch9wavefront6targetE1EEEvT1_,comdat
	.protected	_ZN7rocprim17ROCPRIM_400000_NS6detail17trampoline_kernelINS0_14default_configENS1_25transform_config_selectorIfLb0EEEZNS1_14transform_implILb0ES3_S5_NS0_18transform_iteratorINS0_17counting_iteratorImlEEZNS1_24adjacent_difference_implIS3_Lb1ELb0EPfN6thrust23THRUST_200600_302600_NS16discard_iteratorINSD_11use_defaultEEENSD_5minusIfEEEE10hipError_tPvRmT2_T3_mT4_P12ihipStream_tbEUlmE_fEESB_NS0_8identityIvEEEESJ_SM_SN_mSO_SQ_bEUlT_E_NS1_11comp_targetILNS1_3genE3ELNS1_11target_archE908ELNS1_3gpuE7ELNS1_3repE0EEENS1_30default_config_static_selectorELNS0_4arch9wavefront6targetE1EEEvT1_ ; -- Begin function _ZN7rocprim17ROCPRIM_400000_NS6detail17trampoline_kernelINS0_14default_configENS1_25transform_config_selectorIfLb0EEEZNS1_14transform_implILb0ES3_S5_NS0_18transform_iteratorINS0_17counting_iteratorImlEEZNS1_24adjacent_difference_implIS3_Lb1ELb0EPfN6thrust23THRUST_200600_302600_NS16discard_iteratorINSD_11use_defaultEEENSD_5minusIfEEEE10hipError_tPvRmT2_T3_mT4_P12ihipStream_tbEUlmE_fEESB_NS0_8identityIvEEEESJ_SM_SN_mSO_SQ_bEUlT_E_NS1_11comp_targetILNS1_3genE3ELNS1_11target_archE908ELNS1_3gpuE7ELNS1_3repE0EEENS1_30default_config_static_selectorELNS0_4arch9wavefront6targetE1EEEvT1_
	.globl	_ZN7rocprim17ROCPRIM_400000_NS6detail17trampoline_kernelINS0_14default_configENS1_25transform_config_selectorIfLb0EEEZNS1_14transform_implILb0ES3_S5_NS0_18transform_iteratorINS0_17counting_iteratorImlEEZNS1_24adjacent_difference_implIS3_Lb1ELb0EPfN6thrust23THRUST_200600_302600_NS16discard_iteratorINSD_11use_defaultEEENSD_5minusIfEEEE10hipError_tPvRmT2_T3_mT4_P12ihipStream_tbEUlmE_fEESB_NS0_8identityIvEEEESJ_SM_SN_mSO_SQ_bEUlT_E_NS1_11comp_targetILNS1_3genE3ELNS1_11target_archE908ELNS1_3gpuE7ELNS1_3repE0EEENS1_30default_config_static_selectorELNS0_4arch9wavefront6targetE1EEEvT1_
	.p2align	8
	.type	_ZN7rocprim17ROCPRIM_400000_NS6detail17trampoline_kernelINS0_14default_configENS1_25transform_config_selectorIfLb0EEEZNS1_14transform_implILb0ES3_S5_NS0_18transform_iteratorINS0_17counting_iteratorImlEEZNS1_24adjacent_difference_implIS3_Lb1ELb0EPfN6thrust23THRUST_200600_302600_NS16discard_iteratorINSD_11use_defaultEEENSD_5minusIfEEEE10hipError_tPvRmT2_T3_mT4_P12ihipStream_tbEUlmE_fEESB_NS0_8identityIvEEEESJ_SM_SN_mSO_SQ_bEUlT_E_NS1_11comp_targetILNS1_3genE3ELNS1_11target_archE908ELNS1_3gpuE7ELNS1_3repE0EEENS1_30default_config_static_selectorELNS0_4arch9wavefront6targetE1EEEvT1_,@function
_ZN7rocprim17ROCPRIM_400000_NS6detail17trampoline_kernelINS0_14default_configENS1_25transform_config_selectorIfLb0EEEZNS1_14transform_implILb0ES3_S5_NS0_18transform_iteratorINS0_17counting_iteratorImlEEZNS1_24adjacent_difference_implIS3_Lb1ELb0EPfN6thrust23THRUST_200600_302600_NS16discard_iteratorINSD_11use_defaultEEENSD_5minusIfEEEE10hipError_tPvRmT2_T3_mT4_P12ihipStream_tbEUlmE_fEESB_NS0_8identityIvEEEESJ_SM_SN_mSO_SQ_bEUlT_E_NS1_11comp_targetILNS1_3genE3ELNS1_11target_archE908ELNS1_3gpuE7ELNS1_3repE0EEENS1_30default_config_static_selectorELNS0_4arch9wavefront6targetE1EEEvT1_: ; @_ZN7rocprim17ROCPRIM_400000_NS6detail17trampoline_kernelINS0_14default_configENS1_25transform_config_selectorIfLb0EEEZNS1_14transform_implILb0ES3_S5_NS0_18transform_iteratorINS0_17counting_iteratorImlEEZNS1_24adjacent_difference_implIS3_Lb1ELb0EPfN6thrust23THRUST_200600_302600_NS16discard_iteratorINSD_11use_defaultEEENSD_5minusIfEEEE10hipError_tPvRmT2_T3_mT4_P12ihipStream_tbEUlmE_fEESB_NS0_8identityIvEEEESJ_SM_SN_mSO_SQ_bEUlT_E_NS1_11comp_targetILNS1_3genE3ELNS1_11target_archE908ELNS1_3gpuE7ELNS1_3repE0EEENS1_30default_config_static_selectorELNS0_4arch9wavefront6targetE1EEEvT1_
; %bb.0:
	.section	.rodata,"a",@progbits
	.p2align	6, 0x0
	.amdhsa_kernel _ZN7rocprim17ROCPRIM_400000_NS6detail17trampoline_kernelINS0_14default_configENS1_25transform_config_selectorIfLb0EEEZNS1_14transform_implILb0ES3_S5_NS0_18transform_iteratorINS0_17counting_iteratorImlEEZNS1_24adjacent_difference_implIS3_Lb1ELb0EPfN6thrust23THRUST_200600_302600_NS16discard_iteratorINSD_11use_defaultEEENSD_5minusIfEEEE10hipError_tPvRmT2_T3_mT4_P12ihipStream_tbEUlmE_fEESB_NS0_8identityIvEEEESJ_SM_SN_mSO_SQ_bEUlT_E_NS1_11comp_targetILNS1_3genE3ELNS1_11target_archE908ELNS1_3gpuE7ELNS1_3repE0EEENS1_30default_config_static_selectorELNS0_4arch9wavefront6targetE1EEEvT1_
		.amdhsa_group_segment_fixed_size 0
		.amdhsa_private_segment_fixed_size 0
		.amdhsa_kernarg_size 56
		.amdhsa_user_sgpr_count 6
		.amdhsa_user_sgpr_private_segment_buffer 1
		.amdhsa_user_sgpr_dispatch_ptr 0
		.amdhsa_user_sgpr_queue_ptr 0
		.amdhsa_user_sgpr_kernarg_segment_ptr 1
		.amdhsa_user_sgpr_dispatch_id 0
		.amdhsa_user_sgpr_flat_scratch_init 0
		.amdhsa_user_sgpr_private_segment_size 0
		.amdhsa_uses_dynamic_stack 0
		.amdhsa_system_sgpr_private_segment_wavefront_offset 0
		.amdhsa_system_sgpr_workgroup_id_x 1
		.amdhsa_system_sgpr_workgroup_id_y 0
		.amdhsa_system_sgpr_workgroup_id_z 0
		.amdhsa_system_sgpr_workgroup_info 0
		.amdhsa_system_vgpr_workitem_id 0
		.amdhsa_next_free_vgpr 1
		.amdhsa_next_free_sgpr 0
		.amdhsa_reserve_vcc 0
		.amdhsa_reserve_flat_scratch 0
		.amdhsa_float_round_mode_32 0
		.amdhsa_float_round_mode_16_64 0
		.amdhsa_float_denorm_mode_32 3
		.amdhsa_float_denorm_mode_16_64 3
		.amdhsa_dx10_clamp 1
		.amdhsa_ieee_mode 1
		.amdhsa_fp16_overflow 0
		.amdhsa_exception_fp_ieee_invalid_op 0
		.amdhsa_exception_fp_denorm_src 0
		.amdhsa_exception_fp_ieee_div_zero 0
		.amdhsa_exception_fp_ieee_overflow 0
		.amdhsa_exception_fp_ieee_underflow 0
		.amdhsa_exception_fp_ieee_inexact 0
		.amdhsa_exception_int_div_zero 0
	.end_amdhsa_kernel
	.section	.text._ZN7rocprim17ROCPRIM_400000_NS6detail17trampoline_kernelINS0_14default_configENS1_25transform_config_selectorIfLb0EEEZNS1_14transform_implILb0ES3_S5_NS0_18transform_iteratorINS0_17counting_iteratorImlEEZNS1_24adjacent_difference_implIS3_Lb1ELb0EPfN6thrust23THRUST_200600_302600_NS16discard_iteratorINSD_11use_defaultEEENSD_5minusIfEEEE10hipError_tPvRmT2_T3_mT4_P12ihipStream_tbEUlmE_fEESB_NS0_8identityIvEEEESJ_SM_SN_mSO_SQ_bEUlT_E_NS1_11comp_targetILNS1_3genE3ELNS1_11target_archE908ELNS1_3gpuE7ELNS1_3repE0EEENS1_30default_config_static_selectorELNS0_4arch9wavefront6targetE1EEEvT1_,"axG",@progbits,_ZN7rocprim17ROCPRIM_400000_NS6detail17trampoline_kernelINS0_14default_configENS1_25transform_config_selectorIfLb0EEEZNS1_14transform_implILb0ES3_S5_NS0_18transform_iteratorINS0_17counting_iteratorImlEEZNS1_24adjacent_difference_implIS3_Lb1ELb0EPfN6thrust23THRUST_200600_302600_NS16discard_iteratorINSD_11use_defaultEEENSD_5minusIfEEEE10hipError_tPvRmT2_T3_mT4_P12ihipStream_tbEUlmE_fEESB_NS0_8identityIvEEEESJ_SM_SN_mSO_SQ_bEUlT_E_NS1_11comp_targetILNS1_3genE3ELNS1_11target_archE908ELNS1_3gpuE7ELNS1_3repE0EEENS1_30default_config_static_selectorELNS0_4arch9wavefront6targetE1EEEvT1_,comdat
.Lfunc_end793:
	.size	_ZN7rocprim17ROCPRIM_400000_NS6detail17trampoline_kernelINS0_14default_configENS1_25transform_config_selectorIfLb0EEEZNS1_14transform_implILb0ES3_S5_NS0_18transform_iteratorINS0_17counting_iteratorImlEEZNS1_24adjacent_difference_implIS3_Lb1ELb0EPfN6thrust23THRUST_200600_302600_NS16discard_iteratorINSD_11use_defaultEEENSD_5minusIfEEEE10hipError_tPvRmT2_T3_mT4_P12ihipStream_tbEUlmE_fEESB_NS0_8identityIvEEEESJ_SM_SN_mSO_SQ_bEUlT_E_NS1_11comp_targetILNS1_3genE3ELNS1_11target_archE908ELNS1_3gpuE7ELNS1_3repE0EEENS1_30default_config_static_selectorELNS0_4arch9wavefront6targetE1EEEvT1_, .Lfunc_end793-_ZN7rocprim17ROCPRIM_400000_NS6detail17trampoline_kernelINS0_14default_configENS1_25transform_config_selectorIfLb0EEEZNS1_14transform_implILb0ES3_S5_NS0_18transform_iteratorINS0_17counting_iteratorImlEEZNS1_24adjacent_difference_implIS3_Lb1ELb0EPfN6thrust23THRUST_200600_302600_NS16discard_iteratorINSD_11use_defaultEEENSD_5minusIfEEEE10hipError_tPvRmT2_T3_mT4_P12ihipStream_tbEUlmE_fEESB_NS0_8identityIvEEEESJ_SM_SN_mSO_SQ_bEUlT_E_NS1_11comp_targetILNS1_3genE3ELNS1_11target_archE908ELNS1_3gpuE7ELNS1_3repE0EEENS1_30default_config_static_selectorELNS0_4arch9wavefront6targetE1EEEvT1_
                                        ; -- End function
	.set _ZN7rocprim17ROCPRIM_400000_NS6detail17trampoline_kernelINS0_14default_configENS1_25transform_config_selectorIfLb0EEEZNS1_14transform_implILb0ES3_S5_NS0_18transform_iteratorINS0_17counting_iteratorImlEEZNS1_24adjacent_difference_implIS3_Lb1ELb0EPfN6thrust23THRUST_200600_302600_NS16discard_iteratorINSD_11use_defaultEEENSD_5minusIfEEEE10hipError_tPvRmT2_T3_mT4_P12ihipStream_tbEUlmE_fEESB_NS0_8identityIvEEEESJ_SM_SN_mSO_SQ_bEUlT_E_NS1_11comp_targetILNS1_3genE3ELNS1_11target_archE908ELNS1_3gpuE7ELNS1_3repE0EEENS1_30default_config_static_selectorELNS0_4arch9wavefront6targetE1EEEvT1_.num_vgpr, 0
	.set _ZN7rocprim17ROCPRIM_400000_NS6detail17trampoline_kernelINS0_14default_configENS1_25transform_config_selectorIfLb0EEEZNS1_14transform_implILb0ES3_S5_NS0_18transform_iteratorINS0_17counting_iteratorImlEEZNS1_24adjacent_difference_implIS3_Lb1ELb0EPfN6thrust23THRUST_200600_302600_NS16discard_iteratorINSD_11use_defaultEEENSD_5minusIfEEEE10hipError_tPvRmT2_T3_mT4_P12ihipStream_tbEUlmE_fEESB_NS0_8identityIvEEEESJ_SM_SN_mSO_SQ_bEUlT_E_NS1_11comp_targetILNS1_3genE3ELNS1_11target_archE908ELNS1_3gpuE7ELNS1_3repE0EEENS1_30default_config_static_selectorELNS0_4arch9wavefront6targetE1EEEvT1_.num_agpr, 0
	.set _ZN7rocprim17ROCPRIM_400000_NS6detail17trampoline_kernelINS0_14default_configENS1_25transform_config_selectorIfLb0EEEZNS1_14transform_implILb0ES3_S5_NS0_18transform_iteratorINS0_17counting_iteratorImlEEZNS1_24adjacent_difference_implIS3_Lb1ELb0EPfN6thrust23THRUST_200600_302600_NS16discard_iteratorINSD_11use_defaultEEENSD_5minusIfEEEE10hipError_tPvRmT2_T3_mT4_P12ihipStream_tbEUlmE_fEESB_NS0_8identityIvEEEESJ_SM_SN_mSO_SQ_bEUlT_E_NS1_11comp_targetILNS1_3genE3ELNS1_11target_archE908ELNS1_3gpuE7ELNS1_3repE0EEENS1_30default_config_static_selectorELNS0_4arch9wavefront6targetE1EEEvT1_.numbered_sgpr, 0
	.set _ZN7rocprim17ROCPRIM_400000_NS6detail17trampoline_kernelINS0_14default_configENS1_25transform_config_selectorIfLb0EEEZNS1_14transform_implILb0ES3_S5_NS0_18transform_iteratorINS0_17counting_iteratorImlEEZNS1_24adjacent_difference_implIS3_Lb1ELb0EPfN6thrust23THRUST_200600_302600_NS16discard_iteratorINSD_11use_defaultEEENSD_5minusIfEEEE10hipError_tPvRmT2_T3_mT4_P12ihipStream_tbEUlmE_fEESB_NS0_8identityIvEEEESJ_SM_SN_mSO_SQ_bEUlT_E_NS1_11comp_targetILNS1_3genE3ELNS1_11target_archE908ELNS1_3gpuE7ELNS1_3repE0EEENS1_30default_config_static_selectorELNS0_4arch9wavefront6targetE1EEEvT1_.num_named_barrier, 0
	.set _ZN7rocprim17ROCPRIM_400000_NS6detail17trampoline_kernelINS0_14default_configENS1_25transform_config_selectorIfLb0EEEZNS1_14transform_implILb0ES3_S5_NS0_18transform_iteratorINS0_17counting_iteratorImlEEZNS1_24adjacent_difference_implIS3_Lb1ELb0EPfN6thrust23THRUST_200600_302600_NS16discard_iteratorINSD_11use_defaultEEENSD_5minusIfEEEE10hipError_tPvRmT2_T3_mT4_P12ihipStream_tbEUlmE_fEESB_NS0_8identityIvEEEESJ_SM_SN_mSO_SQ_bEUlT_E_NS1_11comp_targetILNS1_3genE3ELNS1_11target_archE908ELNS1_3gpuE7ELNS1_3repE0EEENS1_30default_config_static_selectorELNS0_4arch9wavefront6targetE1EEEvT1_.private_seg_size, 0
	.set _ZN7rocprim17ROCPRIM_400000_NS6detail17trampoline_kernelINS0_14default_configENS1_25transform_config_selectorIfLb0EEEZNS1_14transform_implILb0ES3_S5_NS0_18transform_iteratorINS0_17counting_iteratorImlEEZNS1_24adjacent_difference_implIS3_Lb1ELb0EPfN6thrust23THRUST_200600_302600_NS16discard_iteratorINSD_11use_defaultEEENSD_5minusIfEEEE10hipError_tPvRmT2_T3_mT4_P12ihipStream_tbEUlmE_fEESB_NS0_8identityIvEEEESJ_SM_SN_mSO_SQ_bEUlT_E_NS1_11comp_targetILNS1_3genE3ELNS1_11target_archE908ELNS1_3gpuE7ELNS1_3repE0EEENS1_30default_config_static_selectorELNS0_4arch9wavefront6targetE1EEEvT1_.uses_vcc, 0
	.set _ZN7rocprim17ROCPRIM_400000_NS6detail17trampoline_kernelINS0_14default_configENS1_25transform_config_selectorIfLb0EEEZNS1_14transform_implILb0ES3_S5_NS0_18transform_iteratorINS0_17counting_iteratorImlEEZNS1_24adjacent_difference_implIS3_Lb1ELb0EPfN6thrust23THRUST_200600_302600_NS16discard_iteratorINSD_11use_defaultEEENSD_5minusIfEEEE10hipError_tPvRmT2_T3_mT4_P12ihipStream_tbEUlmE_fEESB_NS0_8identityIvEEEESJ_SM_SN_mSO_SQ_bEUlT_E_NS1_11comp_targetILNS1_3genE3ELNS1_11target_archE908ELNS1_3gpuE7ELNS1_3repE0EEENS1_30default_config_static_selectorELNS0_4arch9wavefront6targetE1EEEvT1_.uses_flat_scratch, 0
	.set _ZN7rocprim17ROCPRIM_400000_NS6detail17trampoline_kernelINS0_14default_configENS1_25transform_config_selectorIfLb0EEEZNS1_14transform_implILb0ES3_S5_NS0_18transform_iteratorINS0_17counting_iteratorImlEEZNS1_24adjacent_difference_implIS3_Lb1ELb0EPfN6thrust23THRUST_200600_302600_NS16discard_iteratorINSD_11use_defaultEEENSD_5minusIfEEEE10hipError_tPvRmT2_T3_mT4_P12ihipStream_tbEUlmE_fEESB_NS0_8identityIvEEEESJ_SM_SN_mSO_SQ_bEUlT_E_NS1_11comp_targetILNS1_3genE3ELNS1_11target_archE908ELNS1_3gpuE7ELNS1_3repE0EEENS1_30default_config_static_selectorELNS0_4arch9wavefront6targetE1EEEvT1_.has_dyn_sized_stack, 0
	.set _ZN7rocprim17ROCPRIM_400000_NS6detail17trampoline_kernelINS0_14default_configENS1_25transform_config_selectorIfLb0EEEZNS1_14transform_implILb0ES3_S5_NS0_18transform_iteratorINS0_17counting_iteratorImlEEZNS1_24adjacent_difference_implIS3_Lb1ELb0EPfN6thrust23THRUST_200600_302600_NS16discard_iteratorINSD_11use_defaultEEENSD_5minusIfEEEE10hipError_tPvRmT2_T3_mT4_P12ihipStream_tbEUlmE_fEESB_NS0_8identityIvEEEESJ_SM_SN_mSO_SQ_bEUlT_E_NS1_11comp_targetILNS1_3genE3ELNS1_11target_archE908ELNS1_3gpuE7ELNS1_3repE0EEENS1_30default_config_static_selectorELNS0_4arch9wavefront6targetE1EEEvT1_.has_recursion, 0
	.set _ZN7rocprim17ROCPRIM_400000_NS6detail17trampoline_kernelINS0_14default_configENS1_25transform_config_selectorIfLb0EEEZNS1_14transform_implILb0ES3_S5_NS0_18transform_iteratorINS0_17counting_iteratorImlEEZNS1_24adjacent_difference_implIS3_Lb1ELb0EPfN6thrust23THRUST_200600_302600_NS16discard_iteratorINSD_11use_defaultEEENSD_5minusIfEEEE10hipError_tPvRmT2_T3_mT4_P12ihipStream_tbEUlmE_fEESB_NS0_8identityIvEEEESJ_SM_SN_mSO_SQ_bEUlT_E_NS1_11comp_targetILNS1_3genE3ELNS1_11target_archE908ELNS1_3gpuE7ELNS1_3repE0EEENS1_30default_config_static_selectorELNS0_4arch9wavefront6targetE1EEEvT1_.has_indirect_call, 0
	.section	.AMDGPU.csdata,"",@progbits
; Kernel info:
; codeLenInByte = 0
; TotalNumSgprs: 4
; NumVgprs: 0
; ScratchSize: 0
; MemoryBound: 0
; FloatMode: 240
; IeeeMode: 1
; LDSByteSize: 0 bytes/workgroup (compile time only)
; SGPRBlocks: 0
; VGPRBlocks: 0
; NumSGPRsForWavesPerEU: 4
; NumVGPRsForWavesPerEU: 1
; Occupancy: 10
; WaveLimiterHint : 0
; COMPUTE_PGM_RSRC2:SCRATCH_EN: 0
; COMPUTE_PGM_RSRC2:USER_SGPR: 6
; COMPUTE_PGM_RSRC2:TRAP_HANDLER: 0
; COMPUTE_PGM_RSRC2:TGID_X_EN: 1
; COMPUTE_PGM_RSRC2:TGID_Y_EN: 0
; COMPUTE_PGM_RSRC2:TGID_Z_EN: 0
; COMPUTE_PGM_RSRC2:TIDIG_COMP_CNT: 0
	.section	.text._ZN7rocprim17ROCPRIM_400000_NS6detail17trampoline_kernelINS0_14default_configENS1_25transform_config_selectorIfLb0EEEZNS1_14transform_implILb0ES3_S5_NS0_18transform_iteratorINS0_17counting_iteratorImlEEZNS1_24adjacent_difference_implIS3_Lb1ELb0EPfN6thrust23THRUST_200600_302600_NS16discard_iteratorINSD_11use_defaultEEENSD_5minusIfEEEE10hipError_tPvRmT2_T3_mT4_P12ihipStream_tbEUlmE_fEESB_NS0_8identityIvEEEESJ_SM_SN_mSO_SQ_bEUlT_E_NS1_11comp_targetILNS1_3genE2ELNS1_11target_archE906ELNS1_3gpuE6ELNS1_3repE0EEENS1_30default_config_static_selectorELNS0_4arch9wavefront6targetE1EEEvT1_,"axG",@progbits,_ZN7rocprim17ROCPRIM_400000_NS6detail17trampoline_kernelINS0_14default_configENS1_25transform_config_selectorIfLb0EEEZNS1_14transform_implILb0ES3_S5_NS0_18transform_iteratorINS0_17counting_iteratorImlEEZNS1_24adjacent_difference_implIS3_Lb1ELb0EPfN6thrust23THRUST_200600_302600_NS16discard_iteratorINSD_11use_defaultEEENSD_5minusIfEEEE10hipError_tPvRmT2_T3_mT4_P12ihipStream_tbEUlmE_fEESB_NS0_8identityIvEEEESJ_SM_SN_mSO_SQ_bEUlT_E_NS1_11comp_targetILNS1_3genE2ELNS1_11target_archE906ELNS1_3gpuE6ELNS1_3repE0EEENS1_30default_config_static_selectorELNS0_4arch9wavefront6targetE1EEEvT1_,comdat
	.protected	_ZN7rocprim17ROCPRIM_400000_NS6detail17trampoline_kernelINS0_14default_configENS1_25transform_config_selectorIfLb0EEEZNS1_14transform_implILb0ES3_S5_NS0_18transform_iteratorINS0_17counting_iteratorImlEEZNS1_24adjacent_difference_implIS3_Lb1ELb0EPfN6thrust23THRUST_200600_302600_NS16discard_iteratorINSD_11use_defaultEEENSD_5minusIfEEEE10hipError_tPvRmT2_T3_mT4_P12ihipStream_tbEUlmE_fEESB_NS0_8identityIvEEEESJ_SM_SN_mSO_SQ_bEUlT_E_NS1_11comp_targetILNS1_3genE2ELNS1_11target_archE906ELNS1_3gpuE6ELNS1_3repE0EEENS1_30default_config_static_selectorELNS0_4arch9wavefront6targetE1EEEvT1_ ; -- Begin function _ZN7rocprim17ROCPRIM_400000_NS6detail17trampoline_kernelINS0_14default_configENS1_25transform_config_selectorIfLb0EEEZNS1_14transform_implILb0ES3_S5_NS0_18transform_iteratorINS0_17counting_iteratorImlEEZNS1_24adjacent_difference_implIS3_Lb1ELb0EPfN6thrust23THRUST_200600_302600_NS16discard_iteratorINSD_11use_defaultEEENSD_5minusIfEEEE10hipError_tPvRmT2_T3_mT4_P12ihipStream_tbEUlmE_fEESB_NS0_8identityIvEEEESJ_SM_SN_mSO_SQ_bEUlT_E_NS1_11comp_targetILNS1_3genE2ELNS1_11target_archE906ELNS1_3gpuE6ELNS1_3repE0EEENS1_30default_config_static_selectorELNS0_4arch9wavefront6targetE1EEEvT1_
	.globl	_ZN7rocprim17ROCPRIM_400000_NS6detail17trampoline_kernelINS0_14default_configENS1_25transform_config_selectorIfLb0EEEZNS1_14transform_implILb0ES3_S5_NS0_18transform_iteratorINS0_17counting_iteratorImlEEZNS1_24adjacent_difference_implIS3_Lb1ELb0EPfN6thrust23THRUST_200600_302600_NS16discard_iteratorINSD_11use_defaultEEENSD_5minusIfEEEE10hipError_tPvRmT2_T3_mT4_P12ihipStream_tbEUlmE_fEESB_NS0_8identityIvEEEESJ_SM_SN_mSO_SQ_bEUlT_E_NS1_11comp_targetILNS1_3genE2ELNS1_11target_archE906ELNS1_3gpuE6ELNS1_3repE0EEENS1_30default_config_static_selectorELNS0_4arch9wavefront6targetE1EEEvT1_
	.p2align	8
	.type	_ZN7rocprim17ROCPRIM_400000_NS6detail17trampoline_kernelINS0_14default_configENS1_25transform_config_selectorIfLb0EEEZNS1_14transform_implILb0ES3_S5_NS0_18transform_iteratorINS0_17counting_iteratorImlEEZNS1_24adjacent_difference_implIS3_Lb1ELb0EPfN6thrust23THRUST_200600_302600_NS16discard_iteratorINSD_11use_defaultEEENSD_5minusIfEEEE10hipError_tPvRmT2_T3_mT4_P12ihipStream_tbEUlmE_fEESB_NS0_8identityIvEEEESJ_SM_SN_mSO_SQ_bEUlT_E_NS1_11comp_targetILNS1_3genE2ELNS1_11target_archE906ELNS1_3gpuE6ELNS1_3repE0EEENS1_30default_config_static_selectorELNS0_4arch9wavefront6targetE1EEEvT1_,@function
_ZN7rocprim17ROCPRIM_400000_NS6detail17trampoline_kernelINS0_14default_configENS1_25transform_config_selectorIfLb0EEEZNS1_14transform_implILb0ES3_S5_NS0_18transform_iteratorINS0_17counting_iteratorImlEEZNS1_24adjacent_difference_implIS3_Lb1ELb0EPfN6thrust23THRUST_200600_302600_NS16discard_iteratorINSD_11use_defaultEEENSD_5minusIfEEEE10hipError_tPvRmT2_T3_mT4_P12ihipStream_tbEUlmE_fEESB_NS0_8identityIvEEEESJ_SM_SN_mSO_SQ_bEUlT_E_NS1_11comp_targetILNS1_3genE2ELNS1_11target_archE906ELNS1_3gpuE6ELNS1_3repE0EEENS1_30default_config_static_selectorELNS0_4arch9wavefront6targetE1EEEvT1_: ; @_ZN7rocprim17ROCPRIM_400000_NS6detail17trampoline_kernelINS0_14default_configENS1_25transform_config_selectorIfLb0EEEZNS1_14transform_implILb0ES3_S5_NS0_18transform_iteratorINS0_17counting_iteratorImlEEZNS1_24adjacent_difference_implIS3_Lb1ELb0EPfN6thrust23THRUST_200600_302600_NS16discard_iteratorINSD_11use_defaultEEENSD_5minusIfEEEE10hipError_tPvRmT2_T3_mT4_P12ihipStream_tbEUlmE_fEESB_NS0_8identityIvEEEESJ_SM_SN_mSO_SQ_bEUlT_E_NS1_11comp_targetILNS1_3genE2ELNS1_11target_archE906ELNS1_3gpuE6ELNS1_3repE0EEENS1_30default_config_static_selectorELNS0_4arch9wavefront6targetE1EEEvT1_
; %bb.0:
	s_load_dwordx4 s[0:3], s[4:5], 0x18
	s_load_dwordx2 s[14:15], s[4:5], 0x28
	s_load_dwordx4 s[8:11], s[4:5], 0x0
	s_load_dword s12, s[4:5], 0x10
	s_waitcnt lgkmcnt(0)
	s_load_dword s3, s[4:5], 0x38
                                        ; kill: killed $sgpr4_sgpr5
	s_lshl_b64 s[4:5], s[0:1], 2
	s_add_u32 s14, s14, s4
	s_addc_u32 s15, s15, s5
	s_lshl_b32 s4, s6, 11
	s_waitcnt lgkmcnt(0)
	s_add_i32 s3, s3, -1
	s_add_u32 s7, s8, s4
	s_addc_u32 s8, s9, 0
	s_add_u32 s16, s7, s0
	s_addc_u32 s17, s8, s1
	s_mov_b32 s5, 0
	s_cmp_lg_u32 s6, s3
	v_lshlrev_b32_e32 v5, 2, v0
	s_cbranch_scc0 .LBB794_2
; %bb.1:
	v_mov_b32_e32 v1, s17
	v_add_co_u32_e32 v2, vcc, s16, v0
	v_addc_co_u32_e32 v3, vcc, 0, v1, vcc
	v_mad_u64_u32 v[1:2], s[0:1], v2, s12, 0
	s_mov_b32 s13, s5
	s_lshl_b64 s[6:7], s[4:5], 2
	v_mad_u64_u32 v[2:3], s[0:1], v3, s12, v[2:3]
	v_mov_b32_e32 v3, s11
	s_lshl_b64 s[0:1], s[12:13], 12
	v_lshlrev_b64 v[1:2], 2, v[1:2]
	s_add_u32 s6, s14, s6
	v_add_co_u32_e32 v1, vcc, s10, v1
	v_addc_co_u32_e32 v2, vcc, v3, v2, vcc
	global_load_dword v6, v[1:2], off
	v_mov_b32_e32 v3, s1
	v_add_co_u32_e32 v1, vcc, s0, v1
	v_addc_co_u32_e32 v2, vcc, v2, v3, vcc
	global_load_dword v1, v[1:2], off
	s_addc_u32 s7, s15, s7
	v_mov_b32_e32 v2, s7
	v_add_co_u32_e32 v3, vcc, s6, v5
	v_addc_co_u32_e32 v4, vcc, 0, v2, vcc
	s_waitcnt vmcnt(1)
	global_store_dword v5, v6, s[6:7]
	s_mov_b64 s[6:7], -1
	s_cbranch_execz .LBB794_3
	s_branch .LBB794_12
.LBB794_2:
	s_mov_b64 s[6:7], 0
                                        ; implicit-def: $vgpr1
                                        ; implicit-def: $vgpr3_vgpr4
.LBB794_3:
	s_sub_i32 s8, s2, s4
	s_waitcnt vmcnt(1)
	v_mov_b32_e32 v1, 0
	v_cmp_gt_u32_e32 vcc, s8, v0
	v_mov_b32_e32 v2, v1
	s_and_saveexec_b64 s[2:3], vcc
	s_cbranch_execz .LBB794_5
; %bb.4:
	v_mov_b32_e32 v2, s17
	v_add_co_u32_e64 v3, s[0:1], s16, v0
	v_addc_co_u32_e64 v4, s[0:1], 0, v2, s[0:1]
	v_mad_u64_u32 v[2:3], s[0:1], v3, s12, 0
	v_mad_u64_u32 v[3:4], s[0:1], v4, s12, v[3:4]
	v_mov_b32_e32 v4, s11
	v_lshlrev_b64 v[2:3], 2, v[2:3]
	v_add_co_u32_e64 v2, s[0:1], s10, v2
	v_addc_co_u32_e64 v3, s[0:1], v4, v3, s[0:1]
	global_load_dword v2, v[2:3], off
	v_mov_b32_e32 v3, v1
	s_waitcnt vmcnt(0)
	v_mov_b32_e32 v1, v2
	v_mov_b32_e32 v2, v3
.LBB794_5:
	s_or_b64 exec, exec, s[2:3]
	v_or_b32_e32 v0, 0x400, v0
	v_cmp_gt_u32_e64 s[0:1], s8, v0
	s_and_saveexec_b64 s[8:9], s[0:1]
	s_cbranch_execz .LBB794_7
; %bb.6:
	v_mov_b32_e32 v2, s17
	v_add_co_u32_e64 v0, s[2:3], s16, v0
	v_addc_co_u32_e64 v4, s[2:3], 0, v2, s[2:3]
	v_mad_u64_u32 v[2:3], s[2:3], v0, s12, 0
	v_mov_b32_e32 v0, v3
	v_mad_u64_u32 v[3:4], s[2:3], v4, s12, v[0:1]
	v_mov_b32_e32 v0, s11
	v_lshlrev_b64 v[2:3], 2, v[2:3]
	v_add_co_u32_e64 v2, s[2:3], s10, v2
	v_addc_co_u32_e64 v3, s[2:3], v0, v3, s[2:3]
	global_load_dword v2, v[2:3], off
.LBB794_7:
	s_or_b64 exec, exec, s[8:9]
	s_lshl_b64 s[2:3], s[4:5], 2
	s_add_u32 s2, s14, s2
	s_addc_u32 s3, s15, s3
	v_cndmask_b32_e32 v0, 0, v1, vcc
	v_mov_b32_e32 v1, s3
	v_add_co_u32_e64 v3, s[2:3], s2, v5
	v_addc_co_u32_e64 v4, s[2:3], 0, v1, s[2:3]
	s_and_saveexec_b64 s[2:3], vcc
	s_cbranch_execz .LBB794_9
; %bb.8:
	global_store_dword v[3:4], v0, off
.LBB794_9:
	s_or_b64 exec, exec, s[2:3]
                                        ; implicit-def: $vgpr1
	s_and_saveexec_b64 s[2:3], s[0:1]
	s_cbranch_execz .LBB794_11
; %bb.10:
	s_waitcnt vmcnt(0)
	v_cndmask_b32_e64 v1, 0, v2, s[0:1]
	s_or_b64 s[6:7], s[6:7], exec
.LBB794_11:
	s_or_b64 exec, exec, s[2:3]
.LBB794_12:
	s_and_saveexec_b64 s[0:1], s[6:7]
	s_cbranch_execnz .LBB794_14
; %bb.13:
	s_endpgm
.LBB794_14:
	s_waitcnt vmcnt(0)
	v_add_co_u32_e32 v2, vcc, 0x1000, v3
	v_addc_co_u32_e32 v3, vcc, 0, v4, vcc
	global_store_dword v[2:3], v1, off
	s_endpgm
	.section	.rodata,"a",@progbits
	.p2align	6, 0x0
	.amdhsa_kernel _ZN7rocprim17ROCPRIM_400000_NS6detail17trampoline_kernelINS0_14default_configENS1_25transform_config_selectorIfLb0EEEZNS1_14transform_implILb0ES3_S5_NS0_18transform_iteratorINS0_17counting_iteratorImlEEZNS1_24adjacent_difference_implIS3_Lb1ELb0EPfN6thrust23THRUST_200600_302600_NS16discard_iteratorINSD_11use_defaultEEENSD_5minusIfEEEE10hipError_tPvRmT2_T3_mT4_P12ihipStream_tbEUlmE_fEESB_NS0_8identityIvEEEESJ_SM_SN_mSO_SQ_bEUlT_E_NS1_11comp_targetILNS1_3genE2ELNS1_11target_archE906ELNS1_3gpuE6ELNS1_3repE0EEENS1_30default_config_static_selectorELNS0_4arch9wavefront6targetE1EEEvT1_
		.amdhsa_group_segment_fixed_size 0
		.amdhsa_private_segment_fixed_size 0
		.amdhsa_kernarg_size 312
		.amdhsa_user_sgpr_count 6
		.amdhsa_user_sgpr_private_segment_buffer 1
		.amdhsa_user_sgpr_dispatch_ptr 0
		.amdhsa_user_sgpr_queue_ptr 0
		.amdhsa_user_sgpr_kernarg_segment_ptr 1
		.amdhsa_user_sgpr_dispatch_id 0
		.amdhsa_user_sgpr_flat_scratch_init 0
		.amdhsa_user_sgpr_private_segment_size 0
		.amdhsa_uses_dynamic_stack 0
		.amdhsa_system_sgpr_private_segment_wavefront_offset 0
		.amdhsa_system_sgpr_workgroup_id_x 1
		.amdhsa_system_sgpr_workgroup_id_y 0
		.amdhsa_system_sgpr_workgroup_id_z 0
		.amdhsa_system_sgpr_workgroup_info 0
		.amdhsa_system_vgpr_workitem_id 0
		.amdhsa_next_free_vgpr 7
		.amdhsa_next_free_sgpr 18
		.amdhsa_reserve_vcc 1
		.amdhsa_reserve_flat_scratch 0
		.amdhsa_float_round_mode_32 0
		.amdhsa_float_round_mode_16_64 0
		.amdhsa_float_denorm_mode_32 3
		.amdhsa_float_denorm_mode_16_64 3
		.amdhsa_dx10_clamp 1
		.amdhsa_ieee_mode 1
		.amdhsa_fp16_overflow 0
		.amdhsa_exception_fp_ieee_invalid_op 0
		.amdhsa_exception_fp_denorm_src 0
		.amdhsa_exception_fp_ieee_div_zero 0
		.amdhsa_exception_fp_ieee_overflow 0
		.amdhsa_exception_fp_ieee_underflow 0
		.amdhsa_exception_fp_ieee_inexact 0
		.amdhsa_exception_int_div_zero 0
	.end_amdhsa_kernel
	.section	.text._ZN7rocprim17ROCPRIM_400000_NS6detail17trampoline_kernelINS0_14default_configENS1_25transform_config_selectorIfLb0EEEZNS1_14transform_implILb0ES3_S5_NS0_18transform_iteratorINS0_17counting_iteratorImlEEZNS1_24adjacent_difference_implIS3_Lb1ELb0EPfN6thrust23THRUST_200600_302600_NS16discard_iteratorINSD_11use_defaultEEENSD_5minusIfEEEE10hipError_tPvRmT2_T3_mT4_P12ihipStream_tbEUlmE_fEESB_NS0_8identityIvEEEESJ_SM_SN_mSO_SQ_bEUlT_E_NS1_11comp_targetILNS1_3genE2ELNS1_11target_archE906ELNS1_3gpuE6ELNS1_3repE0EEENS1_30default_config_static_selectorELNS0_4arch9wavefront6targetE1EEEvT1_,"axG",@progbits,_ZN7rocprim17ROCPRIM_400000_NS6detail17trampoline_kernelINS0_14default_configENS1_25transform_config_selectorIfLb0EEEZNS1_14transform_implILb0ES3_S5_NS0_18transform_iteratorINS0_17counting_iteratorImlEEZNS1_24adjacent_difference_implIS3_Lb1ELb0EPfN6thrust23THRUST_200600_302600_NS16discard_iteratorINSD_11use_defaultEEENSD_5minusIfEEEE10hipError_tPvRmT2_T3_mT4_P12ihipStream_tbEUlmE_fEESB_NS0_8identityIvEEEESJ_SM_SN_mSO_SQ_bEUlT_E_NS1_11comp_targetILNS1_3genE2ELNS1_11target_archE906ELNS1_3gpuE6ELNS1_3repE0EEENS1_30default_config_static_selectorELNS0_4arch9wavefront6targetE1EEEvT1_,comdat
.Lfunc_end794:
	.size	_ZN7rocprim17ROCPRIM_400000_NS6detail17trampoline_kernelINS0_14default_configENS1_25transform_config_selectorIfLb0EEEZNS1_14transform_implILb0ES3_S5_NS0_18transform_iteratorINS0_17counting_iteratorImlEEZNS1_24adjacent_difference_implIS3_Lb1ELb0EPfN6thrust23THRUST_200600_302600_NS16discard_iteratorINSD_11use_defaultEEENSD_5minusIfEEEE10hipError_tPvRmT2_T3_mT4_P12ihipStream_tbEUlmE_fEESB_NS0_8identityIvEEEESJ_SM_SN_mSO_SQ_bEUlT_E_NS1_11comp_targetILNS1_3genE2ELNS1_11target_archE906ELNS1_3gpuE6ELNS1_3repE0EEENS1_30default_config_static_selectorELNS0_4arch9wavefront6targetE1EEEvT1_, .Lfunc_end794-_ZN7rocprim17ROCPRIM_400000_NS6detail17trampoline_kernelINS0_14default_configENS1_25transform_config_selectorIfLb0EEEZNS1_14transform_implILb0ES3_S5_NS0_18transform_iteratorINS0_17counting_iteratorImlEEZNS1_24adjacent_difference_implIS3_Lb1ELb0EPfN6thrust23THRUST_200600_302600_NS16discard_iteratorINSD_11use_defaultEEENSD_5minusIfEEEE10hipError_tPvRmT2_T3_mT4_P12ihipStream_tbEUlmE_fEESB_NS0_8identityIvEEEESJ_SM_SN_mSO_SQ_bEUlT_E_NS1_11comp_targetILNS1_3genE2ELNS1_11target_archE906ELNS1_3gpuE6ELNS1_3repE0EEENS1_30default_config_static_selectorELNS0_4arch9wavefront6targetE1EEEvT1_
                                        ; -- End function
	.set _ZN7rocprim17ROCPRIM_400000_NS6detail17trampoline_kernelINS0_14default_configENS1_25transform_config_selectorIfLb0EEEZNS1_14transform_implILb0ES3_S5_NS0_18transform_iteratorINS0_17counting_iteratorImlEEZNS1_24adjacent_difference_implIS3_Lb1ELb0EPfN6thrust23THRUST_200600_302600_NS16discard_iteratorINSD_11use_defaultEEENSD_5minusIfEEEE10hipError_tPvRmT2_T3_mT4_P12ihipStream_tbEUlmE_fEESB_NS0_8identityIvEEEESJ_SM_SN_mSO_SQ_bEUlT_E_NS1_11comp_targetILNS1_3genE2ELNS1_11target_archE906ELNS1_3gpuE6ELNS1_3repE0EEENS1_30default_config_static_selectorELNS0_4arch9wavefront6targetE1EEEvT1_.num_vgpr, 7
	.set _ZN7rocprim17ROCPRIM_400000_NS6detail17trampoline_kernelINS0_14default_configENS1_25transform_config_selectorIfLb0EEEZNS1_14transform_implILb0ES3_S5_NS0_18transform_iteratorINS0_17counting_iteratorImlEEZNS1_24adjacent_difference_implIS3_Lb1ELb0EPfN6thrust23THRUST_200600_302600_NS16discard_iteratorINSD_11use_defaultEEENSD_5minusIfEEEE10hipError_tPvRmT2_T3_mT4_P12ihipStream_tbEUlmE_fEESB_NS0_8identityIvEEEESJ_SM_SN_mSO_SQ_bEUlT_E_NS1_11comp_targetILNS1_3genE2ELNS1_11target_archE906ELNS1_3gpuE6ELNS1_3repE0EEENS1_30default_config_static_selectorELNS0_4arch9wavefront6targetE1EEEvT1_.num_agpr, 0
	.set _ZN7rocprim17ROCPRIM_400000_NS6detail17trampoline_kernelINS0_14default_configENS1_25transform_config_selectorIfLb0EEEZNS1_14transform_implILb0ES3_S5_NS0_18transform_iteratorINS0_17counting_iteratorImlEEZNS1_24adjacent_difference_implIS3_Lb1ELb0EPfN6thrust23THRUST_200600_302600_NS16discard_iteratorINSD_11use_defaultEEENSD_5minusIfEEEE10hipError_tPvRmT2_T3_mT4_P12ihipStream_tbEUlmE_fEESB_NS0_8identityIvEEEESJ_SM_SN_mSO_SQ_bEUlT_E_NS1_11comp_targetILNS1_3genE2ELNS1_11target_archE906ELNS1_3gpuE6ELNS1_3repE0EEENS1_30default_config_static_selectorELNS0_4arch9wavefront6targetE1EEEvT1_.numbered_sgpr, 18
	.set _ZN7rocprim17ROCPRIM_400000_NS6detail17trampoline_kernelINS0_14default_configENS1_25transform_config_selectorIfLb0EEEZNS1_14transform_implILb0ES3_S5_NS0_18transform_iteratorINS0_17counting_iteratorImlEEZNS1_24adjacent_difference_implIS3_Lb1ELb0EPfN6thrust23THRUST_200600_302600_NS16discard_iteratorINSD_11use_defaultEEENSD_5minusIfEEEE10hipError_tPvRmT2_T3_mT4_P12ihipStream_tbEUlmE_fEESB_NS0_8identityIvEEEESJ_SM_SN_mSO_SQ_bEUlT_E_NS1_11comp_targetILNS1_3genE2ELNS1_11target_archE906ELNS1_3gpuE6ELNS1_3repE0EEENS1_30default_config_static_selectorELNS0_4arch9wavefront6targetE1EEEvT1_.num_named_barrier, 0
	.set _ZN7rocprim17ROCPRIM_400000_NS6detail17trampoline_kernelINS0_14default_configENS1_25transform_config_selectorIfLb0EEEZNS1_14transform_implILb0ES3_S5_NS0_18transform_iteratorINS0_17counting_iteratorImlEEZNS1_24adjacent_difference_implIS3_Lb1ELb0EPfN6thrust23THRUST_200600_302600_NS16discard_iteratorINSD_11use_defaultEEENSD_5minusIfEEEE10hipError_tPvRmT2_T3_mT4_P12ihipStream_tbEUlmE_fEESB_NS0_8identityIvEEEESJ_SM_SN_mSO_SQ_bEUlT_E_NS1_11comp_targetILNS1_3genE2ELNS1_11target_archE906ELNS1_3gpuE6ELNS1_3repE0EEENS1_30default_config_static_selectorELNS0_4arch9wavefront6targetE1EEEvT1_.private_seg_size, 0
	.set _ZN7rocprim17ROCPRIM_400000_NS6detail17trampoline_kernelINS0_14default_configENS1_25transform_config_selectorIfLb0EEEZNS1_14transform_implILb0ES3_S5_NS0_18transform_iteratorINS0_17counting_iteratorImlEEZNS1_24adjacent_difference_implIS3_Lb1ELb0EPfN6thrust23THRUST_200600_302600_NS16discard_iteratorINSD_11use_defaultEEENSD_5minusIfEEEE10hipError_tPvRmT2_T3_mT4_P12ihipStream_tbEUlmE_fEESB_NS0_8identityIvEEEESJ_SM_SN_mSO_SQ_bEUlT_E_NS1_11comp_targetILNS1_3genE2ELNS1_11target_archE906ELNS1_3gpuE6ELNS1_3repE0EEENS1_30default_config_static_selectorELNS0_4arch9wavefront6targetE1EEEvT1_.uses_vcc, 1
	.set _ZN7rocprim17ROCPRIM_400000_NS6detail17trampoline_kernelINS0_14default_configENS1_25transform_config_selectorIfLb0EEEZNS1_14transform_implILb0ES3_S5_NS0_18transform_iteratorINS0_17counting_iteratorImlEEZNS1_24adjacent_difference_implIS3_Lb1ELb0EPfN6thrust23THRUST_200600_302600_NS16discard_iteratorINSD_11use_defaultEEENSD_5minusIfEEEE10hipError_tPvRmT2_T3_mT4_P12ihipStream_tbEUlmE_fEESB_NS0_8identityIvEEEESJ_SM_SN_mSO_SQ_bEUlT_E_NS1_11comp_targetILNS1_3genE2ELNS1_11target_archE906ELNS1_3gpuE6ELNS1_3repE0EEENS1_30default_config_static_selectorELNS0_4arch9wavefront6targetE1EEEvT1_.uses_flat_scratch, 0
	.set _ZN7rocprim17ROCPRIM_400000_NS6detail17trampoline_kernelINS0_14default_configENS1_25transform_config_selectorIfLb0EEEZNS1_14transform_implILb0ES3_S5_NS0_18transform_iteratorINS0_17counting_iteratorImlEEZNS1_24adjacent_difference_implIS3_Lb1ELb0EPfN6thrust23THRUST_200600_302600_NS16discard_iteratorINSD_11use_defaultEEENSD_5minusIfEEEE10hipError_tPvRmT2_T3_mT4_P12ihipStream_tbEUlmE_fEESB_NS0_8identityIvEEEESJ_SM_SN_mSO_SQ_bEUlT_E_NS1_11comp_targetILNS1_3genE2ELNS1_11target_archE906ELNS1_3gpuE6ELNS1_3repE0EEENS1_30default_config_static_selectorELNS0_4arch9wavefront6targetE1EEEvT1_.has_dyn_sized_stack, 0
	.set _ZN7rocprim17ROCPRIM_400000_NS6detail17trampoline_kernelINS0_14default_configENS1_25transform_config_selectorIfLb0EEEZNS1_14transform_implILb0ES3_S5_NS0_18transform_iteratorINS0_17counting_iteratorImlEEZNS1_24adjacent_difference_implIS3_Lb1ELb0EPfN6thrust23THRUST_200600_302600_NS16discard_iteratorINSD_11use_defaultEEENSD_5minusIfEEEE10hipError_tPvRmT2_T3_mT4_P12ihipStream_tbEUlmE_fEESB_NS0_8identityIvEEEESJ_SM_SN_mSO_SQ_bEUlT_E_NS1_11comp_targetILNS1_3genE2ELNS1_11target_archE906ELNS1_3gpuE6ELNS1_3repE0EEENS1_30default_config_static_selectorELNS0_4arch9wavefront6targetE1EEEvT1_.has_recursion, 0
	.set _ZN7rocprim17ROCPRIM_400000_NS6detail17trampoline_kernelINS0_14default_configENS1_25transform_config_selectorIfLb0EEEZNS1_14transform_implILb0ES3_S5_NS0_18transform_iteratorINS0_17counting_iteratorImlEEZNS1_24adjacent_difference_implIS3_Lb1ELb0EPfN6thrust23THRUST_200600_302600_NS16discard_iteratorINSD_11use_defaultEEENSD_5minusIfEEEE10hipError_tPvRmT2_T3_mT4_P12ihipStream_tbEUlmE_fEESB_NS0_8identityIvEEEESJ_SM_SN_mSO_SQ_bEUlT_E_NS1_11comp_targetILNS1_3genE2ELNS1_11target_archE906ELNS1_3gpuE6ELNS1_3repE0EEENS1_30default_config_static_selectorELNS0_4arch9wavefront6targetE1EEEvT1_.has_indirect_call, 0
	.section	.AMDGPU.csdata,"",@progbits
; Kernel info:
; codeLenInByte = 584
; TotalNumSgprs: 22
; NumVgprs: 7
; ScratchSize: 0
; MemoryBound: 0
; FloatMode: 240
; IeeeMode: 1
; LDSByteSize: 0 bytes/workgroup (compile time only)
; SGPRBlocks: 2
; VGPRBlocks: 1
; NumSGPRsForWavesPerEU: 22
; NumVGPRsForWavesPerEU: 7
; Occupancy: 10
; WaveLimiterHint : 0
; COMPUTE_PGM_RSRC2:SCRATCH_EN: 0
; COMPUTE_PGM_RSRC2:USER_SGPR: 6
; COMPUTE_PGM_RSRC2:TRAP_HANDLER: 0
; COMPUTE_PGM_RSRC2:TGID_X_EN: 1
; COMPUTE_PGM_RSRC2:TGID_Y_EN: 0
; COMPUTE_PGM_RSRC2:TGID_Z_EN: 0
; COMPUTE_PGM_RSRC2:TIDIG_COMP_CNT: 0
	.section	.text._ZN7rocprim17ROCPRIM_400000_NS6detail17trampoline_kernelINS0_14default_configENS1_25transform_config_selectorIfLb0EEEZNS1_14transform_implILb0ES3_S5_NS0_18transform_iteratorINS0_17counting_iteratorImlEEZNS1_24adjacent_difference_implIS3_Lb1ELb0EPfN6thrust23THRUST_200600_302600_NS16discard_iteratorINSD_11use_defaultEEENSD_5minusIfEEEE10hipError_tPvRmT2_T3_mT4_P12ihipStream_tbEUlmE_fEESB_NS0_8identityIvEEEESJ_SM_SN_mSO_SQ_bEUlT_E_NS1_11comp_targetILNS1_3genE10ELNS1_11target_archE1201ELNS1_3gpuE5ELNS1_3repE0EEENS1_30default_config_static_selectorELNS0_4arch9wavefront6targetE1EEEvT1_,"axG",@progbits,_ZN7rocprim17ROCPRIM_400000_NS6detail17trampoline_kernelINS0_14default_configENS1_25transform_config_selectorIfLb0EEEZNS1_14transform_implILb0ES3_S5_NS0_18transform_iteratorINS0_17counting_iteratorImlEEZNS1_24adjacent_difference_implIS3_Lb1ELb0EPfN6thrust23THRUST_200600_302600_NS16discard_iteratorINSD_11use_defaultEEENSD_5minusIfEEEE10hipError_tPvRmT2_T3_mT4_P12ihipStream_tbEUlmE_fEESB_NS0_8identityIvEEEESJ_SM_SN_mSO_SQ_bEUlT_E_NS1_11comp_targetILNS1_3genE10ELNS1_11target_archE1201ELNS1_3gpuE5ELNS1_3repE0EEENS1_30default_config_static_selectorELNS0_4arch9wavefront6targetE1EEEvT1_,comdat
	.protected	_ZN7rocprim17ROCPRIM_400000_NS6detail17trampoline_kernelINS0_14default_configENS1_25transform_config_selectorIfLb0EEEZNS1_14transform_implILb0ES3_S5_NS0_18transform_iteratorINS0_17counting_iteratorImlEEZNS1_24adjacent_difference_implIS3_Lb1ELb0EPfN6thrust23THRUST_200600_302600_NS16discard_iteratorINSD_11use_defaultEEENSD_5minusIfEEEE10hipError_tPvRmT2_T3_mT4_P12ihipStream_tbEUlmE_fEESB_NS0_8identityIvEEEESJ_SM_SN_mSO_SQ_bEUlT_E_NS1_11comp_targetILNS1_3genE10ELNS1_11target_archE1201ELNS1_3gpuE5ELNS1_3repE0EEENS1_30default_config_static_selectorELNS0_4arch9wavefront6targetE1EEEvT1_ ; -- Begin function _ZN7rocprim17ROCPRIM_400000_NS6detail17trampoline_kernelINS0_14default_configENS1_25transform_config_selectorIfLb0EEEZNS1_14transform_implILb0ES3_S5_NS0_18transform_iteratorINS0_17counting_iteratorImlEEZNS1_24adjacent_difference_implIS3_Lb1ELb0EPfN6thrust23THRUST_200600_302600_NS16discard_iteratorINSD_11use_defaultEEENSD_5minusIfEEEE10hipError_tPvRmT2_T3_mT4_P12ihipStream_tbEUlmE_fEESB_NS0_8identityIvEEEESJ_SM_SN_mSO_SQ_bEUlT_E_NS1_11comp_targetILNS1_3genE10ELNS1_11target_archE1201ELNS1_3gpuE5ELNS1_3repE0EEENS1_30default_config_static_selectorELNS0_4arch9wavefront6targetE1EEEvT1_
	.globl	_ZN7rocprim17ROCPRIM_400000_NS6detail17trampoline_kernelINS0_14default_configENS1_25transform_config_selectorIfLb0EEEZNS1_14transform_implILb0ES3_S5_NS0_18transform_iteratorINS0_17counting_iteratorImlEEZNS1_24adjacent_difference_implIS3_Lb1ELb0EPfN6thrust23THRUST_200600_302600_NS16discard_iteratorINSD_11use_defaultEEENSD_5minusIfEEEE10hipError_tPvRmT2_T3_mT4_P12ihipStream_tbEUlmE_fEESB_NS0_8identityIvEEEESJ_SM_SN_mSO_SQ_bEUlT_E_NS1_11comp_targetILNS1_3genE10ELNS1_11target_archE1201ELNS1_3gpuE5ELNS1_3repE0EEENS1_30default_config_static_selectorELNS0_4arch9wavefront6targetE1EEEvT1_
	.p2align	8
	.type	_ZN7rocprim17ROCPRIM_400000_NS6detail17trampoline_kernelINS0_14default_configENS1_25transform_config_selectorIfLb0EEEZNS1_14transform_implILb0ES3_S5_NS0_18transform_iteratorINS0_17counting_iteratorImlEEZNS1_24adjacent_difference_implIS3_Lb1ELb0EPfN6thrust23THRUST_200600_302600_NS16discard_iteratorINSD_11use_defaultEEENSD_5minusIfEEEE10hipError_tPvRmT2_T3_mT4_P12ihipStream_tbEUlmE_fEESB_NS0_8identityIvEEEESJ_SM_SN_mSO_SQ_bEUlT_E_NS1_11comp_targetILNS1_3genE10ELNS1_11target_archE1201ELNS1_3gpuE5ELNS1_3repE0EEENS1_30default_config_static_selectorELNS0_4arch9wavefront6targetE1EEEvT1_,@function
_ZN7rocprim17ROCPRIM_400000_NS6detail17trampoline_kernelINS0_14default_configENS1_25transform_config_selectorIfLb0EEEZNS1_14transform_implILb0ES3_S5_NS0_18transform_iteratorINS0_17counting_iteratorImlEEZNS1_24adjacent_difference_implIS3_Lb1ELb0EPfN6thrust23THRUST_200600_302600_NS16discard_iteratorINSD_11use_defaultEEENSD_5minusIfEEEE10hipError_tPvRmT2_T3_mT4_P12ihipStream_tbEUlmE_fEESB_NS0_8identityIvEEEESJ_SM_SN_mSO_SQ_bEUlT_E_NS1_11comp_targetILNS1_3genE10ELNS1_11target_archE1201ELNS1_3gpuE5ELNS1_3repE0EEENS1_30default_config_static_selectorELNS0_4arch9wavefront6targetE1EEEvT1_: ; @_ZN7rocprim17ROCPRIM_400000_NS6detail17trampoline_kernelINS0_14default_configENS1_25transform_config_selectorIfLb0EEEZNS1_14transform_implILb0ES3_S5_NS0_18transform_iteratorINS0_17counting_iteratorImlEEZNS1_24adjacent_difference_implIS3_Lb1ELb0EPfN6thrust23THRUST_200600_302600_NS16discard_iteratorINSD_11use_defaultEEENSD_5minusIfEEEE10hipError_tPvRmT2_T3_mT4_P12ihipStream_tbEUlmE_fEESB_NS0_8identityIvEEEESJ_SM_SN_mSO_SQ_bEUlT_E_NS1_11comp_targetILNS1_3genE10ELNS1_11target_archE1201ELNS1_3gpuE5ELNS1_3repE0EEENS1_30default_config_static_selectorELNS0_4arch9wavefront6targetE1EEEvT1_
; %bb.0:
	.section	.rodata,"a",@progbits
	.p2align	6, 0x0
	.amdhsa_kernel _ZN7rocprim17ROCPRIM_400000_NS6detail17trampoline_kernelINS0_14default_configENS1_25transform_config_selectorIfLb0EEEZNS1_14transform_implILb0ES3_S5_NS0_18transform_iteratorINS0_17counting_iteratorImlEEZNS1_24adjacent_difference_implIS3_Lb1ELb0EPfN6thrust23THRUST_200600_302600_NS16discard_iteratorINSD_11use_defaultEEENSD_5minusIfEEEE10hipError_tPvRmT2_T3_mT4_P12ihipStream_tbEUlmE_fEESB_NS0_8identityIvEEEESJ_SM_SN_mSO_SQ_bEUlT_E_NS1_11comp_targetILNS1_3genE10ELNS1_11target_archE1201ELNS1_3gpuE5ELNS1_3repE0EEENS1_30default_config_static_selectorELNS0_4arch9wavefront6targetE1EEEvT1_
		.amdhsa_group_segment_fixed_size 0
		.amdhsa_private_segment_fixed_size 0
		.amdhsa_kernarg_size 56
		.amdhsa_user_sgpr_count 6
		.amdhsa_user_sgpr_private_segment_buffer 1
		.amdhsa_user_sgpr_dispatch_ptr 0
		.amdhsa_user_sgpr_queue_ptr 0
		.amdhsa_user_sgpr_kernarg_segment_ptr 1
		.amdhsa_user_sgpr_dispatch_id 0
		.amdhsa_user_sgpr_flat_scratch_init 0
		.amdhsa_user_sgpr_private_segment_size 0
		.amdhsa_uses_dynamic_stack 0
		.amdhsa_system_sgpr_private_segment_wavefront_offset 0
		.amdhsa_system_sgpr_workgroup_id_x 1
		.amdhsa_system_sgpr_workgroup_id_y 0
		.amdhsa_system_sgpr_workgroup_id_z 0
		.amdhsa_system_sgpr_workgroup_info 0
		.amdhsa_system_vgpr_workitem_id 0
		.amdhsa_next_free_vgpr 1
		.amdhsa_next_free_sgpr 0
		.amdhsa_reserve_vcc 0
		.amdhsa_reserve_flat_scratch 0
		.amdhsa_float_round_mode_32 0
		.amdhsa_float_round_mode_16_64 0
		.amdhsa_float_denorm_mode_32 3
		.amdhsa_float_denorm_mode_16_64 3
		.amdhsa_dx10_clamp 1
		.amdhsa_ieee_mode 1
		.amdhsa_fp16_overflow 0
		.amdhsa_exception_fp_ieee_invalid_op 0
		.amdhsa_exception_fp_denorm_src 0
		.amdhsa_exception_fp_ieee_div_zero 0
		.amdhsa_exception_fp_ieee_overflow 0
		.amdhsa_exception_fp_ieee_underflow 0
		.amdhsa_exception_fp_ieee_inexact 0
		.amdhsa_exception_int_div_zero 0
	.end_amdhsa_kernel
	.section	.text._ZN7rocprim17ROCPRIM_400000_NS6detail17trampoline_kernelINS0_14default_configENS1_25transform_config_selectorIfLb0EEEZNS1_14transform_implILb0ES3_S5_NS0_18transform_iteratorINS0_17counting_iteratorImlEEZNS1_24adjacent_difference_implIS3_Lb1ELb0EPfN6thrust23THRUST_200600_302600_NS16discard_iteratorINSD_11use_defaultEEENSD_5minusIfEEEE10hipError_tPvRmT2_T3_mT4_P12ihipStream_tbEUlmE_fEESB_NS0_8identityIvEEEESJ_SM_SN_mSO_SQ_bEUlT_E_NS1_11comp_targetILNS1_3genE10ELNS1_11target_archE1201ELNS1_3gpuE5ELNS1_3repE0EEENS1_30default_config_static_selectorELNS0_4arch9wavefront6targetE1EEEvT1_,"axG",@progbits,_ZN7rocprim17ROCPRIM_400000_NS6detail17trampoline_kernelINS0_14default_configENS1_25transform_config_selectorIfLb0EEEZNS1_14transform_implILb0ES3_S5_NS0_18transform_iteratorINS0_17counting_iteratorImlEEZNS1_24adjacent_difference_implIS3_Lb1ELb0EPfN6thrust23THRUST_200600_302600_NS16discard_iteratorINSD_11use_defaultEEENSD_5minusIfEEEE10hipError_tPvRmT2_T3_mT4_P12ihipStream_tbEUlmE_fEESB_NS0_8identityIvEEEESJ_SM_SN_mSO_SQ_bEUlT_E_NS1_11comp_targetILNS1_3genE10ELNS1_11target_archE1201ELNS1_3gpuE5ELNS1_3repE0EEENS1_30default_config_static_selectorELNS0_4arch9wavefront6targetE1EEEvT1_,comdat
.Lfunc_end795:
	.size	_ZN7rocprim17ROCPRIM_400000_NS6detail17trampoline_kernelINS0_14default_configENS1_25transform_config_selectorIfLb0EEEZNS1_14transform_implILb0ES3_S5_NS0_18transform_iteratorINS0_17counting_iteratorImlEEZNS1_24adjacent_difference_implIS3_Lb1ELb0EPfN6thrust23THRUST_200600_302600_NS16discard_iteratorINSD_11use_defaultEEENSD_5minusIfEEEE10hipError_tPvRmT2_T3_mT4_P12ihipStream_tbEUlmE_fEESB_NS0_8identityIvEEEESJ_SM_SN_mSO_SQ_bEUlT_E_NS1_11comp_targetILNS1_3genE10ELNS1_11target_archE1201ELNS1_3gpuE5ELNS1_3repE0EEENS1_30default_config_static_selectorELNS0_4arch9wavefront6targetE1EEEvT1_, .Lfunc_end795-_ZN7rocprim17ROCPRIM_400000_NS6detail17trampoline_kernelINS0_14default_configENS1_25transform_config_selectorIfLb0EEEZNS1_14transform_implILb0ES3_S5_NS0_18transform_iteratorINS0_17counting_iteratorImlEEZNS1_24adjacent_difference_implIS3_Lb1ELb0EPfN6thrust23THRUST_200600_302600_NS16discard_iteratorINSD_11use_defaultEEENSD_5minusIfEEEE10hipError_tPvRmT2_T3_mT4_P12ihipStream_tbEUlmE_fEESB_NS0_8identityIvEEEESJ_SM_SN_mSO_SQ_bEUlT_E_NS1_11comp_targetILNS1_3genE10ELNS1_11target_archE1201ELNS1_3gpuE5ELNS1_3repE0EEENS1_30default_config_static_selectorELNS0_4arch9wavefront6targetE1EEEvT1_
                                        ; -- End function
	.set _ZN7rocprim17ROCPRIM_400000_NS6detail17trampoline_kernelINS0_14default_configENS1_25transform_config_selectorIfLb0EEEZNS1_14transform_implILb0ES3_S5_NS0_18transform_iteratorINS0_17counting_iteratorImlEEZNS1_24adjacent_difference_implIS3_Lb1ELb0EPfN6thrust23THRUST_200600_302600_NS16discard_iteratorINSD_11use_defaultEEENSD_5minusIfEEEE10hipError_tPvRmT2_T3_mT4_P12ihipStream_tbEUlmE_fEESB_NS0_8identityIvEEEESJ_SM_SN_mSO_SQ_bEUlT_E_NS1_11comp_targetILNS1_3genE10ELNS1_11target_archE1201ELNS1_3gpuE5ELNS1_3repE0EEENS1_30default_config_static_selectorELNS0_4arch9wavefront6targetE1EEEvT1_.num_vgpr, 0
	.set _ZN7rocprim17ROCPRIM_400000_NS6detail17trampoline_kernelINS0_14default_configENS1_25transform_config_selectorIfLb0EEEZNS1_14transform_implILb0ES3_S5_NS0_18transform_iteratorINS0_17counting_iteratorImlEEZNS1_24adjacent_difference_implIS3_Lb1ELb0EPfN6thrust23THRUST_200600_302600_NS16discard_iteratorINSD_11use_defaultEEENSD_5minusIfEEEE10hipError_tPvRmT2_T3_mT4_P12ihipStream_tbEUlmE_fEESB_NS0_8identityIvEEEESJ_SM_SN_mSO_SQ_bEUlT_E_NS1_11comp_targetILNS1_3genE10ELNS1_11target_archE1201ELNS1_3gpuE5ELNS1_3repE0EEENS1_30default_config_static_selectorELNS0_4arch9wavefront6targetE1EEEvT1_.num_agpr, 0
	.set _ZN7rocprim17ROCPRIM_400000_NS6detail17trampoline_kernelINS0_14default_configENS1_25transform_config_selectorIfLb0EEEZNS1_14transform_implILb0ES3_S5_NS0_18transform_iteratorINS0_17counting_iteratorImlEEZNS1_24adjacent_difference_implIS3_Lb1ELb0EPfN6thrust23THRUST_200600_302600_NS16discard_iteratorINSD_11use_defaultEEENSD_5minusIfEEEE10hipError_tPvRmT2_T3_mT4_P12ihipStream_tbEUlmE_fEESB_NS0_8identityIvEEEESJ_SM_SN_mSO_SQ_bEUlT_E_NS1_11comp_targetILNS1_3genE10ELNS1_11target_archE1201ELNS1_3gpuE5ELNS1_3repE0EEENS1_30default_config_static_selectorELNS0_4arch9wavefront6targetE1EEEvT1_.numbered_sgpr, 0
	.set _ZN7rocprim17ROCPRIM_400000_NS6detail17trampoline_kernelINS0_14default_configENS1_25transform_config_selectorIfLb0EEEZNS1_14transform_implILb0ES3_S5_NS0_18transform_iteratorINS0_17counting_iteratorImlEEZNS1_24adjacent_difference_implIS3_Lb1ELb0EPfN6thrust23THRUST_200600_302600_NS16discard_iteratorINSD_11use_defaultEEENSD_5minusIfEEEE10hipError_tPvRmT2_T3_mT4_P12ihipStream_tbEUlmE_fEESB_NS0_8identityIvEEEESJ_SM_SN_mSO_SQ_bEUlT_E_NS1_11comp_targetILNS1_3genE10ELNS1_11target_archE1201ELNS1_3gpuE5ELNS1_3repE0EEENS1_30default_config_static_selectorELNS0_4arch9wavefront6targetE1EEEvT1_.num_named_barrier, 0
	.set _ZN7rocprim17ROCPRIM_400000_NS6detail17trampoline_kernelINS0_14default_configENS1_25transform_config_selectorIfLb0EEEZNS1_14transform_implILb0ES3_S5_NS0_18transform_iteratorINS0_17counting_iteratorImlEEZNS1_24adjacent_difference_implIS3_Lb1ELb0EPfN6thrust23THRUST_200600_302600_NS16discard_iteratorINSD_11use_defaultEEENSD_5minusIfEEEE10hipError_tPvRmT2_T3_mT4_P12ihipStream_tbEUlmE_fEESB_NS0_8identityIvEEEESJ_SM_SN_mSO_SQ_bEUlT_E_NS1_11comp_targetILNS1_3genE10ELNS1_11target_archE1201ELNS1_3gpuE5ELNS1_3repE0EEENS1_30default_config_static_selectorELNS0_4arch9wavefront6targetE1EEEvT1_.private_seg_size, 0
	.set _ZN7rocprim17ROCPRIM_400000_NS6detail17trampoline_kernelINS0_14default_configENS1_25transform_config_selectorIfLb0EEEZNS1_14transform_implILb0ES3_S5_NS0_18transform_iteratorINS0_17counting_iteratorImlEEZNS1_24adjacent_difference_implIS3_Lb1ELb0EPfN6thrust23THRUST_200600_302600_NS16discard_iteratorINSD_11use_defaultEEENSD_5minusIfEEEE10hipError_tPvRmT2_T3_mT4_P12ihipStream_tbEUlmE_fEESB_NS0_8identityIvEEEESJ_SM_SN_mSO_SQ_bEUlT_E_NS1_11comp_targetILNS1_3genE10ELNS1_11target_archE1201ELNS1_3gpuE5ELNS1_3repE0EEENS1_30default_config_static_selectorELNS0_4arch9wavefront6targetE1EEEvT1_.uses_vcc, 0
	.set _ZN7rocprim17ROCPRIM_400000_NS6detail17trampoline_kernelINS0_14default_configENS1_25transform_config_selectorIfLb0EEEZNS1_14transform_implILb0ES3_S5_NS0_18transform_iteratorINS0_17counting_iteratorImlEEZNS1_24adjacent_difference_implIS3_Lb1ELb0EPfN6thrust23THRUST_200600_302600_NS16discard_iteratorINSD_11use_defaultEEENSD_5minusIfEEEE10hipError_tPvRmT2_T3_mT4_P12ihipStream_tbEUlmE_fEESB_NS0_8identityIvEEEESJ_SM_SN_mSO_SQ_bEUlT_E_NS1_11comp_targetILNS1_3genE10ELNS1_11target_archE1201ELNS1_3gpuE5ELNS1_3repE0EEENS1_30default_config_static_selectorELNS0_4arch9wavefront6targetE1EEEvT1_.uses_flat_scratch, 0
	.set _ZN7rocprim17ROCPRIM_400000_NS6detail17trampoline_kernelINS0_14default_configENS1_25transform_config_selectorIfLb0EEEZNS1_14transform_implILb0ES3_S5_NS0_18transform_iteratorINS0_17counting_iteratorImlEEZNS1_24adjacent_difference_implIS3_Lb1ELb0EPfN6thrust23THRUST_200600_302600_NS16discard_iteratorINSD_11use_defaultEEENSD_5minusIfEEEE10hipError_tPvRmT2_T3_mT4_P12ihipStream_tbEUlmE_fEESB_NS0_8identityIvEEEESJ_SM_SN_mSO_SQ_bEUlT_E_NS1_11comp_targetILNS1_3genE10ELNS1_11target_archE1201ELNS1_3gpuE5ELNS1_3repE0EEENS1_30default_config_static_selectorELNS0_4arch9wavefront6targetE1EEEvT1_.has_dyn_sized_stack, 0
	.set _ZN7rocprim17ROCPRIM_400000_NS6detail17trampoline_kernelINS0_14default_configENS1_25transform_config_selectorIfLb0EEEZNS1_14transform_implILb0ES3_S5_NS0_18transform_iteratorINS0_17counting_iteratorImlEEZNS1_24adjacent_difference_implIS3_Lb1ELb0EPfN6thrust23THRUST_200600_302600_NS16discard_iteratorINSD_11use_defaultEEENSD_5minusIfEEEE10hipError_tPvRmT2_T3_mT4_P12ihipStream_tbEUlmE_fEESB_NS0_8identityIvEEEESJ_SM_SN_mSO_SQ_bEUlT_E_NS1_11comp_targetILNS1_3genE10ELNS1_11target_archE1201ELNS1_3gpuE5ELNS1_3repE0EEENS1_30default_config_static_selectorELNS0_4arch9wavefront6targetE1EEEvT1_.has_recursion, 0
	.set _ZN7rocprim17ROCPRIM_400000_NS6detail17trampoline_kernelINS0_14default_configENS1_25transform_config_selectorIfLb0EEEZNS1_14transform_implILb0ES3_S5_NS0_18transform_iteratorINS0_17counting_iteratorImlEEZNS1_24adjacent_difference_implIS3_Lb1ELb0EPfN6thrust23THRUST_200600_302600_NS16discard_iteratorINSD_11use_defaultEEENSD_5minusIfEEEE10hipError_tPvRmT2_T3_mT4_P12ihipStream_tbEUlmE_fEESB_NS0_8identityIvEEEESJ_SM_SN_mSO_SQ_bEUlT_E_NS1_11comp_targetILNS1_3genE10ELNS1_11target_archE1201ELNS1_3gpuE5ELNS1_3repE0EEENS1_30default_config_static_selectorELNS0_4arch9wavefront6targetE1EEEvT1_.has_indirect_call, 0
	.section	.AMDGPU.csdata,"",@progbits
; Kernel info:
; codeLenInByte = 0
; TotalNumSgprs: 4
; NumVgprs: 0
; ScratchSize: 0
; MemoryBound: 0
; FloatMode: 240
; IeeeMode: 1
; LDSByteSize: 0 bytes/workgroup (compile time only)
; SGPRBlocks: 0
; VGPRBlocks: 0
; NumSGPRsForWavesPerEU: 4
; NumVGPRsForWavesPerEU: 1
; Occupancy: 10
; WaveLimiterHint : 0
; COMPUTE_PGM_RSRC2:SCRATCH_EN: 0
; COMPUTE_PGM_RSRC2:USER_SGPR: 6
; COMPUTE_PGM_RSRC2:TRAP_HANDLER: 0
; COMPUTE_PGM_RSRC2:TGID_X_EN: 1
; COMPUTE_PGM_RSRC2:TGID_Y_EN: 0
; COMPUTE_PGM_RSRC2:TGID_Z_EN: 0
; COMPUTE_PGM_RSRC2:TIDIG_COMP_CNT: 0
	.section	.text._ZN7rocprim17ROCPRIM_400000_NS6detail17trampoline_kernelINS0_14default_configENS1_25transform_config_selectorIfLb0EEEZNS1_14transform_implILb0ES3_S5_NS0_18transform_iteratorINS0_17counting_iteratorImlEEZNS1_24adjacent_difference_implIS3_Lb1ELb0EPfN6thrust23THRUST_200600_302600_NS16discard_iteratorINSD_11use_defaultEEENSD_5minusIfEEEE10hipError_tPvRmT2_T3_mT4_P12ihipStream_tbEUlmE_fEESB_NS0_8identityIvEEEESJ_SM_SN_mSO_SQ_bEUlT_E_NS1_11comp_targetILNS1_3genE10ELNS1_11target_archE1200ELNS1_3gpuE4ELNS1_3repE0EEENS1_30default_config_static_selectorELNS0_4arch9wavefront6targetE1EEEvT1_,"axG",@progbits,_ZN7rocprim17ROCPRIM_400000_NS6detail17trampoline_kernelINS0_14default_configENS1_25transform_config_selectorIfLb0EEEZNS1_14transform_implILb0ES3_S5_NS0_18transform_iteratorINS0_17counting_iteratorImlEEZNS1_24adjacent_difference_implIS3_Lb1ELb0EPfN6thrust23THRUST_200600_302600_NS16discard_iteratorINSD_11use_defaultEEENSD_5minusIfEEEE10hipError_tPvRmT2_T3_mT4_P12ihipStream_tbEUlmE_fEESB_NS0_8identityIvEEEESJ_SM_SN_mSO_SQ_bEUlT_E_NS1_11comp_targetILNS1_3genE10ELNS1_11target_archE1200ELNS1_3gpuE4ELNS1_3repE0EEENS1_30default_config_static_selectorELNS0_4arch9wavefront6targetE1EEEvT1_,comdat
	.protected	_ZN7rocprim17ROCPRIM_400000_NS6detail17trampoline_kernelINS0_14default_configENS1_25transform_config_selectorIfLb0EEEZNS1_14transform_implILb0ES3_S5_NS0_18transform_iteratorINS0_17counting_iteratorImlEEZNS1_24adjacent_difference_implIS3_Lb1ELb0EPfN6thrust23THRUST_200600_302600_NS16discard_iteratorINSD_11use_defaultEEENSD_5minusIfEEEE10hipError_tPvRmT2_T3_mT4_P12ihipStream_tbEUlmE_fEESB_NS0_8identityIvEEEESJ_SM_SN_mSO_SQ_bEUlT_E_NS1_11comp_targetILNS1_3genE10ELNS1_11target_archE1200ELNS1_3gpuE4ELNS1_3repE0EEENS1_30default_config_static_selectorELNS0_4arch9wavefront6targetE1EEEvT1_ ; -- Begin function _ZN7rocprim17ROCPRIM_400000_NS6detail17trampoline_kernelINS0_14default_configENS1_25transform_config_selectorIfLb0EEEZNS1_14transform_implILb0ES3_S5_NS0_18transform_iteratorINS0_17counting_iteratorImlEEZNS1_24adjacent_difference_implIS3_Lb1ELb0EPfN6thrust23THRUST_200600_302600_NS16discard_iteratorINSD_11use_defaultEEENSD_5minusIfEEEE10hipError_tPvRmT2_T3_mT4_P12ihipStream_tbEUlmE_fEESB_NS0_8identityIvEEEESJ_SM_SN_mSO_SQ_bEUlT_E_NS1_11comp_targetILNS1_3genE10ELNS1_11target_archE1200ELNS1_3gpuE4ELNS1_3repE0EEENS1_30default_config_static_selectorELNS0_4arch9wavefront6targetE1EEEvT1_
	.globl	_ZN7rocprim17ROCPRIM_400000_NS6detail17trampoline_kernelINS0_14default_configENS1_25transform_config_selectorIfLb0EEEZNS1_14transform_implILb0ES3_S5_NS0_18transform_iteratorINS0_17counting_iteratorImlEEZNS1_24adjacent_difference_implIS3_Lb1ELb0EPfN6thrust23THRUST_200600_302600_NS16discard_iteratorINSD_11use_defaultEEENSD_5minusIfEEEE10hipError_tPvRmT2_T3_mT4_P12ihipStream_tbEUlmE_fEESB_NS0_8identityIvEEEESJ_SM_SN_mSO_SQ_bEUlT_E_NS1_11comp_targetILNS1_3genE10ELNS1_11target_archE1200ELNS1_3gpuE4ELNS1_3repE0EEENS1_30default_config_static_selectorELNS0_4arch9wavefront6targetE1EEEvT1_
	.p2align	8
	.type	_ZN7rocprim17ROCPRIM_400000_NS6detail17trampoline_kernelINS0_14default_configENS1_25transform_config_selectorIfLb0EEEZNS1_14transform_implILb0ES3_S5_NS0_18transform_iteratorINS0_17counting_iteratorImlEEZNS1_24adjacent_difference_implIS3_Lb1ELb0EPfN6thrust23THRUST_200600_302600_NS16discard_iteratorINSD_11use_defaultEEENSD_5minusIfEEEE10hipError_tPvRmT2_T3_mT4_P12ihipStream_tbEUlmE_fEESB_NS0_8identityIvEEEESJ_SM_SN_mSO_SQ_bEUlT_E_NS1_11comp_targetILNS1_3genE10ELNS1_11target_archE1200ELNS1_3gpuE4ELNS1_3repE0EEENS1_30default_config_static_selectorELNS0_4arch9wavefront6targetE1EEEvT1_,@function
_ZN7rocprim17ROCPRIM_400000_NS6detail17trampoline_kernelINS0_14default_configENS1_25transform_config_selectorIfLb0EEEZNS1_14transform_implILb0ES3_S5_NS0_18transform_iteratorINS0_17counting_iteratorImlEEZNS1_24adjacent_difference_implIS3_Lb1ELb0EPfN6thrust23THRUST_200600_302600_NS16discard_iteratorINSD_11use_defaultEEENSD_5minusIfEEEE10hipError_tPvRmT2_T3_mT4_P12ihipStream_tbEUlmE_fEESB_NS0_8identityIvEEEESJ_SM_SN_mSO_SQ_bEUlT_E_NS1_11comp_targetILNS1_3genE10ELNS1_11target_archE1200ELNS1_3gpuE4ELNS1_3repE0EEENS1_30default_config_static_selectorELNS0_4arch9wavefront6targetE1EEEvT1_: ; @_ZN7rocprim17ROCPRIM_400000_NS6detail17trampoline_kernelINS0_14default_configENS1_25transform_config_selectorIfLb0EEEZNS1_14transform_implILb0ES3_S5_NS0_18transform_iteratorINS0_17counting_iteratorImlEEZNS1_24adjacent_difference_implIS3_Lb1ELb0EPfN6thrust23THRUST_200600_302600_NS16discard_iteratorINSD_11use_defaultEEENSD_5minusIfEEEE10hipError_tPvRmT2_T3_mT4_P12ihipStream_tbEUlmE_fEESB_NS0_8identityIvEEEESJ_SM_SN_mSO_SQ_bEUlT_E_NS1_11comp_targetILNS1_3genE10ELNS1_11target_archE1200ELNS1_3gpuE4ELNS1_3repE0EEENS1_30default_config_static_selectorELNS0_4arch9wavefront6targetE1EEEvT1_
; %bb.0:
	.section	.rodata,"a",@progbits
	.p2align	6, 0x0
	.amdhsa_kernel _ZN7rocprim17ROCPRIM_400000_NS6detail17trampoline_kernelINS0_14default_configENS1_25transform_config_selectorIfLb0EEEZNS1_14transform_implILb0ES3_S5_NS0_18transform_iteratorINS0_17counting_iteratorImlEEZNS1_24adjacent_difference_implIS3_Lb1ELb0EPfN6thrust23THRUST_200600_302600_NS16discard_iteratorINSD_11use_defaultEEENSD_5minusIfEEEE10hipError_tPvRmT2_T3_mT4_P12ihipStream_tbEUlmE_fEESB_NS0_8identityIvEEEESJ_SM_SN_mSO_SQ_bEUlT_E_NS1_11comp_targetILNS1_3genE10ELNS1_11target_archE1200ELNS1_3gpuE4ELNS1_3repE0EEENS1_30default_config_static_selectorELNS0_4arch9wavefront6targetE1EEEvT1_
		.amdhsa_group_segment_fixed_size 0
		.amdhsa_private_segment_fixed_size 0
		.amdhsa_kernarg_size 56
		.amdhsa_user_sgpr_count 6
		.amdhsa_user_sgpr_private_segment_buffer 1
		.amdhsa_user_sgpr_dispatch_ptr 0
		.amdhsa_user_sgpr_queue_ptr 0
		.amdhsa_user_sgpr_kernarg_segment_ptr 1
		.amdhsa_user_sgpr_dispatch_id 0
		.amdhsa_user_sgpr_flat_scratch_init 0
		.amdhsa_user_sgpr_private_segment_size 0
		.amdhsa_uses_dynamic_stack 0
		.amdhsa_system_sgpr_private_segment_wavefront_offset 0
		.amdhsa_system_sgpr_workgroup_id_x 1
		.amdhsa_system_sgpr_workgroup_id_y 0
		.amdhsa_system_sgpr_workgroup_id_z 0
		.amdhsa_system_sgpr_workgroup_info 0
		.amdhsa_system_vgpr_workitem_id 0
		.amdhsa_next_free_vgpr 1
		.amdhsa_next_free_sgpr 0
		.amdhsa_reserve_vcc 0
		.amdhsa_reserve_flat_scratch 0
		.amdhsa_float_round_mode_32 0
		.amdhsa_float_round_mode_16_64 0
		.amdhsa_float_denorm_mode_32 3
		.amdhsa_float_denorm_mode_16_64 3
		.amdhsa_dx10_clamp 1
		.amdhsa_ieee_mode 1
		.amdhsa_fp16_overflow 0
		.amdhsa_exception_fp_ieee_invalid_op 0
		.amdhsa_exception_fp_denorm_src 0
		.amdhsa_exception_fp_ieee_div_zero 0
		.amdhsa_exception_fp_ieee_overflow 0
		.amdhsa_exception_fp_ieee_underflow 0
		.amdhsa_exception_fp_ieee_inexact 0
		.amdhsa_exception_int_div_zero 0
	.end_amdhsa_kernel
	.section	.text._ZN7rocprim17ROCPRIM_400000_NS6detail17trampoline_kernelINS0_14default_configENS1_25transform_config_selectorIfLb0EEEZNS1_14transform_implILb0ES3_S5_NS0_18transform_iteratorINS0_17counting_iteratorImlEEZNS1_24adjacent_difference_implIS3_Lb1ELb0EPfN6thrust23THRUST_200600_302600_NS16discard_iteratorINSD_11use_defaultEEENSD_5minusIfEEEE10hipError_tPvRmT2_T3_mT4_P12ihipStream_tbEUlmE_fEESB_NS0_8identityIvEEEESJ_SM_SN_mSO_SQ_bEUlT_E_NS1_11comp_targetILNS1_3genE10ELNS1_11target_archE1200ELNS1_3gpuE4ELNS1_3repE0EEENS1_30default_config_static_selectorELNS0_4arch9wavefront6targetE1EEEvT1_,"axG",@progbits,_ZN7rocprim17ROCPRIM_400000_NS6detail17trampoline_kernelINS0_14default_configENS1_25transform_config_selectorIfLb0EEEZNS1_14transform_implILb0ES3_S5_NS0_18transform_iteratorINS0_17counting_iteratorImlEEZNS1_24adjacent_difference_implIS3_Lb1ELb0EPfN6thrust23THRUST_200600_302600_NS16discard_iteratorINSD_11use_defaultEEENSD_5minusIfEEEE10hipError_tPvRmT2_T3_mT4_P12ihipStream_tbEUlmE_fEESB_NS0_8identityIvEEEESJ_SM_SN_mSO_SQ_bEUlT_E_NS1_11comp_targetILNS1_3genE10ELNS1_11target_archE1200ELNS1_3gpuE4ELNS1_3repE0EEENS1_30default_config_static_selectorELNS0_4arch9wavefront6targetE1EEEvT1_,comdat
.Lfunc_end796:
	.size	_ZN7rocprim17ROCPRIM_400000_NS6detail17trampoline_kernelINS0_14default_configENS1_25transform_config_selectorIfLb0EEEZNS1_14transform_implILb0ES3_S5_NS0_18transform_iteratorINS0_17counting_iteratorImlEEZNS1_24adjacent_difference_implIS3_Lb1ELb0EPfN6thrust23THRUST_200600_302600_NS16discard_iteratorINSD_11use_defaultEEENSD_5minusIfEEEE10hipError_tPvRmT2_T3_mT4_P12ihipStream_tbEUlmE_fEESB_NS0_8identityIvEEEESJ_SM_SN_mSO_SQ_bEUlT_E_NS1_11comp_targetILNS1_3genE10ELNS1_11target_archE1200ELNS1_3gpuE4ELNS1_3repE0EEENS1_30default_config_static_selectorELNS0_4arch9wavefront6targetE1EEEvT1_, .Lfunc_end796-_ZN7rocprim17ROCPRIM_400000_NS6detail17trampoline_kernelINS0_14default_configENS1_25transform_config_selectorIfLb0EEEZNS1_14transform_implILb0ES3_S5_NS0_18transform_iteratorINS0_17counting_iteratorImlEEZNS1_24adjacent_difference_implIS3_Lb1ELb0EPfN6thrust23THRUST_200600_302600_NS16discard_iteratorINSD_11use_defaultEEENSD_5minusIfEEEE10hipError_tPvRmT2_T3_mT4_P12ihipStream_tbEUlmE_fEESB_NS0_8identityIvEEEESJ_SM_SN_mSO_SQ_bEUlT_E_NS1_11comp_targetILNS1_3genE10ELNS1_11target_archE1200ELNS1_3gpuE4ELNS1_3repE0EEENS1_30default_config_static_selectorELNS0_4arch9wavefront6targetE1EEEvT1_
                                        ; -- End function
	.set _ZN7rocprim17ROCPRIM_400000_NS6detail17trampoline_kernelINS0_14default_configENS1_25transform_config_selectorIfLb0EEEZNS1_14transform_implILb0ES3_S5_NS0_18transform_iteratorINS0_17counting_iteratorImlEEZNS1_24adjacent_difference_implIS3_Lb1ELb0EPfN6thrust23THRUST_200600_302600_NS16discard_iteratorINSD_11use_defaultEEENSD_5minusIfEEEE10hipError_tPvRmT2_T3_mT4_P12ihipStream_tbEUlmE_fEESB_NS0_8identityIvEEEESJ_SM_SN_mSO_SQ_bEUlT_E_NS1_11comp_targetILNS1_3genE10ELNS1_11target_archE1200ELNS1_3gpuE4ELNS1_3repE0EEENS1_30default_config_static_selectorELNS0_4arch9wavefront6targetE1EEEvT1_.num_vgpr, 0
	.set _ZN7rocprim17ROCPRIM_400000_NS6detail17trampoline_kernelINS0_14default_configENS1_25transform_config_selectorIfLb0EEEZNS1_14transform_implILb0ES3_S5_NS0_18transform_iteratorINS0_17counting_iteratorImlEEZNS1_24adjacent_difference_implIS3_Lb1ELb0EPfN6thrust23THRUST_200600_302600_NS16discard_iteratorINSD_11use_defaultEEENSD_5minusIfEEEE10hipError_tPvRmT2_T3_mT4_P12ihipStream_tbEUlmE_fEESB_NS0_8identityIvEEEESJ_SM_SN_mSO_SQ_bEUlT_E_NS1_11comp_targetILNS1_3genE10ELNS1_11target_archE1200ELNS1_3gpuE4ELNS1_3repE0EEENS1_30default_config_static_selectorELNS0_4arch9wavefront6targetE1EEEvT1_.num_agpr, 0
	.set _ZN7rocprim17ROCPRIM_400000_NS6detail17trampoline_kernelINS0_14default_configENS1_25transform_config_selectorIfLb0EEEZNS1_14transform_implILb0ES3_S5_NS0_18transform_iteratorINS0_17counting_iteratorImlEEZNS1_24adjacent_difference_implIS3_Lb1ELb0EPfN6thrust23THRUST_200600_302600_NS16discard_iteratorINSD_11use_defaultEEENSD_5minusIfEEEE10hipError_tPvRmT2_T3_mT4_P12ihipStream_tbEUlmE_fEESB_NS0_8identityIvEEEESJ_SM_SN_mSO_SQ_bEUlT_E_NS1_11comp_targetILNS1_3genE10ELNS1_11target_archE1200ELNS1_3gpuE4ELNS1_3repE0EEENS1_30default_config_static_selectorELNS0_4arch9wavefront6targetE1EEEvT1_.numbered_sgpr, 0
	.set _ZN7rocprim17ROCPRIM_400000_NS6detail17trampoline_kernelINS0_14default_configENS1_25transform_config_selectorIfLb0EEEZNS1_14transform_implILb0ES3_S5_NS0_18transform_iteratorINS0_17counting_iteratorImlEEZNS1_24adjacent_difference_implIS3_Lb1ELb0EPfN6thrust23THRUST_200600_302600_NS16discard_iteratorINSD_11use_defaultEEENSD_5minusIfEEEE10hipError_tPvRmT2_T3_mT4_P12ihipStream_tbEUlmE_fEESB_NS0_8identityIvEEEESJ_SM_SN_mSO_SQ_bEUlT_E_NS1_11comp_targetILNS1_3genE10ELNS1_11target_archE1200ELNS1_3gpuE4ELNS1_3repE0EEENS1_30default_config_static_selectorELNS0_4arch9wavefront6targetE1EEEvT1_.num_named_barrier, 0
	.set _ZN7rocprim17ROCPRIM_400000_NS6detail17trampoline_kernelINS0_14default_configENS1_25transform_config_selectorIfLb0EEEZNS1_14transform_implILb0ES3_S5_NS0_18transform_iteratorINS0_17counting_iteratorImlEEZNS1_24adjacent_difference_implIS3_Lb1ELb0EPfN6thrust23THRUST_200600_302600_NS16discard_iteratorINSD_11use_defaultEEENSD_5minusIfEEEE10hipError_tPvRmT2_T3_mT4_P12ihipStream_tbEUlmE_fEESB_NS0_8identityIvEEEESJ_SM_SN_mSO_SQ_bEUlT_E_NS1_11comp_targetILNS1_3genE10ELNS1_11target_archE1200ELNS1_3gpuE4ELNS1_3repE0EEENS1_30default_config_static_selectorELNS0_4arch9wavefront6targetE1EEEvT1_.private_seg_size, 0
	.set _ZN7rocprim17ROCPRIM_400000_NS6detail17trampoline_kernelINS0_14default_configENS1_25transform_config_selectorIfLb0EEEZNS1_14transform_implILb0ES3_S5_NS0_18transform_iteratorINS0_17counting_iteratorImlEEZNS1_24adjacent_difference_implIS3_Lb1ELb0EPfN6thrust23THRUST_200600_302600_NS16discard_iteratorINSD_11use_defaultEEENSD_5minusIfEEEE10hipError_tPvRmT2_T3_mT4_P12ihipStream_tbEUlmE_fEESB_NS0_8identityIvEEEESJ_SM_SN_mSO_SQ_bEUlT_E_NS1_11comp_targetILNS1_3genE10ELNS1_11target_archE1200ELNS1_3gpuE4ELNS1_3repE0EEENS1_30default_config_static_selectorELNS0_4arch9wavefront6targetE1EEEvT1_.uses_vcc, 0
	.set _ZN7rocprim17ROCPRIM_400000_NS6detail17trampoline_kernelINS0_14default_configENS1_25transform_config_selectorIfLb0EEEZNS1_14transform_implILb0ES3_S5_NS0_18transform_iteratorINS0_17counting_iteratorImlEEZNS1_24adjacent_difference_implIS3_Lb1ELb0EPfN6thrust23THRUST_200600_302600_NS16discard_iteratorINSD_11use_defaultEEENSD_5minusIfEEEE10hipError_tPvRmT2_T3_mT4_P12ihipStream_tbEUlmE_fEESB_NS0_8identityIvEEEESJ_SM_SN_mSO_SQ_bEUlT_E_NS1_11comp_targetILNS1_3genE10ELNS1_11target_archE1200ELNS1_3gpuE4ELNS1_3repE0EEENS1_30default_config_static_selectorELNS0_4arch9wavefront6targetE1EEEvT1_.uses_flat_scratch, 0
	.set _ZN7rocprim17ROCPRIM_400000_NS6detail17trampoline_kernelINS0_14default_configENS1_25transform_config_selectorIfLb0EEEZNS1_14transform_implILb0ES3_S5_NS0_18transform_iteratorINS0_17counting_iteratorImlEEZNS1_24adjacent_difference_implIS3_Lb1ELb0EPfN6thrust23THRUST_200600_302600_NS16discard_iteratorINSD_11use_defaultEEENSD_5minusIfEEEE10hipError_tPvRmT2_T3_mT4_P12ihipStream_tbEUlmE_fEESB_NS0_8identityIvEEEESJ_SM_SN_mSO_SQ_bEUlT_E_NS1_11comp_targetILNS1_3genE10ELNS1_11target_archE1200ELNS1_3gpuE4ELNS1_3repE0EEENS1_30default_config_static_selectorELNS0_4arch9wavefront6targetE1EEEvT1_.has_dyn_sized_stack, 0
	.set _ZN7rocprim17ROCPRIM_400000_NS6detail17trampoline_kernelINS0_14default_configENS1_25transform_config_selectorIfLb0EEEZNS1_14transform_implILb0ES3_S5_NS0_18transform_iteratorINS0_17counting_iteratorImlEEZNS1_24adjacent_difference_implIS3_Lb1ELb0EPfN6thrust23THRUST_200600_302600_NS16discard_iteratorINSD_11use_defaultEEENSD_5minusIfEEEE10hipError_tPvRmT2_T3_mT4_P12ihipStream_tbEUlmE_fEESB_NS0_8identityIvEEEESJ_SM_SN_mSO_SQ_bEUlT_E_NS1_11comp_targetILNS1_3genE10ELNS1_11target_archE1200ELNS1_3gpuE4ELNS1_3repE0EEENS1_30default_config_static_selectorELNS0_4arch9wavefront6targetE1EEEvT1_.has_recursion, 0
	.set _ZN7rocprim17ROCPRIM_400000_NS6detail17trampoline_kernelINS0_14default_configENS1_25transform_config_selectorIfLb0EEEZNS1_14transform_implILb0ES3_S5_NS0_18transform_iteratorINS0_17counting_iteratorImlEEZNS1_24adjacent_difference_implIS3_Lb1ELb0EPfN6thrust23THRUST_200600_302600_NS16discard_iteratorINSD_11use_defaultEEENSD_5minusIfEEEE10hipError_tPvRmT2_T3_mT4_P12ihipStream_tbEUlmE_fEESB_NS0_8identityIvEEEESJ_SM_SN_mSO_SQ_bEUlT_E_NS1_11comp_targetILNS1_3genE10ELNS1_11target_archE1200ELNS1_3gpuE4ELNS1_3repE0EEENS1_30default_config_static_selectorELNS0_4arch9wavefront6targetE1EEEvT1_.has_indirect_call, 0
	.section	.AMDGPU.csdata,"",@progbits
; Kernel info:
; codeLenInByte = 0
; TotalNumSgprs: 4
; NumVgprs: 0
; ScratchSize: 0
; MemoryBound: 0
; FloatMode: 240
; IeeeMode: 1
; LDSByteSize: 0 bytes/workgroup (compile time only)
; SGPRBlocks: 0
; VGPRBlocks: 0
; NumSGPRsForWavesPerEU: 4
; NumVGPRsForWavesPerEU: 1
; Occupancy: 10
; WaveLimiterHint : 0
; COMPUTE_PGM_RSRC2:SCRATCH_EN: 0
; COMPUTE_PGM_RSRC2:USER_SGPR: 6
; COMPUTE_PGM_RSRC2:TRAP_HANDLER: 0
; COMPUTE_PGM_RSRC2:TGID_X_EN: 1
; COMPUTE_PGM_RSRC2:TGID_Y_EN: 0
; COMPUTE_PGM_RSRC2:TGID_Z_EN: 0
; COMPUTE_PGM_RSRC2:TIDIG_COMP_CNT: 0
	.section	.text._ZN7rocprim17ROCPRIM_400000_NS6detail17trampoline_kernelINS0_14default_configENS1_25transform_config_selectorIfLb0EEEZNS1_14transform_implILb0ES3_S5_NS0_18transform_iteratorINS0_17counting_iteratorImlEEZNS1_24adjacent_difference_implIS3_Lb1ELb0EPfN6thrust23THRUST_200600_302600_NS16discard_iteratorINSD_11use_defaultEEENSD_5minusIfEEEE10hipError_tPvRmT2_T3_mT4_P12ihipStream_tbEUlmE_fEESB_NS0_8identityIvEEEESJ_SM_SN_mSO_SQ_bEUlT_E_NS1_11comp_targetILNS1_3genE9ELNS1_11target_archE1100ELNS1_3gpuE3ELNS1_3repE0EEENS1_30default_config_static_selectorELNS0_4arch9wavefront6targetE1EEEvT1_,"axG",@progbits,_ZN7rocprim17ROCPRIM_400000_NS6detail17trampoline_kernelINS0_14default_configENS1_25transform_config_selectorIfLb0EEEZNS1_14transform_implILb0ES3_S5_NS0_18transform_iteratorINS0_17counting_iteratorImlEEZNS1_24adjacent_difference_implIS3_Lb1ELb0EPfN6thrust23THRUST_200600_302600_NS16discard_iteratorINSD_11use_defaultEEENSD_5minusIfEEEE10hipError_tPvRmT2_T3_mT4_P12ihipStream_tbEUlmE_fEESB_NS0_8identityIvEEEESJ_SM_SN_mSO_SQ_bEUlT_E_NS1_11comp_targetILNS1_3genE9ELNS1_11target_archE1100ELNS1_3gpuE3ELNS1_3repE0EEENS1_30default_config_static_selectorELNS0_4arch9wavefront6targetE1EEEvT1_,comdat
	.protected	_ZN7rocprim17ROCPRIM_400000_NS6detail17trampoline_kernelINS0_14default_configENS1_25transform_config_selectorIfLb0EEEZNS1_14transform_implILb0ES3_S5_NS0_18transform_iteratorINS0_17counting_iteratorImlEEZNS1_24adjacent_difference_implIS3_Lb1ELb0EPfN6thrust23THRUST_200600_302600_NS16discard_iteratorINSD_11use_defaultEEENSD_5minusIfEEEE10hipError_tPvRmT2_T3_mT4_P12ihipStream_tbEUlmE_fEESB_NS0_8identityIvEEEESJ_SM_SN_mSO_SQ_bEUlT_E_NS1_11comp_targetILNS1_3genE9ELNS1_11target_archE1100ELNS1_3gpuE3ELNS1_3repE0EEENS1_30default_config_static_selectorELNS0_4arch9wavefront6targetE1EEEvT1_ ; -- Begin function _ZN7rocprim17ROCPRIM_400000_NS6detail17trampoline_kernelINS0_14default_configENS1_25transform_config_selectorIfLb0EEEZNS1_14transform_implILb0ES3_S5_NS0_18transform_iteratorINS0_17counting_iteratorImlEEZNS1_24adjacent_difference_implIS3_Lb1ELb0EPfN6thrust23THRUST_200600_302600_NS16discard_iteratorINSD_11use_defaultEEENSD_5minusIfEEEE10hipError_tPvRmT2_T3_mT4_P12ihipStream_tbEUlmE_fEESB_NS0_8identityIvEEEESJ_SM_SN_mSO_SQ_bEUlT_E_NS1_11comp_targetILNS1_3genE9ELNS1_11target_archE1100ELNS1_3gpuE3ELNS1_3repE0EEENS1_30default_config_static_selectorELNS0_4arch9wavefront6targetE1EEEvT1_
	.globl	_ZN7rocprim17ROCPRIM_400000_NS6detail17trampoline_kernelINS0_14default_configENS1_25transform_config_selectorIfLb0EEEZNS1_14transform_implILb0ES3_S5_NS0_18transform_iteratorINS0_17counting_iteratorImlEEZNS1_24adjacent_difference_implIS3_Lb1ELb0EPfN6thrust23THRUST_200600_302600_NS16discard_iteratorINSD_11use_defaultEEENSD_5minusIfEEEE10hipError_tPvRmT2_T3_mT4_P12ihipStream_tbEUlmE_fEESB_NS0_8identityIvEEEESJ_SM_SN_mSO_SQ_bEUlT_E_NS1_11comp_targetILNS1_3genE9ELNS1_11target_archE1100ELNS1_3gpuE3ELNS1_3repE0EEENS1_30default_config_static_selectorELNS0_4arch9wavefront6targetE1EEEvT1_
	.p2align	8
	.type	_ZN7rocprim17ROCPRIM_400000_NS6detail17trampoline_kernelINS0_14default_configENS1_25transform_config_selectorIfLb0EEEZNS1_14transform_implILb0ES3_S5_NS0_18transform_iteratorINS0_17counting_iteratorImlEEZNS1_24adjacent_difference_implIS3_Lb1ELb0EPfN6thrust23THRUST_200600_302600_NS16discard_iteratorINSD_11use_defaultEEENSD_5minusIfEEEE10hipError_tPvRmT2_T3_mT4_P12ihipStream_tbEUlmE_fEESB_NS0_8identityIvEEEESJ_SM_SN_mSO_SQ_bEUlT_E_NS1_11comp_targetILNS1_3genE9ELNS1_11target_archE1100ELNS1_3gpuE3ELNS1_3repE0EEENS1_30default_config_static_selectorELNS0_4arch9wavefront6targetE1EEEvT1_,@function
_ZN7rocprim17ROCPRIM_400000_NS6detail17trampoline_kernelINS0_14default_configENS1_25transform_config_selectorIfLb0EEEZNS1_14transform_implILb0ES3_S5_NS0_18transform_iteratorINS0_17counting_iteratorImlEEZNS1_24adjacent_difference_implIS3_Lb1ELb0EPfN6thrust23THRUST_200600_302600_NS16discard_iteratorINSD_11use_defaultEEENSD_5minusIfEEEE10hipError_tPvRmT2_T3_mT4_P12ihipStream_tbEUlmE_fEESB_NS0_8identityIvEEEESJ_SM_SN_mSO_SQ_bEUlT_E_NS1_11comp_targetILNS1_3genE9ELNS1_11target_archE1100ELNS1_3gpuE3ELNS1_3repE0EEENS1_30default_config_static_selectorELNS0_4arch9wavefront6targetE1EEEvT1_: ; @_ZN7rocprim17ROCPRIM_400000_NS6detail17trampoline_kernelINS0_14default_configENS1_25transform_config_selectorIfLb0EEEZNS1_14transform_implILb0ES3_S5_NS0_18transform_iteratorINS0_17counting_iteratorImlEEZNS1_24adjacent_difference_implIS3_Lb1ELb0EPfN6thrust23THRUST_200600_302600_NS16discard_iteratorINSD_11use_defaultEEENSD_5minusIfEEEE10hipError_tPvRmT2_T3_mT4_P12ihipStream_tbEUlmE_fEESB_NS0_8identityIvEEEESJ_SM_SN_mSO_SQ_bEUlT_E_NS1_11comp_targetILNS1_3genE9ELNS1_11target_archE1100ELNS1_3gpuE3ELNS1_3repE0EEENS1_30default_config_static_selectorELNS0_4arch9wavefront6targetE1EEEvT1_
; %bb.0:
	.section	.rodata,"a",@progbits
	.p2align	6, 0x0
	.amdhsa_kernel _ZN7rocprim17ROCPRIM_400000_NS6detail17trampoline_kernelINS0_14default_configENS1_25transform_config_selectorIfLb0EEEZNS1_14transform_implILb0ES3_S5_NS0_18transform_iteratorINS0_17counting_iteratorImlEEZNS1_24adjacent_difference_implIS3_Lb1ELb0EPfN6thrust23THRUST_200600_302600_NS16discard_iteratorINSD_11use_defaultEEENSD_5minusIfEEEE10hipError_tPvRmT2_T3_mT4_P12ihipStream_tbEUlmE_fEESB_NS0_8identityIvEEEESJ_SM_SN_mSO_SQ_bEUlT_E_NS1_11comp_targetILNS1_3genE9ELNS1_11target_archE1100ELNS1_3gpuE3ELNS1_3repE0EEENS1_30default_config_static_selectorELNS0_4arch9wavefront6targetE1EEEvT1_
		.amdhsa_group_segment_fixed_size 0
		.amdhsa_private_segment_fixed_size 0
		.amdhsa_kernarg_size 56
		.amdhsa_user_sgpr_count 6
		.amdhsa_user_sgpr_private_segment_buffer 1
		.amdhsa_user_sgpr_dispatch_ptr 0
		.amdhsa_user_sgpr_queue_ptr 0
		.amdhsa_user_sgpr_kernarg_segment_ptr 1
		.amdhsa_user_sgpr_dispatch_id 0
		.amdhsa_user_sgpr_flat_scratch_init 0
		.amdhsa_user_sgpr_private_segment_size 0
		.amdhsa_uses_dynamic_stack 0
		.amdhsa_system_sgpr_private_segment_wavefront_offset 0
		.amdhsa_system_sgpr_workgroup_id_x 1
		.amdhsa_system_sgpr_workgroup_id_y 0
		.amdhsa_system_sgpr_workgroup_id_z 0
		.amdhsa_system_sgpr_workgroup_info 0
		.amdhsa_system_vgpr_workitem_id 0
		.amdhsa_next_free_vgpr 1
		.amdhsa_next_free_sgpr 0
		.amdhsa_reserve_vcc 0
		.amdhsa_reserve_flat_scratch 0
		.amdhsa_float_round_mode_32 0
		.amdhsa_float_round_mode_16_64 0
		.amdhsa_float_denorm_mode_32 3
		.amdhsa_float_denorm_mode_16_64 3
		.amdhsa_dx10_clamp 1
		.amdhsa_ieee_mode 1
		.amdhsa_fp16_overflow 0
		.amdhsa_exception_fp_ieee_invalid_op 0
		.amdhsa_exception_fp_denorm_src 0
		.amdhsa_exception_fp_ieee_div_zero 0
		.amdhsa_exception_fp_ieee_overflow 0
		.amdhsa_exception_fp_ieee_underflow 0
		.amdhsa_exception_fp_ieee_inexact 0
		.amdhsa_exception_int_div_zero 0
	.end_amdhsa_kernel
	.section	.text._ZN7rocprim17ROCPRIM_400000_NS6detail17trampoline_kernelINS0_14default_configENS1_25transform_config_selectorIfLb0EEEZNS1_14transform_implILb0ES3_S5_NS0_18transform_iteratorINS0_17counting_iteratorImlEEZNS1_24adjacent_difference_implIS3_Lb1ELb0EPfN6thrust23THRUST_200600_302600_NS16discard_iteratorINSD_11use_defaultEEENSD_5minusIfEEEE10hipError_tPvRmT2_T3_mT4_P12ihipStream_tbEUlmE_fEESB_NS0_8identityIvEEEESJ_SM_SN_mSO_SQ_bEUlT_E_NS1_11comp_targetILNS1_3genE9ELNS1_11target_archE1100ELNS1_3gpuE3ELNS1_3repE0EEENS1_30default_config_static_selectorELNS0_4arch9wavefront6targetE1EEEvT1_,"axG",@progbits,_ZN7rocprim17ROCPRIM_400000_NS6detail17trampoline_kernelINS0_14default_configENS1_25transform_config_selectorIfLb0EEEZNS1_14transform_implILb0ES3_S5_NS0_18transform_iteratorINS0_17counting_iteratorImlEEZNS1_24adjacent_difference_implIS3_Lb1ELb0EPfN6thrust23THRUST_200600_302600_NS16discard_iteratorINSD_11use_defaultEEENSD_5minusIfEEEE10hipError_tPvRmT2_T3_mT4_P12ihipStream_tbEUlmE_fEESB_NS0_8identityIvEEEESJ_SM_SN_mSO_SQ_bEUlT_E_NS1_11comp_targetILNS1_3genE9ELNS1_11target_archE1100ELNS1_3gpuE3ELNS1_3repE0EEENS1_30default_config_static_selectorELNS0_4arch9wavefront6targetE1EEEvT1_,comdat
.Lfunc_end797:
	.size	_ZN7rocprim17ROCPRIM_400000_NS6detail17trampoline_kernelINS0_14default_configENS1_25transform_config_selectorIfLb0EEEZNS1_14transform_implILb0ES3_S5_NS0_18transform_iteratorINS0_17counting_iteratorImlEEZNS1_24adjacent_difference_implIS3_Lb1ELb0EPfN6thrust23THRUST_200600_302600_NS16discard_iteratorINSD_11use_defaultEEENSD_5minusIfEEEE10hipError_tPvRmT2_T3_mT4_P12ihipStream_tbEUlmE_fEESB_NS0_8identityIvEEEESJ_SM_SN_mSO_SQ_bEUlT_E_NS1_11comp_targetILNS1_3genE9ELNS1_11target_archE1100ELNS1_3gpuE3ELNS1_3repE0EEENS1_30default_config_static_selectorELNS0_4arch9wavefront6targetE1EEEvT1_, .Lfunc_end797-_ZN7rocprim17ROCPRIM_400000_NS6detail17trampoline_kernelINS0_14default_configENS1_25transform_config_selectorIfLb0EEEZNS1_14transform_implILb0ES3_S5_NS0_18transform_iteratorINS0_17counting_iteratorImlEEZNS1_24adjacent_difference_implIS3_Lb1ELb0EPfN6thrust23THRUST_200600_302600_NS16discard_iteratorINSD_11use_defaultEEENSD_5minusIfEEEE10hipError_tPvRmT2_T3_mT4_P12ihipStream_tbEUlmE_fEESB_NS0_8identityIvEEEESJ_SM_SN_mSO_SQ_bEUlT_E_NS1_11comp_targetILNS1_3genE9ELNS1_11target_archE1100ELNS1_3gpuE3ELNS1_3repE0EEENS1_30default_config_static_selectorELNS0_4arch9wavefront6targetE1EEEvT1_
                                        ; -- End function
	.set _ZN7rocprim17ROCPRIM_400000_NS6detail17trampoline_kernelINS0_14default_configENS1_25transform_config_selectorIfLb0EEEZNS1_14transform_implILb0ES3_S5_NS0_18transform_iteratorINS0_17counting_iteratorImlEEZNS1_24adjacent_difference_implIS3_Lb1ELb0EPfN6thrust23THRUST_200600_302600_NS16discard_iteratorINSD_11use_defaultEEENSD_5minusIfEEEE10hipError_tPvRmT2_T3_mT4_P12ihipStream_tbEUlmE_fEESB_NS0_8identityIvEEEESJ_SM_SN_mSO_SQ_bEUlT_E_NS1_11comp_targetILNS1_3genE9ELNS1_11target_archE1100ELNS1_3gpuE3ELNS1_3repE0EEENS1_30default_config_static_selectorELNS0_4arch9wavefront6targetE1EEEvT1_.num_vgpr, 0
	.set _ZN7rocprim17ROCPRIM_400000_NS6detail17trampoline_kernelINS0_14default_configENS1_25transform_config_selectorIfLb0EEEZNS1_14transform_implILb0ES3_S5_NS0_18transform_iteratorINS0_17counting_iteratorImlEEZNS1_24adjacent_difference_implIS3_Lb1ELb0EPfN6thrust23THRUST_200600_302600_NS16discard_iteratorINSD_11use_defaultEEENSD_5minusIfEEEE10hipError_tPvRmT2_T3_mT4_P12ihipStream_tbEUlmE_fEESB_NS0_8identityIvEEEESJ_SM_SN_mSO_SQ_bEUlT_E_NS1_11comp_targetILNS1_3genE9ELNS1_11target_archE1100ELNS1_3gpuE3ELNS1_3repE0EEENS1_30default_config_static_selectorELNS0_4arch9wavefront6targetE1EEEvT1_.num_agpr, 0
	.set _ZN7rocprim17ROCPRIM_400000_NS6detail17trampoline_kernelINS0_14default_configENS1_25transform_config_selectorIfLb0EEEZNS1_14transform_implILb0ES3_S5_NS0_18transform_iteratorINS0_17counting_iteratorImlEEZNS1_24adjacent_difference_implIS3_Lb1ELb0EPfN6thrust23THRUST_200600_302600_NS16discard_iteratorINSD_11use_defaultEEENSD_5minusIfEEEE10hipError_tPvRmT2_T3_mT4_P12ihipStream_tbEUlmE_fEESB_NS0_8identityIvEEEESJ_SM_SN_mSO_SQ_bEUlT_E_NS1_11comp_targetILNS1_3genE9ELNS1_11target_archE1100ELNS1_3gpuE3ELNS1_3repE0EEENS1_30default_config_static_selectorELNS0_4arch9wavefront6targetE1EEEvT1_.numbered_sgpr, 0
	.set _ZN7rocprim17ROCPRIM_400000_NS6detail17trampoline_kernelINS0_14default_configENS1_25transform_config_selectorIfLb0EEEZNS1_14transform_implILb0ES3_S5_NS0_18transform_iteratorINS0_17counting_iteratorImlEEZNS1_24adjacent_difference_implIS3_Lb1ELb0EPfN6thrust23THRUST_200600_302600_NS16discard_iteratorINSD_11use_defaultEEENSD_5minusIfEEEE10hipError_tPvRmT2_T3_mT4_P12ihipStream_tbEUlmE_fEESB_NS0_8identityIvEEEESJ_SM_SN_mSO_SQ_bEUlT_E_NS1_11comp_targetILNS1_3genE9ELNS1_11target_archE1100ELNS1_3gpuE3ELNS1_3repE0EEENS1_30default_config_static_selectorELNS0_4arch9wavefront6targetE1EEEvT1_.num_named_barrier, 0
	.set _ZN7rocprim17ROCPRIM_400000_NS6detail17trampoline_kernelINS0_14default_configENS1_25transform_config_selectorIfLb0EEEZNS1_14transform_implILb0ES3_S5_NS0_18transform_iteratorINS0_17counting_iteratorImlEEZNS1_24adjacent_difference_implIS3_Lb1ELb0EPfN6thrust23THRUST_200600_302600_NS16discard_iteratorINSD_11use_defaultEEENSD_5minusIfEEEE10hipError_tPvRmT2_T3_mT4_P12ihipStream_tbEUlmE_fEESB_NS0_8identityIvEEEESJ_SM_SN_mSO_SQ_bEUlT_E_NS1_11comp_targetILNS1_3genE9ELNS1_11target_archE1100ELNS1_3gpuE3ELNS1_3repE0EEENS1_30default_config_static_selectorELNS0_4arch9wavefront6targetE1EEEvT1_.private_seg_size, 0
	.set _ZN7rocprim17ROCPRIM_400000_NS6detail17trampoline_kernelINS0_14default_configENS1_25transform_config_selectorIfLb0EEEZNS1_14transform_implILb0ES3_S5_NS0_18transform_iteratorINS0_17counting_iteratorImlEEZNS1_24adjacent_difference_implIS3_Lb1ELb0EPfN6thrust23THRUST_200600_302600_NS16discard_iteratorINSD_11use_defaultEEENSD_5minusIfEEEE10hipError_tPvRmT2_T3_mT4_P12ihipStream_tbEUlmE_fEESB_NS0_8identityIvEEEESJ_SM_SN_mSO_SQ_bEUlT_E_NS1_11comp_targetILNS1_3genE9ELNS1_11target_archE1100ELNS1_3gpuE3ELNS1_3repE0EEENS1_30default_config_static_selectorELNS0_4arch9wavefront6targetE1EEEvT1_.uses_vcc, 0
	.set _ZN7rocprim17ROCPRIM_400000_NS6detail17trampoline_kernelINS0_14default_configENS1_25transform_config_selectorIfLb0EEEZNS1_14transform_implILb0ES3_S5_NS0_18transform_iteratorINS0_17counting_iteratorImlEEZNS1_24adjacent_difference_implIS3_Lb1ELb0EPfN6thrust23THRUST_200600_302600_NS16discard_iteratorINSD_11use_defaultEEENSD_5minusIfEEEE10hipError_tPvRmT2_T3_mT4_P12ihipStream_tbEUlmE_fEESB_NS0_8identityIvEEEESJ_SM_SN_mSO_SQ_bEUlT_E_NS1_11comp_targetILNS1_3genE9ELNS1_11target_archE1100ELNS1_3gpuE3ELNS1_3repE0EEENS1_30default_config_static_selectorELNS0_4arch9wavefront6targetE1EEEvT1_.uses_flat_scratch, 0
	.set _ZN7rocprim17ROCPRIM_400000_NS6detail17trampoline_kernelINS0_14default_configENS1_25transform_config_selectorIfLb0EEEZNS1_14transform_implILb0ES3_S5_NS0_18transform_iteratorINS0_17counting_iteratorImlEEZNS1_24adjacent_difference_implIS3_Lb1ELb0EPfN6thrust23THRUST_200600_302600_NS16discard_iteratorINSD_11use_defaultEEENSD_5minusIfEEEE10hipError_tPvRmT2_T3_mT4_P12ihipStream_tbEUlmE_fEESB_NS0_8identityIvEEEESJ_SM_SN_mSO_SQ_bEUlT_E_NS1_11comp_targetILNS1_3genE9ELNS1_11target_archE1100ELNS1_3gpuE3ELNS1_3repE0EEENS1_30default_config_static_selectorELNS0_4arch9wavefront6targetE1EEEvT1_.has_dyn_sized_stack, 0
	.set _ZN7rocprim17ROCPRIM_400000_NS6detail17trampoline_kernelINS0_14default_configENS1_25transform_config_selectorIfLb0EEEZNS1_14transform_implILb0ES3_S5_NS0_18transform_iteratorINS0_17counting_iteratorImlEEZNS1_24adjacent_difference_implIS3_Lb1ELb0EPfN6thrust23THRUST_200600_302600_NS16discard_iteratorINSD_11use_defaultEEENSD_5minusIfEEEE10hipError_tPvRmT2_T3_mT4_P12ihipStream_tbEUlmE_fEESB_NS0_8identityIvEEEESJ_SM_SN_mSO_SQ_bEUlT_E_NS1_11comp_targetILNS1_3genE9ELNS1_11target_archE1100ELNS1_3gpuE3ELNS1_3repE0EEENS1_30default_config_static_selectorELNS0_4arch9wavefront6targetE1EEEvT1_.has_recursion, 0
	.set _ZN7rocprim17ROCPRIM_400000_NS6detail17trampoline_kernelINS0_14default_configENS1_25transform_config_selectorIfLb0EEEZNS1_14transform_implILb0ES3_S5_NS0_18transform_iteratorINS0_17counting_iteratorImlEEZNS1_24adjacent_difference_implIS3_Lb1ELb0EPfN6thrust23THRUST_200600_302600_NS16discard_iteratorINSD_11use_defaultEEENSD_5minusIfEEEE10hipError_tPvRmT2_T3_mT4_P12ihipStream_tbEUlmE_fEESB_NS0_8identityIvEEEESJ_SM_SN_mSO_SQ_bEUlT_E_NS1_11comp_targetILNS1_3genE9ELNS1_11target_archE1100ELNS1_3gpuE3ELNS1_3repE0EEENS1_30default_config_static_selectorELNS0_4arch9wavefront6targetE1EEEvT1_.has_indirect_call, 0
	.section	.AMDGPU.csdata,"",@progbits
; Kernel info:
; codeLenInByte = 0
; TotalNumSgprs: 4
; NumVgprs: 0
; ScratchSize: 0
; MemoryBound: 0
; FloatMode: 240
; IeeeMode: 1
; LDSByteSize: 0 bytes/workgroup (compile time only)
; SGPRBlocks: 0
; VGPRBlocks: 0
; NumSGPRsForWavesPerEU: 4
; NumVGPRsForWavesPerEU: 1
; Occupancy: 10
; WaveLimiterHint : 0
; COMPUTE_PGM_RSRC2:SCRATCH_EN: 0
; COMPUTE_PGM_RSRC2:USER_SGPR: 6
; COMPUTE_PGM_RSRC2:TRAP_HANDLER: 0
; COMPUTE_PGM_RSRC2:TGID_X_EN: 1
; COMPUTE_PGM_RSRC2:TGID_Y_EN: 0
; COMPUTE_PGM_RSRC2:TGID_Z_EN: 0
; COMPUTE_PGM_RSRC2:TIDIG_COMP_CNT: 0
	.section	.text._ZN7rocprim17ROCPRIM_400000_NS6detail17trampoline_kernelINS0_14default_configENS1_25transform_config_selectorIfLb0EEEZNS1_14transform_implILb0ES3_S5_NS0_18transform_iteratorINS0_17counting_iteratorImlEEZNS1_24adjacent_difference_implIS3_Lb1ELb0EPfN6thrust23THRUST_200600_302600_NS16discard_iteratorINSD_11use_defaultEEENSD_5minusIfEEEE10hipError_tPvRmT2_T3_mT4_P12ihipStream_tbEUlmE_fEESB_NS0_8identityIvEEEESJ_SM_SN_mSO_SQ_bEUlT_E_NS1_11comp_targetILNS1_3genE8ELNS1_11target_archE1030ELNS1_3gpuE2ELNS1_3repE0EEENS1_30default_config_static_selectorELNS0_4arch9wavefront6targetE1EEEvT1_,"axG",@progbits,_ZN7rocprim17ROCPRIM_400000_NS6detail17trampoline_kernelINS0_14default_configENS1_25transform_config_selectorIfLb0EEEZNS1_14transform_implILb0ES3_S5_NS0_18transform_iteratorINS0_17counting_iteratorImlEEZNS1_24adjacent_difference_implIS3_Lb1ELb0EPfN6thrust23THRUST_200600_302600_NS16discard_iteratorINSD_11use_defaultEEENSD_5minusIfEEEE10hipError_tPvRmT2_T3_mT4_P12ihipStream_tbEUlmE_fEESB_NS0_8identityIvEEEESJ_SM_SN_mSO_SQ_bEUlT_E_NS1_11comp_targetILNS1_3genE8ELNS1_11target_archE1030ELNS1_3gpuE2ELNS1_3repE0EEENS1_30default_config_static_selectorELNS0_4arch9wavefront6targetE1EEEvT1_,comdat
	.protected	_ZN7rocprim17ROCPRIM_400000_NS6detail17trampoline_kernelINS0_14default_configENS1_25transform_config_selectorIfLb0EEEZNS1_14transform_implILb0ES3_S5_NS0_18transform_iteratorINS0_17counting_iteratorImlEEZNS1_24adjacent_difference_implIS3_Lb1ELb0EPfN6thrust23THRUST_200600_302600_NS16discard_iteratorINSD_11use_defaultEEENSD_5minusIfEEEE10hipError_tPvRmT2_T3_mT4_P12ihipStream_tbEUlmE_fEESB_NS0_8identityIvEEEESJ_SM_SN_mSO_SQ_bEUlT_E_NS1_11comp_targetILNS1_3genE8ELNS1_11target_archE1030ELNS1_3gpuE2ELNS1_3repE0EEENS1_30default_config_static_selectorELNS0_4arch9wavefront6targetE1EEEvT1_ ; -- Begin function _ZN7rocprim17ROCPRIM_400000_NS6detail17trampoline_kernelINS0_14default_configENS1_25transform_config_selectorIfLb0EEEZNS1_14transform_implILb0ES3_S5_NS0_18transform_iteratorINS0_17counting_iteratorImlEEZNS1_24adjacent_difference_implIS3_Lb1ELb0EPfN6thrust23THRUST_200600_302600_NS16discard_iteratorINSD_11use_defaultEEENSD_5minusIfEEEE10hipError_tPvRmT2_T3_mT4_P12ihipStream_tbEUlmE_fEESB_NS0_8identityIvEEEESJ_SM_SN_mSO_SQ_bEUlT_E_NS1_11comp_targetILNS1_3genE8ELNS1_11target_archE1030ELNS1_3gpuE2ELNS1_3repE0EEENS1_30default_config_static_selectorELNS0_4arch9wavefront6targetE1EEEvT1_
	.globl	_ZN7rocprim17ROCPRIM_400000_NS6detail17trampoline_kernelINS0_14default_configENS1_25transform_config_selectorIfLb0EEEZNS1_14transform_implILb0ES3_S5_NS0_18transform_iteratorINS0_17counting_iteratorImlEEZNS1_24adjacent_difference_implIS3_Lb1ELb0EPfN6thrust23THRUST_200600_302600_NS16discard_iteratorINSD_11use_defaultEEENSD_5minusIfEEEE10hipError_tPvRmT2_T3_mT4_P12ihipStream_tbEUlmE_fEESB_NS0_8identityIvEEEESJ_SM_SN_mSO_SQ_bEUlT_E_NS1_11comp_targetILNS1_3genE8ELNS1_11target_archE1030ELNS1_3gpuE2ELNS1_3repE0EEENS1_30default_config_static_selectorELNS0_4arch9wavefront6targetE1EEEvT1_
	.p2align	8
	.type	_ZN7rocprim17ROCPRIM_400000_NS6detail17trampoline_kernelINS0_14default_configENS1_25transform_config_selectorIfLb0EEEZNS1_14transform_implILb0ES3_S5_NS0_18transform_iteratorINS0_17counting_iteratorImlEEZNS1_24adjacent_difference_implIS3_Lb1ELb0EPfN6thrust23THRUST_200600_302600_NS16discard_iteratorINSD_11use_defaultEEENSD_5minusIfEEEE10hipError_tPvRmT2_T3_mT4_P12ihipStream_tbEUlmE_fEESB_NS0_8identityIvEEEESJ_SM_SN_mSO_SQ_bEUlT_E_NS1_11comp_targetILNS1_3genE8ELNS1_11target_archE1030ELNS1_3gpuE2ELNS1_3repE0EEENS1_30default_config_static_selectorELNS0_4arch9wavefront6targetE1EEEvT1_,@function
_ZN7rocprim17ROCPRIM_400000_NS6detail17trampoline_kernelINS0_14default_configENS1_25transform_config_selectorIfLb0EEEZNS1_14transform_implILb0ES3_S5_NS0_18transform_iteratorINS0_17counting_iteratorImlEEZNS1_24adjacent_difference_implIS3_Lb1ELb0EPfN6thrust23THRUST_200600_302600_NS16discard_iteratorINSD_11use_defaultEEENSD_5minusIfEEEE10hipError_tPvRmT2_T3_mT4_P12ihipStream_tbEUlmE_fEESB_NS0_8identityIvEEEESJ_SM_SN_mSO_SQ_bEUlT_E_NS1_11comp_targetILNS1_3genE8ELNS1_11target_archE1030ELNS1_3gpuE2ELNS1_3repE0EEENS1_30default_config_static_selectorELNS0_4arch9wavefront6targetE1EEEvT1_: ; @_ZN7rocprim17ROCPRIM_400000_NS6detail17trampoline_kernelINS0_14default_configENS1_25transform_config_selectorIfLb0EEEZNS1_14transform_implILb0ES3_S5_NS0_18transform_iteratorINS0_17counting_iteratorImlEEZNS1_24adjacent_difference_implIS3_Lb1ELb0EPfN6thrust23THRUST_200600_302600_NS16discard_iteratorINSD_11use_defaultEEENSD_5minusIfEEEE10hipError_tPvRmT2_T3_mT4_P12ihipStream_tbEUlmE_fEESB_NS0_8identityIvEEEESJ_SM_SN_mSO_SQ_bEUlT_E_NS1_11comp_targetILNS1_3genE8ELNS1_11target_archE1030ELNS1_3gpuE2ELNS1_3repE0EEENS1_30default_config_static_selectorELNS0_4arch9wavefront6targetE1EEEvT1_
; %bb.0:
	.section	.rodata,"a",@progbits
	.p2align	6, 0x0
	.amdhsa_kernel _ZN7rocprim17ROCPRIM_400000_NS6detail17trampoline_kernelINS0_14default_configENS1_25transform_config_selectorIfLb0EEEZNS1_14transform_implILb0ES3_S5_NS0_18transform_iteratorINS0_17counting_iteratorImlEEZNS1_24adjacent_difference_implIS3_Lb1ELb0EPfN6thrust23THRUST_200600_302600_NS16discard_iteratorINSD_11use_defaultEEENSD_5minusIfEEEE10hipError_tPvRmT2_T3_mT4_P12ihipStream_tbEUlmE_fEESB_NS0_8identityIvEEEESJ_SM_SN_mSO_SQ_bEUlT_E_NS1_11comp_targetILNS1_3genE8ELNS1_11target_archE1030ELNS1_3gpuE2ELNS1_3repE0EEENS1_30default_config_static_selectorELNS0_4arch9wavefront6targetE1EEEvT1_
		.amdhsa_group_segment_fixed_size 0
		.amdhsa_private_segment_fixed_size 0
		.amdhsa_kernarg_size 56
		.amdhsa_user_sgpr_count 6
		.amdhsa_user_sgpr_private_segment_buffer 1
		.amdhsa_user_sgpr_dispatch_ptr 0
		.amdhsa_user_sgpr_queue_ptr 0
		.amdhsa_user_sgpr_kernarg_segment_ptr 1
		.amdhsa_user_sgpr_dispatch_id 0
		.amdhsa_user_sgpr_flat_scratch_init 0
		.amdhsa_user_sgpr_private_segment_size 0
		.amdhsa_uses_dynamic_stack 0
		.amdhsa_system_sgpr_private_segment_wavefront_offset 0
		.amdhsa_system_sgpr_workgroup_id_x 1
		.amdhsa_system_sgpr_workgroup_id_y 0
		.amdhsa_system_sgpr_workgroup_id_z 0
		.amdhsa_system_sgpr_workgroup_info 0
		.amdhsa_system_vgpr_workitem_id 0
		.amdhsa_next_free_vgpr 1
		.amdhsa_next_free_sgpr 0
		.amdhsa_reserve_vcc 0
		.amdhsa_reserve_flat_scratch 0
		.amdhsa_float_round_mode_32 0
		.amdhsa_float_round_mode_16_64 0
		.amdhsa_float_denorm_mode_32 3
		.amdhsa_float_denorm_mode_16_64 3
		.amdhsa_dx10_clamp 1
		.amdhsa_ieee_mode 1
		.amdhsa_fp16_overflow 0
		.amdhsa_exception_fp_ieee_invalid_op 0
		.amdhsa_exception_fp_denorm_src 0
		.amdhsa_exception_fp_ieee_div_zero 0
		.amdhsa_exception_fp_ieee_overflow 0
		.amdhsa_exception_fp_ieee_underflow 0
		.amdhsa_exception_fp_ieee_inexact 0
		.amdhsa_exception_int_div_zero 0
	.end_amdhsa_kernel
	.section	.text._ZN7rocprim17ROCPRIM_400000_NS6detail17trampoline_kernelINS0_14default_configENS1_25transform_config_selectorIfLb0EEEZNS1_14transform_implILb0ES3_S5_NS0_18transform_iteratorINS0_17counting_iteratorImlEEZNS1_24adjacent_difference_implIS3_Lb1ELb0EPfN6thrust23THRUST_200600_302600_NS16discard_iteratorINSD_11use_defaultEEENSD_5minusIfEEEE10hipError_tPvRmT2_T3_mT4_P12ihipStream_tbEUlmE_fEESB_NS0_8identityIvEEEESJ_SM_SN_mSO_SQ_bEUlT_E_NS1_11comp_targetILNS1_3genE8ELNS1_11target_archE1030ELNS1_3gpuE2ELNS1_3repE0EEENS1_30default_config_static_selectorELNS0_4arch9wavefront6targetE1EEEvT1_,"axG",@progbits,_ZN7rocprim17ROCPRIM_400000_NS6detail17trampoline_kernelINS0_14default_configENS1_25transform_config_selectorIfLb0EEEZNS1_14transform_implILb0ES3_S5_NS0_18transform_iteratorINS0_17counting_iteratorImlEEZNS1_24adjacent_difference_implIS3_Lb1ELb0EPfN6thrust23THRUST_200600_302600_NS16discard_iteratorINSD_11use_defaultEEENSD_5minusIfEEEE10hipError_tPvRmT2_T3_mT4_P12ihipStream_tbEUlmE_fEESB_NS0_8identityIvEEEESJ_SM_SN_mSO_SQ_bEUlT_E_NS1_11comp_targetILNS1_3genE8ELNS1_11target_archE1030ELNS1_3gpuE2ELNS1_3repE0EEENS1_30default_config_static_selectorELNS0_4arch9wavefront6targetE1EEEvT1_,comdat
.Lfunc_end798:
	.size	_ZN7rocprim17ROCPRIM_400000_NS6detail17trampoline_kernelINS0_14default_configENS1_25transform_config_selectorIfLb0EEEZNS1_14transform_implILb0ES3_S5_NS0_18transform_iteratorINS0_17counting_iteratorImlEEZNS1_24adjacent_difference_implIS3_Lb1ELb0EPfN6thrust23THRUST_200600_302600_NS16discard_iteratorINSD_11use_defaultEEENSD_5minusIfEEEE10hipError_tPvRmT2_T3_mT4_P12ihipStream_tbEUlmE_fEESB_NS0_8identityIvEEEESJ_SM_SN_mSO_SQ_bEUlT_E_NS1_11comp_targetILNS1_3genE8ELNS1_11target_archE1030ELNS1_3gpuE2ELNS1_3repE0EEENS1_30default_config_static_selectorELNS0_4arch9wavefront6targetE1EEEvT1_, .Lfunc_end798-_ZN7rocprim17ROCPRIM_400000_NS6detail17trampoline_kernelINS0_14default_configENS1_25transform_config_selectorIfLb0EEEZNS1_14transform_implILb0ES3_S5_NS0_18transform_iteratorINS0_17counting_iteratorImlEEZNS1_24adjacent_difference_implIS3_Lb1ELb0EPfN6thrust23THRUST_200600_302600_NS16discard_iteratorINSD_11use_defaultEEENSD_5minusIfEEEE10hipError_tPvRmT2_T3_mT4_P12ihipStream_tbEUlmE_fEESB_NS0_8identityIvEEEESJ_SM_SN_mSO_SQ_bEUlT_E_NS1_11comp_targetILNS1_3genE8ELNS1_11target_archE1030ELNS1_3gpuE2ELNS1_3repE0EEENS1_30default_config_static_selectorELNS0_4arch9wavefront6targetE1EEEvT1_
                                        ; -- End function
	.set _ZN7rocprim17ROCPRIM_400000_NS6detail17trampoline_kernelINS0_14default_configENS1_25transform_config_selectorIfLb0EEEZNS1_14transform_implILb0ES3_S5_NS0_18transform_iteratorINS0_17counting_iteratorImlEEZNS1_24adjacent_difference_implIS3_Lb1ELb0EPfN6thrust23THRUST_200600_302600_NS16discard_iteratorINSD_11use_defaultEEENSD_5minusIfEEEE10hipError_tPvRmT2_T3_mT4_P12ihipStream_tbEUlmE_fEESB_NS0_8identityIvEEEESJ_SM_SN_mSO_SQ_bEUlT_E_NS1_11comp_targetILNS1_3genE8ELNS1_11target_archE1030ELNS1_3gpuE2ELNS1_3repE0EEENS1_30default_config_static_selectorELNS0_4arch9wavefront6targetE1EEEvT1_.num_vgpr, 0
	.set _ZN7rocprim17ROCPRIM_400000_NS6detail17trampoline_kernelINS0_14default_configENS1_25transform_config_selectorIfLb0EEEZNS1_14transform_implILb0ES3_S5_NS0_18transform_iteratorINS0_17counting_iteratorImlEEZNS1_24adjacent_difference_implIS3_Lb1ELb0EPfN6thrust23THRUST_200600_302600_NS16discard_iteratorINSD_11use_defaultEEENSD_5minusIfEEEE10hipError_tPvRmT2_T3_mT4_P12ihipStream_tbEUlmE_fEESB_NS0_8identityIvEEEESJ_SM_SN_mSO_SQ_bEUlT_E_NS1_11comp_targetILNS1_3genE8ELNS1_11target_archE1030ELNS1_3gpuE2ELNS1_3repE0EEENS1_30default_config_static_selectorELNS0_4arch9wavefront6targetE1EEEvT1_.num_agpr, 0
	.set _ZN7rocprim17ROCPRIM_400000_NS6detail17trampoline_kernelINS0_14default_configENS1_25transform_config_selectorIfLb0EEEZNS1_14transform_implILb0ES3_S5_NS0_18transform_iteratorINS0_17counting_iteratorImlEEZNS1_24adjacent_difference_implIS3_Lb1ELb0EPfN6thrust23THRUST_200600_302600_NS16discard_iteratorINSD_11use_defaultEEENSD_5minusIfEEEE10hipError_tPvRmT2_T3_mT4_P12ihipStream_tbEUlmE_fEESB_NS0_8identityIvEEEESJ_SM_SN_mSO_SQ_bEUlT_E_NS1_11comp_targetILNS1_3genE8ELNS1_11target_archE1030ELNS1_3gpuE2ELNS1_3repE0EEENS1_30default_config_static_selectorELNS0_4arch9wavefront6targetE1EEEvT1_.numbered_sgpr, 0
	.set _ZN7rocprim17ROCPRIM_400000_NS6detail17trampoline_kernelINS0_14default_configENS1_25transform_config_selectorIfLb0EEEZNS1_14transform_implILb0ES3_S5_NS0_18transform_iteratorINS0_17counting_iteratorImlEEZNS1_24adjacent_difference_implIS3_Lb1ELb0EPfN6thrust23THRUST_200600_302600_NS16discard_iteratorINSD_11use_defaultEEENSD_5minusIfEEEE10hipError_tPvRmT2_T3_mT4_P12ihipStream_tbEUlmE_fEESB_NS0_8identityIvEEEESJ_SM_SN_mSO_SQ_bEUlT_E_NS1_11comp_targetILNS1_3genE8ELNS1_11target_archE1030ELNS1_3gpuE2ELNS1_3repE0EEENS1_30default_config_static_selectorELNS0_4arch9wavefront6targetE1EEEvT1_.num_named_barrier, 0
	.set _ZN7rocprim17ROCPRIM_400000_NS6detail17trampoline_kernelINS0_14default_configENS1_25transform_config_selectorIfLb0EEEZNS1_14transform_implILb0ES3_S5_NS0_18transform_iteratorINS0_17counting_iteratorImlEEZNS1_24adjacent_difference_implIS3_Lb1ELb0EPfN6thrust23THRUST_200600_302600_NS16discard_iteratorINSD_11use_defaultEEENSD_5minusIfEEEE10hipError_tPvRmT2_T3_mT4_P12ihipStream_tbEUlmE_fEESB_NS0_8identityIvEEEESJ_SM_SN_mSO_SQ_bEUlT_E_NS1_11comp_targetILNS1_3genE8ELNS1_11target_archE1030ELNS1_3gpuE2ELNS1_3repE0EEENS1_30default_config_static_selectorELNS0_4arch9wavefront6targetE1EEEvT1_.private_seg_size, 0
	.set _ZN7rocprim17ROCPRIM_400000_NS6detail17trampoline_kernelINS0_14default_configENS1_25transform_config_selectorIfLb0EEEZNS1_14transform_implILb0ES3_S5_NS0_18transform_iteratorINS0_17counting_iteratorImlEEZNS1_24adjacent_difference_implIS3_Lb1ELb0EPfN6thrust23THRUST_200600_302600_NS16discard_iteratorINSD_11use_defaultEEENSD_5minusIfEEEE10hipError_tPvRmT2_T3_mT4_P12ihipStream_tbEUlmE_fEESB_NS0_8identityIvEEEESJ_SM_SN_mSO_SQ_bEUlT_E_NS1_11comp_targetILNS1_3genE8ELNS1_11target_archE1030ELNS1_3gpuE2ELNS1_3repE0EEENS1_30default_config_static_selectorELNS0_4arch9wavefront6targetE1EEEvT1_.uses_vcc, 0
	.set _ZN7rocprim17ROCPRIM_400000_NS6detail17trampoline_kernelINS0_14default_configENS1_25transform_config_selectorIfLb0EEEZNS1_14transform_implILb0ES3_S5_NS0_18transform_iteratorINS0_17counting_iteratorImlEEZNS1_24adjacent_difference_implIS3_Lb1ELb0EPfN6thrust23THRUST_200600_302600_NS16discard_iteratorINSD_11use_defaultEEENSD_5minusIfEEEE10hipError_tPvRmT2_T3_mT4_P12ihipStream_tbEUlmE_fEESB_NS0_8identityIvEEEESJ_SM_SN_mSO_SQ_bEUlT_E_NS1_11comp_targetILNS1_3genE8ELNS1_11target_archE1030ELNS1_3gpuE2ELNS1_3repE0EEENS1_30default_config_static_selectorELNS0_4arch9wavefront6targetE1EEEvT1_.uses_flat_scratch, 0
	.set _ZN7rocprim17ROCPRIM_400000_NS6detail17trampoline_kernelINS0_14default_configENS1_25transform_config_selectorIfLb0EEEZNS1_14transform_implILb0ES3_S5_NS0_18transform_iteratorINS0_17counting_iteratorImlEEZNS1_24adjacent_difference_implIS3_Lb1ELb0EPfN6thrust23THRUST_200600_302600_NS16discard_iteratorINSD_11use_defaultEEENSD_5minusIfEEEE10hipError_tPvRmT2_T3_mT4_P12ihipStream_tbEUlmE_fEESB_NS0_8identityIvEEEESJ_SM_SN_mSO_SQ_bEUlT_E_NS1_11comp_targetILNS1_3genE8ELNS1_11target_archE1030ELNS1_3gpuE2ELNS1_3repE0EEENS1_30default_config_static_selectorELNS0_4arch9wavefront6targetE1EEEvT1_.has_dyn_sized_stack, 0
	.set _ZN7rocprim17ROCPRIM_400000_NS6detail17trampoline_kernelINS0_14default_configENS1_25transform_config_selectorIfLb0EEEZNS1_14transform_implILb0ES3_S5_NS0_18transform_iteratorINS0_17counting_iteratorImlEEZNS1_24adjacent_difference_implIS3_Lb1ELb0EPfN6thrust23THRUST_200600_302600_NS16discard_iteratorINSD_11use_defaultEEENSD_5minusIfEEEE10hipError_tPvRmT2_T3_mT4_P12ihipStream_tbEUlmE_fEESB_NS0_8identityIvEEEESJ_SM_SN_mSO_SQ_bEUlT_E_NS1_11comp_targetILNS1_3genE8ELNS1_11target_archE1030ELNS1_3gpuE2ELNS1_3repE0EEENS1_30default_config_static_selectorELNS0_4arch9wavefront6targetE1EEEvT1_.has_recursion, 0
	.set _ZN7rocprim17ROCPRIM_400000_NS6detail17trampoline_kernelINS0_14default_configENS1_25transform_config_selectorIfLb0EEEZNS1_14transform_implILb0ES3_S5_NS0_18transform_iteratorINS0_17counting_iteratorImlEEZNS1_24adjacent_difference_implIS3_Lb1ELb0EPfN6thrust23THRUST_200600_302600_NS16discard_iteratorINSD_11use_defaultEEENSD_5minusIfEEEE10hipError_tPvRmT2_T3_mT4_P12ihipStream_tbEUlmE_fEESB_NS0_8identityIvEEEESJ_SM_SN_mSO_SQ_bEUlT_E_NS1_11comp_targetILNS1_3genE8ELNS1_11target_archE1030ELNS1_3gpuE2ELNS1_3repE0EEENS1_30default_config_static_selectorELNS0_4arch9wavefront6targetE1EEEvT1_.has_indirect_call, 0
	.section	.AMDGPU.csdata,"",@progbits
; Kernel info:
; codeLenInByte = 0
; TotalNumSgprs: 4
; NumVgprs: 0
; ScratchSize: 0
; MemoryBound: 0
; FloatMode: 240
; IeeeMode: 1
; LDSByteSize: 0 bytes/workgroup (compile time only)
; SGPRBlocks: 0
; VGPRBlocks: 0
; NumSGPRsForWavesPerEU: 4
; NumVGPRsForWavesPerEU: 1
; Occupancy: 10
; WaveLimiterHint : 0
; COMPUTE_PGM_RSRC2:SCRATCH_EN: 0
; COMPUTE_PGM_RSRC2:USER_SGPR: 6
; COMPUTE_PGM_RSRC2:TRAP_HANDLER: 0
; COMPUTE_PGM_RSRC2:TGID_X_EN: 1
; COMPUTE_PGM_RSRC2:TGID_Y_EN: 0
; COMPUTE_PGM_RSRC2:TGID_Z_EN: 0
; COMPUTE_PGM_RSRC2:TIDIG_COMP_CNT: 0
	.section	.text._ZN7rocprim17ROCPRIM_400000_NS6detail17trampoline_kernelINS0_14default_configENS1_35adjacent_difference_config_selectorILb1EfEEZNS1_24adjacent_difference_implIS3_Lb1ELb0EPfN6thrust23THRUST_200600_302600_NS16discard_iteratorINS9_11use_defaultEEENS9_5minusIfEEEE10hipError_tPvRmT2_T3_mT4_P12ihipStream_tbEUlT_E_NS1_11comp_targetILNS1_3genE0ELNS1_11target_archE4294967295ELNS1_3gpuE0ELNS1_3repE0EEENS1_30default_config_static_selectorELNS0_4arch9wavefront6targetE1EEEvT1_,"axG",@progbits,_ZN7rocprim17ROCPRIM_400000_NS6detail17trampoline_kernelINS0_14default_configENS1_35adjacent_difference_config_selectorILb1EfEEZNS1_24adjacent_difference_implIS3_Lb1ELb0EPfN6thrust23THRUST_200600_302600_NS16discard_iteratorINS9_11use_defaultEEENS9_5minusIfEEEE10hipError_tPvRmT2_T3_mT4_P12ihipStream_tbEUlT_E_NS1_11comp_targetILNS1_3genE0ELNS1_11target_archE4294967295ELNS1_3gpuE0ELNS1_3repE0EEENS1_30default_config_static_selectorELNS0_4arch9wavefront6targetE1EEEvT1_,comdat
	.protected	_ZN7rocprim17ROCPRIM_400000_NS6detail17trampoline_kernelINS0_14default_configENS1_35adjacent_difference_config_selectorILb1EfEEZNS1_24adjacent_difference_implIS3_Lb1ELb0EPfN6thrust23THRUST_200600_302600_NS16discard_iteratorINS9_11use_defaultEEENS9_5minusIfEEEE10hipError_tPvRmT2_T3_mT4_P12ihipStream_tbEUlT_E_NS1_11comp_targetILNS1_3genE0ELNS1_11target_archE4294967295ELNS1_3gpuE0ELNS1_3repE0EEENS1_30default_config_static_selectorELNS0_4arch9wavefront6targetE1EEEvT1_ ; -- Begin function _ZN7rocprim17ROCPRIM_400000_NS6detail17trampoline_kernelINS0_14default_configENS1_35adjacent_difference_config_selectorILb1EfEEZNS1_24adjacent_difference_implIS3_Lb1ELb0EPfN6thrust23THRUST_200600_302600_NS16discard_iteratorINS9_11use_defaultEEENS9_5minusIfEEEE10hipError_tPvRmT2_T3_mT4_P12ihipStream_tbEUlT_E_NS1_11comp_targetILNS1_3genE0ELNS1_11target_archE4294967295ELNS1_3gpuE0ELNS1_3repE0EEENS1_30default_config_static_selectorELNS0_4arch9wavefront6targetE1EEEvT1_
	.globl	_ZN7rocprim17ROCPRIM_400000_NS6detail17trampoline_kernelINS0_14default_configENS1_35adjacent_difference_config_selectorILb1EfEEZNS1_24adjacent_difference_implIS3_Lb1ELb0EPfN6thrust23THRUST_200600_302600_NS16discard_iteratorINS9_11use_defaultEEENS9_5minusIfEEEE10hipError_tPvRmT2_T3_mT4_P12ihipStream_tbEUlT_E_NS1_11comp_targetILNS1_3genE0ELNS1_11target_archE4294967295ELNS1_3gpuE0ELNS1_3repE0EEENS1_30default_config_static_selectorELNS0_4arch9wavefront6targetE1EEEvT1_
	.p2align	8
	.type	_ZN7rocprim17ROCPRIM_400000_NS6detail17trampoline_kernelINS0_14default_configENS1_35adjacent_difference_config_selectorILb1EfEEZNS1_24adjacent_difference_implIS3_Lb1ELb0EPfN6thrust23THRUST_200600_302600_NS16discard_iteratorINS9_11use_defaultEEENS9_5minusIfEEEE10hipError_tPvRmT2_T3_mT4_P12ihipStream_tbEUlT_E_NS1_11comp_targetILNS1_3genE0ELNS1_11target_archE4294967295ELNS1_3gpuE0ELNS1_3repE0EEENS1_30default_config_static_selectorELNS0_4arch9wavefront6targetE1EEEvT1_,@function
_ZN7rocprim17ROCPRIM_400000_NS6detail17trampoline_kernelINS0_14default_configENS1_35adjacent_difference_config_selectorILb1EfEEZNS1_24adjacent_difference_implIS3_Lb1ELb0EPfN6thrust23THRUST_200600_302600_NS16discard_iteratorINS9_11use_defaultEEENS9_5minusIfEEEE10hipError_tPvRmT2_T3_mT4_P12ihipStream_tbEUlT_E_NS1_11comp_targetILNS1_3genE0ELNS1_11target_archE4294967295ELNS1_3gpuE0ELNS1_3repE0EEENS1_30default_config_static_selectorELNS0_4arch9wavefront6targetE1EEEvT1_: ; @_ZN7rocprim17ROCPRIM_400000_NS6detail17trampoline_kernelINS0_14default_configENS1_35adjacent_difference_config_selectorILb1EfEEZNS1_24adjacent_difference_implIS3_Lb1ELb0EPfN6thrust23THRUST_200600_302600_NS16discard_iteratorINS9_11use_defaultEEENS9_5minusIfEEEE10hipError_tPvRmT2_T3_mT4_P12ihipStream_tbEUlT_E_NS1_11comp_targetILNS1_3genE0ELNS1_11target_archE4294967295ELNS1_3gpuE0ELNS1_3repE0EEENS1_30default_config_static_selectorELNS0_4arch9wavefront6targetE1EEEvT1_
; %bb.0:
	.section	.rodata,"a",@progbits
	.p2align	6, 0x0
	.amdhsa_kernel _ZN7rocprim17ROCPRIM_400000_NS6detail17trampoline_kernelINS0_14default_configENS1_35adjacent_difference_config_selectorILb1EfEEZNS1_24adjacent_difference_implIS3_Lb1ELb0EPfN6thrust23THRUST_200600_302600_NS16discard_iteratorINS9_11use_defaultEEENS9_5minusIfEEEE10hipError_tPvRmT2_T3_mT4_P12ihipStream_tbEUlT_E_NS1_11comp_targetILNS1_3genE0ELNS1_11target_archE4294967295ELNS1_3gpuE0ELNS1_3repE0EEENS1_30default_config_static_selectorELNS0_4arch9wavefront6targetE1EEEvT1_
		.amdhsa_group_segment_fixed_size 0
		.amdhsa_private_segment_fixed_size 0
		.amdhsa_kernarg_size 64
		.amdhsa_user_sgpr_count 6
		.amdhsa_user_sgpr_private_segment_buffer 1
		.amdhsa_user_sgpr_dispatch_ptr 0
		.amdhsa_user_sgpr_queue_ptr 0
		.amdhsa_user_sgpr_kernarg_segment_ptr 1
		.amdhsa_user_sgpr_dispatch_id 0
		.amdhsa_user_sgpr_flat_scratch_init 0
		.amdhsa_user_sgpr_private_segment_size 0
		.amdhsa_uses_dynamic_stack 0
		.amdhsa_system_sgpr_private_segment_wavefront_offset 0
		.amdhsa_system_sgpr_workgroup_id_x 1
		.amdhsa_system_sgpr_workgroup_id_y 0
		.amdhsa_system_sgpr_workgroup_id_z 0
		.amdhsa_system_sgpr_workgroup_info 0
		.amdhsa_system_vgpr_workitem_id 0
		.amdhsa_next_free_vgpr 1
		.amdhsa_next_free_sgpr 0
		.amdhsa_reserve_vcc 0
		.amdhsa_reserve_flat_scratch 0
		.amdhsa_float_round_mode_32 0
		.amdhsa_float_round_mode_16_64 0
		.amdhsa_float_denorm_mode_32 3
		.amdhsa_float_denorm_mode_16_64 3
		.amdhsa_dx10_clamp 1
		.amdhsa_ieee_mode 1
		.amdhsa_fp16_overflow 0
		.amdhsa_exception_fp_ieee_invalid_op 0
		.amdhsa_exception_fp_denorm_src 0
		.amdhsa_exception_fp_ieee_div_zero 0
		.amdhsa_exception_fp_ieee_overflow 0
		.amdhsa_exception_fp_ieee_underflow 0
		.amdhsa_exception_fp_ieee_inexact 0
		.amdhsa_exception_int_div_zero 0
	.end_amdhsa_kernel
	.section	.text._ZN7rocprim17ROCPRIM_400000_NS6detail17trampoline_kernelINS0_14default_configENS1_35adjacent_difference_config_selectorILb1EfEEZNS1_24adjacent_difference_implIS3_Lb1ELb0EPfN6thrust23THRUST_200600_302600_NS16discard_iteratorINS9_11use_defaultEEENS9_5minusIfEEEE10hipError_tPvRmT2_T3_mT4_P12ihipStream_tbEUlT_E_NS1_11comp_targetILNS1_3genE0ELNS1_11target_archE4294967295ELNS1_3gpuE0ELNS1_3repE0EEENS1_30default_config_static_selectorELNS0_4arch9wavefront6targetE1EEEvT1_,"axG",@progbits,_ZN7rocprim17ROCPRIM_400000_NS6detail17trampoline_kernelINS0_14default_configENS1_35adjacent_difference_config_selectorILb1EfEEZNS1_24adjacent_difference_implIS3_Lb1ELb0EPfN6thrust23THRUST_200600_302600_NS16discard_iteratorINS9_11use_defaultEEENS9_5minusIfEEEE10hipError_tPvRmT2_T3_mT4_P12ihipStream_tbEUlT_E_NS1_11comp_targetILNS1_3genE0ELNS1_11target_archE4294967295ELNS1_3gpuE0ELNS1_3repE0EEENS1_30default_config_static_selectorELNS0_4arch9wavefront6targetE1EEEvT1_,comdat
.Lfunc_end799:
	.size	_ZN7rocprim17ROCPRIM_400000_NS6detail17trampoline_kernelINS0_14default_configENS1_35adjacent_difference_config_selectorILb1EfEEZNS1_24adjacent_difference_implIS3_Lb1ELb0EPfN6thrust23THRUST_200600_302600_NS16discard_iteratorINS9_11use_defaultEEENS9_5minusIfEEEE10hipError_tPvRmT2_T3_mT4_P12ihipStream_tbEUlT_E_NS1_11comp_targetILNS1_3genE0ELNS1_11target_archE4294967295ELNS1_3gpuE0ELNS1_3repE0EEENS1_30default_config_static_selectorELNS0_4arch9wavefront6targetE1EEEvT1_, .Lfunc_end799-_ZN7rocprim17ROCPRIM_400000_NS6detail17trampoline_kernelINS0_14default_configENS1_35adjacent_difference_config_selectorILb1EfEEZNS1_24adjacent_difference_implIS3_Lb1ELb0EPfN6thrust23THRUST_200600_302600_NS16discard_iteratorINS9_11use_defaultEEENS9_5minusIfEEEE10hipError_tPvRmT2_T3_mT4_P12ihipStream_tbEUlT_E_NS1_11comp_targetILNS1_3genE0ELNS1_11target_archE4294967295ELNS1_3gpuE0ELNS1_3repE0EEENS1_30default_config_static_selectorELNS0_4arch9wavefront6targetE1EEEvT1_
                                        ; -- End function
	.set _ZN7rocprim17ROCPRIM_400000_NS6detail17trampoline_kernelINS0_14default_configENS1_35adjacent_difference_config_selectorILb1EfEEZNS1_24adjacent_difference_implIS3_Lb1ELb0EPfN6thrust23THRUST_200600_302600_NS16discard_iteratorINS9_11use_defaultEEENS9_5minusIfEEEE10hipError_tPvRmT2_T3_mT4_P12ihipStream_tbEUlT_E_NS1_11comp_targetILNS1_3genE0ELNS1_11target_archE4294967295ELNS1_3gpuE0ELNS1_3repE0EEENS1_30default_config_static_selectorELNS0_4arch9wavefront6targetE1EEEvT1_.num_vgpr, 0
	.set _ZN7rocprim17ROCPRIM_400000_NS6detail17trampoline_kernelINS0_14default_configENS1_35adjacent_difference_config_selectorILb1EfEEZNS1_24adjacent_difference_implIS3_Lb1ELb0EPfN6thrust23THRUST_200600_302600_NS16discard_iteratorINS9_11use_defaultEEENS9_5minusIfEEEE10hipError_tPvRmT2_T3_mT4_P12ihipStream_tbEUlT_E_NS1_11comp_targetILNS1_3genE0ELNS1_11target_archE4294967295ELNS1_3gpuE0ELNS1_3repE0EEENS1_30default_config_static_selectorELNS0_4arch9wavefront6targetE1EEEvT1_.num_agpr, 0
	.set _ZN7rocprim17ROCPRIM_400000_NS6detail17trampoline_kernelINS0_14default_configENS1_35adjacent_difference_config_selectorILb1EfEEZNS1_24adjacent_difference_implIS3_Lb1ELb0EPfN6thrust23THRUST_200600_302600_NS16discard_iteratorINS9_11use_defaultEEENS9_5minusIfEEEE10hipError_tPvRmT2_T3_mT4_P12ihipStream_tbEUlT_E_NS1_11comp_targetILNS1_3genE0ELNS1_11target_archE4294967295ELNS1_3gpuE0ELNS1_3repE0EEENS1_30default_config_static_selectorELNS0_4arch9wavefront6targetE1EEEvT1_.numbered_sgpr, 0
	.set _ZN7rocprim17ROCPRIM_400000_NS6detail17trampoline_kernelINS0_14default_configENS1_35adjacent_difference_config_selectorILb1EfEEZNS1_24adjacent_difference_implIS3_Lb1ELb0EPfN6thrust23THRUST_200600_302600_NS16discard_iteratorINS9_11use_defaultEEENS9_5minusIfEEEE10hipError_tPvRmT2_T3_mT4_P12ihipStream_tbEUlT_E_NS1_11comp_targetILNS1_3genE0ELNS1_11target_archE4294967295ELNS1_3gpuE0ELNS1_3repE0EEENS1_30default_config_static_selectorELNS0_4arch9wavefront6targetE1EEEvT1_.num_named_barrier, 0
	.set _ZN7rocprim17ROCPRIM_400000_NS6detail17trampoline_kernelINS0_14default_configENS1_35adjacent_difference_config_selectorILb1EfEEZNS1_24adjacent_difference_implIS3_Lb1ELb0EPfN6thrust23THRUST_200600_302600_NS16discard_iteratorINS9_11use_defaultEEENS9_5minusIfEEEE10hipError_tPvRmT2_T3_mT4_P12ihipStream_tbEUlT_E_NS1_11comp_targetILNS1_3genE0ELNS1_11target_archE4294967295ELNS1_3gpuE0ELNS1_3repE0EEENS1_30default_config_static_selectorELNS0_4arch9wavefront6targetE1EEEvT1_.private_seg_size, 0
	.set _ZN7rocprim17ROCPRIM_400000_NS6detail17trampoline_kernelINS0_14default_configENS1_35adjacent_difference_config_selectorILb1EfEEZNS1_24adjacent_difference_implIS3_Lb1ELb0EPfN6thrust23THRUST_200600_302600_NS16discard_iteratorINS9_11use_defaultEEENS9_5minusIfEEEE10hipError_tPvRmT2_T3_mT4_P12ihipStream_tbEUlT_E_NS1_11comp_targetILNS1_3genE0ELNS1_11target_archE4294967295ELNS1_3gpuE0ELNS1_3repE0EEENS1_30default_config_static_selectorELNS0_4arch9wavefront6targetE1EEEvT1_.uses_vcc, 0
	.set _ZN7rocprim17ROCPRIM_400000_NS6detail17trampoline_kernelINS0_14default_configENS1_35adjacent_difference_config_selectorILb1EfEEZNS1_24adjacent_difference_implIS3_Lb1ELb0EPfN6thrust23THRUST_200600_302600_NS16discard_iteratorINS9_11use_defaultEEENS9_5minusIfEEEE10hipError_tPvRmT2_T3_mT4_P12ihipStream_tbEUlT_E_NS1_11comp_targetILNS1_3genE0ELNS1_11target_archE4294967295ELNS1_3gpuE0ELNS1_3repE0EEENS1_30default_config_static_selectorELNS0_4arch9wavefront6targetE1EEEvT1_.uses_flat_scratch, 0
	.set _ZN7rocprim17ROCPRIM_400000_NS6detail17trampoline_kernelINS0_14default_configENS1_35adjacent_difference_config_selectorILb1EfEEZNS1_24adjacent_difference_implIS3_Lb1ELb0EPfN6thrust23THRUST_200600_302600_NS16discard_iteratorINS9_11use_defaultEEENS9_5minusIfEEEE10hipError_tPvRmT2_T3_mT4_P12ihipStream_tbEUlT_E_NS1_11comp_targetILNS1_3genE0ELNS1_11target_archE4294967295ELNS1_3gpuE0ELNS1_3repE0EEENS1_30default_config_static_selectorELNS0_4arch9wavefront6targetE1EEEvT1_.has_dyn_sized_stack, 0
	.set _ZN7rocprim17ROCPRIM_400000_NS6detail17trampoline_kernelINS0_14default_configENS1_35adjacent_difference_config_selectorILb1EfEEZNS1_24adjacent_difference_implIS3_Lb1ELb0EPfN6thrust23THRUST_200600_302600_NS16discard_iteratorINS9_11use_defaultEEENS9_5minusIfEEEE10hipError_tPvRmT2_T3_mT4_P12ihipStream_tbEUlT_E_NS1_11comp_targetILNS1_3genE0ELNS1_11target_archE4294967295ELNS1_3gpuE0ELNS1_3repE0EEENS1_30default_config_static_selectorELNS0_4arch9wavefront6targetE1EEEvT1_.has_recursion, 0
	.set _ZN7rocprim17ROCPRIM_400000_NS6detail17trampoline_kernelINS0_14default_configENS1_35adjacent_difference_config_selectorILb1EfEEZNS1_24adjacent_difference_implIS3_Lb1ELb0EPfN6thrust23THRUST_200600_302600_NS16discard_iteratorINS9_11use_defaultEEENS9_5minusIfEEEE10hipError_tPvRmT2_T3_mT4_P12ihipStream_tbEUlT_E_NS1_11comp_targetILNS1_3genE0ELNS1_11target_archE4294967295ELNS1_3gpuE0ELNS1_3repE0EEENS1_30default_config_static_selectorELNS0_4arch9wavefront6targetE1EEEvT1_.has_indirect_call, 0
	.section	.AMDGPU.csdata,"",@progbits
; Kernel info:
; codeLenInByte = 0
; TotalNumSgprs: 4
; NumVgprs: 0
; ScratchSize: 0
; MemoryBound: 0
; FloatMode: 240
; IeeeMode: 1
; LDSByteSize: 0 bytes/workgroup (compile time only)
; SGPRBlocks: 0
; VGPRBlocks: 0
; NumSGPRsForWavesPerEU: 4
; NumVGPRsForWavesPerEU: 1
; Occupancy: 10
; WaveLimiterHint : 0
; COMPUTE_PGM_RSRC2:SCRATCH_EN: 0
; COMPUTE_PGM_RSRC2:USER_SGPR: 6
; COMPUTE_PGM_RSRC2:TRAP_HANDLER: 0
; COMPUTE_PGM_RSRC2:TGID_X_EN: 1
; COMPUTE_PGM_RSRC2:TGID_Y_EN: 0
; COMPUTE_PGM_RSRC2:TGID_Z_EN: 0
; COMPUTE_PGM_RSRC2:TIDIG_COMP_CNT: 0
	.section	.text._ZN7rocprim17ROCPRIM_400000_NS6detail17trampoline_kernelINS0_14default_configENS1_35adjacent_difference_config_selectorILb1EfEEZNS1_24adjacent_difference_implIS3_Lb1ELb0EPfN6thrust23THRUST_200600_302600_NS16discard_iteratorINS9_11use_defaultEEENS9_5minusIfEEEE10hipError_tPvRmT2_T3_mT4_P12ihipStream_tbEUlT_E_NS1_11comp_targetILNS1_3genE10ELNS1_11target_archE1201ELNS1_3gpuE5ELNS1_3repE0EEENS1_30default_config_static_selectorELNS0_4arch9wavefront6targetE1EEEvT1_,"axG",@progbits,_ZN7rocprim17ROCPRIM_400000_NS6detail17trampoline_kernelINS0_14default_configENS1_35adjacent_difference_config_selectorILb1EfEEZNS1_24adjacent_difference_implIS3_Lb1ELb0EPfN6thrust23THRUST_200600_302600_NS16discard_iteratorINS9_11use_defaultEEENS9_5minusIfEEEE10hipError_tPvRmT2_T3_mT4_P12ihipStream_tbEUlT_E_NS1_11comp_targetILNS1_3genE10ELNS1_11target_archE1201ELNS1_3gpuE5ELNS1_3repE0EEENS1_30default_config_static_selectorELNS0_4arch9wavefront6targetE1EEEvT1_,comdat
	.protected	_ZN7rocprim17ROCPRIM_400000_NS6detail17trampoline_kernelINS0_14default_configENS1_35adjacent_difference_config_selectorILb1EfEEZNS1_24adjacent_difference_implIS3_Lb1ELb0EPfN6thrust23THRUST_200600_302600_NS16discard_iteratorINS9_11use_defaultEEENS9_5minusIfEEEE10hipError_tPvRmT2_T3_mT4_P12ihipStream_tbEUlT_E_NS1_11comp_targetILNS1_3genE10ELNS1_11target_archE1201ELNS1_3gpuE5ELNS1_3repE0EEENS1_30default_config_static_selectorELNS0_4arch9wavefront6targetE1EEEvT1_ ; -- Begin function _ZN7rocprim17ROCPRIM_400000_NS6detail17trampoline_kernelINS0_14default_configENS1_35adjacent_difference_config_selectorILb1EfEEZNS1_24adjacent_difference_implIS3_Lb1ELb0EPfN6thrust23THRUST_200600_302600_NS16discard_iteratorINS9_11use_defaultEEENS9_5minusIfEEEE10hipError_tPvRmT2_T3_mT4_P12ihipStream_tbEUlT_E_NS1_11comp_targetILNS1_3genE10ELNS1_11target_archE1201ELNS1_3gpuE5ELNS1_3repE0EEENS1_30default_config_static_selectorELNS0_4arch9wavefront6targetE1EEEvT1_
	.globl	_ZN7rocprim17ROCPRIM_400000_NS6detail17trampoline_kernelINS0_14default_configENS1_35adjacent_difference_config_selectorILb1EfEEZNS1_24adjacent_difference_implIS3_Lb1ELb0EPfN6thrust23THRUST_200600_302600_NS16discard_iteratorINS9_11use_defaultEEENS9_5minusIfEEEE10hipError_tPvRmT2_T3_mT4_P12ihipStream_tbEUlT_E_NS1_11comp_targetILNS1_3genE10ELNS1_11target_archE1201ELNS1_3gpuE5ELNS1_3repE0EEENS1_30default_config_static_selectorELNS0_4arch9wavefront6targetE1EEEvT1_
	.p2align	8
	.type	_ZN7rocprim17ROCPRIM_400000_NS6detail17trampoline_kernelINS0_14default_configENS1_35adjacent_difference_config_selectorILb1EfEEZNS1_24adjacent_difference_implIS3_Lb1ELb0EPfN6thrust23THRUST_200600_302600_NS16discard_iteratorINS9_11use_defaultEEENS9_5minusIfEEEE10hipError_tPvRmT2_T3_mT4_P12ihipStream_tbEUlT_E_NS1_11comp_targetILNS1_3genE10ELNS1_11target_archE1201ELNS1_3gpuE5ELNS1_3repE0EEENS1_30default_config_static_selectorELNS0_4arch9wavefront6targetE1EEEvT1_,@function
_ZN7rocprim17ROCPRIM_400000_NS6detail17trampoline_kernelINS0_14default_configENS1_35adjacent_difference_config_selectorILb1EfEEZNS1_24adjacent_difference_implIS3_Lb1ELb0EPfN6thrust23THRUST_200600_302600_NS16discard_iteratorINS9_11use_defaultEEENS9_5minusIfEEEE10hipError_tPvRmT2_T3_mT4_P12ihipStream_tbEUlT_E_NS1_11comp_targetILNS1_3genE10ELNS1_11target_archE1201ELNS1_3gpuE5ELNS1_3repE0EEENS1_30default_config_static_selectorELNS0_4arch9wavefront6targetE1EEEvT1_: ; @_ZN7rocprim17ROCPRIM_400000_NS6detail17trampoline_kernelINS0_14default_configENS1_35adjacent_difference_config_selectorILb1EfEEZNS1_24adjacent_difference_implIS3_Lb1ELb0EPfN6thrust23THRUST_200600_302600_NS16discard_iteratorINS9_11use_defaultEEENS9_5minusIfEEEE10hipError_tPvRmT2_T3_mT4_P12ihipStream_tbEUlT_E_NS1_11comp_targetILNS1_3genE10ELNS1_11target_archE1201ELNS1_3gpuE5ELNS1_3repE0EEENS1_30default_config_static_selectorELNS0_4arch9wavefront6targetE1EEEvT1_
; %bb.0:
	.section	.rodata,"a",@progbits
	.p2align	6, 0x0
	.amdhsa_kernel _ZN7rocprim17ROCPRIM_400000_NS6detail17trampoline_kernelINS0_14default_configENS1_35adjacent_difference_config_selectorILb1EfEEZNS1_24adjacent_difference_implIS3_Lb1ELb0EPfN6thrust23THRUST_200600_302600_NS16discard_iteratorINS9_11use_defaultEEENS9_5minusIfEEEE10hipError_tPvRmT2_T3_mT4_P12ihipStream_tbEUlT_E_NS1_11comp_targetILNS1_3genE10ELNS1_11target_archE1201ELNS1_3gpuE5ELNS1_3repE0EEENS1_30default_config_static_selectorELNS0_4arch9wavefront6targetE1EEEvT1_
		.amdhsa_group_segment_fixed_size 0
		.amdhsa_private_segment_fixed_size 0
		.amdhsa_kernarg_size 64
		.amdhsa_user_sgpr_count 6
		.amdhsa_user_sgpr_private_segment_buffer 1
		.amdhsa_user_sgpr_dispatch_ptr 0
		.amdhsa_user_sgpr_queue_ptr 0
		.amdhsa_user_sgpr_kernarg_segment_ptr 1
		.amdhsa_user_sgpr_dispatch_id 0
		.amdhsa_user_sgpr_flat_scratch_init 0
		.amdhsa_user_sgpr_private_segment_size 0
		.amdhsa_uses_dynamic_stack 0
		.amdhsa_system_sgpr_private_segment_wavefront_offset 0
		.amdhsa_system_sgpr_workgroup_id_x 1
		.amdhsa_system_sgpr_workgroup_id_y 0
		.amdhsa_system_sgpr_workgroup_id_z 0
		.amdhsa_system_sgpr_workgroup_info 0
		.amdhsa_system_vgpr_workitem_id 0
		.amdhsa_next_free_vgpr 1
		.amdhsa_next_free_sgpr 0
		.amdhsa_reserve_vcc 0
		.amdhsa_reserve_flat_scratch 0
		.amdhsa_float_round_mode_32 0
		.amdhsa_float_round_mode_16_64 0
		.amdhsa_float_denorm_mode_32 3
		.amdhsa_float_denorm_mode_16_64 3
		.amdhsa_dx10_clamp 1
		.amdhsa_ieee_mode 1
		.amdhsa_fp16_overflow 0
		.amdhsa_exception_fp_ieee_invalid_op 0
		.amdhsa_exception_fp_denorm_src 0
		.amdhsa_exception_fp_ieee_div_zero 0
		.amdhsa_exception_fp_ieee_overflow 0
		.amdhsa_exception_fp_ieee_underflow 0
		.amdhsa_exception_fp_ieee_inexact 0
		.amdhsa_exception_int_div_zero 0
	.end_amdhsa_kernel
	.section	.text._ZN7rocprim17ROCPRIM_400000_NS6detail17trampoline_kernelINS0_14default_configENS1_35adjacent_difference_config_selectorILb1EfEEZNS1_24adjacent_difference_implIS3_Lb1ELb0EPfN6thrust23THRUST_200600_302600_NS16discard_iteratorINS9_11use_defaultEEENS9_5minusIfEEEE10hipError_tPvRmT2_T3_mT4_P12ihipStream_tbEUlT_E_NS1_11comp_targetILNS1_3genE10ELNS1_11target_archE1201ELNS1_3gpuE5ELNS1_3repE0EEENS1_30default_config_static_selectorELNS0_4arch9wavefront6targetE1EEEvT1_,"axG",@progbits,_ZN7rocprim17ROCPRIM_400000_NS6detail17trampoline_kernelINS0_14default_configENS1_35adjacent_difference_config_selectorILb1EfEEZNS1_24adjacent_difference_implIS3_Lb1ELb0EPfN6thrust23THRUST_200600_302600_NS16discard_iteratorINS9_11use_defaultEEENS9_5minusIfEEEE10hipError_tPvRmT2_T3_mT4_P12ihipStream_tbEUlT_E_NS1_11comp_targetILNS1_3genE10ELNS1_11target_archE1201ELNS1_3gpuE5ELNS1_3repE0EEENS1_30default_config_static_selectorELNS0_4arch9wavefront6targetE1EEEvT1_,comdat
.Lfunc_end800:
	.size	_ZN7rocprim17ROCPRIM_400000_NS6detail17trampoline_kernelINS0_14default_configENS1_35adjacent_difference_config_selectorILb1EfEEZNS1_24adjacent_difference_implIS3_Lb1ELb0EPfN6thrust23THRUST_200600_302600_NS16discard_iteratorINS9_11use_defaultEEENS9_5minusIfEEEE10hipError_tPvRmT2_T3_mT4_P12ihipStream_tbEUlT_E_NS1_11comp_targetILNS1_3genE10ELNS1_11target_archE1201ELNS1_3gpuE5ELNS1_3repE0EEENS1_30default_config_static_selectorELNS0_4arch9wavefront6targetE1EEEvT1_, .Lfunc_end800-_ZN7rocprim17ROCPRIM_400000_NS6detail17trampoline_kernelINS0_14default_configENS1_35adjacent_difference_config_selectorILb1EfEEZNS1_24adjacent_difference_implIS3_Lb1ELb0EPfN6thrust23THRUST_200600_302600_NS16discard_iteratorINS9_11use_defaultEEENS9_5minusIfEEEE10hipError_tPvRmT2_T3_mT4_P12ihipStream_tbEUlT_E_NS1_11comp_targetILNS1_3genE10ELNS1_11target_archE1201ELNS1_3gpuE5ELNS1_3repE0EEENS1_30default_config_static_selectorELNS0_4arch9wavefront6targetE1EEEvT1_
                                        ; -- End function
	.set _ZN7rocprim17ROCPRIM_400000_NS6detail17trampoline_kernelINS0_14default_configENS1_35adjacent_difference_config_selectorILb1EfEEZNS1_24adjacent_difference_implIS3_Lb1ELb0EPfN6thrust23THRUST_200600_302600_NS16discard_iteratorINS9_11use_defaultEEENS9_5minusIfEEEE10hipError_tPvRmT2_T3_mT4_P12ihipStream_tbEUlT_E_NS1_11comp_targetILNS1_3genE10ELNS1_11target_archE1201ELNS1_3gpuE5ELNS1_3repE0EEENS1_30default_config_static_selectorELNS0_4arch9wavefront6targetE1EEEvT1_.num_vgpr, 0
	.set _ZN7rocprim17ROCPRIM_400000_NS6detail17trampoline_kernelINS0_14default_configENS1_35adjacent_difference_config_selectorILb1EfEEZNS1_24adjacent_difference_implIS3_Lb1ELb0EPfN6thrust23THRUST_200600_302600_NS16discard_iteratorINS9_11use_defaultEEENS9_5minusIfEEEE10hipError_tPvRmT2_T3_mT4_P12ihipStream_tbEUlT_E_NS1_11comp_targetILNS1_3genE10ELNS1_11target_archE1201ELNS1_3gpuE5ELNS1_3repE0EEENS1_30default_config_static_selectorELNS0_4arch9wavefront6targetE1EEEvT1_.num_agpr, 0
	.set _ZN7rocprim17ROCPRIM_400000_NS6detail17trampoline_kernelINS0_14default_configENS1_35adjacent_difference_config_selectorILb1EfEEZNS1_24adjacent_difference_implIS3_Lb1ELb0EPfN6thrust23THRUST_200600_302600_NS16discard_iteratorINS9_11use_defaultEEENS9_5minusIfEEEE10hipError_tPvRmT2_T3_mT4_P12ihipStream_tbEUlT_E_NS1_11comp_targetILNS1_3genE10ELNS1_11target_archE1201ELNS1_3gpuE5ELNS1_3repE0EEENS1_30default_config_static_selectorELNS0_4arch9wavefront6targetE1EEEvT1_.numbered_sgpr, 0
	.set _ZN7rocprim17ROCPRIM_400000_NS6detail17trampoline_kernelINS0_14default_configENS1_35adjacent_difference_config_selectorILb1EfEEZNS1_24adjacent_difference_implIS3_Lb1ELb0EPfN6thrust23THRUST_200600_302600_NS16discard_iteratorINS9_11use_defaultEEENS9_5minusIfEEEE10hipError_tPvRmT2_T3_mT4_P12ihipStream_tbEUlT_E_NS1_11comp_targetILNS1_3genE10ELNS1_11target_archE1201ELNS1_3gpuE5ELNS1_3repE0EEENS1_30default_config_static_selectorELNS0_4arch9wavefront6targetE1EEEvT1_.num_named_barrier, 0
	.set _ZN7rocprim17ROCPRIM_400000_NS6detail17trampoline_kernelINS0_14default_configENS1_35adjacent_difference_config_selectorILb1EfEEZNS1_24adjacent_difference_implIS3_Lb1ELb0EPfN6thrust23THRUST_200600_302600_NS16discard_iteratorINS9_11use_defaultEEENS9_5minusIfEEEE10hipError_tPvRmT2_T3_mT4_P12ihipStream_tbEUlT_E_NS1_11comp_targetILNS1_3genE10ELNS1_11target_archE1201ELNS1_3gpuE5ELNS1_3repE0EEENS1_30default_config_static_selectorELNS0_4arch9wavefront6targetE1EEEvT1_.private_seg_size, 0
	.set _ZN7rocprim17ROCPRIM_400000_NS6detail17trampoline_kernelINS0_14default_configENS1_35adjacent_difference_config_selectorILb1EfEEZNS1_24adjacent_difference_implIS3_Lb1ELb0EPfN6thrust23THRUST_200600_302600_NS16discard_iteratorINS9_11use_defaultEEENS9_5minusIfEEEE10hipError_tPvRmT2_T3_mT4_P12ihipStream_tbEUlT_E_NS1_11comp_targetILNS1_3genE10ELNS1_11target_archE1201ELNS1_3gpuE5ELNS1_3repE0EEENS1_30default_config_static_selectorELNS0_4arch9wavefront6targetE1EEEvT1_.uses_vcc, 0
	.set _ZN7rocprim17ROCPRIM_400000_NS6detail17trampoline_kernelINS0_14default_configENS1_35adjacent_difference_config_selectorILb1EfEEZNS1_24adjacent_difference_implIS3_Lb1ELb0EPfN6thrust23THRUST_200600_302600_NS16discard_iteratorINS9_11use_defaultEEENS9_5minusIfEEEE10hipError_tPvRmT2_T3_mT4_P12ihipStream_tbEUlT_E_NS1_11comp_targetILNS1_3genE10ELNS1_11target_archE1201ELNS1_3gpuE5ELNS1_3repE0EEENS1_30default_config_static_selectorELNS0_4arch9wavefront6targetE1EEEvT1_.uses_flat_scratch, 0
	.set _ZN7rocprim17ROCPRIM_400000_NS6detail17trampoline_kernelINS0_14default_configENS1_35adjacent_difference_config_selectorILb1EfEEZNS1_24adjacent_difference_implIS3_Lb1ELb0EPfN6thrust23THRUST_200600_302600_NS16discard_iteratorINS9_11use_defaultEEENS9_5minusIfEEEE10hipError_tPvRmT2_T3_mT4_P12ihipStream_tbEUlT_E_NS1_11comp_targetILNS1_3genE10ELNS1_11target_archE1201ELNS1_3gpuE5ELNS1_3repE0EEENS1_30default_config_static_selectorELNS0_4arch9wavefront6targetE1EEEvT1_.has_dyn_sized_stack, 0
	.set _ZN7rocprim17ROCPRIM_400000_NS6detail17trampoline_kernelINS0_14default_configENS1_35adjacent_difference_config_selectorILb1EfEEZNS1_24adjacent_difference_implIS3_Lb1ELb0EPfN6thrust23THRUST_200600_302600_NS16discard_iteratorINS9_11use_defaultEEENS9_5minusIfEEEE10hipError_tPvRmT2_T3_mT4_P12ihipStream_tbEUlT_E_NS1_11comp_targetILNS1_3genE10ELNS1_11target_archE1201ELNS1_3gpuE5ELNS1_3repE0EEENS1_30default_config_static_selectorELNS0_4arch9wavefront6targetE1EEEvT1_.has_recursion, 0
	.set _ZN7rocprim17ROCPRIM_400000_NS6detail17trampoline_kernelINS0_14default_configENS1_35adjacent_difference_config_selectorILb1EfEEZNS1_24adjacent_difference_implIS3_Lb1ELb0EPfN6thrust23THRUST_200600_302600_NS16discard_iteratorINS9_11use_defaultEEENS9_5minusIfEEEE10hipError_tPvRmT2_T3_mT4_P12ihipStream_tbEUlT_E_NS1_11comp_targetILNS1_3genE10ELNS1_11target_archE1201ELNS1_3gpuE5ELNS1_3repE0EEENS1_30default_config_static_selectorELNS0_4arch9wavefront6targetE1EEEvT1_.has_indirect_call, 0
	.section	.AMDGPU.csdata,"",@progbits
; Kernel info:
; codeLenInByte = 0
; TotalNumSgprs: 4
; NumVgprs: 0
; ScratchSize: 0
; MemoryBound: 0
; FloatMode: 240
; IeeeMode: 1
; LDSByteSize: 0 bytes/workgroup (compile time only)
; SGPRBlocks: 0
; VGPRBlocks: 0
; NumSGPRsForWavesPerEU: 4
; NumVGPRsForWavesPerEU: 1
; Occupancy: 10
; WaveLimiterHint : 0
; COMPUTE_PGM_RSRC2:SCRATCH_EN: 0
; COMPUTE_PGM_RSRC2:USER_SGPR: 6
; COMPUTE_PGM_RSRC2:TRAP_HANDLER: 0
; COMPUTE_PGM_RSRC2:TGID_X_EN: 1
; COMPUTE_PGM_RSRC2:TGID_Y_EN: 0
; COMPUTE_PGM_RSRC2:TGID_Z_EN: 0
; COMPUTE_PGM_RSRC2:TIDIG_COMP_CNT: 0
	.section	.text._ZN7rocprim17ROCPRIM_400000_NS6detail17trampoline_kernelINS0_14default_configENS1_35adjacent_difference_config_selectorILb1EfEEZNS1_24adjacent_difference_implIS3_Lb1ELb0EPfN6thrust23THRUST_200600_302600_NS16discard_iteratorINS9_11use_defaultEEENS9_5minusIfEEEE10hipError_tPvRmT2_T3_mT4_P12ihipStream_tbEUlT_E_NS1_11comp_targetILNS1_3genE5ELNS1_11target_archE942ELNS1_3gpuE9ELNS1_3repE0EEENS1_30default_config_static_selectorELNS0_4arch9wavefront6targetE1EEEvT1_,"axG",@progbits,_ZN7rocprim17ROCPRIM_400000_NS6detail17trampoline_kernelINS0_14default_configENS1_35adjacent_difference_config_selectorILb1EfEEZNS1_24adjacent_difference_implIS3_Lb1ELb0EPfN6thrust23THRUST_200600_302600_NS16discard_iteratorINS9_11use_defaultEEENS9_5minusIfEEEE10hipError_tPvRmT2_T3_mT4_P12ihipStream_tbEUlT_E_NS1_11comp_targetILNS1_3genE5ELNS1_11target_archE942ELNS1_3gpuE9ELNS1_3repE0EEENS1_30default_config_static_selectorELNS0_4arch9wavefront6targetE1EEEvT1_,comdat
	.protected	_ZN7rocprim17ROCPRIM_400000_NS6detail17trampoline_kernelINS0_14default_configENS1_35adjacent_difference_config_selectorILb1EfEEZNS1_24adjacent_difference_implIS3_Lb1ELb0EPfN6thrust23THRUST_200600_302600_NS16discard_iteratorINS9_11use_defaultEEENS9_5minusIfEEEE10hipError_tPvRmT2_T3_mT4_P12ihipStream_tbEUlT_E_NS1_11comp_targetILNS1_3genE5ELNS1_11target_archE942ELNS1_3gpuE9ELNS1_3repE0EEENS1_30default_config_static_selectorELNS0_4arch9wavefront6targetE1EEEvT1_ ; -- Begin function _ZN7rocprim17ROCPRIM_400000_NS6detail17trampoline_kernelINS0_14default_configENS1_35adjacent_difference_config_selectorILb1EfEEZNS1_24adjacent_difference_implIS3_Lb1ELb0EPfN6thrust23THRUST_200600_302600_NS16discard_iteratorINS9_11use_defaultEEENS9_5minusIfEEEE10hipError_tPvRmT2_T3_mT4_P12ihipStream_tbEUlT_E_NS1_11comp_targetILNS1_3genE5ELNS1_11target_archE942ELNS1_3gpuE9ELNS1_3repE0EEENS1_30default_config_static_selectorELNS0_4arch9wavefront6targetE1EEEvT1_
	.globl	_ZN7rocprim17ROCPRIM_400000_NS6detail17trampoline_kernelINS0_14default_configENS1_35adjacent_difference_config_selectorILb1EfEEZNS1_24adjacent_difference_implIS3_Lb1ELb0EPfN6thrust23THRUST_200600_302600_NS16discard_iteratorINS9_11use_defaultEEENS9_5minusIfEEEE10hipError_tPvRmT2_T3_mT4_P12ihipStream_tbEUlT_E_NS1_11comp_targetILNS1_3genE5ELNS1_11target_archE942ELNS1_3gpuE9ELNS1_3repE0EEENS1_30default_config_static_selectorELNS0_4arch9wavefront6targetE1EEEvT1_
	.p2align	8
	.type	_ZN7rocprim17ROCPRIM_400000_NS6detail17trampoline_kernelINS0_14default_configENS1_35adjacent_difference_config_selectorILb1EfEEZNS1_24adjacent_difference_implIS3_Lb1ELb0EPfN6thrust23THRUST_200600_302600_NS16discard_iteratorINS9_11use_defaultEEENS9_5minusIfEEEE10hipError_tPvRmT2_T3_mT4_P12ihipStream_tbEUlT_E_NS1_11comp_targetILNS1_3genE5ELNS1_11target_archE942ELNS1_3gpuE9ELNS1_3repE0EEENS1_30default_config_static_selectorELNS0_4arch9wavefront6targetE1EEEvT1_,@function
_ZN7rocprim17ROCPRIM_400000_NS6detail17trampoline_kernelINS0_14default_configENS1_35adjacent_difference_config_selectorILb1EfEEZNS1_24adjacent_difference_implIS3_Lb1ELb0EPfN6thrust23THRUST_200600_302600_NS16discard_iteratorINS9_11use_defaultEEENS9_5minusIfEEEE10hipError_tPvRmT2_T3_mT4_P12ihipStream_tbEUlT_E_NS1_11comp_targetILNS1_3genE5ELNS1_11target_archE942ELNS1_3gpuE9ELNS1_3repE0EEENS1_30default_config_static_selectorELNS0_4arch9wavefront6targetE1EEEvT1_: ; @_ZN7rocprim17ROCPRIM_400000_NS6detail17trampoline_kernelINS0_14default_configENS1_35adjacent_difference_config_selectorILb1EfEEZNS1_24adjacent_difference_implIS3_Lb1ELb0EPfN6thrust23THRUST_200600_302600_NS16discard_iteratorINS9_11use_defaultEEENS9_5minusIfEEEE10hipError_tPvRmT2_T3_mT4_P12ihipStream_tbEUlT_E_NS1_11comp_targetILNS1_3genE5ELNS1_11target_archE942ELNS1_3gpuE9ELNS1_3repE0EEENS1_30default_config_static_selectorELNS0_4arch9wavefront6targetE1EEEvT1_
; %bb.0:
	.section	.rodata,"a",@progbits
	.p2align	6, 0x0
	.amdhsa_kernel _ZN7rocprim17ROCPRIM_400000_NS6detail17trampoline_kernelINS0_14default_configENS1_35adjacent_difference_config_selectorILb1EfEEZNS1_24adjacent_difference_implIS3_Lb1ELb0EPfN6thrust23THRUST_200600_302600_NS16discard_iteratorINS9_11use_defaultEEENS9_5minusIfEEEE10hipError_tPvRmT2_T3_mT4_P12ihipStream_tbEUlT_E_NS1_11comp_targetILNS1_3genE5ELNS1_11target_archE942ELNS1_3gpuE9ELNS1_3repE0EEENS1_30default_config_static_selectorELNS0_4arch9wavefront6targetE1EEEvT1_
		.amdhsa_group_segment_fixed_size 0
		.amdhsa_private_segment_fixed_size 0
		.amdhsa_kernarg_size 64
		.amdhsa_user_sgpr_count 6
		.amdhsa_user_sgpr_private_segment_buffer 1
		.amdhsa_user_sgpr_dispatch_ptr 0
		.amdhsa_user_sgpr_queue_ptr 0
		.amdhsa_user_sgpr_kernarg_segment_ptr 1
		.amdhsa_user_sgpr_dispatch_id 0
		.amdhsa_user_sgpr_flat_scratch_init 0
		.amdhsa_user_sgpr_private_segment_size 0
		.amdhsa_uses_dynamic_stack 0
		.amdhsa_system_sgpr_private_segment_wavefront_offset 0
		.amdhsa_system_sgpr_workgroup_id_x 1
		.amdhsa_system_sgpr_workgroup_id_y 0
		.amdhsa_system_sgpr_workgroup_id_z 0
		.amdhsa_system_sgpr_workgroup_info 0
		.amdhsa_system_vgpr_workitem_id 0
		.amdhsa_next_free_vgpr 1
		.amdhsa_next_free_sgpr 0
		.amdhsa_reserve_vcc 0
		.amdhsa_reserve_flat_scratch 0
		.amdhsa_float_round_mode_32 0
		.amdhsa_float_round_mode_16_64 0
		.amdhsa_float_denorm_mode_32 3
		.amdhsa_float_denorm_mode_16_64 3
		.amdhsa_dx10_clamp 1
		.amdhsa_ieee_mode 1
		.amdhsa_fp16_overflow 0
		.amdhsa_exception_fp_ieee_invalid_op 0
		.amdhsa_exception_fp_denorm_src 0
		.amdhsa_exception_fp_ieee_div_zero 0
		.amdhsa_exception_fp_ieee_overflow 0
		.amdhsa_exception_fp_ieee_underflow 0
		.amdhsa_exception_fp_ieee_inexact 0
		.amdhsa_exception_int_div_zero 0
	.end_amdhsa_kernel
	.section	.text._ZN7rocprim17ROCPRIM_400000_NS6detail17trampoline_kernelINS0_14default_configENS1_35adjacent_difference_config_selectorILb1EfEEZNS1_24adjacent_difference_implIS3_Lb1ELb0EPfN6thrust23THRUST_200600_302600_NS16discard_iteratorINS9_11use_defaultEEENS9_5minusIfEEEE10hipError_tPvRmT2_T3_mT4_P12ihipStream_tbEUlT_E_NS1_11comp_targetILNS1_3genE5ELNS1_11target_archE942ELNS1_3gpuE9ELNS1_3repE0EEENS1_30default_config_static_selectorELNS0_4arch9wavefront6targetE1EEEvT1_,"axG",@progbits,_ZN7rocprim17ROCPRIM_400000_NS6detail17trampoline_kernelINS0_14default_configENS1_35adjacent_difference_config_selectorILb1EfEEZNS1_24adjacent_difference_implIS3_Lb1ELb0EPfN6thrust23THRUST_200600_302600_NS16discard_iteratorINS9_11use_defaultEEENS9_5minusIfEEEE10hipError_tPvRmT2_T3_mT4_P12ihipStream_tbEUlT_E_NS1_11comp_targetILNS1_3genE5ELNS1_11target_archE942ELNS1_3gpuE9ELNS1_3repE0EEENS1_30default_config_static_selectorELNS0_4arch9wavefront6targetE1EEEvT1_,comdat
.Lfunc_end801:
	.size	_ZN7rocprim17ROCPRIM_400000_NS6detail17trampoline_kernelINS0_14default_configENS1_35adjacent_difference_config_selectorILb1EfEEZNS1_24adjacent_difference_implIS3_Lb1ELb0EPfN6thrust23THRUST_200600_302600_NS16discard_iteratorINS9_11use_defaultEEENS9_5minusIfEEEE10hipError_tPvRmT2_T3_mT4_P12ihipStream_tbEUlT_E_NS1_11comp_targetILNS1_3genE5ELNS1_11target_archE942ELNS1_3gpuE9ELNS1_3repE0EEENS1_30default_config_static_selectorELNS0_4arch9wavefront6targetE1EEEvT1_, .Lfunc_end801-_ZN7rocprim17ROCPRIM_400000_NS6detail17trampoline_kernelINS0_14default_configENS1_35adjacent_difference_config_selectorILb1EfEEZNS1_24adjacent_difference_implIS3_Lb1ELb0EPfN6thrust23THRUST_200600_302600_NS16discard_iteratorINS9_11use_defaultEEENS9_5minusIfEEEE10hipError_tPvRmT2_T3_mT4_P12ihipStream_tbEUlT_E_NS1_11comp_targetILNS1_3genE5ELNS1_11target_archE942ELNS1_3gpuE9ELNS1_3repE0EEENS1_30default_config_static_selectorELNS0_4arch9wavefront6targetE1EEEvT1_
                                        ; -- End function
	.set _ZN7rocprim17ROCPRIM_400000_NS6detail17trampoline_kernelINS0_14default_configENS1_35adjacent_difference_config_selectorILb1EfEEZNS1_24adjacent_difference_implIS3_Lb1ELb0EPfN6thrust23THRUST_200600_302600_NS16discard_iteratorINS9_11use_defaultEEENS9_5minusIfEEEE10hipError_tPvRmT2_T3_mT4_P12ihipStream_tbEUlT_E_NS1_11comp_targetILNS1_3genE5ELNS1_11target_archE942ELNS1_3gpuE9ELNS1_3repE0EEENS1_30default_config_static_selectorELNS0_4arch9wavefront6targetE1EEEvT1_.num_vgpr, 0
	.set _ZN7rocprim17ROCPRIM_400000_NS6detail17trampoline_kernelINS0_14default_configENS1_35adjacent_difference_config_selectorILb1EfEEZNS1_24adjacent_difference_implIS3_Lb1ELb0EPfN6thrust23THRUST_200600_302600_NS16discard_iteratorINS9_11use_defaultEEENS9_5minusIfEEEE10hipError_tPvRmT2_T3_mT4_P12ihipStream_tbEUlT_E_NS1_11comp_targetILNS1_3genE5ELNS1_11target_archE942ELNS1_3gpuE9ELNS1_3repE0EEENS1_30default_config_static_selectorELNS0_4arch9wavefront6targetE1EEEvT1_.num_agpr, 0
	.set _ZN7rocprim17ROCPRIM_400000_NS6detail17trampoline_kernelINS0_14default_configENS1_35adjacent_difference_config_selectorILb1EfEEZNS1_24adjacent_difference_implIS3_Lb1ELb0EPfN6thrust23THRUST_200600_302600_NS16discard_iteratorINS9_11use_defaultEEENS9_5minusIfEEEE10hipError_tPvRmT2_T3_mT4_P12ihipStream_tbEUlT_E_NS1_11comp_targetILNS1_3genE5ELNS1_11target_archE942ELNS1_3gpuE9ELNS1_3repE0EEENS1_30default_config_static_selectorELNS0_4arch9wavefront6targetE1EEEvT1_.numbered_sgpr, 0
	.set _ZN7rocprim17ROCPRIM_400000_NS6detail17trampoline_kernelINS0_14default_configENS1_35adjacent_difference_config_selectorILb1EfEEZNS1_24adjacent_difference_implIS3_Lb1ELb0EPfN6thrust23THRUST_200600_302600_NS16discard_iteratorINS9_11use_defaultEEENS9_5minusIfEEEE10hipError_tPvRmT2_T3_mT4_P12ihipStream_tbEUlT_E_NS1_11comp_targetILNS1_3genE5ELNS1_11target_archE942ELNS1_3gpuE9ELNS1_3repE0EEENS1_30default_config_static_selectorELNS0_4arch9wavefront6targetE1EEEvT1_.num_named_barrier, 0
	.set _ZN7rocprim17ROCPRIM_400000_NS6detail17trampoline_kernelINS0_14default_configENS1_35adjacent_difference_config_selectorILb1EfEEZNS1_24adjacent_difference_implIS3_Lb1ELb0EPfN6thrust23THRUST_200600_302600_NS16discard_iteratorINS9_11use_defaultEEENS9_5minusIfEEEE10hipError_tPvRmT2_T3_mT4_P12ihipStream_tbEUlT_E_NS1_11comp_targetILNS1_3genE5ELNS1_11target_archE942ELNS1_3gpuE9ELNS1_3repE0EEENS1_30default_config_static_selectorELNS0_4arch9wavefront6targetE1EEEvT1_.private_seg_size, 0
	.set _ZN7rocprim17ROCPRIM_400000_NS6detail17trampoline_kernelINS0_14default_configENS1_35adjacent_difference_config_selectorILb1EfEEZNS1_24adjacent_difference_implIS3_Lb1ELb0EPfN6thrust23THRUST_200600_302600_NS16discard_iteratorINS9_11use_defaultEEENS9_5minusIfEEEE10hipError_tPvRmT2_T3_mT4_P12ihipStream_tbEUlT_E_NS1_11comp_targetILNS1_3genE5ELNS1_11target_archE942ELNS1_3gpuE9ELNS1_3repE0EEENS1_30default_config_static_selectorELNS0_4arch9wavefront6targetE1EEEvT1_.uses_vcc, 0
	.set _ZN7rocprim17ROCPRIM_400000_NS6detail17trampoline_kernelINS0_14default_configENS1_35adjacent_difference_config_selectorILb1EfEEZNS1_24adjacent_difference_implIS3_Lb1ELb0EPfN6thrust23THRUST_200600_302600_NS16discard_iteratorINS9_11use_defaultEEENS9_5minusIfEEEE10hipError_tPvRmT2_T3_mT4_P12ihipStream_tbEUlT_E_NS1_11comp_targetILNS1_3genE5ELNS1_11target_archE942ELNS1_3gpuE9ELNS1_3repE0EEENS1_30default_config_static_selectorELNS0_4arch9wavefront6targetE1EEEvT1_.uses_flat_scratch, 0
	.set _ZN7rocprim17ROCPRIM_400000_NS6detail17trampoline_kernelINS0_14default_configENS1_35adjacent_difference_config_selectorILb1EfEEZNS1_24adjacent_difference_implIS3_Lb1ELb0EPfN6thrust23THRUST_200600_302600_NS16discard_iteratorINS9_11use_defaultEEENS9_5minusIfEEEE10hipError_tPvRmT2_T3_mT4_P12ihipStream_tbEUlT_E_NS1_11comp_targetILNS1_3genE5ELNS1_11target_archE942ELNS1_3gpuE9ELNS1_3repE0EEENS1_30default_config_static_selectorELNS0_4arch9wavefront6targetE1EEEvT1_.has_dyn_sized_stack, 0
	.set _ZN7rocprim17ROCPRIM_400000_NS6detail17trampoline_kernelINS0_14default_configENS1_35adjacent_difference_config_selectorILb1EfEEZNS1_24adjacent_difference_implIS3_Lb1ELb0EPfN6thrust23THRUST_200600_302600_NS16discard_iteratorINS9_11use_defaultEEENS9_5minusIfEEEE10hipError_tPvRmT2_T3_mT4_P12ihipStream_tbEUlT_E_NS1_11comp_targetILNS1_3genE5ELNS1_11target_archE942ELNS1_3gpuE9ELNS1_3repE0EEENS1_30default_config_static_selectorELNS0_4arch9wavefront6targetE1EEEvT1_.has_recursion, 0
	.set _ZN7rocprim17ROCPRIM_400000_NS6detail17trampoline_kernelINS0_14default_configENS1_35adjacent_difference_config_selectorILb1EfEEZNS1_24adjacent_difference_implIS3_Lb1ELb0EPfN6thrust23THRUST_200600_302600_NS16discard_iteratorINS9_11use_defaultEEENS9_5minusIfEEEE10hipError_tPvRmT2_T3_mT4_P12ihipStream_tbEUlT_E_NS1_11comp_targetILNS1_3genE5ELNS1_11target_archE942ELNS1_3gpuE9ELNS1_3repE0EEENS1_30default_config_static_selectorELNS0_4arch9wavefront6targetE1EEEvT1_.has_indirect_call, 0
	.section	.AMDGPU.csdata,"",@progbits
; Kernel info:
; codeLenInByte = 0
; TotalNumSgprs: 4
; NumVgprs: 0
; ScratchSize: 0
; MemoryBound: 0
; FloatMode: 240
; IeeeMode: 1
; LDSByteSize: 0 bytes/workgroup (compile time only)
; SGPRBlocks: 0
; VGPRBlocks: 0
; NumSGPRsForWavesPerEU: 4
; NumVGPRsForWavesPerEU: 1
; Occupancy: 10
; WaveLimiterHint : 0
; COMPUTE_PGM_RSRC2:SCRATCH_EN: 0
; COMPUTE_PGM_RSRC2:USER_SGPR: 6
; COMPUTE_PGM_RSRC2:TRAP_HANDLER: 0
; COMPUTE_PGM_RSRC2:TGID_X_EN: 1
; COMPUTE_PGM_RSRC2:TGID_Y_EN: 0
; COMPUTE_PGM_RSRC2:TGID_Z_EN: 0
; COMPUTE_PGM_RSRC2:TIDIG_COMP_CNT: 0
	.section	.text._ZN7rocprim17ROCPRIM_400000_NS6detail17trampoline_kernelINS0_14default_configENS1_35adjacent_difference_config_selectorILb1EfEEZNS1_24adjacent_difference_implIS3_Lb1ELb0EPfN6thrust23THRUST_200600_302600_NS16discard_iteratorINS9_11use_defaultEEENS9_5minusIfEEEE10hipError_tPvRmT2_T3_mT4_P12ihipStream_tbEUlT_E_NS1_11comp_targetILNS1_3genE4ELNS1_11target_archE910ELNS1_3gpuE8ELNS1_3repE0EEENS1_30default_config_static_selectorELNS0_4arch9wavefront6targetE1EEEvT1_,"axG",@progbits,_ZN7rocprim17ROCPRIM_400000_NS6detail17trampoline_kernelINS0_14default_configENS1_35adjacent_difference_config_selectorILb1EfEEZNS1_24adjacent_difference_implIS3_Lb1ELb0EPfN6thrust23THRUST_200600_302600_NS16discard_iteratorINS9_11use_defaultEEENS9_5minusIfEEEE10hipError_tPvRmT2_T3_mT4_P12ihipStream_tbEUlT_E_NS1_11comp_targetILNS1_3genE4ELNS1_11target_archE910ELNS1_3gpuE8ELNS1_3repE0EEENS1_30default_config_static_selectorELNS0_4arch9wavefront6targetE1EEEvT1_,comdat
	.protected	_ZN7rocprim17ROCPRIM_400000_NS6detail17trampoline_kernelINS0_14default_configENS1_35adjacent_difference_config_selectorILb1EfEEZNS1_24adjacent_difference_implIS3_Lb1ELb0EPfN6thrust23THRUST_200600_302600_NS16discard_iteratorINS9_11use_defaultEEENS9_5minusIfEEEE10hipError_tPvRmT2_T3_mT4_P12ihipStream_tbEUlT_E_NS1_11comp_targetILNS1_3genE4ELNS1_11target_archE910ELNS1_3gpuE8ELNS1_3repE0EEENS1_30default_config_static_selectorELNS0_4arch9wavefront6targetE1EEEvT1_ ; -- Begin function _ZN7rocprim17ROCPRIM_400000_NS6detail17trampoline_kernelINS0_14default_configENS1_35adjacent_difference_config_selectorILb1EfEEZNS1_24adjacent_difference_implIS3_Lb1ELb0EPfN6thrust23THRUST_200600_302600_NS16discard_iteratorINS9_11use_defaultEEENS9_5minusIfEEEE10hipError_tPvRmT2_T3_mT4_P12ihipStream_tbEUlT_E_NS1_11comp_targetILNS1_3genE4ELNS1_11target_archE910ELNS1_3gpuE8ELNS1_3repE0EEENS1_30default_config_static_selectorELNS0_4arch9wavefront6targetE1EEEvT1_
	.globl	_ZN7rocprim17ROCPRIM_400000_NS6detail17trampoline_kernelINS0_14default_configENS1_35adjacent_difference_config_selectorILb1EfEEZNS1_24adjacent_difference_implIS3_Lb1ELb0EPfN6thrust23THRUST_200600_302600_NS16discard_iteratorINS9_11use_defaultEEENS9_5minusIfEEEE10hipError_tPvRmT2_T3_mT4_P12ihipStream_tbEUlT_E_NS1_11comp_targetILNS1_3genE4ELNS1_11target_archE910ELNS1_3gpuE8ELNS1_3repE0EEENS1_30default_config_static_selectorELNS0_4arch9wavefront6targetE1EEEvT1_
	.p2align	8
	.type	_ZN7rocprim17ROCPRIM_400000_NS6detail17trampoline_kernelINS0_14default_configENS1_35adjacent_difference_config_selectorILb1EfEEZNS1_24adjacent_difference_implIS3_Lb1ELb0EPfN6thrust23THRUST_200600_302600_NS16discard_iteratorINS9_11use_defaultEEENS9_5minusIfEEEE10hipError_tPvRmT2_T3_mT4_P12ihipStream_tbEUlT_E_NS1_11comp_targetILNS1_3genE4ELNS1_11target_archE910ELNS1_3gpuE8ELNS1_3repE0EEENS1_30default_config_static_selectorELNS0_4arch9wavefront6targetE1EEEvT1_,@function
_ZN7rocprim17ROCPRIM_400000_NS6detail17trampoline_kernelINS0_14default_configENS1_35adjacent_difference_config_selectorILb1EfEEZNS1_24adjacent_difference_implIS3_Lb1ELb0EPfN6thrust23THRUST_200600_302600_NS16discard_iteratorINS9_11use_defaultEEENS9_5minusIfEEEE10hipError_tPvRmT2_T3_mT4_P12ihipStream_tbEUlT_E_NS1_11comp_targetILNS1_3genE4ELNS1_11target_archE910ELNS1_3gpuE8ELNS1_3repE0EEENS1_30default_config_static_selectorELNS0_4arch9wavefront6targetE1EEEvT1_: ; @_ZN7rocprim17ROCPRIM_400000_NS6detail17trampoline_kernelINS0_14default_configENS1_35adjacent_difference_config_selectorILb1EfEEZNS1_24adjacent_difference_implIS3_Lb1ELb0EPfN6thrust23THRUST_200600_302600_NS16discard_iteratorINS9_11use_defaultEEENS9_5minusIfEEEE10hipError_tPvRmT2_T3_mT4_P12ihipStream_tbEUlT_E_NS1_11comp_targetILNS1_3genE4ELNS1_11target_archE910ELNS1_3gpuE8ELNS1_3repE0EEENS1_30default_config_static_selectorELNS0_4arch9wavefront6targetE1EEEvT1_
; %bb.0:
	.section	.rodata,"a",@progbits
	.p2align	6, 0x0
	.amdhsa_kernel _ZN7rocprim17ROCPRIM_400000_NS6detail17trampoline_kernelINS0_14default_configENS1_35adjacent_difference_config_selectorILb1EfEEZNS1_24adjacent_difference_implIS3_Lb1ELb0EPfN6thrust23THRUST_200600_302600_NS16discard_iteratorINS9_11use_defaultEEENS9_5minusIfEEEE10hipError_tPvRmT2_T3_mT4_P12ihipStream_tbEUlT_E_NS1_11comp_targetILNS1_3genE4ELNS1_11target_archE910ELNS1_3gpuE8ELNS1_3repE0EEENS1_30default_config_static_selectorELNS0_4arch9wavefront6targetE1EEEvT1_
		.amdhsa_group_segment_fixed_size 0
		.amdhsa_private_segment_fixed_size 0
		.amdhsa_kernarg_size 64
		.amdhsa_user_sgpr_count 6
		.amdhsa_user_sgpr_private_segment_buffer 1
		.amdhsa_user_sgpr_dispatch_ptr 0
		.amdhsa_user_sgpr_queue_ptr 0
		.amdhsa_user_sgpr_kernarg_segment_ptr 1
		.amdhsa_user_sgpr_dispatch_id 0
		.amdhsa_user_sgpr_flat_scratch_init 0
		.amdhsa_user_sgpr_private_segment_size 0
		.amdhsa_uses_dynamic_stack 0
		.amdhsa_system_sgpr_private_segment_wavefront_offset 0
		.amdhsa_system_sgpr_workgroup_id_x 1
		.amdhsa_system_sgpr_workgroup_id_y 0
		.amdhsa_system_sgpr_workgroup_id_z 0
		.amdhsa_system_sgpr_workgroup_info 0
		.amdhsa_system_vgpr_workitem_id 0
		.amdhsa_next_free_vgpr 1
		.amdhsa_next_free_sgpr 0
		.amdhsa_reserve_vcc 0
		.amdhsa_reserve_flat_scratch 0
		.amdhsa_float_round_mode_32 0
		.amdhsa_float_round_mode_16_64 0
		.amdhsa_float_denorm_mode_32 3
		.amdhsa_float_denorm_mode_16_64 3
		.amdhsa_dx10_clamp 1
		.amdhsa_ieee_mode 1
		.amdhsa_fp16_overflow 0
		.amdhsa_exception_fp_ieee_invalid_op 0
		.amdhsa_exception_fp_denorm_src 0
		.amdhsa_exception_fp_ieee_div_zero 0
		.amdhsa_exception_fp_ieee_overflow 0
		.amdhsa_exception_fp_ieee_underflow 0
		.amdhsa_exception_fp_ieee_inexact 0
		.amdhsa_exception_int_div_zero 0
	.end_amdhsa_kernel
	.section	.text._ZN7rocprim17ROCPRIM_400000_NS6detail17trampoline_kernelINS0_14default_configENS1_35adjacent_difference_config_selectorILb1EfEEZNS1_24adjacent_difference_implIS3_Lb1ELb0EPfN6thrust23THRUST_200600_302600_NS16discard_iteratorINS9_11use_defaultEEENS9_5minusIfEEEE10hipError_tPvRmT2_T3_mT4_P12ihipStream_tbEUlT_E_NS1_11comp_targetILNS1_3genE4ELNS1_11target_archE910ELNS1_3gpuE8ELNS1_3repE0EEENS1_30default_config_static_selectorELNS0_4arch9wavefront6targetE1EEEvT1_,"axG",@progbits,_ZN7rocprim17ROCPRIM_400000_NS6detail17trampoline_kernelINS0_14default_configENS1_35adjacent_difference_config_selectorILb1EfEEZNS1_24adjacent_difference_implIS3_Lb1ELb0EPfN6thrust23THRUST_200600_302600_NS16discard_iteratorINS9_11use_defaultEEENS9_5minusIfEEEE10hipError_tPvRmT2_T3_mT4_P12ihipStream_tbEUlT_E_NS1_11comp_targetILNS1_3genE4ELNS1_11target_archE910ELNS1_3gpuE8ELNS1_3repE0EEENS1_30default_config_static_selectorELNS0_4arch9wavefront6targetE1EEEvT1_,comdat
.Lfunc_end802:
	.size	_ZN7rocprim17ROCPRIM_400000_NS6detail17trampoline_kernelINS0_14default_configENS1_35adjacent_difference_config_selectorILb1EfEEZNS1_24adjacent_difference_implIS3_Lb1ELb0EPfN6thrust23THRUST_200600_302600_NS16discard_iteratorINS9_11use_defaultEEENS9_5minusIfEEEE10hipError_tPvRmT2_T3_mT4_P12ihipStream_tbEUlT_E_NS1_11comp_targetILNS1_3genE4ELNS1_11target_archE910ELNS1_3gpuE8ELNS1_3repE0EEENS1_30default_config_static_selectorELNS0_4arch9wavefront6targetE1EEEvT1_, .Lfunc_end802-_ZN7rocprim17ROCPRIM_400000_NS6detail17trampoline_kernelINS0_14default_configENS1_35adjacent_difference_config_selectorILb1EfEEZNS1_24adjacent_difference_implIS3_Lb1ELb0EPfN6thrust23THRUST_200600_302600_NS16discard_iteratorINS9_11use_defaultEEENS9_5minusIfEEEE10hipError_tPvRmT2_T3_mT4_P12ihipStream_tbEUlT_E_NS1_11comp_targetILNS1_3genE4ELNS1_11target_archE910ELNS1_3gpuE8ELNS1_3repE0EEENS1_30default_config_static_selectorELNS0_4arch9wavefront6targetE1EEEvT1_
                                        ; -- End function
	.set _ZN7rocprim17ROCPRIM_400000_NS6detail17trampoline_kernelINS0_14default_configENS1_35adjacent_difference_config_selectorILb1EfEEZNS1_24adjacent_difference_implIS3_Lb1ELb0EPfN6thrust23THRUST_200600_302600_NS16discard_iteratorINS9_11use_defaultEEENS9_5minusIfEEEE10hipError_tPvRmT2_T3_mT4_P12ihipStream_tbEUlT_E_NS1_11comp_targetILNS1_3genE4ELNS1_11target_archE910ELNS1_3gpuE8ELNS1_3repE0EEENS1_30default_config_static_selectorELNS0_4arch9wavefront6targetE1EEEvT1_.num_vgpr, 0
	.set _ZN7rocprim17ROCPRIM_400000_NS6detail17trampoline_kernelINS0_14default_configENS1_35adjacent_difference_config_selectorILb1EfEEZNS1_24adjacent_difference_implIS3_Lb1ELb0EPfN6thrust23THRUST_200600_302600_NS16discard_iteratorINS9_11use_defaultEEENS9_5minusIfEEEE10hipError_tPvRmT2_T3_mT4_P12ihipStream_tbEUlT_E_NS1_11comp_targetILNS1_3genE4ELNS1_11target_archE910ELNS1_3gpuE8ELNS1_3repE0EEENS1_30default_config_static_selectorELNS0_4arch9wavefront6targetE1EEEvT1_.num_agpr, 0
	.set _ZN7rocprim17ROCPRIM_400000_NS6detail17trampoline_kernelINS0_14default_configENS1_35adjacent_difference_config_selectorILb1EfEEZNS1_24adjacent_difference_implIS3_Lb1ELb0EPfN6thrust23THRUST_200600_302600_NS16discard_iteratorINS9_11use_defaultEEENS9_5minusIfEEEE10hipError_tPvRmT2_T3_mT4_P12ihipStream_tbEUlT_E_NS1_11comp_targetILNS1_3genE4ELNS1_11target_archE910ELNS1_3gpuE8ELNS1_3repE0EEENS1_30default_config_static_selectorELNS0_4arch9wavefront6targetE1EEEvT1_.numbered_sgpr, 0
	.set _ZN7rocprim17ROCPRIM_400000_NS6detail17trampoline_kernelINS0_14default_configENS1_35adjacent_difference_config_selectorILb1EfEEZNS1_24adjacent_difference_implIS3_Lb1ELb0EPfN6thrust23THRUST_200600_302600_NS16discard_iteratorINS9_11use_defaultEEENS9_5minusIfEEEE10hipError_tPvRmT2_T3_mT4_P12ihipStream_tbEUlT_E_NS1_11comp_targetILNS1_3genE4ELNS1_11target_archE910ELNS1_3gpuE8ELNS1_3repE0EEENS1_30default_config_static_selectorELNS0_4arch9wavefront6targetE1EEEvT1_.num_named_barrier, 0
	.set _ZN7rocprim17ROCPRIM_400000_NS6detail17trampoline_kernelINS0_14default_configENS1_35adjacent_difference_config_selectorILb1EfEEZNS1_24adjacent_difference_implIS3_Lb1ELb0EPfN6thrust23THRUST_200600_302600_NS16discard_iteratorINS9_11use_defaultEEENS9_5minusIfEEEE10hipError_tPvRmT2_T3_mT4_P12ihipStream_tbEUlT_E_NS1_11comp_targetILNS1_3genE4ELNS1_11target_archE910ELNS1_3gpuE8ELNS1_3repE0EEENS1_30default_config_static_selectorELNS0_4arch9wavefront6targetE1EEEvT1_.private_seg_size, 0
	.set _ZN7rocprim17ROCPRIM_400000_NS6detail17trampoline_kernelINS0_14default_configENS1_35adjacent_difference_config_selectorILb1EfEEZNS1_24adjacent_difference_implIS3_Lb1ELb0EPfN6thrust23THRUST_200600_302600_NS16discard_iteratorINS9_11use_defaultEEENS9_5minusIfEEEE10hipError_tPvRmT2_T3_mT4_P12ihipStream_tbEUlT_E_NS1_11comp_targetILNS1_3genE4ELNS1_11target_archE910ELNS1_3gpuE8ELNS1_3repE0EEENS1_30default_config_static_selectorELNS0_4arch9wavefront6targetE1EEEvT1_.uses_vcc, 0
	.set _ZN7rocprim17ROCPRIM_400000_NS6detail17trampoline_kernelINS0_14default_configENS1_35adjacent_difference_config_selectorILb1EfEEZNS1_24adjacent_difference_implIS3_Lb1ELb0EPfN6thrust23THRUST_200600_302600_NS16discard_iteratorINS9_11use_defaultEEENS9_5minusIfEEEE10hipError_tPvRmT2_T3_mT4_P12ihipStream_tbEUlT_E_NS1_11comp_targetILNS1_3genE4ELNS1_11target_archE910ELNS1_3gpuE8ELNS1_3repE0EEENS1_30default_config_static_selectorELNS0_4arch9wavefront6targetE1EEEvT1_.uses_flat_scratch, 0
	.set _ZN7rocprim17ROCPRIM_400000_NS6detail17trampoline_kernelINS0_14default_configENS1_35adjacent_difference_config_selectorILb1EfEEZNS1_24adjacent_difference_implIS3_Lb1ELb0EPfN6thrust23THRUST_200600_302600_NS16discard_iteratorINS9_11use_defaultEEENS9_5minusIfEEEE10hipError_tPvRmT2_T3_mT4_P12ihipStream_tbEUlT_E_NS1_11comp_targetILNS1_3genE4ELNS1_11target_archE910ELNS1_3gpuE8ELNS1_3repE0EEENS1_30default_config_static_selectorELNS0_4arch9wavefront6targetE1EEEvT1_.has_dyn_sized_stack, 0
	.set _ZN7rocprim17ROCPRIM_400000_NS6detail17trampoline_kernelINS0_14default_configENS1_35adjacent_difference_config_selectorILb1EfEEZNS1_24adjacent_difference_implIS3_Lb1ELb0EPfN6thrust23THRUST_200600_302600_NS16discard_iteratorINS9_11use_defaultEEENS9_5minusIfEEEE10hipError_tPvRmT2_T3_mT4_P12ihipStream_tbEUlT_E_NS1_11comp_targetILNS1_3genE4ELNS1_11target_archE910ELNS1_3gpuE8ELNS1_3repE0EEENS1_30default_config_static_selectorELNS0_4arch9wavefront6targetE1EEEvT1_.has_recursion, 0
	.set _ZN7rocprim17ROCPRIM_400000_NS6detail17trampoline_kernelINS0_14default_configENS1_35adjacent_difference_config_selectorILb1EfEEZNS1_24adjacent_difference_implIS3_Lb1ELb0EPfN6thrust23THRUST_200600_302600_NS16discard_iteratorINS9_11use_defaultEEENS9_5minusIfEEEE10hipError_tPvRmT2_T3_mT4_P12ihipStream_tbEUlT_E_NS1_11comp_targetILNS1_3genE4ELNS1_11target_archE910ELNS1_3gpuE8ELNS1_3repE0EEENS1_30default_config_static_selectorELNS0_4arch9wavefront6targetE1EEEvT1_.has_indirect_call, 0
	.section	.AMDGPU.csdata,"",@progbits
; Kernel info:
; codeLenInByte = 0
; TotalNumSgprs: 4
; NumVgprs: 0
; ScratchSize: 0
; MemoryBound: 0
; FloatMode: 240
; IeeeMode: 1
; LDSByteSize: 0 bytes/workgroup (compile time only)
; SGPRBlocks: 0
; VGPRBlocks: 0
; NumSGPRsForWavesPerEU: 4
; NumVGPRsForWavesPerEU: 1
; Occupancy: 10
; WaveLimiterHint : 0
; COMPUTE_PGM_RSRC2:SCRATCH_EN: 0
; COMPUTE_PGM_RSRC2:USER_SGPR: 6
; COMPUTE_PGM_RSRC2:TRAP_HANDLER: 0
; COMPUTE_PGM_RSRC2:TGID_X_EN: 1
; COMPUTE_PGM_RSRC2:TGID_Y_EN: 0
; COMPUTE_PGM_RSRC2:TGID_Z_EN: 0
; COMPUTE_PGM_RSRC2:TIDIG_COMP_CNT: 0
	.section	.text._ZN7rocprim17ROCPRIM_400000_NS6detail17trampoline_kernelINS0_14default_configENS1_35adjacent_difference_config_selectorILb1EfEEZNS1_24adjacent_difference_implIS3_Lb1ELb0EPfN6thrust23THRUST_200600_302600_NS16discard_iteratorINS9_11use_defaultEEENS9_5minusIfEEEE10hipError_tPvRmT2_T3_mT4_P12ihipStream_tbEUlT_E_NS1_11comp_targetILNS1_3genE3ELNS1_11target_archE908ELNS1_3gpuE7ELNS1_3repE0EEENS1_30default_config_static_selectorELNS0_4arch9wavefront6targetE1EEEvT1_,"axG",@progbits,_ZN7rocprim17ROCPRIM_400000_NS6detail17trampoline_kernelINS0_14default_configENS1_35adjacent_difference_config_selectorILb1EfEEZNS1_24adjacent_difference_implIS3_Lb1ELb0EPfN6thrust23THRUST_200600_302600_NS16discard_iteratorINS9_11use_defaultEEENS9_5minusIfEEEE10hipError_tPvRmT2_T3_mT4_P12ihipStream_tbEUlT_E_NS1_11comp_targetILNS1_3genE3ELNS1_11target_archE908ELNS1_3gpuE7ELNS1_3repE0EEENS1_30default_config_static_selectorELNS0_4arch9wavefront6targetE1EEEvT1_,comdat
	.protected	_ZN7rocprim17ROCPRIM_400000_NS6detail17trampoline_kernelINS0_14default_configENS1_35adjacent_difference_config_selectorILb1EfEEZNS1_24adjacent_difference_implIS3_Lb1ELb0EPfN6thrust23THRUST_200600_302600_NS16discard_iteratorINS9_11use_defaultEEENS9_5minusIfEEEE10hipError_tPvRmT2_T3_mT4_P12ihipStream_tbEUlT_E_NS1_11comp_targetILNS1_3genE3ELNS1_11target_archE908ELNS1_3gpuE7ELNS1_3repE0EEENS1_30default_config_static_selectorELNS0_4arch9wavefront6targetE1EEEvT1_ ; -- Begin function _ZN7rocprim17ROCPRIM_400000_NS6detail17trampoline_kernelINS0_14default_configENS1_35adjacent_difference_config_selectorILb1EfEEZNS1_24adjacent_difference_implIS3_Lb1ELb0EPfN6thrust23THRUST_200600_302600_NS16discard_iteratorINS9_11use_defaultEEENS9_5minusIfEEEE10hipError_tPvRmT2_T3_mT4_P12ihipStream_tbEUlT_E_NS1_11comp_targetILNS1_3genE3ELNS1_11target_archE908ELNS1_3gpuE7ELNS1_3repE0EEENS1_30default_config_static_selectorELNS0_4arch9wavefront6targetE1EEEvT1_
	.globl	_ZN7rocprim17ROCPRIM_400000_NS6detail17trampoline_kernelINS0_14default_configENS1_35adjacent_difference_config_selectorILb1EfEEZNS1_24adjacent_difference_implIS3_Lb1ELb0EPfN6thrust23THRUST_200600_302600_NS16discard_iteratorINS9_11use_defaultEEENS9_5minusIfEEEE10hipError_tPvRmT2_T3_mT4_P12ihipStream_tbEUlT_E_NS1_11comp_targetILNS1_3genE3ELNS1_11target_archE908ELNS1_3gpuE7ELNS1_3repE0EEENS1_30default_config_static_selectorELNS0_4arch9wavefront6targetE1EEEvT1_
	.p2align	8
	.type	_ZN7rocprim17ROCPRIM_400000_NS6detail17trampoline_kernelINS0_14default_configENS1_35adjacent_difference_config_selectorILb1EfEEZNS1_24adjacent_difference_implIS3_Lb1ELb0EPfN6thrust23THRUST_200600_302600_NS16discard_iteratorINS9_11use_defaultEEENS9_5minusIfEEEE10hipError_tPvRmT2_T3_mT4_P12ihipStream_tbEUlT_E_NS1_11comp_targetILNS1_3genE3ELNS1_11target_archE908ELNS1_3gpuE7ELNS1_3repE0EEENS1_30default_config_static_selectorELNS0_4arch9wavefront6targetE1EEEvT1_,@function
_ZN7rocprim17ROCPRIM_400000_NS6detail17trampoline_kernelINS0_14default_configENS1_35adjacent_difference_config_selectorILb1EfEEZNS1_24adjacent_difference_implIS3_Lb1ELb0EPfN6thrust23THRUST_200600_302600_NS16discard_iteratorINS9_11use_defaultEEENS9_5minusIfEEEE10hipError_tPvRmT2_T3_mT4_P12ihipStream_tbEUlT_E_NS1_11comp_targetILNS1_3genE3ELNS1_11target_archE908ELNS1_3gpuE7ELNS1_3repE0EEENS1_30default_config_static_selectorELNS0_4arch9wavefront6targetE1EEEvT1_: ; @_ZN7rocprim17ROCPRIM_400000_NS6detail17trampoline_kernelINS0_14default_configENS1_35adjacent_difference_config_selectorILb1EfEEZNS1_24adjacent_difference_implIS3_Lb1ELb0EPfN6thrust23THRUST_200600_302600_NS16discard_iteratorINS9_11use_defaultEEENS9_5minusIfEEEE10hipError_tPvRmT2_T3_mT4_P12ihipStream_tbEUlT_E_NS1_11comp_targetILNS1_3genE3ELNS1_11target_archE908ELNS1_3gpuE7ELNS1_3repE0EEENS1_30default_config_static_selectorELNS0_4arch9wavefront6targetE1EEEvT1_
; %bb.0:
	.section	.rodata,"a",@progbits
	.p2align	6, 0x0
	.amdhsa_kernel _ZN7rocprim17ROCPRIM_400000_NS6detail17trampoline_kernelINS0_14default_configENS1_35adjacent_difference_config_selectorILb1EfEEZNS1_24adjacent_difference_implIS3_Lb1ELb0EPfN6thrust23THRUST_200600_302600_NS16discard_iteratorINS9_11use_defaultEEENS9_5minusIfEEEE10hipError_tPvRmT2_T3_mT4_P12ihipStream_tbEUlT_E_NS1_11comp_targetILNS1_3genE3ELNS1_11target_archE908ELNS1_3gpuE7ELNS1_3repE0EEENS1_30default_config_static_selectorELNS0_4arch9wavefront6targetE1EEEvT1_
		.amdhsa_group_segment_fixed_size 0
		.amdhsa_private_segment_fixed_size 0
		.amdhsa_kernarg_size 64
		.amdhsa_user_sgpr_count 6
		.amdhsa_user_sgpr_private_segment_buffer 1
		.amdhsa_user_sgpr_dispatch_ptr 0
		.amdhsa_user_sgpr_queue_ptr 0
		.amdhsa_user_sgpr_kernarg_segment_ptr 1
		.amdhsa_user_sgpr_dispatch_id 0
		.amdhsa_user_sgpr_flat_scratch_init 0
		.amdhsa_user_sgpr_private_segment_size 0
		.amdhsa_uses_dynamic_stack 0
		.amdhsa_system_sgpr_private_segment_wavefront_offset 0
		.amdhsa_system_sgpr_workgroup_id_x 1
		.amdhsa_system_sgpr_workgroup_id_y 0
		.amdhsa_system_sgpr_workgroup_id_z 0
		.amdhsa_system_sgpr_workgroup_info 0
		.amdhsa_system_vgpr_workitem_id 0
		.amdhsa_next_free_vgpr 1
		.amdhsa_next_free_sgpr 0
		.amdhsa_reserve_vcc 0
		.amdhsa_reserve_flat_scratch 0
		.amdhsa_float_round_mode_32 0
		.amdhsa_float_round_mode_16_64 0
		.amdhsa_float_denorm_mode_32 3
		.amdhsa_float_denorm_mode_16_64 3
		.amdhsa_dx10_clamp 1
		.amdhsa_ieee_mode 1
		.amdhsa_fp16_overflow 0
		.amdhsa_exception_fp_ieee_invalid_op 0
		.amdhsa_exception_fp_denorm_src 0
		.amdhsa_exception_fp_ieee_div_zero 0
		.amdhsa_exception_fp_ieee_overflow 0
		.amdhsa_exception_fp_ieee_underflow 0
		.amdhsa_exception_fp_ieee_inexact 0
		.amdhsa_exception_int_div_zero 0
	.end_amdhsa_kernel
	.section	.text._ZN7rocprim17ROCPRIM_400000_NS6detail17trampoline_kernelINS0_14default_configENS1_35adjacent_difference_config_selectorILb1EfEEZNS1_24adjacent_difference_implIS3_Lb1ELb0EPfN6thrust23THRUST_200600_302600_NS16discard_iteratorINS9_11use_defaultEEENS9_5minusIfEEEE10hipError_tPvRmT2_T3_mT4_P12ihipStream_tbEUlT_E_NS1_11comp_targetILNS1_3genE3ELNS1_11target_archE908ELNS1_3gpuE7ELNS1_3repE0EEENS1_30default_config_static_selectorELNS0_4arch9wavefront6targetE1EEEvT1_,"axG",@progbits,_ZN7rocprim17ROCPRIM_400000_NS6detail17trampoline_kernelINS0_14default_configENS1_35adjacent_difference_config_selectorILb1EfEEZNS1_24adjacent_difference_implIS3_Lb1ELb0EPfN6thrust23THRUST_200600_302600_NS16discard_iteratorINS9_11use_defaultEEENS9_5minusIfEEEE10hipError_tPvRmT2_T3_mT4_P12ihipStream_tbEUlT_E_NS1_11comp_targetILNS1_3genE3ELNS1_11target_archE908ELNS1_3gpuE7ELNS1_3repE0EEENS1_30default_config_static_selectorELNS0_4arch9wavefront6targetE1EEEvT1_,comdat
.Lfunc_end803:
	.size	_ZN7rocprim17ROCPRIM_400000_NS6detail17trampoline_kernelINS0_14default_configENS1_35adjacent_difference_config_selectorILb1EfEEZNS1_24adjacent_difference_implIS3_Lb1ELb0EPfN6thrust23THRUST_200600_302600_NS16discard_iteratorINS9_11use_defaultEEENS9_5minusIfEEEE10hipError_tPvRmT2_T3_mT4_P12ihipStream_tbEUlT_E_NS1_11comp_targetILNS1_3genE3ELNS1_11target_archE908ELNS1_3gpuE7ELNS1_3repE0EEENS1_30default_config_static_selectorELNS0_4arch9wavefront6targetE1EEEvT1_, .Lfunc_end803-_ZN7rocprim17ROCPRIM_400000_NS6detail17trampoline_kernelINS0_14default_configENS1_35adjacent_difference_config_selectorILb1EfEEZNS1_24adjacent_difference_implIS3_Lb1ELb0EPfN6thrust23THRUST_200600_302600_NS16discard_iteratorINS9_11use_defaultEEENS9_5minusIfEEEE10hipError_tPvRmT2_T3_mT4_P12ihipStream_tbEUlT_E_NS1_11comp_targetILNS1_3genE3ELNS1_11target_archE908ELNS1_3gpuE7ELNS1_3repE0EEENS1_30default_config_static_selectorELNS0_4arch9wavefront6targetE1EEEvT1_
                                        ; -- End function
	.set _ZN7rocprim17ROCPRIM_400000_NS6detail17trampoline_kernelINS0_14default_configENS1_35adjacent_difference_config_selectorILb1EfEEZNS1_24adjacent_difference_implIS3_Lb1ELb0EPfN6thrust23THRUST_200600_302600_NS16discard_iteratorINS9_11use_defaultEEENS9_5minusIfEEEE10hipError_tPvRmT2_T3_mT4_P12ihipStream_tbEUlT_E_NS1_11comp_targetILNS1_3genE3ELNS1_11target_archE908ELNS1_3gpuE7ELNS1_3repE0EEENS1_30default_config_static_selectorELNS0_4arch9wavefront6targetE1EEEvT1_.num_vgpr, 0
	.set _ZN7rocprim17ROCPRIM_400000_NS6detail17trampoline_kernelINS0_14default_configENS1_35adjacent_difference_config_selectorILb1EfEEZNS1_24adjacent_difference_implIS3_Lb1ELb0EPfN6thrust23THRUST_200600_302600_NS16discard_iteratorINS9_11use_defaultEEENS9_5minusIfEEEE10hipError_tPvRmT2_T3_mT4_P12ihipStream_tbEUlT_E_NS1_11comp_targetILNS1_3genE3ELNS1_11target_archE908ELNS1_3gpuE7ELNS1_3repE0EEENS1_30default_config_static_selectorELNS0_4arch9wavefront6targetE1EEEvT1_.num_agpr, 0
	.set _ZN7rocprim17ROCPRIM_400000_NS6detail17trampoline_kernelINS0_14default_configENS1_35adjacent_difference_config_selectorILb1EfEEZNS1_24adjacent_difference_implIS3_Lb1ELb0EPfN6thrust23THRUST_200600_302600_NS16discard_iteratorINS9_11use_defaultEEENS9_5minusIfEEEE10hipError_tPvRmT2_T3_mT4_P12ihipStream_tbEUlT_E_NS1_11comp_targetILNS1_3genE3ELNS1_11target_archE908ELNS1_3gpuE7ELNS1_3repE0EEENS1_30default_config_static_selectorELNS0_4arch9wavefront6targetE1EEEvT1_.numbered_sgpr, 0
	.set _ZN7rocprim17ROCPRIM_400000_NS6detail17trampoline_kernelINS0_14default_configENS1_35adjacent_difference_config_selectorILb1EfEEZNS1_24adjacent_difference_implIS3_Lb1ELb0EPfN6thrust23THRUST_200600_302600_NS16discard_iteratorINS9_11use_defaultEEENS9_5minusIfEEEE10hipError_tPvRmT2_T3_mT4_P12ihipStream_tbEUlT_E_NS1_11comp_targetILNS1_3genE3ELNS1_11target_archE908ELNS1_3gpuE7ELNS1_3repE0EEENS1_30default_config_static_selectorELNS0_4arch9wavefront6targetE1EEEvT1_.num_named_barrier, 0
	.set _ZN7rocprim17ROCPRIM_400000_NS6detail17trampoline_kernelINS0_14default_configENS1_35adjacent_difference_config_selectorILb1EfEEZNS1_24adjacent_difference_implIS3_Lb1ELb0EPfN6thrust23THRUST_200600_302600_NS16discard_iteratorINS9_11use_defaultEEENS9_5minusIfEEEE10hipError_tPvRmT2_T3_mT4_P12ihipStream_tbEUlT_E_NS1_11comp_targetILNS1_3genE3ELNS1_11target_archE908ELNS1_3gpuE7ELNS1_3repE0EEENS1_30default_config_static_selectorELNS0_4arch9wavefront6targetE1EEEvT1_.private_seg_size, 0
	.set _ZN7rocprim17ROCPRIM_400000_NS6detail17trampoline_kernelINS0_14default_configENS1_35adjacent_difference_config_selectorILb1EfEEZNS1_24adjacent_difference_implIS3_Lb1ELb0EPfN6thrust23THRUST_200600_302600_NS16discard_iteratorINS9_11use_defaultEEENS9_5minusIfEEEE10hipError_tPvRmT2_T3_mT4_P12ihipStream_tbEUlT_E_NS1_11comp_targetILNS1_3genE3ELNS1_11target_archE908ELNS1_3gpuE7ELNS1_3repE0EEENS1_30default_config_static_selectorELNS0_4arch9wavefront6targetE1EEEvT1_.uses_vcc, 0
	.set _ZN7rocprim17ROCPRIM_400000_NS6detail17trampoline_kernelINS0_14default_configENS1_35adjacent_difference_config_selectorILb1EfEEZNS1_24adjacent_difference_implIS3_Lb1ELb0EPfN6thrust23THRUST_200600_302600_NS16discard_iteratorINS9_11use_defaultEEENS9_5minusIfEEEE10hipError_tPvRmT2_T3_mT4_P12ihipStream_tbEUlT_E_NS1_11comp_targetILNS1_3genE3ELNS1_11target_archE908ELNS1_3gpuE7ELNS1_3repE0EEENS1_30default_config_static_selectorELNS0_4arch9wavefront6targetE1EEEvT1_.uses_flat_scratch, 0
	.set _ZN7rocprim17ROCPRIM_400000_NS6detail17trampoline_kernelINS0_14default_configENS1_35adjacent_difference_config_selectorILb1EfEEZNS1_24adjacent_difference_implIS3_Lb1ELb0EPfN6thrust23THRUST_200600_302600_NS16discard_iteratorINS9_11use_defaultEEENS9_5minusIfEEEE10hipError_tPvRmT2_T3_mT4_P12ihipStream_tbEUlT_E_NS1_11comp_targetILNS1_3genE3ELNS1_11target_archE908ELNS1_3gpuE7ELNS1_3repE0EEENS1_30default_config_static_selectorELNS0_4arch9wavefront6targetE1EEEvT1_.has_dyn_sized_stack, 0
	.set _ZN7rocprim17ROCPRIM_400000_NS6detail17trampoline_kernelINS0_14default_configENS1_35adjacent_difference_config_selectorILb1EfEEZNS1_24adjacent_difference_implIS3_Lb1ELb0EPfN6thrust23THRUST_200600_302600_NS16discard_iteratorINS9_11use_defaultEEENS9_5minusIfEEEE10hipError_tPvRmT2_T3_mT4_P12ihipStream_tbEUlT_E_NS1_11comp_targetILNS1_3genE3ELNS1_11target_archE908ELNS1_3gpuE7ELNS1_3repE0EEENS1_30default_config_static_selectorELNS0_4arch9wavefront6targetE1EEEvT1_.has_recursion, 0
	.set _ZN7rocprim17ROCPRIM_400000_NS6detail17trampoline_kernelINS0_14default_configENS1_35adjacent_difference_config_selectorILb1EfEEZNS1_24adjacent_difference_implIS3_Lb1ELb0EPfN6thrust23THRUST_200600_302600_NS16discard_iteratorINS9_11use_defaultEEENS9_5minusIfEEEE10hipError_tPvRmT2_T3_mT4_P12ihipStream_tbEUlT_E_NS1_11comp_targetILNS1_3genE3ELNS1_11target_archE908ELNS1_3gpuE7ELNS1_3repE0EEENS1_30default_config_static_selectorELNS0_4arch9wavefront6targetE1EEEvT1_.has_indirect_call, 0
	.section	.AMDGPU.csdata,"",@progbits
; Kernel info:
; codeLenInByte = 0
; TotalNumSgprs: 4
; NumVgprs: 0
; ScratchSize: 0
; MemoryBound: 0
; FloatMode: 240
; IeeeMode: 1
; LDSByteSize: 0 bytes/workgroup (compile time only)
; SGPRBlocks: 0
; VGPRBlocks: 0
; NumSGPRsForWavesPerEU: 4
; NumVGPRsForWavesPerEU: 1
; Occupancy: 10
; WaveLimiterHint : 0
; COMPUTE_PGM_RSRC2:SCRATCH_EN: 0
; COMPUTE_PGM_RSRC2:USER_SGPR: 6
; COMPUTE_PGM_RSRC2:TRAP_HANDLER: 0
; COMPUTE_PGM_RSRC2:TGID_X_EN: 1
; COMPUTE_PGM_RSRC2:TGID_Y_EN: 0
; COMPUTE_PGM_RSRC2:TGID_Z_EN: 0
; COMPUTE_PGM_RSRC2:TIDIG_COMP_CNT: 0
	.section	.text._ZN7rocprim17ROCPRIM_400000_NS6detail17trampoline_kernelINS0_14default_configENS1_35adjacent_difference_config_selectorILb1EfEEZNS1_24adjacent_difference_implIS3_Lb1ELb0EPfN6thrust23THRUST_200600_302600_NS16discard_iteratorINS9_11use_defaultEEENS9_5minusIfEEEE10hipError_tPvRmT2_T3_mT4_P12ihipStream_tbEUlT_E_NS1_11comp_targetILNS1_3genE2ELNS1_11target_archE906ELNS1_3gpuE6ELNS1_3repE0EEENS1_30default_config_static_selectorELNS0_4arch9wavefront6targetE1EEEvT1_,"axG",@progbits,_ZN7rocprim17ROCPRIM_400000_NS6detail17trampoline_kernelINS0_14default_configENS1_35adjacent_difference_config_selectorILb1EfEEZNS1_24adjacent_difference_implIS3_Lb1ELb0EPfN6thrust23THRUST_200600_302600_NS16discard_iteratorINS9_11use_defaultEEENS9_5minusIfEEEE10hipError_tPvRmT2_T3_mT4_P12ihipStream_tbEUlT_E_NS1_11comp_targetILNS1_3genE2ELNS1_11target_archE906ELNS1_3gpuE6ELNS1_3repE0EEENS1_30default_config_static_selectorELNS0_4arch9wavefront6targetE1EEEvT1_,comdat
	.protected	_ZN7rocprim17ROCPRIM_400000_NS6detail17trampoline_kernelINS0_14default_configENS1_35adjacent_difference_config_selectorILb1EfEEZNS1_24adjacent_difference_implIS3_Lb1ELb0EPfN6thrust23THRUST_200600_302600_NS16discard_iteratorINS9_11use_defaultEEENS9_5minusIfEEEE10hipError_tPvRmT2_T3_mT4_P12ihipStream_tbEUlT_E_NS1_11comp_targetILNS1_3genE2ELNS1_11target_archE906ELNS1_3gpuE6ELNS1_3repE0EEENS1_30default_config_static_selectorELNS0_4arch9wavefront6targetE1EEEvT1_ ; -- Begin function _ZN7rocprim17ROCPRIM_400000_NS6detail17trampoline_kernelINS0_14default_configENS1_35adjacent_difference_config_selectorILb1EfEEZNS1_24adjacent_difference_implIS3_Lb1ELb0EPfN6thrust23THRUST_200600_302600_NS16discard_iteratorINS9_11use_defaultEEENS9_5minusIfEEEE10hipError_tPvRmT2_T3_mT4_P12ihipStream_tbEUlT_E_NS1_11comp_targetILNS1_3genE2ELNS1_11target_archE906ELNS1_3gpuE6ELNS1_3repE0EEENS1_30default_config_static_selectorELNS0_4arch9wavefront6targetE1EEEvT1_
	.globl	_ZN7rocprim17ROCPRIM_400000_NS6detail17trampoline_kernelINS0_14default_configENS1_35adjacent_difference_config_selectorILb1EfEEZNS1_24adjacent_difference_implIS3_Lb1ELb0EPfN6thrust23THRUST_200600_302600_NS16discard_iteratorINS9_11use_defaultEEENS9_5minusIfEEEE10hipError_tPvRmT2_T3_mT4_P12ihipStream_tbEUlT_E_NS1_11comp_targetILNS1_3genE2ELNS1_11target_archE906ELNS1_3gpuE6ELNS1_3repE0EEENS1_30default_config_static_selectorELNS0_4arch9wavefront6targetE1EEEvT1_
	.p2align	8
	.type	_ZN7rocprim17ROCPRIM_400000_NS6detail17trampoline_kernelINS0_14default_configENS1_35adjacent_difference_config_selectorILb1EfEEZNS1_24adjacent_difference_implIS3_Lb1ELb0EPfN6thrust23THRUST_200600_302600_NS16discard_iteratorINS9_11use_defaultEEENS9_5minusIfEEEE10hipError_tPvRmT2_T3_mT4_P12ihipStream_tbEUlT_E_NS1_11comp_targetILNS1_3genE2ELNS1_11target_archE906ELNS1_3gpuE6ELNS1_3repE0EEENS1_30default_config_static_selectorELNS0_4arch9wavefront6targetE1EEEvT1_,@function
_ZN7rocprim17ROCPRIM_400000_NS6detail17trampoline_kernelINS0_14default_configENS1_35adjacent_difference_config_selectorILb1EfEEZNS1_24adjacent_difference_implIS3_Lb1ELb0EPfN6thrust23THRUST_200600_302600_NS16discard_iteratorINS9_11use_defaultEEENS9_5minusIfEEEE10hipError_tPvRmT2_T3_mT4_P12ihipStream_tbEUlT_E_NS1_11comp_targetILNS1_3genE2ELNS1_11target_archE906ELNS1_3gpuE6ELNS1_3repE0EEENS1_30default_config_static_selectorELNS0_4arch9wavefront6targetE1EEEvT1_: ; @_ZN7rocprim17ROCPRIM_400000_NS6detail17trampoline_kernelINS0_14default_configENS1_35adjacent_difference_config_selectorILb1EfEEZNS1_24adjacent_difference_implIS3_Lb1ELb0EPfN6thrust23THRUST_200600_302600_NS16discard_iteratorINS9_11use_defaultEEENS9_5minusIfEEEE10hipError_tPvRmT2_T3_mT4_P12ihipStream_tbEUlT_E_NS1_11comp_targetILNS1_3genE2ELNS1_11target_archE906ELNS1_3gpuE6ELNS1_3repE0EEENS1_30default_config_static_selectorELNS0_4arch9wavefront6targetE1EEEvT1_
; %bb.0:
	s_load_dwordx4 s[0:3], s[4:5], 0x0
	s_load_dwordx2 s[22:23], s[4:5], 0x20
	s_load_dwordx4 s[8:11], s[4:5], 0x30
	s_mul_i32 s14, s6, 0xb00
	s_mov_b32 s7, 0
	s_waitcnt lgkmcnt(0)
	s_lshl_b64 s[2:3], s[2:3], 2
	s_add_u32 s20, s0, s2
	s_addc_u32 s21, s1, s3
	s_mul_i32 s3, s23, 0xba2e8ba3
	s_mul_hi_u32 s4, s22, 0xba2e8ba3
	s_mul_hi_u32 s2, s23, 0xba2e8ba3
	s_add_u32 s3, s3, s4
	s_mul_i32 s1, s22, 0x2e8ba2e8
	s_addc_u32 s2, s2, 0
	s_mul_hi_u32 s0, s22, 0x2e8ba2e8
	s_add_u32 s1, s1, s3
	s_addc_u32 s0, s0, 0
	s_add_u32 s0, s2, s0
	s_addc_u32 s1, 0, 0
	s_mul_i32 s3, s23, 0x2e8ba2e8
	s_mul_hi_u32 s2, s23, 0x2e8ba2e8
	s_add_u32 s0, s3, s0
	s_addc_u32 s1, s2, s1
	s_lshr_b64 s[2:3], s[0:1], 9
	s_lshr_b32 s0, s1, 9
	s_mulk_i32 s0, 0xb00
	s_mul_hi_u32 s1, s2, 0xb00
	s_add_i32 s1, s1, s0
	s_mul_i32 s0, s2, 0xb00
	s_sub_u32 s0, s22, s0
	s_subb_u32 s1, s23, s1
	s_cmp_lg_u64 s[0:1], 0
	s_cselect_b64 s[0:1], -1, 0
	v_cndmask_b32_e64 v1, 0, 1, s[0:1]
	v_readfirstlane_b32 s0, v1
	s_add_u32 s2, s2, s0
	s_addc_u32 s3, s3, 0
	s_add_u32 s4, s10, s6
	s_addc_u32 s5, s11, 0
	s_add_u32 s12, s2, -1
	s_addc_u32 s13, s3, -1
	v_mov_b32_e32 v1, s12
	v_mov_b32_e32 v2, s13
	v_cmp_ge_u64_e64 s[0:1], s[4:5], v[1:2]
	s_mov_b64 s[16:17], -1
	s_and_b64 vcc, exec, s[0:1]
	s_cbranch_vccz .LBB804_24
; %bb.1:
	s_mul_i32 s23, s12, 0xfffff500
	s_mov_b32 s15, s7
	s_add_i32 s23, s23, s22
	s_lshl_b64 s[16:17], s[14:15], 2
	s_add_u32 s16, s20, s16
	v_mov_b32_e32 v1, 0
	s_addc_u32 s17, s21, s17
	v_cmp_gt_u32_e32 vcc, s23, v0
	v_mov_b32_e32 v2, v1
	v_mov_b32_e32 v3, v1
	;; [unrolled: 1-line block ×10, first 2 shown]
	s_and_saveexec_b64 s[18:19], vcc
	s_cbranch_execz .LBB804_3
; %bb.2:
	v_lshlrev_b32_e32 v2, 2, v0
	global_load_dword v2, v2, s[16:17]
	v_mov_b32_e32 v3, v1
	v_mov_b32_e32 v4, v1
	;; [unrolled: 1-line block ×10, first 2 shown]
	s_waitcnt vmcnt(0)
	v_mov_b32_e32 v1, v2
	v_mov_b32_e32 v2, v3
	;; [unrolled: 1-line block ×11, first 2 shown]
.LBB804_3:
	s_or_b64 exec, exec, s[18:19]
	v_or_b32_e32 v12, 0x100, v0
	v_cmp_gt_u32_e32 vcc, s23, v12
	s_and_saveexec_b64 s[18:19], vcc
	s_cbranch_execz .LBB804_5
; %bb.4:
	v_lshlrev_b32_e32 v2, 2, v0
	global_load_dword v2, v2, s[16:17] offset:1024
.LBB804_5:
	s_or_b64 exec, exec, s[18:19]
	v_or_b32_e32 v12, 0x200, v0
	v_cmp_gt_u32_e32 vcc, s23, v12
	s_and_saveexec_b64 s[18:19], vcc
	s_cbranch_execz .LBB804_7
; %bb.6:
	v_lshlrev_b32_e32 v3, 2, v0
	global_load_dword v3, v3, s[16:17] offset:2048
.LBB804_7:
	;; [unrolled: 9-line block ×3, first 2 shown]
	s_or_b64 exec, exec, s[18:19]
	v_or_b32_e32 v12, 0x400, v0
	v_cmp_gt_u32_e32 vcc, s23, v12
	s_and_saveexec_b64 s[18:19], vcc
	s_cbranch_execz .LBB804_11
; %bb.10:
	v_lshlrev_b32_e32 v5, 2, v12
	global_load_dword v5, v5, s[16:17]
.LBB804_11:
	s_or_b64 exec, exec, s[18:19]
	v_or_b32_e32 v12, 0x500, v0
	v_cmp_gt_u32_e32 vcc, s23, v12
	s_and_saveexec_b64 s[18:19], vcc
	s_cbranch_execz .LBB804_13
; %bb.12:
	v_lshlrev_b32_e32 v6, 2, v12
	global_load_dword v6, v6, s[16:17]
.LBB804_13:
	;; [unrolled: 9-line block ×7, first 2 shown]
	s_or_b64 exec, exec, s[18:19]
	v_lshlrev_b32_e32 v12, 2, v0
	s_mov_b64 s[16:17], 0
	s_waitcnt vmcnt(0)
	ds_write2st64_b32 v12, v1, v2 offset1:4
	ds_write2st64_b32 v12, v3, v4 offset0:8 offset1:12
	ds_write2st64_b32 v12, v5, v6 offset0:16 offset1:20
	;; [unrolled: 1-line block ×4, first 2 shown]
	ds_write_b32 v12, v11 offset:10240
	s_waitcnt lgkmcnt(0)
	s_barrier
.LBB804_24:
	s_and_b64 vcc, exec, s[16:17]
	v_lshlrev_b32_e32 v11, 2, v0
	s_cbranch_vccz .LBB804_26
; %bb.25:
	s_mov_b32 s15, 0
	s_lshl_b64 s[14:15], s[14:15], 2
	s_add_u32 s14, s20, s14
	s_addc_u32 s15, s21, s15
	v_mov_b32_e32 v1, s15
	v_add_co_u32_e32 v3, vcc, s14, v11
	v_addc_co_u32_e32 v4, vcc, 0, v1, vcc
	v_add_co_u32_e32 v1, vcc, 0x1000, v3
	v_addc_co_u32_e32 v2, vcc, 0, v4, vcc
	v_add_co_u32_e32 v3, vcc, 0x2000, v3
	global_load_dword v5, v11, s[14:15] offset:1024
	global_load_dword v6, v11, s[14:15] offset:2048
	;; [unrolled: 1-line block ×3, first 2 shown]
	v_addc_co_u32_e32 v4, vcc, 0, v4, vcc
	global_load_dword v8, v11, s[14:15]
	global_load_dword v9, v[1:2], off
	global_load_dword v10, v[1:2], off offset:1024
	global_load_dword v12, v[1:2], off offset:2048
	;; [unrolled: 1-line block ×3, first 2 shown]
	global_load_dword v14, v[3:4], off
	global_load_dword v15, v[3:4], off offset:1024
	global_load_dword v16, v[3:4], off offset:2048
	s_waitcnt vmcnt(7)
	ds_write2st64_b32 v11, v8, v5 offset1:4
	ds_write2st64_b32 v11, v6, v7 offset0:8 offset1:12
	s_waitcnt vmcnt(5)
	ds_write2st64_b32 v11, v9, v10 offset0:16 offset1:20
	s_waitcnt vmcnt(3)
	;; [unrolled: 2-line block ×4, first 2 shown]
	ds_write_b32 v11, v16 offset:10240
	s_waitcnt lgkmcnt(0)
	s_barrier
.LBB804_26:
	v_mul_u32_u24_e32 v12, 44, v0
	ds_read2_b32 v[1:2], v12 offset1:1
	ds_read2_b32 v[3:4], v12 offset0:2 offset1:3
	ds_read2_b32 v[5:6], v12 offset0:4 offset1:5
	;; [unrolled: 1-line block ×4, first 2 shown]
	ds_read_b32 v12, v12 offset:40
	s_cmp_eq_u64 s[4:5], 0
	s_waitcnt lgkmcnt(0)
	s_barrier
	s_cbranch_scc1 .LBB804_31
; %bb.27:
	s_lshl_b64 s[10:11], s[10:11], 2
	s_add_u32 s8, s8, s10
	s_addc_u32 s9, s9, s11
	s_lshl_b64 s[6:7], s[6:7], 2
	s_add_u32 s6, s8, s6
	s_addc_u32 s7, s9, s7
	s_add_u32 s6, s6, -4
	s_addc_u32 s7, s7, -1
	s_load_dword s8, s[6:7], 0x0
	s_cmp_eq_u64 s[4:5], s[12:13]
	s_cbranch_scc1 .LBB804_32
; %bb.28:
	v_cmp_ne_u32_e32 vcc, 0, v0
	s_waitcnt lgkmcnt(0)
	v_mov_b32_e32 v23, s8
	ds_write_b32 v11, v12
	s_waitcnt lgkmcnt(0)
	s_barrier
	s_and_saveexec_b64 s[6:7], vcc
; %bb.29:
	v_add_u32_e32 v13, -4, v11
	ds_read_b32 v23, v13
; %bb.30:
	s_or_b64 exec, exec, s[6:7]
	v_sub_f32_e32 v13, v12, v10
	v_sub_f32_e32 v14, v10, v9
	;; [unrolled: 1-line block ×10, first 2 shown]
	s_waitcnt lgkmcnt(0)
	v_sub_f32_e32 v23, v1, v23
	s_branch .LBB804_36
.LBB804_31:
                                        ; implicit-def: $vgpr23
                                        ; implicit-def: $vgpr22
                                        ; implicit-def: $vgpr21
                                        ; implicit-def: $vgpr20
                                        ; implicit-def: $vgpr19
                                        ; implicit-def: $vgpr18
                                        ; implicit-def: $vgpr17
                                        ; implicit-def: $vgpr16
                                        ; implicit-def: $vgpr15
                                        ; implicit-def: $vgpr14
                                        ; implicit-def: $vgpr13
	s_branch .LBB804_37
.LBB804_32:
                                        ; implicit-def: $vgpr23
                                        ; implicit-def: $vgpr22
                                        ; implicit-def: $vgpr21
                                        ; implicit-def: $vgpr20
                                        ; implicit-def: $vgpr19
                                        ; implicit-def: $vgpr18
                                        ; implicit-def: $vgpr17
                                        ; implicit-def: $vgpr16
                                        ; implicit-def: $vgpr15
                                        ; implicit-def: $vgpr14
                                        ; implicit-def: $vgpr13
	s_cbranch_execz .LBB804_36
; %bb.33:
	v_mul_u32_u24_e32 v23, 11, v0
	v_cmp_ne_u32_e32 vcc, 0, v0
	s_waitcnt lgkmcnt(0)
	v_mov_b32_e32 v24, s8
	ds_write_b32 v11, v12
	s_waitcnt lgkmcnt(0)
	s_barrier
	s_and_saveexec_b64 s[6:7], vcc
; %bb.34:
	v_add_u32_e32 v13, -4, v11
	ds_read_b32 v24, v13
; %bb.35:
	s_or_b64 exec, exec, s[6:7]
	s_mulk_i32 s4, 0xf500
	s_add_i32 s4, s4, s22
	v_add_u32_e32 v13, 10, v23
	v_sub_f32_e32 v14, v12, v10
	v_cmp_gt_u32_e32 vcc, s4, v13
	v_cndmask_b32_e32 v13, v12, v14, vcc
	v_add_u32_e32 v14, 9, v23
	v_sub_f32_e32 v15, v10, v9
	v_cmp_gt_u32_e32 vcc, s4, v14
	v_cndmask_b32_e32 v14, v10, v15, vcc
	;; [unrolled: 4-line block ×10, first 2 shown]
	s_waitcnt lgkmcnt(0)
	v_sub_f32_e32 v24, v1, v24
	v_cmp_gt_u32_e32 vcc, s4, v23
	v_cndmask_b32_e32 v23, v1, v24, vcc
.LBB804_36:
	s_cbranch_execnz .LBB804_46
.LBB804_37:
	s_cmp_eq_u64 s[2:3], 1
	v_sub_f32_e32 v13, v12, v10
	v_sub_f32_e32 v14, v10, v9
	;; [unrolled: 1-line block ×10, first 2 shown]
	v_cmp_ne_u32_e32 vcc, 0, v0
	s_cbranch_scc1 .LBB804_41
; %bb.38:
	v_mov_b32_e32 v24, 0
	v_mov_b32_e32 v23, v1
	ds_write_b32 v11, v12
	s_waitcnt lgkmcnt(0)
	s_barrier
	s_and_saveexec_b64 s[2:3], vcc
	s_cbranch_execz .LBB804_40
; %bb.39:
	v_add_u32_e32 v23, -4, v11
	ds_read_b32 v23, v23
	v_mov_b32_e32 v24, v0
	s_waitcnt lgkmcnt(0)
	v_sub_f32_e32 v23, v1, v23
.LBB804_40:
	s_or_b64 exec, exec, s[2:3]
	s_cbranch_execz .LBB804_42
	s_branch .LBB804_45
.LBB804_41:
                                        ; implicit-def: $vgpr23
                                        ; implicit-def: $vgpr24
.LBB804_42:
	v_mad_u32_u24 v24, v0, 11, 10
	v_cmp_gt_u32_e32 vcc, s22, v24
	v_mad_u32_u24 v24, v0, 11, 9
	v_cmp_gt_u32_e64 s[2:3], s22, v24
	v_mad_u32_u24 v24, v0, 11, 8
	v_cmp_gt_u32_e64 s[4:5], s22, v24
	;; [unrolled: 2-line block ×3, first 2 shown]
	v_mad_u32_u24 v24, v0, 11, 6
	s_waitcnt lgkmcnt(0)
	v_cmp_gt_u32_e64 s[8:9], s22, v24
	v_mad_u32_u24 v24, v0, 11, 5
	v_cmp_gt_u32_e64 s[10:11], s22, v24
	v_mad_u32_u24 v24, v0, 11, 4
	;; [unrolled: 2-line block ×4, first 2 shown]
	v_mul_u32_u24_e32 v23, 11, v0
	v_cmp_gt_u32_e64 s[16:17], s22, v24
	v_mad_u32_u24 v24, v0, 11, 1
	v_cmp_gt_u32_e64 s[18:19], s22, v24
	v_cmp_ne_u32_e64 s[20:21], 0, v0
	v_cmp_gt_u32_e64 s[22:23], s22, v23
	s_and_b64 s[22:23], s[20:21], s[22:23]
	ds_write_b32 v11, v12
	s_waitcnt lgkmcnt(0)
	s_barrier
	s_and_saveexec_b64 s[20:21], s[22:23]
	s_cbranch_execz .LBB804_44
; %bb.43:
	v_add_u32_e32 v11, -4, v11
	ds_read_b32 v11, v11
	s_waitcnt lgkmcnt(0)
	v_sub_f32_e32 v1, v1, v11
.LBB804_44:
	s_or_b64 exec, exec, s[20:21]
	v_cndmask_b32_e32 v13, v12, v13, vcc
	v_cndmask_b32_e64 v14, v10, v14, s[2:3]
	v_cndmask_b32_e64 v15, v9, v15, s[4:5]
	;; [unrolled: 1-line block ×9, first 2 shown]
	v_mov_b32_e32 v23, v1
	v_mov_b32_e32 v24, v0
.LBB804_45:
	v_mov_b32_e32 v0, v24
.LBB804_46:
	v_mul_u32_u24_e32 v0, 44, v0
	s_mov_b64 s[2:3], -1
	s_and_b64 vcc, exec, s[0:1]
	s_waitcnt lgkmcnt(0)
	s_barrier
	ds_write2_b32 v0, v23, v22 offset1:1
	ds_write2_b32 v0, v21, v20 offset0:2 offset1:3
	ds_write2_b32 v0, v19, v18 offset0:4 offset1:5
	;; [unrolled: 1-line block ×4, first 2 shown]
	ds_write_b32 v0, v13 offset:40
	s_waitcnt lgkmcnt(0)
	s_cbranch_vccnz .LBB804_49
; %bb.47:
	s_andn2_b64 vcc, exec, s[2:3]
	s_cbranch_vccz .LBB804_50
.LBB804_48:
	s_endpgm
.LBB804_49:
	s_barrier
	s_cbranch_execnz .LBB804_48
.LBB804_50:
	s_barrier
	s_endpgm
	.section	.rodata,"a",@progbits
	.p2align	6, 0x0
	.amdhsa_kernel _ZN7rocprim17ROCPRIM_400000_NS6detail17trampoline_kernelINS0_14default_configENS1_35adjacent_difference_config_selectorILb1EfEEZNS1_24adjacent_difference_implIS3_Lb1ELb0EPfN6thrust23THRUST_200600_302600_NS16discard_iteratorINS9_11use_defaultEEENS9_5minusIfEEEE10hipError_tPvRmT2_T3_mT4_P12ihipStream_tbEUlT_E_NS1_11comp_targetILNS1_3genE2ELNS1_11target_archE906ELNS1_3gpuE6ELNS1_3repE0EEENS1_30default_config_static_selectorELNS0_4arch9wavefront6targetE1EEEvT1_
		.amdhsa_group_segment_fixed_size 11264
		.amdhsa_private_segment_fixed_size 0
		.amdhsa_kernarg_size 64
		.amdhsa_user_sgpr_count 6
		.amdhsa_user_sgpr_private_segment_buffer 1
		.amdhsa_user_sgpr_dispatch_ptr 0
		.amdhsa_user_sgpr_queue_ptr 0
		.amdhsa_user_sgpr_kernarg_segment_ptr 1
		.amdhsa_user_sgpr_dispatch_id 0
		.amdhsa_user_sgpr_flat_scratch_init 0
		.amdhsa_user_sgpr_private_segment_size 0
		.amdhsa_uses_dynamic_stack 0
		.amdhsa_system_sgpr_private_segment_wavefront_offset 0
		.amdhsa_system_sgpr_workgroup_id_x 1
		.amdhsa_system_sgpr_workgroup_id_y 0
		.amdhsa_system_sgpr_workgroup_id_z 0
		.amdhsa_system_sgpr_workgroup_info 0
		.amdhsa_system_vgpr_workitem_id 0
		.amdhsa_next_free_vgpr 41
		.amdhsa_next_free_sgpr 98
		.amdhsa_reserve_vcc 1
		.amdhsa_reserve_flat_scratch 0
		.amdhsa_float_round_mode_32 0
		.amdhsa_float_round_mode_16_64 0
		.amdhsa_float_denorm_mode_32 3
		.amdhsa_float_denorm_mode_16_64 3
		.amdhsa_dx10_clamp 1
		.amdhsa_ieee_mode 1
		.amdhsa_fp16_overflow 0
		.amdhsa_exception_fp_ieee_invalid_op 0
		.amdhsa_exception_fp_denorm_src 0
		.amdhsa_exception_fp_ieee_div_zero 0
		.amdhsa_exception_fp_ieee_overflow 0
		.amdhsa_exception_fp_ieee_underflow 0
		.amdhsa_exception_fp_ieee_inexact 0
		.amdhsa_exception_int_div_zero 0
	.end_amdhsa_kernel
	.section	.text._ZN7rocprim17ROCPRIM_400000_NS6detail17trampoline_kernelINS0_14default_configENS1_35adjacent_difference_config_selectorILb1EfEEZNS1_24adjacent_difference_implIS3_Lb1ELb0EPfN6thrust23THRUST_200600_302600_NS16discard_iteratorINS9_11use_defaultEEENS9_5minusIfEEEE10hipError_tPvRmT2_T3_mT4_P12ihipStream_tbEUlT_E_NS1_11comp_targetILNS1_3genE2ELNS1_11target_archE906ELNS1_3gpuE6ELNS1_3repE0EEENS1_30default_config_static_selectorELNS0_4arch9wavefront6targetE1EEEvT1_,"axG",@progbits,_ZN7rocprim17ROCPRIM_400000_NS6detail17trampoline_kernelINS0_14default_configENS1_35adjacent_difference_config_selectorILb1EfEEZNS1_24adjacent_difference_implIS3_Lb1ELb0EPfN6thrust23THRUST_200600_302600_NS16discard_iteratorINS9_11use_defaultEEENS9_5minusIfEEEE10hipError_tPvRmT2_T3_mT4_P12ihipStream_tbEUlT_E_NS1_11comp_targetILNS1_3genE2ELNS1_11target_archE906ELNS1_3gpuE6ELNS1_3repE0EEENS1_30default_config_static_selectorELNS0_4arch9wavefront6targetE1EEEvT1_,comdat
.Lfunc_end804:
	.size	_ZN7rocprim17ROCPRIM_400000_NS6detail17trampoline_kernelINS0_14default_configENS1_35adjacent_difference_config_selectorILb1EfEEZNS1_24adjacent_difference_implIS3_Lb1ELb0EPfN6thrust23THRUST_200600_302600_NS16discard_iteratorINS9_11use_defaultEEENS9_5minusIfEEEE10hipError_tPvRmT2_T3_mT4_P12ihipStream_tbEUlT_E_NS1_11comp_targetILNS1_3genE2ELNS1_11target_archE906ELNS1_3gpuE6ELNS1_3repE0EEENS1_30default_config_static_selectorELNS0_4arch9wavefront6targetE1EEEvT1_, .Lfunc_end804-_ZN7rocprim17ROCPRIM_400000_NS6detail17trampoline_kernelINS0_14default_configENS1_35adjacent_difference_config_selectorILb1EfEEZNS1_24adjacent_difference_implIS3_Lb1ELb0EPfN6thrust23THRUST_200600_302600_NS16discard_iteratorINS9_11use_defaultEEENS9_5minusIfEEEE10hipError_tPvRmT2_T3_mT4_P12ihipStream_tbEUlT_E_NS1_11comp_targetILNS1_3genE2ELNS1_11target_archE906ELNS1_3gpuE6ELNS1_3repE0EEENS1_30default_config_static_selectorELNS0_4arch9wavefront6targetE1EEEvT1_
                                        ; -- End function
	.set _ZN7rocprim17ROCPRIM_400000_NS6detail17trampoline_kernelINS0_14default_configENS1_35adjacent_difference_config_selectorILb1EfEEZNS1_24adjacent_difference_implIS3_Lb1ELb0EPfN6thrust23THRUST_200600_302600_NS16discard_iteratorINS9_11use_defaultEEENS9_5minusIfEEEE10hipError_tPvRmT2_T3_mT4_P12ihipStream_tbEUlT_E_NS1_11comp_targetILNS1_3genE2ELNS1_11target_archE906ELNS1_3gpuE6ELNS1_3repE0EEENS1_30default_config_static_selectorELNS0_4arch9wavefront6targetE1EEEvT1_.num_vgpr, 26
	.set _ZN7rocprim17ROCPRIM_400000_NS6detail17trampoline_kernelINS0_14default_configENS1_35adjacent_difference_config_selectorILb1EfEEZNS1_24adjacent_difference_implIS3_Lb1ELb0EPfN6thrust23THRUST_200600_302600_NS16discard_iteratorINS9_11use_defaultEEENS9_5minusIfEEEE10hipError_tPvRmT2_T3_mT4_P12ihipStream_tbEUlT_E_NS1_11comp_targetILNS1_3genE2ELNS1_11target_archE906ELNS1_3gpuE6ELNS1_3repE0EEENS1_30default_config_static_selectorELNS0_4arch9wavefront6targetE1EEEvT1_.num_agpr, 0
	.set _ZN7rocprim17ROCPRIM_400000_NS6detail17trampoline_kernelINS0_14default_configENS1_35adjacent_difference_config_selectorILb1EfEEZNS1_24adjacent_difference_implIS3_Lb1ELb0EPfN6thrust23THRUST_200600_302600_NS16discard_iteratorINS9_11use_defaultEEENS9_5minusIfEEEE10hipError_tPvRmT2_T3_mT4_P12ihipStream_tbEUlT_E_NS1_11comp_targetILNS1_3genE2ELNS1_11target_archE906ELNS1_3gpuE6ELNS1_3repE0EEENS1_30default_config_static_selectorELNS0_4arch9wavefront6targetE1EEEvT1_.numbered_sgpr, 24
	.set _ZN7rocprim17ROCPRIM_400000_NS6detail17trampoline_kernelINS0_14default_configENS1_35adjacent_difference_config_selectorILb1EfEEZNS1_24adjacent_difference_implIS3_Lb1ELb0EPfN6thrust23THRUST_200600_302600_NS16discard_iteratorINS9_11use_defaultEEENS9_5minusIfEEEE10hipError_tPvRmT2_T3_mT4_P12ihipStream_tbEUlT_E_NS1_11comp_targetILNS1_3genE2ELNS1_11target_archE906ELNS1_3gpuE6ELNS1_3repE0EEENS1_30default_config_static_selectorELNS0_4arch9wavefront6targetE1EEEvT1_.num_named_barrier, 0
	.set _ZN7rocprim17ROCPRIM_400000_NS6detail17trampoline_kernelINS0_14default_configENS1_35adjacent_difference_config_selectorILb1EfEEZNS1_24adjacent_difference_implIS3_Lb1ELb0EPfN6thrust23THRUST_200600_302600_NS16discard_iteratorINS9_11use_defaultEEENS9_5minusIfEEEE10hipError_tPvRmT2_T3_mT4_P12ihipStream_tbEUlT_E_NS1_11comp_targetILNS1_3genE2ELNS1_11target_archE906ELNS1_3gpuE6ELNS1_3repE0EEENS1_30default_config_static_selectorELNS0_4arch9wavefront6targetE1EEEvT1_.private_seg_size, 0
	.set _ZN7rocprim17ROCPRIM_400000_NS6detail17trampoline_kernelINS0_14default_configENS1_35adjacent_difference_config_selectorILb1EfEEZNS1_24adjacent_difference_implIS3_Lb1ELb0EPfN6thrust23THRUST_200600_302600_NS16discard_iteratorINS9_11use_defaultEEENS9_5minusIfEEEE10hipError_tPvRmT2_T3_mT4_P12ihipStream_tbEUlT_E_NS1_11comp_targetILNS1_3genE2ELNS1_11target_archE906ELNS1_3gpuE6ELNS1_3repE0EEENS1_30default_config_static_selectorELNS0_4arch9wavefront6targetE1EEEvT1_.uses_vcc, 1
	.set _ZN7rocprim17ROCPRIM_400000_NS6detail17trampoline_kernelINS0_14default_configENS1_35adjacent_difference_config_selectorILb1EfEEZNS1_24adjacent_difference_implIS3_Lb1ELb0EPfN6thrust23THRUST_200600_302600_NS16discard_iteratorINS9_11use_defaultEEENS9_5minusIfEEEE10hipError_tPvRmT2_T3_mT4_P12ihipStream_tbEUlT_E_NS1_11comp_targetILNS1_3genE2ELNS1_11target_archE906ELNS1_3gpuE6ELNS1_3repE0EEENS1_30default_config_static_selectorELNS0_4arch9wavefront6targetE1EEEvT1_.uses_flat_scratch, 0
	.set _ZN7rocprim17ROCPRIM_400000_NS6detail17trampoline_kernelINS0_14default_configENS1_35adjacent_difference_config_selectorILb1EfEEZNS1_24adjacent_difference_implIS3_Lb1ELb0EPfN6thrust23THRUST_200600_302600_NS16discard_iteratorINS9_11use_defaultEEENS9_5minusIfEEEE10hipError_tPvRmT2_T3_mT4_P12ihipStream_tbEUlT_E_NS1_11comp_targetILNS1_3genE2ELNS1_11target_archE906ELNS1_3gpuE6ELNS1_3repE0EEENS1_30default_config_static_selectorELNS0_4arch9wavefront6targetE1EEEvT1_.has_dyn_sized_stack, 0
	.set _ZN7rocprim17ROCPRIM_400000_NS6detail17trampoline_kernelINS0_14default_configENS1_35adjacent_difference_config_selectorILb1EfEEZNS1_24adjacent_difference_implIS3_Lb1ELb0EPfN6thrust23THRUST_200600_302600_NS16discard_iteratorINS9_11use_defaultEEENS9_5minusIfEEEE10hipError_tPvRmT2_T3_mT4_P12ihipStream_tbEUlT_E_NS1_11comp_targetILNS1_3genE2ELNS1_11target_archE906ELNS1_3gpuE6ELNS1_3repE0EEENS1_30default_config_static_selectorELNS0_4arch9wavefront6targetE1EEEvT1_.has_recursion, 0
	.set _ZN7rocprim17ROCPRIM_400000_NS6detail17trampoline_kernelINS0_14default_configENS1_35adjacent_difference_config_selectorILb1EfEEZNS1_24adjacent_difference_implIS3_Lb1ELb0EPfN6thrust23THRUST_200600_302600_NS16discard_iteratorINS9_11use_defaultEEENS9_5minusIfEEEE10hipError_tPvRmT2_T3_mT4_P12ihipStream_tbEUlT_E_NS1_11comp_targetILNS1_3genE2ELNS1_11target_archE906ELNS1_3gpuE6ELNS1_3repE0EEENS1_30default_config_static_selectorELNS0_4arch9wavefront6targetE1EEEvT1_.has_indirect_call, 0
	.section	.AMDGPU.csdata,"",@progbits
; Kernel info:
; codeLenInByte = 2104
; TotalNumSgprs: 28
; NumVgprs: 26
; ScratchSize: 0
; MemoryBound: 0
; FloatMode: 240
; IeeeMode: 1
; LDSByteSize: 11264 bytes/workgroup (compile time only)
; SGPRBlocks: 12
; VGPRBlocks: 10
; NumSGPRsForWavesPerEU: 102
; NumVGPRsForWavesPerEU: 41
; Occupancy: 5
; WaveLimiterHint : 1
; COMPUTE_PGM_RSRC2:SCRATCH_EN: 0
; COMPUTE_PGM_RSRC2:USER_SGPR: 6
; COMPUTE_PGM_RSRC2:TRAP_HANDLER: 0
; COMPUTE_PGM_RSRC2:TGID_X_EN: 1
; COMPUTE_PGM_RSRC2:TGID_Y_EN: 0
; COMPUTE_PGM_RSRC2:TGID_Z_EN: 0
; COMPUTE_PGM_RSRC2:TIDIG_COMP_CNT: 0
	.section	.text._ZN7rocprim17ROCPRIM_400000_NS6detail17trampoline_kernelINS0_14default_configENS1_35adjacent_difference_config_selectorILb1EfEEZNS1_24adjacent_difference_implIS3_Lb1ELb0EPfN6thrust23THRUST_200600_302600_NS16discard_iteratorINS9_11use_defaultEEENS9_5minusIfEEEE10hipError_tPvRmT2_T3_mT4_P12ihipStream_tbEUlT_E_NS1_11comp_targetILNS1_3genE9ELNS1_11target_archE1100ELNS1_3gpuE3ELNS1_3repE0EEENS1_30default_config_static_selectorELNS0_4arch9wavefront6targetE1EEEvT1_,"axG",@progbits,_ZN7rocprim17ROCPRIM_400000_NS6detail17trampoline_kernelINS0_14default_configENS1_35adjacent_difference_config_selectorILb1EfEEZNS1_24adjacent_difference_implIS3_Lb1ELb0EPfN6thrust23THRUST_200600_302600_NS16discard_iteratorINS9_11use_defaultEEENS9_5minusIfEEEE10hipError_tPvRmT2_T3_mT4_P12ihipStream_tbEUlT_E_NS1_11comp_targetILNS1_3genE9ELNS1_11target_archE1100ELNS1_3gpuE3ELNS1_3repE0EEENS1_30default_config_static_selectorELNS0_4arch9wavefront6targetE1EEEvT1_,comdat
	.protected	_ZN7rocprim17ROCPRIM_400000_NS6detail17trampoline_kernelINS0_14default_configENS1_35adjacent_difference_config_selectorILb1EfEEZNS1_24adjacent_difference_implIS3_Lb1ELb0EPfN6thrust23THRUST_200600_302600_NS16discard_iteratorINS9_11use_defaultEEENS9_5minusIfEEEE10hipError_tPvRmT2_T3_mT4_P12ihipStream_tbEUlT_E_NS1_11comp_targetILNS1_3genE9ELNS1_11target_archE1100ELNS1_3gpuE3ELNS1_3repE0EEENS1_30default_config_static_selectorELNS0_4arch9wavefront6targetE1EEEvT1_ ; -- Begin function _ZN7rocprim17ROCPRIM_400000_NS6detail17trampoline_kernelINS0_14default_configENS1_35adjacent_difference_config_selectorILb1EfEEZNS1_24adjacent_difference_implIS3_Lb1ELb0EPfN6thrust23THRUST_200600_302600_NS16discard_iteratorINS9_11use_defaultEEENS9_5minusIfEEEE10hipError_tPvRmT2_T3_mT4_P12ihipStream_tbEUlT_E_NS1_11comp_targetILNS1_3genE9ELNS1_11target_archE1100ELNS1_3gpuE3ELNS1_3repE0EEENS1_30default_config_static_selectorELNS0_4arch9wavefront6targetE1EEEvT1_
	.globl	_ZN7rocprim17ROCPRIM_400000_NS6detail17trampoline_kernelINS0_14default_configENS1_35adjacent_difference_config_selectorILb1EfEEZNS1_24adjacent_difference_implIS3_Lb1ELb0EPfN6thrust23THRUST_200600_302600_NS16discard_iteratorINS9_11use_defaultEEENS9_5minusIfEEEE10hipError_tPvRmT2_T3_mT4_P12ihipStream_tbEUlT_E_NS1_11comp_targetILNS1_3genE9ELNS1_11target_archE1100ELNS1_3gpuE3ELNS1_3repE0EEENS1_30default_config_static_selectorELNS0_4arch9wavefront6targetE1EEEvT1_
	.p2align	8
	.type	_ZN7rocprim17ROCPRIM_400000_NS6detail17trampoline_kernelINS0_14default_configENS1_35adjacent_difference_config_selectorILb1EfEEZNS1_24adjacent_difference_implIS3_Lb1ELb0EPfN6thrust23THRUST_200600_302600_NS16discard_iteratorINS9_11use_defaultEEENS9_5minusIfEEEE10hipError_tPvRmT2_T3_mT4_P12ihipStream_tbEUlT_E_NS1_11comp_targetILNS1_3genE9ELNS1_11target_archE1100ELNS1_3gpuE3ELNS1_3repE0EEENS1_30default_config_static_selectorELNS0_4arch9wavefront6targetE1EEEvT1_,@function
_ZN7rocprim17ROCPRIM_400000_NS6detail17trampoline_kernelINS0_14default_configENS1_35adjacent_difference_config_selectorILb1EfEEZNS1_24adjacent_difference_implIS3_Lb1ELb0EPfN6thrust23THRUST_200600_302600_NS16discard_iteratorINS9_11use_defaultEEENS9_5minusIfEEEE10hipError_tPvRmT2_T3_mT4_P12ihipStream_tbEUlT_E_NS1_11comp_targetILNS1_3genE9ELNS1_11target_archE1100ELNS1_3gpuE3ELNS1_3repE0EEENS1_30default_config_static_selectorELNS0_4arch9wavefront6targetE1EEEvT1_: ; @_ZN7rocprim17ROCPRIM_400000_NS6detail17trampoline_kernelINS0_14default_configENS1_35adjacent_difference_config_selectorILb1EfEEZNS1_24adjacent_difference_implIS3_Lb1ELb0EPfN6thrust23THRUST_200600_302600_NS16discard_iteratorINS9_11use_defaultEEENS9_5minusIfEEEE10hipError_tPvRmT2_T3_mT4_P12ihipStream_tbEUlT_E_NS1_11comp_targetILNS1_3genE9ELNS1_11target_archE1100ELNS1_3gpuE3ELNS1_3repE0EEENS1_30default_config_static_selectorELNS0_4arch9wavefront6targetE1EEEvT1_
; %bb.0:
	.section	.rodata,"a",@progbits
	.p2align	6, 0x0
	.amdhsa_kernel _ZN7rocprim17ROCPRIM_400000_NS6detail17trampoline_kernelINS0_14default_configENS1_35adjacent_difference_config_selectorILb1EfEEZNS1_24adjacent_difference_implIS3_Lb1ELb0EPfN6thrust23THRUST_200600_302600_NS16discard_iteratorINS9_11use_defaultEEENS9_5minusIfEEEE10hipError_tPvRmT2_T3_mT4_P12ihipStream_tbEUlT_E_NS1_11comp_targetILNS1_3genE9ELNS1_11target_archE1100ELNS1_3gpuE3ELNS1_3repE0EEENS1_30default_config_static_selectorELNS0_4arch9wavefront6targetE1EEEvT1_
		.amdhsa_group_segment_fixed_size 0
		.amdhsa_private_segment_fixed_size 0
		.amdhsa_kernarg_size 64
		.amdhsa_user_sgpr_count 6
		.amdhsa_user_sgpr_private_segment_buffer 1
		.amdhsa_user_sgpr_dispatch_ptr 0
		.amdhsa_user_sgpr_queue_ptr 0
		.amdhsa_user_sgpr_kernarg_segment_ptr 1
		.amdhsa_user_sgpr_dispatch_id 0
		.amdhsa_user_sgpr_flat_scratch_init 0
		.amdhsa_user_sgpr_private_segment_size 0
		.amdhsa_uses_dynamic_stack 0
		.amdhsa_system_sgpr_private_segment_wavefront_offset 0
		.amdhsa_system_sgpr_workgroup_id_x 1
		.amdhsa_system_sgpr_workgroup_id_y 0
		.amdhsa_system_sgpr_workgroup_id_z 0
		.amdhsa_system_sgpr_workgroup_info 0
		.amdhsa_system_vgpr_workitem_id 0
		.amdhsa_next_free_vgpr 1
		.amdhsa_next_free_sgpr 0
		.amdhsa_reserve_vcc 0
		.amdhsa_reserve_flat_scratch 0
		.amdhsa_float_round_mode_32 0
		.amdhsa_float_round_mode_16_64 0
		.amdhsa_float_denorm_mode_32 3
		.amdhsa_float_denorm_mode_16_64 3
		.amdhsa_dx10_clamp 1
		.amdhsa_ieee_mode 1
		.amdhsa_fp16_overflow 0
		.amdhsa_exception_fp_ieee_invalid_op 0
		.amdhsa_exception_fp_denorm_src 0
		.amdhsa_exception_fp_ieee_div_zero 0
		.amdhsa_exception_fp_ieee_overflow 0
		.amdhsa_exception_fp_ieee_underflow 0
		.amdhsa_exception_fp_ieee_inexact 0
		.amdhsa_exception_int_div_zero 0
	.end_amdhsa_kernel
	.section	.text._ZN7rocprim17ROCPRIM_400000_NS6detail17trampoline_kernelINS0_14default_configENS1_35adjacent_difference_config_selectorILb1EfEEZNS1_24adjacent_difference_implIS3_Lb1ELb0EPfN6thrust23THRUST_200600_302600_NS16discard_iteratorINS9_11use_defaultEEENS9_5minusIfEEEE10hipError_tPvRmT2_T3_mT4_P12ihipStream_tbEUlT_E_NS1_11comp_targetILNS1_3genE9ELNS1_11target_archE1100ELNS1_3gpuE3ELNS1_3repE0EEENS1_30default_config_static_selectorELNS0_4arch9wavefront6targetE1EEEvT1_,"axG",@progbits,_ZN7rocprim17ROCPRIM_400000_NS6detail17trampoline_kernelINS0_14default_configENS1_35adjacent_difference_config_selectorILb1EfEEZNS1_24adjacent_difference_implIS3_Lb1ELb0EPfN6thrust23THRUST_200600_302600_NS16discard_iteratorINS9_11use_defaultEEENS9_5minusIfEEEE10hipError_tPvRmT2_T3_mT4_P12ihipStream_tbEUlT_E_NS1_11comp_targetILNS1_3genE9ELNS1_11target_archE1100ELNS1_3gpuE3ELNS1_3repE0EEENS1_30default_config_static_selectorELNS0_4arch9wavefront6targetE1EEEvT1_,comdat
.Lfunc_end805:
	.size	_ZN7rocprim17ROCPRIM_400000_NS6detail17trampoline_kernelINS0_14default_configENS1_35adjacent_difference_config_selectorILb1EfEEZNS1_24adjacent_difference_implIS3_Lb1ELb0EPfN6thrust23THRUST_200600_302600_NS16discard_iteratorINS9_11use_defaultEEENS9_5minusIfEEEE10hipError_tPvRmT2_T3_mT4_P12ihipStream_tbEUlT_E_NS1_11comp_targetILNS1_3genE9ELNS1_11target_archE1100ELNS1_3gpuE3ELNS1_3repE0EEENS1_30default_config_static_selectorELNS0_4arch9wavefront6targetE1EEEvT1_, .Lfunc_end805-_ZN7rocprim17ROCPRIM_400000_NS6detail17trampoline_kernelINS0_14default_configENS1_35adjacent_difference_config_selectorILb1EfEEZNS1_24adjacent_difference_implIS3_Lb1ELb0EPfN6thrust23THRUST_200600_302600_NS16discard_iteratorINS9_11use_defaultEEENS9_5minusIfEEEE10hipError_tPvRmT2_T3_mT4_P12ihipStream_tbEUlT_E_NS1_11comp_targetILNS1_3genE9ELNS1_11target_archE1100ELNS1_3gpuE3ELNS1_3repE0EEENS1_30default_config_static_selectorELNS0_4arch9wavefront6targetE1EEEvT1_
                                        ; -- End function
	.set _ZN7rocprim17ROCPRIM_400000_NS6detail17trampoline_kernelINS0_14default_configENS1_35adjacent_difference_config_selectorILb1EfEEZNS1_24adjacent_difference_implIS3_Lb1ELb0EPfN6thrust23THRUST_200600_302600_NS16discard_iteratorINS9_11use_defaultEEENS9_5minusIfEEEE10hipError_tPvRmT2_T3_mT4_P12ihipStream_tbEUlT_E_NS1_11comp_targetILNS1_3genE9ELNS1_11target_archE1100ELNS1_3gpuE3ELNS1_3repE0EEENS1_30default_config_static_selectorELNS0_4arch9wavefront6targetE1EEEvT1_.num_vgpr, 0
	.set _ZN7rocprim17ROCPRIM_400000_NS6detail17trampoline_kernelINS0_14default_configENS1_35adjacent_difference_config_selectorILb1EfEEZNS1_24adjacent_difference_implIS3_Lb1ELb0EPfN6thrust23THRUST_200600_302600_NS16discard_iteratorINS9_11use_defaultEEENS9_5minusIfEEEE10hipError_tPvRmT2_T3_mT4_P12ihipStream_tbEUlT_E_NS1_11comp_targetILNS1_3genE9ELNS1_11target_archE1100ELNS1_3gpuE3ELNS1_3repE0EEENS1_30default_config_static_selectorELNS0_4arch9wavefront6targetE1EEEvT1_.num_agpr, 0
	.set _ZN7rocprim17ROCPRIM_400000_NS6detail17trampoline_kernelINS0_14default_configENS1_35adjacent_difference_config_selectorILb1EfEEZNS1_24adjacent_difference_implIS3_Lb1ELb0EPfN6thrust23THRUST_200600_302600_NS16discard_iteratorINS9_11use_defaultEEENS9_5minusIfEEEE10hipError_tPvRmT2_T3_mT4_P12ihipStream_tbEUlT_E_NS1_11comp_targetILNS1_3genE9ELNS1_11target_archE1100ELNS1_3gpuE3ELNS1_3repE0EEENS1_30default_config_static_selectorELNS0_4arch9wavefront6targetE1EEEvT1_.numbered_sgpr, 0
	.set _ZN7rocprim17ROCPRIM_400000_NS6detail17trampoline_kernelINS0_14default_configENS1_35adjacent_difference_config_selectorILb1EfEEZNS1_24adjacent_difference_implIS3_Lb1ELb0EPfN6thrust23THRUST_200600_302600_NS16discard_iteratorINS9_11use_defaultEEENS9_5minusIfEEEE10hipError_tPvRmT2_T3_mT4_P12ihipStream_tbEUlT_E_NS1_11comp_targetILNS1_3genE9ELNS1_11target_archE1100ELNS1_3gpuE3ELNS1_3repE0EEENS1_30default_config_static_selectorELNS0_4arch9wavefront6targetE1EEEvT1_.num_named_barrier, 0
	.set _ZN7rocprim17ROCPRIM_400000_NS6detail17trampoline_kernelINS0_14default_configENS1_35adjacent_difference_config_selectorILb1EfEEZNS1_24adjacent_difference_implIS3_Lb1ELb0EPfN6thrust23THRUST_200600_302600_NS16discard_iteratorINS9_11use_defaultEEENS9_5minusIfEEEE10hipError_tPvRmT2_T3_mT4_P12ihipStream_tbEUlT_E_NS1_11comp_targetILNS1_3genE9ELNS1_11target_archE1100ELNS1_3gpuE3ELNS1_3repE0EEENS1_30default_config_static_selectorELNS0_4arch9wavefront6targetE1EEEvT1_.private_seg_size, 0
	.set _ZN7rocprim17ROCPRIM_400000_NS6detail17trampoline_kernelINS0_14default_configENS1_35adjacent_difference_config_selectorILb1EfEEZNS1_24adjacent_difference_implIS3_Lb1ELb0EPfN6thrust23THRUST_200600_302600_NS16discard_iteratorINS9_11use_defaultEEENS9_5minusIfEEEE10hipError_tPvRmT2_T3_mT4_P12ihipStream_tbEUlT_E_NS1_11comp_targetILNS1_3genE9ELNS1_11target_archE1100ELNS1_3gpuE3ELNS1_3repE0EEENS1_30default_config_static_selectorELNS0_4arch9wavefront6targetE1EEEvT1_.uses_vcc, 0
	.set _ZN7rocprim17ROCPRIM_400000_NS6detail17trampoline_kernelINS0_14default_configENS1_35adjacent_difference_config_selectorILb1EfEEZNS1_24adjacent_difference_implIS3_Lb1ELb0EPfN6thrust23THRUST_200600_302600_NS16discard_iteratorINS9_11use_defaultEEENS9_5minusIfEEEE10hipError_tPvRmT2_T3_mT4_P12ihipStream_tbEUlT_E_NS1_11comp_targetILNS1_3genE9ELNS1_11target_archE1100ELNS1_3gpuE3ELNS1_3repE0EEENS1_30default_config_static_selectorELNS0_4arch9wavefront6targetE1EEEvT1_.uses_flat_scratch, 0
	.set _ZN7rocprim17ROCPRIM_400000_NS6detail17trampoline_kernelINS0_14default_configENS1_35adjacent_difference_config_selectorILb1EfEEZNS1_24adjacent_difference_implIS3_Lb1ELb0EPfN6thrust23THRUST_200600_302600_NS16discard_iteratorINS9_11use_defaultEEENS9_5minusIfEEEE10hipError_tPvRmT2_T3_mT4_P12ihipStream_tbEUlT_E_NS1_11comp_targetILNS1_3genE9ELNS1_11target_archE1100ELNS1_3gpuE3ELNS1_3repE0EEENS1_30default_config_static_selectorELNS0_4arch9wavefront6targetE1EEEvT1_.has_dyn_sized_stack, 0
	.set _ZN7rocprim17ROCPRIM_400000_NS6detail17trampoline_kernelINS0_14default_configENS1_35adjacent_difference_config_selectorILb1EfEEZNS1_24adjacent_difference_implIS3_Lb1ELb0EPfN6thrust23THRUST_200600_302600_NS16discard_iteratorINS9_11use_defaultEEENS9_5minusIfEEEE10hipError_tPvRmT2_T3_mT4_P12ihipStream_tbEUlT_E_NS1_11comp_targetILNS1_3genE9ELNS1_11target_archE1100ELNS1_3gpuE3ELNS1_3repE0EEENS1_30default_config_static_selectorELNS0_4arch9wavefront6targetE1EEEvT1_.has_recursion, 0
	.set _ZN7rocprim17ROCPRIM_400000_NS6detail17trampoline_kernelINS0_14default_configENS1_35adjacent_difference_config_selectorILb1EfEEZNS1_24adjacent_difference_implIS3_Lb1ELb0EPfN6thrust23THRUST_200600_302600_NS16discard_iteratorINS9_11use_defaultEEENS9_5minusIfEEEE10hipError_tPvRmT2_T3_mT4_P12ihipStream_tbEUlT_E_NS1_11comp_targetILNS1_3genE9ELNS1_11target_archE1100ELNS1_3gpuE3ELNS1_3repE0EEENS1_30default_config_static_selectorELNS0_4arch9wavefront6targetE1EEEvT1_.has_indirect_call, 0
	.section	.AMDGPU.csdata,"",@progbits
; Kernel info:
; codeLenInByte = 0
; TotalNumSgprs: 4
; NumVgprs: 0
; ScratchSize: 0
; MemoryBound: 0
; FloatMode: 240
; IeeeMode: 1
; LDSByteSize: 0 bytes/workgroup (compile time only)
; SGPRBlocks: 0
; VGPRBlocks: 0
; NumSGPRsForWavesPerEU: 4
; NumVGPRsForWavesPerEU: 1
; Occupancy: 10
; WaveLimiterHint : 0
; COMPUTE_PGM_RSRC2:SCRATCH_EN: 0
; COMPUTE_PGM_RSRC2:USER_SGPR: 6
; COMPUTE_PGM_RSRC2:TRAP_HANDLER: 0
; COMPUTE_PGM_RSRC2:TGID_X_EN: 1
; COMPUTE_PGM_RSRC2:TGID_Y_EN: 0
; COMPUTE_PGM_RSRC2:TGID_Z_EN: 0
; COMPUTE_PGM_RSRC2:TIDIG_COMP_CNT: 0
	.section	.text._ZN7rocprim17ROCPRIM_400000_NS6detail17trampoline_kernelINS0_14default_configENS1_35adjacent_difference_config_selectorILb1EfEEZNS1_24adjacent_difference_implIS3_Lb1ELb0EPfN6thrust23THRUST_200600_302600_NS16discard_iteratorINS9_11use_defaultEEENS9_5minusIfEEEE10hipError_tPvRmT2_T3_mT4_P12ihipStream_tbEUlT_E_NS1_11comp_targetILNS1_3genE8ELNS1_11target_archE1030ELNS1_3gpuE2ELNS1_3repE0EEENS1_30default_config_static_selectorELNS0_4arch9wavefront6targetE1EEEvT1_,"axG",@progbits,_ZN7rocprim17ROCPRIM_400000_NS6detail17trampoline_kernelINS0_14default_configENS1_35adjacent_difference_config_selectorILb1EfEEZNS1_24adjacent_difference_implIS3_Lb1ELb0EPfN6thrust23THRUST_200600_302600_NS16discard_iteratorINS9_11use_defaultEEENS9_5minusIfEEEE10hipError_tPvRmT2_T3_mT4_P12ihipStream_tbEUlT_E_NS1_11comp_targetILNS1_3genE8ELNS1_11target_archE1030ELNS1_3gpuE2ELNS1_3repE0EEENS1_30default_config_static_selectorELNS0_4arch9wavefront6targetE1EEEvT1_,comdat
	.protected	_ZN7rocprim17ROCPRIM_400000_NS6detail17trampoline_kernelINS0_14default_configENS1_35adjacent_difference_config_selectorILb1EfEEZNS1_24adjacent_difference_implIS3_Lb1ELb0EPfN6thrust23THRUST_200600_302600_NS16discard_iteratorINS9_11use_defaultEEENS9_5minusIfEEEE10hipError_tPvRmT2_T3_mT4_P12ihipStream_tbEUlT_E_NS1_11comp_targetILNS1_3genE8ELNS1_11target_archE1030ELNS1_3gpuE2ELNS1_3repE0EEENS1_30default_config_static_selectorELNS0_4arch9wavefront6targetE1EEEvT1_ ; -- Begin function _ZN7rocprim17ROCPRIM_400000_NS6detail17trampoline_kernelINS0_14default_configENS1_35adjacent_difference_config_selectorILb1EfEEZNS1_24adjacent_difference_implIS3_Lb1ELb0EPfN6thrust23THRUST_200600_302600_NS16discard_iteratorINS9_11use_defaultEEENS9_5minusIfEEEE10hipError_tPvRmT2_T3_mT4_P12ihipStream_tbEUlT_E_NS1_11comp_targetILNS1_3genE8ELNS1_11target_archE1030ELNS1_3gpuE2ELNS1_3repE0EEENS1_30default_config_static_selectorELNS0_4arch9wavefront6targetE1EEEvT1_
	.globl	_ZN7rocprim17ROCPRIM_400000_NS6detail17trampoline_kernelINS0_14default_configENS1_35adjacent_difference_config_selectorILb1EfEEZNS1_24adjacent_difference_implIS3_Lb1ELb0EPfN6thrust23THRUST_200600_302600_NS16discard_iteratorINS9_11use_defaultEEENS9_5minusIfEEEE10hipError_tPvRmT2_T3_mT4_P12ihipStream_tbEUlT_E_NS1_11comp_targetILNS1_3genE8ELNS1_11target_archE1030ELNS1_3gpuE2ELNS1_3repE0EEENS1_30default_config_static_selectorELNS0_4arch9wavefront6targetE1EEEvT1_
	.p2align	8
	.type	_ZN7rocprim17ROCPRIM_400000_NS6detail17trampoline_kernelINS0_14default_configENS1_35adjacent_difference_config_selectorILb1EfEEZNS1_24adjacent_difference_implIS3_Lb1ELb0EPfN6thrust23THRUST_200600_302600_NS16discard_iteratorINS9_11use_defaultEEENS9_5minusIfEEEE10hipError_tPvRmT2_T3_mT4_P12ihipStream_tbEUlT_E_NS1_11comp_targetILNS1_3genE8ELNS1_11target_archE1030ELNS1_3gpuE2ELNS1_3repE0EEENS1_30default_config_static_selectorELNS0_4arch9wavefront6targetE1EEEvT1_,@function
_ZN7rocprim17ROCPRIM_400000_NS6detail17trampoline_kernelINS0_14default_configENS1_35adjacent_difference_config_selectorILb1EfEEZNS1_24adjacent_difference_implIS3_Lb1ELb0EPfN6thrust23THRUST_200600_302600_NS16discard_iteratorINS9_11use_defaultEEENS9_5minusIfEEEE10hipError_tPvRmT2_T3_mT4_P12ihipStream_tbEUlT_E_NS1_11comp_targetILNS1_3genE8ELNS1_11target_archE1030ELNS1_3gpuE2ELNS1_3repE0EEENS1_30default_config_static_selectorELNS0_4arch9wavefront6targetE1EEEvT1_: ; @_ZN7rocprim17ROCPRIM_400000_NS6detail17trampoline_kernelINS0_14default_configENS1_35adjacent_difference_config_selectorILb1EfEEZNS1_24adjacent_difference_implIS3_Lb1ELb0EPfN6thrust23THRUST_200600_302600_NS16discard_iteratorINS9_11use_defaultEEENS9_5minusIfEEEE10hipError_tPvRmT2_T3_mT4_P12ihipStream_tbEUlT_E_NS1_11comp_targetILNS1_3genE8ELNS1_11target_archE1030ELNS1_3gpuE2ELNS1_3repE0EEENS1_30default_config_static_selectorELNS0_4arch9wavefront6targetE1EEEvT1_
; %bb.0:
	.section	.rodata,"a",@progbits
	.p2align	6, 0x0
	.amdhsa_kernel _ZN7rocprim17ROCPRIM_400000_NS6detail17trampoline_kernelINS0_14default_configENS1_35adjacent_difference_config_selectorILb1EfEEZNS1_24adjacent_difference_implIS3_Lb1ELb0EPfN6thrust23THRUST_200600_302600_NS16discard_iteratorINS9_11use_defaultEEENS9_5minusIfEEEE10hipError_tPvRmT2_T3_mT4_P12ihipStream_tbEUlT_E_NS1_11comp_targetILNS1_3genE8ELNS1_11target_archE1030ELNS1_3gpuE2ELNS1_3repE0EEENS1_30default_config_static_selectorELNS0_4arch9wavefront6targetE1EEEvT1_
		.amdhsa_group_segment_fixed_size 0
		.amdhsa_private_segment_fixed_size 0
		.amdhsa_kernarg_size 64
		.amdhsa_user_sgpr_count 6
		.amdhsa_user_sgpr_private_segment_buffer 1
		.amdhsa_user_sgpr_dispatch_ptr 0
		.amdhsa_user_sgpr_queue_ptr 0
		.amdhsa_user_sgpr_kernarg_segment_ptr 1
		.amdhsa_user_sgpr_dispatch_id 0
		.amdhsa_user_sgpr_flat_scratch_init 0
		.amdhsa_user_sgpr_private_segment_size 0
		.amdhsa_uses_dynamic_stack 0
		.amdhsa_system_sgpr_private_segment_wavefront_offset 0
		.amdhsa_system_sgpr_workgroup_id_x 1
		.amdhsa_system_sgpr_workgroup_id_y 0
		.amdhsa_system_sgpr_workgroup_id_z 0
		.amdhsa_system_sgpr_workgroup_info 0
		.amdhsa_system_vgpr_workitem_id 0
		.amdhsa_next_free_vgpr 1
		.amdhsa_next_free_sgpr 0
		.amdhsa_reserve_vcc 0
		.amdhsa_reserve_flat_scratch 0
		.amdhsa_float_round_mode_32 0
		.amdhsa_float_round_mode_16_64 0
		.amdhsa_float_denorm_mode_32 3
		.amdhsa_float_denorm_mode_16_64 3
		.amdhsa_dx10_clamp 1
		.amdhsa_ieee_mode 1
		.amdhsa_fp16_overflow 0
		.amdhsa_exception_fp_ieee_invalid_op 0
		.amdhsa_exception_fp_denorm_src 0
		.amdhsa_exception_fp_ieee_div_zero 0
		.amdhsa_exception_fp_ieee_overflow 0
		.amdhsa_exception_fp_ieee_underflow 0
		.amdhsa_exception_fp_ieee_inexact 0
		.amdhsa_exception_int_div_zero 0
	.end_amdhsa_kernel
	.section	.text._ZN7rocprim17ROCPRIM_400000_NS6detail17trampoline_kernelINS0_14default_configENS1_35adjacent_difference_config_selectorILb1EfEEZNS1_24adjacent_difference_implIS3_Lb1ELb0EPfN6thrust23THRUST_200600_302600_NS16discard_iteratorINS9_11use_defaultEEENS9_5minusIfEEEE10hipError_tPvRmT2_T3_mT4_P12ihipStream_tbEUlT_E_NS1_11comp_targetILNS1_3genE8ELNS1_11target_archE1030ELNS1_3gpuE2ELNS1_3repE0EEENS1_30default_config_static_selectorELNS0_4arch9wavefront6targetE1EEEvT1_,"axG",@progbits,_ZN7rocprim17ROCPRIM_400000_NS6detail17trampoline_kernelINS0_14default_configENS1_35adjacent_difference_config_selectorILb1EfEEZNS1_24adjacent_difference_implIS3_Lb1ELb0EPfN6thrust23THRUST_200600_302600_NS16discard_iteratorINS9_11use_defaultEEENS9_5minusIfEEEE10hipError_tPvRmT2_T3_mT4_P12ihipStream_tbEUlT_E_NS1_11comp_targetILNS1_3genE8ELNS1_11target_archE1030ELNS1_3gpuE2ELNS1_3repE0EEENS1_30default_config_static_selectorELNS0_4arch9wavefront6targetE1EEEvT1_,comdat
.Lfunc_end806:
	.size	_ZN7rocprim17ROCPRIM_400000_NS6detail17trampoline_kernelINS0_14default_configENS1_35adjacent_difference_config_selectorILb1EfEEZNS1_24adjacent_difference_implIS3_Lb1ELb0EPfN6thrust23THRUST_200600_302600_NS16discard_iteratorINS9_11use_defaultEEENS9_5minusIfEEEE10hipError_tPvRmT2_T3_mT4_P12ihipStream_tbEUlT_E_NS1_11comp_targetILNS1_3genE8ELNS1_11target_archE1030ELNS1_3gpuE2ELNS1_3repE0EEENS1_30default_config_static_selectorELNS0_4arch9wavefront6targetE1EEEvT1_, .Lfunc_end806-_ZN7rocprim17ROCPRIM_400000_NS6detail17trampoline_kernelINS0_14default_configENS1_35adjacent_difference_config_selectorILb1EfEEZNS1_24adjacent_difference_implIS3_Lb1ELb0EPfN6thrust23THRUST_200600_302600_NS16discard_iteratorINS9_11use_defaultEEENS9_5minusIfEEEE10hipError_tPvRmT2_T3_mT4_P12ihipStream_tbEUlT_E_NS1_11comp_targetILNS1_3genE8ELNS1_11target_archE1030ELNS1_3gpuE2ELNS1_3repE0EEENS1_30default_config_static_selectorELNS0_4arch9wavefront6targetE1EEEvT1_
                                        ; -- End function
	.set _ZN7rocprim17ROCPRIM_400000_NS6detail17trampoline_kernelINS0_14default_configENS1_35adjacent_difference_config_selectorILb1EfEEZNS1_24adjacent_difference_implIS3_Lb1ELb0EPfN6thrust23THRUST_200600_302600_NS16discard_iteratorINS9_11use_defaultEEENS9_5minusIfEEEE10hipError_tPvRmT2_T3_mT4_P12ihipStream_tbEUlT_E_NS1_11comp_targetILNS1_3genE8ELNS1_11target_archE1030ELNS1_3gpuE2ELNS1_3repE0EEENS1_30default_config_static_selectorELNS0_4arch9wavefront6targetE1EEEvT1_.num_vgpr, 0
	.set _ZN7rocprim17ROCPRIM_400000_NS6detail17trampoline_kernelINS0_14default_configENS1_35adjacent_difference_config_selectorILb1EfEEZNS1_24adjacent_difference_implIS3_Lb1ELb0EPfN6thrust23THRUST_200600_302600_NS16discard_iteratorINS9_11use_defaultEEENS9_5minusIfEEEE10hipError_tPvRmT2_T3_mT4_P12ihipStream_tbEUlT_E_NS1_11comp_targetILNS1_3genE8ELNS1_11target_archE1030ELNS1_3gpuE2ELNS1_3repE0EEENS1_30default_config_static_selectorELNS0_4arch9wavefront6targetE1EEEvT1_.num_agpr, 0
	.set _ZN7rocprim17ROCPRIM_400000_NS6detail17trampoline_kernelINS0_14default_configENS1_35adjacent_difference_config_selectorILb1EfEEZNS1_24adjacent_difference_implIS3_Lb1ELb0EPfN6thrust23THRUST_200600_302600_NS16discard_iteratorINS9_11use_defaultEEENS9_5minusIfEEEE10hipError_tPvRmT2_T3_mT4_P12ihipStream_tbEUlT_E_NS1_11comp_targetILNS1_3genE8ELNS1_11target_archE1030ELNS1_3gpuE2ELNS1_3repE0EEENS1_30default_config_static_selectorELNS0_4arch9wavefront6targetE1EEEvT1_.numbered_sgpr, 0
	.set _ZN7rocprim17ROCPRIM_400000_NS6detail17trampoline_kernelINS0_14default_configENS1_35adjacent_difference_config_selectorILb1EfEEZNS1_24adjacent_difference_implIS3_Lb1ELb0EPfN6thrust23THRUST_200600_302600_NS16discard_iteratorINS9_11use_defaultEEENS9_5minusIfEEEE10hipError_tPvRmT2_T3_mT4_P12ihipStream_tbEUlT_E_NS1_11comp_targetILNS1_3genE8ELNS1_11target_archE1030ELNS1_3gpuE2ELNS1_3repE0EEENS1_30default_config_static_selectorELNS0_4arch9wavefront6targetE1EEEvT1_.num_named_barrier, 0
	.set _ZN7rocprim17ROCPRIM_400000_NS6detail17trampoline_kernelINS0_14default_configENS1_35adjacent_difference_config_selectorILb1EfEEZNS1_24adjacent_difference_implIS3_Lb1ELb0EPfN6thrust23THRUST_200600_302600_NS16discard_iteratorINS9_11use_defaultEEENS9_5minusIfEEEE10hipError_tPvRmT2_T3_mT4_P12ihipStream_tbEUlT_E_NS1_11comp_targetILNS1_3genE8ELNS1_11target_archE1030ELNS1_3gpuE2ELNS1_3repE0EEENS1_30default_config_static_selectorELNS0_4arch9wavefront6targetE1EEEvT1_.private_seg_size, 0
	.set _ZN7rocprim17ROCPRIM_400000_NS6detail17trampoline_kernelINS0_14default_configENS1_35adjacent_difference_config_selectorILb1EfEEZNS1_24adjacent_difference_implIS3_Lb1ELb0EPfN6thrust23THRUST_200600_302600_NS16discard_iteratorINS9_11use_defaultEEENS9_5minusIfEEEE10hipError_tPvRmT2_T3_mT4_P12ihipStream_tbEUlT_E_NS1_11comp_targetILNS1_3genE8ELNS1_11target_archE1030ELNS1_3gpuE2ELNS1_3repE0EEENS1_30default_config_static_selectorELNS0_4arch9wavefront6targetE1EEEvT1_.uses_vcc, 0
	.set _ZN7rocprim17ROCPRIM_400000_NS6detail17trampoline_kernelINS0_14default_configENS1_35adjacent_difference_config_selectorILb1EfEEZNS1_24adjacent_difference_implIS3_Lb1ELb0EPfN6thrust23THRUST_200600_302600_NS16discard_iteratorINS9_11use_defaultEEENS9_5minusIfEEEE10hipError_tPvRmT2_T3_mT4_P12ihipStream_tbEUlT_E_NS1_11comp_targetILNS1_3genE8ELNS1_11target_archE1030ELNS1_3gpuE2ELNS1_3repE0EEENS1_30default_config_static_selectorELNS0_4arch9wavefront6targetE1EEEvT1_.uses_flat_scratch, 0
	.set _ZN7rocprim17ROCPRIM_400000_NS6detail17trampoline_kernelINS0_14default_configENS1_35adjacent_difference_config_selectorILb1EfEEZNS1_24adjacent_difference_implIS3_Lb1ELb0EPfN6thrust23THRUST_200600_302600_NS16discard_iteratorINS9_11use_defaultEEENS9_5minusIfEEEE10hipError_tPvRmT2_T3_mT4_P12ihipStream_tbEUlT_E_NS1_11comp_targetILNS1_3genE8ELNS1_11target_archE1030ELNS1_3gpuE2ELNS1_3repE0EEENS1_30default_config_static_selectorELNS0_4arch9wavefront6targetE1EEEvT1_.has_dyn_sized_stack, 0
	.set _ZN7rocprim17ROCPRIM_400000_NS6detail17trampoline_kernelINS0_14default_configENS1_35adjacent_difference_config_selectorILb1EfEEZNS1_24adjacent_difference_implIS3_Lb1ELb0EPfN6thrust23THRUST_200600_302600_NS16discard_iteratorINS9_11use_defaultEEENS9_5minusIfEEEE10hipError_tPvRmT2_T3_mT4_P12ihipStream_tbEUlT_E_NS1_11comp_targetILNS1_3genE8ELNS1_11target_archE1030ELNS1_3gpuE2ELNS1_3repE0EEENS1_30default_config_static_selectorELNS0_4arch9wavefront6targetE1EEEvT1_.has_recursion, 0
	.set _ZN7rocprim17ROCPRIM_400000_NS6detail17trampoline_kernelINS0_14default_configENS1_35adjacent_difference_config_selectorILb1EfEEZNS1_24adjacent_difference_implIS3_Lb1ELb0EPfN6thrust23THRUST_200600_302600_NS16discard_iteratorINS9_11use_defaultEEENS9_5minusIfEEEE10hipError_tPvRmT2_T3_mT4_P12ihipStream_tbEUlT_E_NS1_11comp_targetILNS1_3genE8ELNS1_11target_archE1030ELNS1_3gpuE2ELNS1_3repE0EEENS1_30default_config_static_selectorELNS0_4arch9wavefront6targetE1EEEvT1_.has_indirect_call, 0
	.section	.AMDGPU.csdata,"",@progbits
; Kernel info:
; codeLenInByte = 0
; TotalNumSgprs: 4
; NumVgprs: 0
; ScratchSize: 0
; MemoryBound: 0
; FloatMode: 240
; IeeeMode: 1
; LDSByteSize: 0 bytes/workgroup (compile time only)
; SGPRBlocks: 0
; VGPRBlocks: 0
; NumSGPRsForWavesPerEU: 4
; NumVGPRsForWavesPerEU: 1
; Occupancy: 10
; WaveLimiterHint : 0
; COMPUTE_PGM_RSRC2:SCRATCH_EN: 0
; COMPUTE_PGM_RSRC2:USER_SGPR: 6
; COMPUTE_PGM_RSRC2:TRAP_HANDLER: 0
; COMPUTE_PGM_RSRC2:TGID_X_EN: 1
; COMPUTE_PGM_RSRC2:TGID_Y_EN: 0
; COMPUTE_PGM_RSRC2:TGID_Z_EN: 0
; COMPUTE_PGM_RSRC2:TIDIG_COMP_CNT: 0
	.section	.text._ZN7rocprim17ROCPRIM_400000_NS6detail17trampoline_kernelINS0_14default_configENS1_25transform_config_selectorIyLb0EEEZNS1_14transform_implILb0ES3_S5_NS0_18transform_iteratorINS0_17counting_iteratorImlEEZNS1_24adjacent_difference_implIS3_Lb1ELb0EPyN6thrust23THRUST_200600_302600_NS16discard_iteratorINSD_11use_defaultEEENSD_5minusIyEEEE10hipError_tPvRmT2_T3_mT4_P12ihipStream_tbEUlmE_yEESB_NS0_8identityIvEEEESJ_SM_SN_mSO_SQ_bEUlT_E_NS1_11comp_targetILNS1_3genE0ELNS1_11target_archE4294967295ELNS1_3gpuE0ELNS1_3repE0EEENS1_30default_config_static_selectorELNS0_4arch9wavefront6targetE1EEEvT1_,"axG",@progbits,_ZN7rocprim17ROCPRIM_400000_NS6detail17trampoline_kernelINS0_14default_configENS1_25transform_config_selectorIyLb0EEEZNS1_14transform_implILb0ES3_S5_NS0_18transform_iteratorINS0_17counting_iteratorImlEEZNS1_24adjacent_difference_implIS3_Lb1ELb0EPyN6thrust23THRUST_200600_302600_NS16discard_iteratorINSD_11use_defaultEEENSD_5minusIyEEEE10hipError_tPvRmT2_T3_mT4_P12ihipStream_tbEUlmE_yEESB_NS0_8identityIvEEEESJ_SM_SN_mSO_SQ_bEUlT_E_NS1_11comp_targetILNS1_3genE0ELNS1_11target_archE4294967295ELNS1_3gpuE0ELNS1_3repE0EEENS1_30default_config_static_selectorELNS0_4arch9wavefront6targetE1EEEvT1_,comdat
	.protected	_ZN7rocprim17ROCPRIM_400000_NS6detail17trampoline_kernelINS0_14default_configENS1_25transform_config_selectorIyLb0EEEZNS1_14transform_implILb0ES3_S5_NS0_18transform_iteratorINS0_17counting_iteratorImlEEZNS1_24adjacent_difference_implIS3_Lb1ELb0EPyN6thrust23THRUST_200600_302600_NS16discard_iteratorINSD_11use_defaultEEENSD_5minusIyEEEE10hipError_tPvRmT2_T3_mT4_P12ihipStream_tbEUlmE_yEESB_NS0_8identityIvEEEESJ_SM_SN_mSO_SQ_bEUlT_E_NS1_11comp_targetILNS1_3genE0ELNS1_11target_archE4294967295ELNS1_3gpuE0ELNS1_3repE0EEENS1_30default_config_static_selectorELNS0_4arch9wavefront6targetE1EEEvT1_ ; -- Begin function _ZN7rocprim17ROCPRIM_400000_NS6detail17trampoline_kernelINS0_14default_configENS1_25transform_config_selectorIyLb0EEEZNS1_14transform_implILb0ES3_S5_NS0_18transform_iteratorINS0_17counting_iteratorImlEEZNS1_24adjacent_difference_implIS3_Lb1ELb0EPyN6thrust23THRUST_200600_302600_NS16discard_iteratorINSD_11use_defaultEEENSD_5minusIyEEEE10hipError_tPvRmT2_T3_mT4_P12ihipStream_tbEUlmE_yEESB_NS0_8identityIvEEEESJ_SM_SN_mSO_SQ_bEUlT_E_NS1_11comp_targetILNS1_3genE0ELNS1_11target_archE4294967295ELNS1_3gpuE0ELNS1_3repE0EEENS1_30default_config_static_selectorELNS0_4arch9wavefront6targetE1EEEvT1_
	.globl	_ZN7rocprim17ROCPRIM_400000_NS6detail17trampoline_kernelINS0_14default_configENS1_25transform_config_selectorIyLb0EEEZNS1_14transform_implILb0ES3_S5_NS0_18transform_iteratorINS0_17counting_iteratorImlEEZNS1_24adjacent_difference_implIS3_Lb1ELb0EPyN6thrust23THRUST_200600_302600_NS16discard_iteratorINSD_11use_defaultEEENSD_5minusIyEEEE10hipError_tPvRmT2_T3_mT4_P12ihipStream_tbEUlmE_yEESB_NS0_8identityIvEEEESJ_SM_SN_mSO_SQ_bEUlT_E_NS1_11comp_targetILNS1_3genE0ELNS1_11target_archE4294967295ELNS1_3gpuE0ELNS1_3repE0EEENS1_30default_config_static_selectorELNS0_4arch9wavefront6targetE1EEEvT1_
	.p2align	8
	.type	_ZN7rocprim17ROCPRIM_400000_NS6detail17trampoline_kernelINS0_14default_configENS1_25transform_config_selectorIyLb0EEEZNS1_14transform_implILb0ES3_S5_NS0_18transform_iteratorINS0_17counting_iteratorImlEEZNS1_24adjacent_difference_implIS3_Lb1ELb0EPyN6thrust23THRUST_200600_302600_NS16discard_iteratorINSD_11use_defaultEEENSD_5minusIyEEEE10hipError_tPvRmT2_T3_mT4_P12ihipStream_tbEUlmE_yEESB_NS0_8identityIvEEEESJ_SM_SN_mSO_SQ_bEUlT_E_NS1_11comp_targetILNS1_3genE0ELNS1_11target_archE4294967295ELNS1_3gpuE0ELNS1_3repE0EEENS1_30default_config_static_selectorELNS0_4arch9wavefront6targetE1EEEvT1_,@function
_ZN7rocprim17ROCPRIM_400000_NS6detail17trampoline_kernelINS0_14default_configENS1_25transform_config_selectorIyLb0EEEZNS1_14transform_implILb0ES3_S5_NS0_18transform_iteratorINS0_17counting_iteratorImlEEZNS1_24adjacent_difference_implIS3_Lb1ELb0EPyN6thrust23THRUST_200600_302600_NS16discard_iteratorINSD_11use_defaultEEENSD_5minusIyEEEE10hipError_tPvRmT2_T3_mT4_P12ihipStream_tbEUlmE_yEESB_NS0_8identityIvEEEESJ_SM_SN_mSO_SQ_bEUlT_E_NS1_11comp_targetILNS1_3genE0ELNS1_11target_archE4294967295ELNS1_3gpuE0ELNS1_3repE0EEENS1_30default_config_static_selectorELNS0_4arch9wavefront6targetE1EEEvT1_: ; @_ZN7rocprim17ROCPRIM_400000_NS6detail17trampoline_kernelINS0_14default_configENS1_25transform_config_selectorIyLb0EEEZNS1_14transform_implILb0ES3_S5_NS0_18transform_iteratorINS0_17counting_iteratorImlEEZNS1_24adjacent_difference_implIS3_Lb1ELb0EPyN6thrust23THRUST_200600_302600_NS16discard_iteratorINSD_11use_defaultEEENSD_5minusIyEEEE10hipError_tPvRmT2_T3_mT4_P12ihipStream_tbEUlmE_yEESB_NS0_8identityIvEEEESJ_SM_SN_mSO_SQ_bEUlT_E_NS1_11comp_targetILNS1_3genE0ELNS1_11target_archE4294967295ELNS1_3gpuE0ELNS1_3repE0EEENS1_30default_config_static_selectorELNS0_4arch9wavefront6targetE1EEEvT1_
; %bb.0:
	.section	.rodata,"a",@progbits
	.p2align	6, 0x0
	.amdhsa_kernel _ZN7rocprim17ROCPRIM_400000_NS6detail17trampoline_kernelINS0_14default_configENS1_25transform_config_selectorIyLb0EEEZNS1_14transform_implILb0ES3_S5_NS0_18transform_iteratorINS0_17counting_iteratorImlEEZNS1_24adjacent_difference_implIS3_Lb1ELb0EPyN6thrust23THRUST_200600_302600_NS16discard_iteratorINSD_11use_defaultEEENSD_5minusIyEEEE10hipError_tPvRmT2_T3_mT4_P12ihipStream_tbEUlmE_yEESB_NS0_8identityIvEEEESJ_SM_SN_mSO_SQ_bEUlT_E_NS1_11comp_targetILNS1_3genE0ELNS1_11target_archE4294967295ELNS1_3gpuE0ELNS1_3repE0EEENS1_30default_config_static_selectorELNS0_4arch9wavefront6targetE1EEEvT1_
		.amdhsa_group_segment_fixed_size 0
		.amdhsa_private_segment_fixed_size 0
		.amdhsa_kernarg_size 56
		.amdhsa_user_sgpr_count 6
		.amdhsa_user_sgpr_private_segment_buffer 1
		.amdhsa_user_sgpr_dispatch_ptr 0
		.amdhsa_user_sgpr_queue_ptr 0
		.amdhsa_user_sgpr_kernarg_segment_ptr 1
		.amdhsa_user_sgpr_dispatch_id 0
		.amdhsa_user_sgpr_flat_scratch_init 0
		.amdhsa_user_sgpr_private_segment_size 0
		.amdhsa_uses_dynamic_stack 0
		.amdhsa_system_sgpr_private_segment_wavefront_offset 0
		.amdhsa_system_sgpr_workgroup_id_x 1
		.amdhsa_system_sgpr_workgroup_id_y 0
		.amdhsa_system_sgpr_workgroup_id_z 0
		.amdhsa_system_sgpr_workgroup_info 0
		.amdhsa_system_vgpr_workitem_id 0
		.amdhsa_next_free_vgpr 1
		.amdhsa_next_free_sgpr 0
		.amdhsa_reserve_vcc 0
		.amdhsa_reserve_flat_scratch 0
		.amdhsa_float_round_mode_32 0
		.amdhsa_float_round_mode_16_64 0
		.amdhsa_float_denorm_mode_32 3
		.amdhsa_float_denorm_mode_16_64 3
		.amdhsa_dx10_clamp 1
		.amdhsa_ieee_mode 1
		.amdhsa_fp16_overflow 0
		.amdhsa_exception_fp_ieee_invalid_op 0
		.amdhsa_exception_fp_denorm_src 0
		.amdhsa_exception_fp_ieee_div_zero 0
		.amdhsa_exception_fp_ieee_overflow 0
		.amdhsa_exception_fp_ieee_underflow 0
		.amdhsa_exception_fp_ieee_inexact 0
		.amdhsa_exception_int_div_zero 0
	.end_amdhsa_kernel
	.section	.text._ZN7rocprim17ROCPRIM_400000_NS6detail17trampoline_kernelINS0_14default_configENS1_25transform_config_selectorIyLb0EEEZNS1_14transform_implILb0ES3_S5_NS0_18transform_iteratorINS0_17counting_iteratorImlEEZNS1_24adjacent_difference_implIS3_Lb1ELb0EPyN6thrust23THRUST_200600_302600_NS16discard_iteratorINSD_11use_defaultEEENSD_5minusIyEEEE10hipError_tPvRmT2_T3_mT4_P12ihipStream_tbEUlmE_yEESB_NS0_8identityIvEEEESJ_SM_SN_mSO_SQ_bEUlT_E_NS1_11comp_targetILNS1_3genE0ELNS1_11target_archE4294967295ELNS1_3gpuE0ELNS1_3repE0EEENS1_30default_config_static_selectorELNS0_4arch9wavefront6targetE1EEEvT1_,"axG",@progbits,_ZN7rocprim17ROCPRIM_400000_NS6detail17trampoline_kernelINS0_14default_configENS1_25transform_config_selectorIyLb0EEEZNS1_14transform_implILb0ES3_S5_NS0_18transform_iteratorINS0_17counting_iteratorImlEEZNS1_24adjacent_difference_implIS3_Lb1ELb0EPyN6thrust23THRUST_200600_302600_NS16discard_iteratorINSD_11use_defaultEEENSD_5minusIyEEEE10hipError_tPvRmT2_T3_mT4_P12ihipStream_tbEUlmE_yEESB_NS0_8identityIvEEEESJ_SM_SN_mSO_SQ_bEUlT_E_NS1_11comp_targetILNS1_3genE0ELNS1_11target_archE4294967295ELNS1_3gpuE0ELNS1_3repE0EEENS1_30default_config_static_selectorELNS0_4arch9wavefront6targetE1EEEvT1_,comdat
.Lfunc_end807:
	.size	_ZN7rocprim17ROCPRIM_400000_NS6detail17trampoline_kernelINS0_14default_configENS1_25transform_config_selectorIyLb0EEEZNS1_14transform_implILb0ES3_S5_NS0_18transform_iteratorINS0_17counting_iteratorImlEEZNS1_24adjacent_difference_implIS3_Lb1ELb0EPyN6thrust23THRUST_200600_302600_NS16discard_iteratorINSD_11use_defaultEEENSD_5minusIyEEEE10hipError_tPvRmT2_T3_mT4_P12ihipStream_tbEUlmE_yEESB_NS0_8identityIvEEEESJ_SM_SN_mSO_SQ_bEUlT_E_NS1_11comp_targetILNS1_3genE0ELNS1_11target_archE4294967295ELNS1_3gpuE0ELNS1_3repE0EEENS1_30default_config_static_selectorELNS0_4arch9wavefront6targetE1EEEvT1_, .Lfunc_end807-_ZN7rocprim17ROCPRIM_400000_NS6detail17trampoline_kernelINS0_14default_configENS1_25transform_config_selectorIyLb0EEEZNS1_14transform_implILb0ES3_S5_NS0_18transform_iteratorINS0_17counting_iteratorImlEEZNS1_24adjacent_difference_implIS3_Lb1ELb0EPyN6thrust23THRUST_200600_302600_NS16discard_iteratorINSD_11use_defaultEEENSD_5minusIyEEEE10hipError_tPvRmT2_T3_mT4_P12ihipStream_tbEUlmE_yEESB_NS0_8identityIvEEEESJ_SM_SN_mSO_SQ_bEUlT_E_NS1_11comp_targetILNS1_3genE0ELNS1_11target_archE4294967295ELNS1_3gpuE0ELNS1_3repE0EEENS1_30default_config_static_selectorELNS0_4arch9wavefront6targetE1EEEvT1_
                                        ; -- End function
	.set _ZN7rocprim17ROCPRIM_400000_NS6detail17trampoline_kernelINS0_14default_configENS1_25transform_config_selectorIyLb0EEEZNS1_14transform_implILb0ES3_S5_NS0_18transform_iteratorINS0_17counting_iteratorImlEEZNS1_24adjacent_difference_implIS3_Lb1ELb0EPyN6thrust23THRUST_200600_302600_NS16discard_iteratorINSD_11use_defaultEEENSD_5minusIyEEEE10hipError_tPvRmT2_T3_mT4_P12ihipStream_tbEUlmE_yEESB_NS0_8identityIvEEEESJ_SM_SN_mSO_SQ_bEUlT_E_NS1_11comp_targetILNS1_3genE0ELNS1_11target_archE4294967295ELNS1_3gpuE0ELNS1_3repE0EEENS1_30default_config_static_selectorELNS0_4arch9wavefront6targetE1EEEvT1_.num_vgpr, 0
	.set _ZN7rocprim17ROCPRIM_400000_NS6detail17trampoline_kernelINS0_14default_configENS1_25transform_config_selectorIyLb0EEEZNS1_14transform_implILb0ES3_S5_NS0_18transform_iteratorINS0_17counting_iteratorImlEEZNS1_24adjacent_difference_implIS3_Lb1ELb0EPyN6thrust23THRUST_200600_302600_NS16discard_iteratorINSD_11use_defaultEEENSD_5minusIyEEEE10hipError_tPvRmT2_T3_mT4_P12ihipStream_tbEUlmE_yEESB_NS0_8identityIvEEEESJ_SM_SN_mSO_SQ_bEUlT_E_NS1_11comp_targetILNS1_3genE0ELNS1_11target_archE4294967295ELNS1_3gpuE0ELNS1_3repE0EEENS1_30default_config_static_selectorELNS0_4arch9wavefront6targetE1EEEvT1_.num_agpr, 0
	.set _ZN7rocprim17ROCPRIM_400000_NS6detail17trampoline_kernelINS0_14default_configENS1_25transform_config_selectorIyLb0EEEZNS1_14transform_implILb0ES3_S5_NS0_18transform_iteratorINS0_17counting_iteratorImlEEZNS1_24adjacent_difference_implIS3_Lb1ELb0EPyN6thrust23THRUST_200600_302600_NS16discard_iteratorINSD_11use_defaultEEENSD_5minusIyEEEE10hipError_tPvRmT2_T3_mT4_P12ihipStream_tbEUlmE_yEESB_NS0_8identityIvEEEESJ_SM_SN_mSO_SQ_bEUlT_E_NS1_11comp_targetILNS1_3genE0ELNS1_11target_archE4294967295ELNS1_3gpuE0ELNS1_3repE0EEENS1_30default_config_static_selectorELNS0_4arch9wavefront6targetE1EEEvT1_.numbered_sgpr, 0
	.set _ZN7rocprim17ROCPRIM_400000_NS6detail17trampoline_kernelINS0_14default_configENS1_25transform_config_selectorIyLb0EEEZNS1_14transform_implILb0ES3_S5_NS0_18transform_iteratorINS0_17counting_iteratorImlEEZNS1_24adjacent_difference_implIS3_Lb1ELb0EPyN6thrust23THRUST_200600_302600_NS16discard_iteratorINSD_11use_defaultEEENSD_5minusIyEEEE10hipError_tPvRmT2_T3_mT4_P12ihipStream_tbEUlmE_yEESB_NS0_8identityIvEEEESJ_SM_SN_mSO_SQ_bEUlT_E_NS1_11comp_targetILNS1_3genE0ELNS1_11target_archE4294967295ELNS1_3gpuE0ELNS1_3repE0EEENS1_30default_config_static_selectorELNS0_4arch9wavefront6targetE1EEEvT1_.num_named_barrier, 0
	.set _ZN7rocprim17ROCPRIM_400000_NS6detail17trampoline_kernelINS0_14default_configENS1_25transform_config_selectorIyLb0EEEZNS1_14transform_implILb0ES3_S5_NS0_18transform_iteratorINS0_17counting_iteratorImlEEZNS1_24adjacent_difference_implIS3_Lb1ELb0EPyN6thrust23THRUST_200600_302600_NS16discard_iteratorINSD_11use_defaultEEENSD_5minusIyEEEE10hipError_tPvRmT2_T3_mT4_P12ihipStream_tbEUlmE_yEESB_NS0_8identityIvEEEESJ_SM_SN_mSO_SQ_bEUlT_E_NS1_11comp_targetILNS1_3genE0ELNS1_11target_archE4294967295ELNS1_3gpuE0ELNS1_3repE0EEENS1_30default_config_static_selectorELNS0_4arch9wavefront6targetE1EEEvT1_.private_seg_size, 0
	.set _ZN7rocprim17ROCPRIM_400000_NS6detail17trampoline_kernelINS0_14default_configENS1_25transform_config_selectorIyLb0EEEZNS1_14transform_implILb0ES3_S5_NS0_18transform_iteratorINS0_17counting_iteratorImlEEZNS1_24adjacent_difference_implIS3_Lb1ELb0EPyN6thrust23THRUST_200600_302600_NS16discard_iteratorINSD_11use_defaultEEENSD_5minusIyEEEE10hipError_tPvRmT2_T3_mT4_P12ihipStream_tbEUlmE_yEESB_NS0_8identityIvEEEESJ_SM_SN_mSO_SQ_bEUlT_E_NS1_11comp_targetILNS1_3genE0ELNS1_11target_archE4294967295ELNS1_3gpuE0ELNS1_3repE0EEENS1_30default_config_static_selectorELNS0_4arch9wavefront6targetE1EEEvT1_.uses_vcc, 0
	.set _ZN7rocprim17ROCPRIM_400000_NS6detail17trampoline_kernelINS0_14default_configENS1_25transform_config_selectorIyLb0EEEZNS1_14transform_implILb0ES3_S5_NS0_18transform_iteratorINS0_17counting_iteratorImlEEZNS1_24adjacent_difference_implIS3_Lb1ELb0EPyN6thrust23THRUST_200600_302600_NS16discard_iteratorINSD_11use_defaultEEENSD_5minusIyEEEE10hipError_tPvRmT2_T3_mT4_P12ihipStream_tbEUlmE_yEESB_NS0_8identityIvEEEESJ_SM_SN_mSO_SQ_bEUlT_E_NS1_11comp_targetILNS1_3genE0ELNS1_11target_archE4294967295ELNS1_3gpuE0ELNS1_3repE0EEENS1_30default_config_static_selectorELNS0_4arch9wavefront6targetE1EEEvT1_.uses_flat_scratch, 0
	.set _ZN7rocprim17ROCPRIM_400000_NS6detail17trampoline_kernelINS0_14default_configENS1_25transform_config_selectorIyLb0EEEZNS1_14transform_implILb0ES3_S5_NS0_18transform_iteratorINS0_17counting_iteratorImlEEZNS1_24adjacent_difference_implIS3_Lb1ELb0EPyN6thrust23THRUST_200600_302600_NS16discard_iteratorINSD_11use_defaultEEENSD_5minusIyEEEE10hipError_tPvRmT2_T3_mT4_P12ihipStream_tbEUlmE_yEESB_NS0_8identityIvEEEESJ_SM_SN_mSO_SQ_bEUlT_E_NS1_11comp_targetILNS1_3genE0ELNS1_11target_archE4294967295ELNS1_3gpuE0ELNS1_3repE0EEENS1_30default_config_static_selectorELNS0_4arch9wavefront6targetE1EEEvT1_.has_dyn_sized_stack, 0
	.set _ZN7rocprim17ROCPRIM_400000_NS6detail17trampoline_kernelINS0_14default_configENS1_25transform_config_selectorIyLb0EEEZNS1_14transform_implILb0ES3_S5_NS0_18transform_iteratorINS0_17counting_iteratorImlEEZNS1_24adjacent_difference_implIS3_Lb1ELb0EPyN6thrust23THRUST_200600_302600_NS16discard_iteratorINSD_11use_defaultEEENSD_5minusIyEEEE10hipError_tPvRmT2_T3_mT4_P12ihipStream_tbEUlmE_yEESB_NS0_8identityIvEEEESJ_SM_SN_mSO_SQ_bEUlT_E_NS1_11comp_targetILNS1_3genE0ELNS1_11target_archE4294967295ELNS1_3gpuE0ELNS1_3repE0EEENS1_30default_config_static_selectorELNS0_4arch9wavefront6targetE1EEEvT1_.has_recursion, 0
	.set _ZN7rocprim17ROCPRIM_400000_NS6detail17trampoline_kernelINS0_14default_configENS1_25transform_config_selectorIyLb0EEEZNS1_14transform_implILb0ES3_S5_NS0_18transform_iteratorINS0_17counting_iteratorImlEEZNS1_24adjacent_difference_implIS3_Lb1ELb0EPyN6thrust23THRUST_200600_302600_NS16discard_iteratorINSD_11use_defaultEEENSD_5minusIyEEEE10hipError_tPvRmT2_T3_mT4_P12ihipStream_tbEUlmE_yEESB_NS0_8identityIvEEEESJ_SM_SN_mSO_SQ_bEUlT_E_NS1_11comp_targetILNS1_3genE0ELNS1_11target_archE4294967295ELNS1_3gpuE0ELNS1_3repE0EEENS1_30default_config_static_selectorELNS0_4arch9wavefront6targetE1EEEvT1_.has_indirect_call, 0
	.section	.AMDGPU.csdata,"",@progbits
; Kernel info:
; codeLenInByte = 0
; TotalNumSgprs: 4
; NumVgprs: 0
; ScratchSize: 0
; MemoryBound: 0
; FloatMode: 240
; IeeeMode: 1
; LDSByteSize: 0 bytes/workgroup (compile time only)
; SGPRBlocks: 0
; VGPRBlocks: 0
; NumSGPRsForWavesPerEU: 4
; NumVGPRsForWavesPerEU: 1
; Occupancy: 10
; WaveLimiterHint : 0
; COMPUTE_PGM_RSRC2:SCRATCH_EN: 0
; COMPUTE_PGM_RSRC2:USER_SGPR: 6
; COMPUTE_PGM_RSRC2:TRAP_HANDLER: 0
; COMPUTE_PGM_RSRC2:TGID_X_EN: 1
; COMPUTE_PGM_RSRC2:TGID_Y_EN: 0
; COMPUTE_PGM_RSRC2:TGID_Z_EN: 0
; COMPUTE_PGM_RSRC2:TIDIG_COMP_CNT: 0
	.section	.text._ZN7rocprim17ROCPRIM_400000_NS6detail17trampoline_kernelINS0_14default_configENS1_25transform_config_selectorIyLb0EEEZNS1_14transform_implILb0ES3_S5_NS0_18transform_iteratorINS0_17counting_iteratorImlEEZNS1_24adjacent_difference_implIS3_Lb1ELb0EPyN6thrust23THRUST_200600_302600_NS16discard_iteratorINSD_11use_defaultEEENSD_5minusIyEEEE10hipError_tPvRmT2_T3_mT4_P12ihipStream_tbEUlmE_yEESB_NS0_8identityIvEEEESJ_SM_SN_mSO_SQ_bEUlT_E_NS1_11comp_targetILNS1_3genE5ELNS1_11target_archE942ELNS1_3gpuE9ELNS1_3repE0EEENS1_30default_config_static_selectorELNS0_4arch9wavefront6targetE1EEEvT1_,"axG",@progbits,_ZN7rocprim17ROCPRIM_400000_NS6detail17trampoline_kernelINS0_14default_configENS1_25transform_config_selectorIyLb0EEEZNS1_14transform_implILb0ES3_S5_NS0_18transform_iteratorINS0_17counting_iteratorImlEEZNS1_24adjacent_difference_implIS3_Lb1ELb0EPyN6thrust23THRUST_200600_302600_NS16discard_iteratorINSD_11use_defaultEEENSD_5minusIyEEEE10hipError_tPvRmT2_T3_mT4_P12ihipStream_tbEUlmE_yEESB_NS0_8identityIvEEEESJ_SM_SN_mSO_SQ_bEUlT_E_NS1_11comp_targetILNS1_3genE5ELNS1_11target_archE942ELNS1_3gpuE9ELNS1_3repE0EEENS1_30default_config_static_selectorELNS0_4arch9wavefront6targetE1EEEvT1_,comdat
	.protected	_ZN7rocprim17ROCPRIM_400000_NS6detail17trampoline_kernelINS0_14default_configENS1_25transform_config_selectorIyLb0EEEZNS1_14transform_implILb0ES3_S5_NS0_18transform_iteratorINS0_17counting_iteratorImlEEZNS1_24adjacent_difference_implIS3_Lb1ELb0EPyN6thrust23THRUST_200600_302600_NS16discard_iteratorINSD_11use_defaultEEENSD_5minusIyEEEE10hipError_tPvRmT2_T3_mT4_P12ihipStream_tbEUlmE_yEESB_NS0_8identityIvEEEESJ_SM_SN_mSO_SQ_bEUlT_E_NS1_11comp_targetILNS1_3genE5ELNS1_11target_archE942ELNS1_3gpuE9ELNS1_3repE0EEENS1_30default_config_static_selectorELNS0_4arch9wavefront6targetE1EEEvT1_ ; -- Begin function _ZN7rocprim17ROCPRIM_400000_NS6detail17trampoline_kernelINS0_14default_configENS1_25transform_config_selectorIyLb0EEEZNS1_14transform_implILb0ES3_S5_NS0_18transform_iteratorINS0_17counting_iteratorImlEEZNS1_24adjacent_difference_implIS3_Lb1ELb0EPyN6thrust23THRUST_200600_302600_NS16discard_iteratorINSD_11use_defaultEEENSD_5minusIyEEEE10hipError_tPvRmT2_T3_mT4_P12ihipStream_tbEUlmE_yEESB_NS0_8identityIvEEEESJ_SM_SN_mSO_SQ_bEUlT_E_NS1_11comp_targetILNS1_3genE5ELNS1_11target_archE942ELNS1_3gpuE9ELNS1_3repE0EEENS1_30default_config_static_selectorELNS0_4arch9wavefront6targetE1EEEvT1_
	.globl	_ZN7rocprim17ROCPRIM_400000_NS6detail17trampoline_kernelINS0_14default_configENS1_25transform_config_selectorIyLb0EEEZNS1_14transform_implILb0ES3_S5_NS0_18transform_iteratorINS0_17counting_iteratorImlEEZNS1_24adjacent_difference_implIS3_Lb1ELb0EPyN6thrust23THRUST_200600_302600_NS16discard_iteratorINSD_11use_defaultEEENSD_5minusIyEEEE10hipError_tPvRmT2_T3_mT4_P12ihipStream_tbEUlmE_yEESB_NS0_8identityIvEEEESJ_SM_SN_mSO_SQ_bEUlT_E_NS1_11comp_targetILNS1_3genE5ELNS1_11target_archE942ELNS1_3gpuE9ELNS1_3repE0EEENS1_30default_config_static_selectorELNS0_4arch9wavefront6targetE1EEEvT1_
	.p2align	8
	.type	_ZN7rocprim17ROCPRIM_400000_NS6detail17trampoline_kernelINS0_14default_configENS1_25transform_config_selectorIyLb0EEEZNS1_14transform_implILb0ES3_S5_NS0_18transform_iteratorINS0_17counting_iteratorImlEEZNS1_24adjacent_difference_implIS3_Lb1ELb0EPyN6thrust23THRUST_200600_302600_NS16discard_iteratorINSD_11use_defaultEEENSD_5minusIyEEEE10hipError_tPvRmT2_T3_mT4_P12ihipStream_tbEUlmE_yEESB_NS0_8identityIvEEEESJ_SM_SN_mSO_SQ_bEUlT_E_NS1_11comp_targetILNS1_3genE5ELNS1_11target_archE942ELNS1_3gpuE9ELNS1_3repE0EEENS1_30default_config_static_selectorELNS0_4arch9wavefront6targetE1EEEvT1_,@function
_ZN7rocprim17ROCPRIM_400000_NS6detail17trampoline_kernelINS0_14default_configENS1_25transform_config_selectorIyLb0EEEZNS1_14transform_implILb0ES3_S5_NS0_18transform_iteratorINS0_17counting_iteratorImlEEZNS1_24adjacent_difference_implIS3_Lb1ELb0EPyN6thrust23THRUST_200600_302600_NS16discard_iteratorINSD_11use_defaultEEENSD_5minusIyEEEE10hipError_tPvRmT2_T3_mT4_P12ihipStream_tbEUlmE_yEESB_NS0_8identityIvEEEESJ_SM_SN_mSO_SQ_bEUlT_E_NS1_11comp_targetILNS1_3genE5ELNS1_11target_archE942ELNS1_3gpuE9ELNS1_3repE0EEENS1_30default_config_static_selectorELNS0_4arch9wavefront6targetE1EEEvT1_: ; @_ZN7rocprim17ROCPRIM_400000_NS6detail17trampoline_kernelINS0_14default_configENS1_25transform_config_selectorIyLb0EEEZNS1_14transform_implILb0ES3_S5_NS0_18transform_iteratorINS0_17counting_iteratorImlEEZNS1_24adjacent_difference_implIS3_Lb1ELb0EPyN6thrust23THRUST_200600_302600_NS16discard_iteratorINSD_11use_defaultEEENSD_5minusIyEEEE10hipError_tPvRmT2_T3_mT4_P12ihipStream_tbEUlmE_yEESB_NS0_8identityIvEEEESJ_SM_SN_mSO_SQ_bEUlT_E_NS1_11comp_targetILNS1_3genE5ELNS1_11target_archE942ELNS1_3gpuE9ELNS1_3repE0EEENS1_30default_config_static_selectorELNS0_4arch9wavefront6targetE1EEEvT1_
; %bb.0:
	.section	.rodata,"a",@progbits
	.p2align	6, 0x0
	.amdhsa_kernel _ZN7rocprim17ROCPRIM_400000_NS6detail17trampoline_kernelINS0_14default_configENS1_25transform_config_selectorIyLb0EEEZNS1_14transform_implILb0ES3_S5_NS0_18transform_iteratorINS0_17counting_iteratorImlEEZNS1_24adjacent_difference_implIS3_Lb1ELb0EPyN6thrust23THRUST_200600_302600_NS16discard_iteratorINSD_11use_defaultEEENSD_5minusIyEEEE10hipError_tPvRmT2_T3_mT4_P12ihipStream_tbEUlmE_yEESB_NS0_8identityIvEEEESJ_SM_SN_mSO_SQ_bEUlT_E_NS1_11comp_targetILNS1_3genE5ELNS1_11target_archE942ELNS1_3gpuE9ELNS1_3repE0EEENS1_30default_config_static_selectorELNS0_4arch9wavefront6targetE1EEEvT1_
		.amdhsa_group_segment_fixed_size 0
		.amdhsa_private_segment_fixed_size 0
		.amdhsa_kernarg_size 56
		.amdhsa_user_sgpr_count 6
		.amdhsa_user_sgpr_private_segment_buffer 1
		.amdhsa_user_sgpr_dispatch_ptr 0
		.amdhsa_user_sgpr_queue_ptr 0
		.amdhsa_user_sgpr_kernarg_segment_ptr 1
		.amdhsa_user_sgpr_dispatch_id 0
		.amdhsa_user_sgpr_flat_scratch_init 0
		.amdhsa_user_sgpr_private_segment_size 0
		.amdhsa_uses_dynamic_stack 0
		.amdhsa_system_sgpr_private_segment_wavefront_offset 0
		.amdhsa_system_sgpr_workgroup_id_x 1
		.amdhsa_system_sgpr_workgroup_id_y 0
		.amdhsa_system_sgpr_workgroup_id_z 0
		.amdhsa_system_sgpr_workgroup_info 0
		.amdhsa_system_vgpr_workitem_id 0
		.amdhsa_next_free_vgpr 1
		.amdhsa_next_free_sgpr 0
		.amdhsa_reserve_vcc 0
		.amdhsa_reserve_flat_scratch 0
		.amdhsa_float_round_mode_32 0
		.amdhsa_float_round_mode_16_64 0
		.amdhsa_float_denorm_mode_32 3
		.amdhsa_float_denorm_mode_16_64 3
		.amdhsa_dx10_clamp 1
		.amdhsa_ieee_mode 1
		.amdhsa_fp16_overflow 0
		.amdhsa_exception_fp_ieee_invalid_op 0
		.amdhsa_exception_fp_denorm_src 0
		.amdhsa_exception_fp_ieee_div_zero 0
		.amdhsa_exception_fp_ieee_overflow 0
		.amdhsa_exception_fp_ieee_underflow 0
		.amdhsa_exception_fp_ieee_inexact 0
		.amdhsa_exception_int_div_zero 0
	.end_amdhsa_kernel
	.section	.text._ZN7rocprim17ROCPRIM_400000_NS6detail17trampoline_kernelINS0_14default_configENS1_25transform_config_selectorIyLb0EEEZNS1_14transform_implILb0ES3_S5_NS0_18transform_iteratorINS0_17counting_iteratorImlEEZNS1_24adjacent_difference_implIS3_Lb1ELb0EPyN6thrust23THRUST_200600_302600_NS16discard_iteratorINSD_11use_defaultEEENSD_5minusIyEEEE10hipError_tPvRmT2_T3_mT4_P12ihipStream_tbEUlmE_yEESB_NS0_8identityIvEEEESJ_SM_SN_mSO_SQ_bEUlT_E_NS1_11comp_targetILNS1_3genE5ELNS1_11target_archE942ELNS1_3gpuE9ELNS1_3repE0EEENS1_30default_config_static_selectorELNS0_4arch9wavefront6targetE1EEEvT1_,"axG",@progbits,_ZN7rocprim17ROCPRIM_400000_NS6detail17trampoline_kernelINS0_14default_configENS1_25transform_config_selectorIyLb0EEEZNS1_14transform_implILb0ES3_S5_NS0_18transform_iteratorINS0_17counting_iteratorImlEEZNS1_24adjacent_difference_implIS3_Lb1ELb0EPyN6thrust23THRUST_200600_302600_NS16discard_iteratorINSD_11use_defaultEEENSD_5minusIyEEEE10hipError_tPvRmT2_T3_mT4_P12ihipStream_tbEUlmE_yEESB_NS0_8identityIvEEEESJ_SM_SN_mSO_SQ_bEUlT_E_NS1_11comp_targetILNS1_3genE5ELNS1_11target_archE942ELNS1_3gpuE9ELNS1_3repE0EEENS1_30default_config_static_selectorELNS0_4arch9wavefront6targetE1EEEvT1_,comdat
.Lfunc_end808:
	.size	_ZN7rocprim17ROCPRIM_400000_NS6detail17trampoline_kernelINS0_14default_configENS1_25transform_config_selectorIyLb0EEEZNS1_14transform_implILb0ES3_S5_NS0_18transform_iteratorINS0_17counting_iteratorImlEEZNS1_24adjacent_difference_implIS3_Lb1ELb0EPyN6thrust23THRUST_200600_302600_NS16discard_iteratorINSD_11use_defaultEEENSD_5minusIyEEEE10hipError_tPvRmT2_T3_mT4_P12ihipStream_tbEUlmE_yEESB_NS0_8identityIvEEEESJ_SM_SN_mSO_SQ_bEUlT_E_NS1_11comp_targetILNS1_3genE5ELNS1_11target_archE942ELNS1_3gpuE9ELNS1_3repE0EEENS1_30default_config_static_selectorELNS0_4arch9wavefront6targetE1EEEvT1_, .Lfunc_end808-_ZN7rocprim17ROCPRIM_400000_NS6detail17trampoline_kernelINS0_14default_configENS1_25transform_config_selectorIyLb0EEEZNS1_14transform_implILb0ES3_S5_NS0_18transform_iteratorINS0_17counting_iteratorImlEEZNS1_24adjacent_difference_implIS3_Lb1ELb0EPyN6thrust23THRUST_200600_302600_NS16discard_iteratorINSD_11use_defaultEEENSD_5minusIyEEEE10hipError_tPvRmT2_T3_mT4_P12ihipStream_tbEUlmE_yEESB_NS0_8identityIvEEEESJ_SM_SN_mSO_SQ_bEUlT_E_NS1_11comp_targetILNS1_3genE5ELNS1_11target_archE942ELNS1_3gpuE9ELNS1_3repE0EEENS1_30default_config_static_selectorELNS0_4arch9wavefront6targetE1EEEvT1_
                                        ; -- End function
	.set _ZN7rocprim17ROCPRIM_400000_NS6detail17trampoline_kernelINS0_14default_configENS1_25transform_config_selectorIyLb0EEEZNS1_14transform_implILb0ES3_S5_NS0_18transform_iteratorINS0_17counting_iteratorImlEEZNS1_24adjacent_difference_implIS3_Lb1ELb0EPyN6thrust23THRUST_200600_302600_NS16discard_iteratorINSD_11use_defaultEEENSD_5minusIyEEEE10hipError_tPvRmT2_T3_mT4_P12ihipStream_tbEUlmE_yEESB_NS0_8identityIvEEEESJ_SM_SN_mSO_SQ_bEUlT_E_NS1_11comp_targetILNS1_3genE5ELNS1_11target_archE942ELNS1_3gpuE9ELNS1_3repE0EEENS1_30default_config_static_selectorELNS0_4arch9wavefront6targetE1EEEvT1_.num_vgpr, 0
	.set _ZN7rocprim17ROCPRIM_400000_NS6detail17trampoline_kernelINS0_14default_configENS1_25transform_config_selectorIyLb0EEEZNS1_14transform_implILb0ES3_S5_NS0_18transform_iteratorINS0_17counting_iteratorImlEEZNS1_24adjacent_difference_implIS3_Lb1ELb0EPyN6thrust23THRUST_200600_302600_NS16discard_iteratorINSD_11use_defaultEEENSD_5minusIyEEEE10hipError_tPvRmT2_T3_mT4_P12ihipStream_tbEUlmE_yEESB_NS0_8identityIvEEEESJ_SM_SN_mSO_SQ_bEUlT_E_NS1_11comp_targetILNS1_3genE5ELNS1_11target_archE942ELNS1_3gpuE9ELNS1_3repE0EEENS1_30default_config_static_selectorELNS0_4arch9wavefront6targetE1EEEvT1_.num_agpr, 0
	.set _ZN7rocprim17ROCPRIM_400000_NS6detail17trampoline_kernelINS0_14default_configENS1_25transform_config_selectorIyLb0EEEZNS1_14transform_implILb0ES3_S5_NS0_18transform_iteratorINS0_17counting_iteratorImlEEZNS1_24adjacent_difference_implIS3_Lb1ELb0EPyN6thrust23THRUST_200600_302600_NS16discard_iteratorINSD_11use_defaultEEENSD_5minusIyEEEE10hipError_tPvRmT2_T3_mT4_P12ihipStream_tbEUlmE_yEESB_NS0_8identityIvEEEESJ_SM_SN_mSO_SQ_bEUlT_E_NS1_11comp_targetILNS1_3genE5ELNS1_11target_archE942ELNS1_3gpuE9ELNS1_3repE0EEENS1_30default_config_static_selectorELNS0_4arch9wavefront6targetE1EEEvT1_.numbered_sgpr, 0
	.set _ZN7rocprim17ROCPRIM_400000_NS6detail17trampoline_kernelINS0_14default_configENS1_25transform_config_selectorIyLb0EEEZNS1_14transform_implILb0ES3_S5_NS0_18transform_iteratorINS0_17counting_iteratorImlEEZNS1_24adjacent_difference_implIS3_Lb1ELb0EPyN6thrust23THRUST_200600_302600_NS16discard_iteratorINSD_11use_defaultEEENSD_5minusIyEEEE10hipError_tPvRmT2_T3_mT4_P12ihipStream_tbEUlmE_yEESB_NS0_8identityIvEEEESJ_SM_SN_mSO_SQ_bEUlT_E_NS1_11comp_targetILNS1_3genE5ELNS1_11target_archE942ELNS1_3gpuE9ELNS1_3repE0EEENS1_30default_config_static_selectorELNS0_4arch9wavefront6targetE1EEEvT1_.num_named_barrier, 0
	.set _ZN7rocprim17ROCPRIM_400000_NS6detail17trampoline_kernelINS0_14default_configENS1_25transform_config_selectorIyLb0EEEZNS1_14transform_implILb0ES3_S5_NS0_18transform_iteratorINS0_17counting_iteratorImlEEZNS1_24adjacent_difference_implIS3_Lb1ELb0EPyN6thrust23THRUST_200600_302600_NS16discard_iteratorINSD_11use_defaultEEENSD_5minusIyEEEE10hipError_tPvRmT2_T3_mT4_P12ihipStream_tbEUlmE_yEESB_NS0_8identityIvEEEESJ_SM_SN_mSO_SQ_bEUlT_E_NS1_11comp_targetILNS1_3genE5ELNS1_11target_archE942ELNS1_3gpuE9ELNS1_3repE0EEENS1_30default_config_static_selectorELNS0_4arch9wavefront6targetE1EEEvT1_.private_seg_size, 0
	.set _ZN7rocprim17ROCPRIM_400000_NS6detail17trampoline_kernelINS0_14default_configENS1_25transform_config_selectorIyLb0EEEZNS1_14transform_implILb0ES3_S5_NS0_18transform_iteratorINS0_17counting_iteratorImlEEZNS1_24adjacent_difference_implIS3_Lb1ELb0EPyN6thrust23THRUST_200600_302600_NS16discard_iteratorINSD_11use_defaultEEENSD_5minusIyEEEE10hipError_tPvRmT2_T3_mT4_P12ihipStream_tbEUlmE_yEESB_NS0_8identityIvEEEESJ_SM_SN_mSO_SQ_bEUlT_E_NS1_11comp_targetILNS1_3genE5ELNS1_11target_archE942ELNS1_3gpuE9ELNS1_3repE0EEENS1_30default_config_static_selectorELNS0_4arch9wavefront6targetE1EEEvT1_.uses_vcc, 0
	.set _ZN7rocprim17ROCPRIM_400000_NS6detail17trampoline_kernelINS0_14default_configENS1_25transform_config_selectorIyLb0EEEZNS1_14transform_implILb0ES3_S5_NS0_18transform_iteratorINS0_17counting_iteratorImlEEZNS1_24adjacent_difference_implIS3_Lb1ELb0EPyN6thrust23THRUST_200600_302600_NS16discard_iteratorINSD_11use_defaultEEENSD_5minusIyEEEE10hipError_tPvRmT2_T3_mT4_P12ihipStream_tbEUlmE_yEESB_NS0_8identityIvEEEESJ_SM_SN_mSO_SQ_bEUlT_E_NS1_11comp_targetILNS1_3genE5ELNS1_11target_archE942ELNS1_3gpuE9ELNS1_3repE0EEENS1_30default_config_static_selectorELNS0_4arch9wavefront6targetE1EEEvT1_.uses_flat_scratch, 0
	.set _ZN7rocprim17ROCPRIM_400000_NS6detail17trampoline_kernelINS0_14default_configENS1_25transform_config_selectorIyLb0EEEZNS1_14transform_implILb0ES3_S5_NS0_18transform_iteratorINS0_17counting_iteratorImlEEZNS1_24adjacent_difference_implIS3_Lb1ELb0EPyN6thrust23THRUST_200600_302600_NS16discard_iteratorINSD_11use_defaultEEENSD_5minusIyEEEE10hipError_tPvRmT2_T3_mT4_P12ihipStream_tbEUlmE_yEESB_NS0_8identityIvEEEESJ_SM_SN_mSO_SQ_bEUlT_E_NS1_11comp_targetILNS1_3genE5ELNS1_11target_archE942ELNS1_3gpuE9ELNS1_3repE0EEENS1_30default_config_static_selectorELNS0_4arch9wavefront6targetE1EEEvT1_.has_dyn_sized_stack, 0
	.set _ZN7rocprim17ROCPRIM_400000_NS6detail17trampoline_kernelINS0_14default_configENS1_25transform_config_selectorIyLb0EEEZNS1_14transform_implILb0ES3_S5_NS0_18transform_iteratorINS0_17counting_iteratorImlEEZNS1_24adjacent_difference_implIS3_Lb1ELb0EPyN6thrust23THRUST_200600_302600_NS16discard_iteratorINSD_11use_defaultEEENSD_5minusIyEEEE10hipError_tPvRmT2_T3_mT4_P12ihipStream_tbEUlmE_yEESB_NS0_8identityIvEEEESJ_SM_SN_mSO_SQ_bEUlT_E_NS1_11comp_targetILNS1_3genE5ELNS1_11target_archE942ELNS1_3gpuE9ELNS1_3repE0EEENS1_30default_config_static_selectorELNS0_4arch9wavefront6targetE1EEEvT1_.has_recursion, 0
	.set _ZN7rocprim17ROCPRIM_400000_NS6detail17trampoline_kernelINS0_14default_configENS1_25transform_config_selectorIyLb0EEEZNS1_14transform_implILb0ES3_S5_NS0_18transform_iteratorINS0_17counting_iteratorImlEEZNS1_24adjacent_difference_implIS3_Lb1ELb0EPyN6thrust23THRUST_200600_302600_NS16discard_iteratorINSD_11use_defaultEEENSD_5minusIyEEEE10hipError_tPvRmT2_T3_mT4_P12ihipStream_tbEUlmE_yEESB_NS0_8identityIvEEEESJ_SM_SN_mSO_SQ_bEUlT_E_NS1_11comp_targetILNS1_3genE5ELNS1_11target_archE942ELNS1_3gpuE9ELNS1_3repE0EEENS1_30default_config_static_selectorELNS0_4arch9wavefront6targetE1EEEvT1_.has_indirect_call, 0
	.section	.AMDGPU.csdata,"",@progbits
; Kernel info:
; codeLenInByte = 0
; TotalNumSgprs: 4
; NumVgprs: 0
; ScratchSize: 0
; MemoryBound: 0
; FloatMode: 240
; IeeeMode: 1
; LDSByteSize: 0 bytes/workgroup (compile time only)
; SGPRBlocks: 0
; VGPRBlocks: 0
; NumSGPRsForWavesPerEU: 4
; NumVGPRsForWavesPerEU: 1
; Occupancy: 10
; WaveLimiterHint : 0
; COMPUTE_PGM_RSRC2:SCRATCH_EN: 0
; COMPUTE_PGM_RSRC2:USER_SGPR: 6
; COMPUTE_PGM_RSRC2:TRAP_HANDLER: 0
; COMPUTE_PGM_RSRC2:TGID_X_EN: 1
; COMPUTE_PGM_RSRC2:TGID_Y_EN: 0
; COMPUTE_PGM_RSRC2:TGID_Z_EN: 0
; COMPUTE_PGM_RSRC2:TIDIG_COMP_CNT: 0
	.section	.text._ZN7rocprim17ROCPRIM_400000_NS6detail17trampoline_kernelINS0_14default_configENS1_25transform_config_selectorIyLb0EEEZNS1_14transform_implILb0ES3_S5_NS0_18transform_iteratorINS0_17counting_iteratorImlEEZNS1_24adjacent_difference_implIS3_Lb1ELb0EPyN6thrust23THRUST_200600_302600_NS16discard_iteratorINSD_11use_defaultEEENSD_5minusIyEEEE10hipError_tPvRmT2_T3_mT4_P12ihipStream_tbEUlmE_yEESB_NS0_8identityIvEEEESJ_SM_SN_mSO_SQ_bEUlT_E_NS1_11comp_targetILNS1_3genE4ELNS1_11target_archE910ELNS1_3gpuE8ELNS1_3repE0EEENS1_30default_config_static_selectorELNS0_4arch9wavefront6targetE1EEEvT1_,"axG",@progbits,_ZN7rocprim17ROCPRIM_400000_NS6detail17trampoline_kernelINS0_14default_configENS1_25transform_config_selectorIyLb0EEEZNS1_14transform_implILb0ES3_S5_NS0_18transform_iteratorINS0_17counting_iteratorImlEEZNS1_24adjacent_difference_implIS3_Lb1ELb0EPyN6thrust23THRUST_200600_302600_NS16discard_iteratorINSD_11use_defaultEEENSD_5minusIyEEEE10hipError_tPvRmT2_T3_mT4_P12ihipStream_tbEUlmE_yEESB_NS0_8identityIvEEEESJ_SM_SN_mSO_SQ_bEUlT_E_NS1_11comp_targetILNS1_3genE4ELNS1_11target_archE910ELNS1_3gpuE8ELNS1_3repE0EEENS1_30default_config_static_selectorELNS0_4arch9wavefront6targetE1EEEvT1_,comdat
	.protected	_ZN7rocprim17ROCPRIM_400000_NS6detail17trampoline_kernelINS0_14default_configENS1_25transform_config_selectorIyLb0EEEZNS1_14transform_implILb0ES3_S5_NS0_18transform_iteratorINS0_17counting_iteratorImlEEZNS1_24adjacent_difference_implIS3_Lb1ELb0EPyN6thrust23THRUST_200600_302600_NS16discard_iteratorINSD_11use_defaultEEENSD_5minusIyEEEE10hipError_tPvRmT2_T3_mT4_P12ihipStream_tbEUlmE_yEESB_NS0_8identityIvEEEESJ_SM_SN_mSO_SQ_bEUlT_E_NS1_11comp_targetILNS1_3genE4ELNS1_11target_archE910ELNS1_3gpuE8ELNS1_3repE0EEENS1_30default_config_static_selectorELNS0_4arch9wavefront6targetE1EEEvT1_ ; -- Begin function _ZN7rocprim17ROCPRIM_400000_NS6detail17trampoline_kernelINS0_14default_configENS1_25transform_config_selectorIyLb0EEEZNS1_14transform_implILb0ES3_S5_NS0_18transform_iteratorINS0_17counting_iteratorImlEEZNS1_24adjacent_difference_implIS3_Lb1ELb0EPyN6thrust23THRUST_200600_302600_NS16discard_iteratorINSD_11use_defaultEEENSD_5minusIyEEEE10hipError_tPvRmT2_T3_mT4_P12ihipStream_tbEUlmE_yEESB_NS0_8identityIvEEEESJ_SM_SN_mSO_SQ_bEUlT_E_NS1_11comp_targetILNS1_3genE4ELNS1_11target_archE910ELNS1_3gpuE8ELNS1_3repE0EEENS1_30default_config_static_selectorELNS0_4arch9wavefront6targetE1EEEvT1_
	.globl	_ZN7rocprim17ROCPRIM_400000_NS6detail17trampoline_kernelINS0_14default_configENS1_25transform_config_selectorIyLb0EEEZNS1_14transform_implILb0ES3_S5_NS0_18transform_iteratorINS0_17counting_iteratorImlEEZNS1_24adjacent_difference_implIS3_Lb1ELb0EPyN6thrust23THRUST_200600_302600_NS16discard_iteratorINSD_11use_defaultEEENSD_5minusIyEEEE10hipError_tPvRmT2_T3_mT4_P12ihipStream_tbEUlmE_yEESB_NS0_8identityIvEEEESJ_SM_SN_mSO_SQ_bEUlT_E_NS1_11comp_targetILNS1_3genE4ELNS1_11target_archE910ELNS1_3gpuE8ELNS1_3repE0EEENS1_30default_config_static_selectorELNS0_4arch9wavefront6targetE1EEEvT1_
	.p2align	8
	.type	_ZN7rocprim17ROCPRIM_400000_NS6detail17trampoline_kernelINS0_14default_configENS1_25transform_config_selectorIyLb0EEEZNS1_14transform_implILb0ES3_S5_NS0_18transform_iteratorINS0_17counting_iteratorImlEEZNS1_24adjacent_difference_implIS3_Lb1ELb0EPyN6thrust23THRUST_200600_302600_NS16discard_iteratorINSD_11use_defaultEEENSD_5minusIyEEEE10hipError_tPvRmT2_T3_mT4_P12ihipStream_tbEUlmE_yEESB_NS0_8identityIvEEEESJ_SM_SN_mSO_SQ_bEUlT_E_NS1_11comp_targetILNS1_3genE4ELNS1_11target_archE910ELNS1_3gpuE8ELNS1_3repE0EEENS1_30default_config_static_selectorELNS0_4arch9wavefront6targetE1EEEvT1_,@function
_ZN7rocprim17ROCPRIM_400000_NS6detail17trampoline_kernelINS0_14default_configENS1_25transform_config_selectorIyLb0EEEZNS1_14transform_implILb0ES3_S5_NS0_18transform_iteratorINS0_17counting_iteratorImlEEZNS1_24adjacent_difference_implIS3_Lb1ELb0EPyN6thrust23THRUST_200600_302600_NS16discard_iteratorINSD_11use_defaultEEENSD_5minusIyEEEE10hipError_tPvRmT2_T3_mT4_P12ihipStream_tbEUlmE_yEESB_NS0_8identityIvEEEESJ_SM_SN_mSO_SQ_bEUlT_E_NS1_11comp_targetILNS1_3genE4ELNS1_11target_archE910ELNS1_3gpuE8ELNS1_3repE0EEENS1_30default_config_static_selectorELNS0_4arch9wavefront6targetE1EEEvT1_: ; @_ZN7rocprim17ROCPRIM_400000_NS6detail17trampoline_kernelINS0_14default_configENS1_25transform_config_selectorIyLb0EEEZNS1_14transform_implILb0ES3_S5_NS0_18transform_iteratorINS0_17counting_iteratorImlEEZNS1_24adjacent_difference_implIS3_Lb1ELb0EPyN6thrust23THRUST_200600_302600_NS16discard_iteratorINSD_11use_defaultEEENSD_5minusIyEEEE10hipError_tPvRmT2_T3_mT4_P12ihipStream_tbEUlmE_yEESB_NS0_8identityIvEEEESJ_SM_SN_mSO_SQ_bEUlT_E_NS1_11comp_targetILNS1_3genE4ELNS1_11target_archE910ELNS1_3gpuE8ELNS1_3repE0EEENS1_30default_config_static_selectorELNS0_4arch9wavefront6targetE1EEEvT1_
; %bb.0:
	.section	.rodata,"a",@progbits
	.p2align	6, 0x0
	.amdhsa_kernel _ZN7rocprim17ROCPRIM_400000_NS6detail17trampoline_kernelINS0_14default_configENS1_25transform_config_selectorIyLb0EEEZNS1_14transform_implILb0ES3_S5_NS0_18transform_iteratorINS0_17counting_iteratorImlEEZNS1_24adjacent_difference_implIS3_Lb1ELb0EPyN6thrust23THRUST_200600_302600_NS16discard_iteratorINSD_11use_defaultEEENSD_5minusIyEEEE10hipError_tPvRmT2_T3_mT4_P12ihipStream_tbEUlmE_yEESB_NS0_8identityIvEEEESJ_SM_SN_mSO_SQ_bEUlT_E_NS1_11comp_targetILNS1_3genE4ELNS1_11target_archE910ELNS1_3gpuE8ELNS1_3repE0EEENS1_30default_config_static_selectorELNS0_4arch9wavefront6targetE1EEEvT1_
		.amdhsa_group_segment_fixed_size 0
		.amdhsa_private_segment_fixed_size 0
		.amdhsa_kernarg_size 56
		.amdhsa_user_sgpr_count 6
		.amdhsa_user_sgpr_private_segment_buffer 1
		.amdhsa_user_sgpr_dispatch_ptr 0
		.amdhsa_user_sgpr_queue_ptr 0
		.amdhsa_user_sgpr_kernarg_segment_ptr 1
		.amdhsa_user_sgpr_dispatch_id 0
		.amdhsa_user_sgpr_flat_scratch_init 0
		.amdhsa_user_sgpr_private_segment_size 0
		.amdhsa_uses_dynamic_stack 0
		.amdhsa_system_sgpr_private_segment_wavefront_offset 0
		.amdhsa_system_sgpr_workgroup_id_x 1
		.amdhsa_system_sgpr_workgroup_id_y 0
		.amdhsa_system_sgpr_workgroup_id_z 0
		.amdhsa_system_sgpr_workgroup_info 0
		.amdhsa_system_vgpr_workitem_id 0
		.amdhsa_next_free_vgpr 1
		.amdhsa_next_free_sgpr 0
		.amdhsa_reserve_vcc 0
		.amdhsa_reserve_flat_scratch 0
		.amdhsa_float_round_mode_32 0
		.amdhsa_float_round_mode_16_64 0
		.amdhsa_float_denorm_mode_32 3
		.amdhsa_float_denorm_mode_16_64 3
		.amdhsa_dx10_clamp 1
		.amdhsa_ieee_mode 1
		.amdhsa_fp16_overflow 0
		.amdhsa_exception_fp_ieee_invalid_op 0
		.amdhsa_exception_fp_denorm_src 0
		.amdhsa_exception_fp_ieee_div_zero 0
		.amdhsa_exception_fp_ieee_overflow 0
		.amdhsa_exception_fp_ieee_underflow 0
		.amdhsa_exception_fp_ieee_inexact 0
		.amdhsa_exception_int_div_zero 0
	.end_amdhsa_kernel
	.section	.text._ZN7rocprim17ROCPRIM_400000_NS6detail17trampoline_kernelINS0_14default_configENS1_25transform_config_selectorIyLb0EEEZNS1_14transform_implILb0ES3_S5_NS0_18transform_iteratorINS0_17counting_iteratorImlEEZNS1_24adjacent_difference_implIS3_Lb1ELb0EPyN6thrust23THRUST_200600_302600_NS16discard_iteratorINSD_11use_defaultEEENSD_5minusIyEEEE10hipError_tPvRmT2_T3_mT4_P12ihipStream_tbEUlmE_yEESB_NS0_8identityIvEEEESJ_SM_SN_mSO_SQ_bEUlT_E_NS1_11comp_targetILNS1_3genE4ELNS1_11target_archE910ELNS1_3gpuE8ELNS1_3repE0EEENS1_30default_config_static_selectorELNS0_4arch9wavefront6targetE1EEEvT1_,"axG",@progbits,_ZN7rocprim17ROCPRIM_400000_NS6detail17trampoline_kernelINS0_14default_configENS1_25transform_config_selectorIyLb0EEEZNS1_14transform_implILb0ES3_S5_NS0_18transform_iteratorINS0_17counting_iteratorImlEEZNS1_24adjacent_difference_implIS3_Lb1ELb0EPyN6thrust23THRUST_200600_302600_NS16discard_iteratorINSD_11use_defaultEEENSD_5minusIyEEEE10hipError_tPvRmT2_T3_mT4_P12ihipStream_tbEUlmE_yEESB_NS0_8identityIvEEEESJ_SM_SN_mSO_SQ_bEUlT_E_NS1_11comp_targetILNS1_3genE4ELNS1_11target_archE910ELNS1_3gpuE8ELNS1_3repE0EEENS1_30default_config_static_selectorELNS0_4arch9wavefront6targetE1EEEvT1_,comdat
.Lfunc_end809:
	.size	_ZN7rocprim17ROCPRIM_400000_NS6detail17trampoline_kernelINS0_14default_configENS1_25transform_config_selectorIyLb0EEEZNS1_14transform_implILb0ES3_S5_NS0_18transform_iteratorINS0_17counting_iteratorImlEEZNS1_24adjacent_difference_implIS3_Lb1ELb0EPyN6thrust23THRUST_200600_302600_NS16discard_iteratorINSD_11use_defaultEEENSD_5minusIyEEEE10hipError_tPvRmT2_T3_mT4_P12ihipStream_tbEUlmE_yEESB_NS0_8identityIvEEEESJ_SM_SN_mSO_SQ_bEUlT_E_NS1_11comp_targetILNS1_3genE4ELNS1_11target_archE910ELNS1_3gpuE8ELNS1_3repE0EEENS1_30default_config_static_selectorELNS0_4arch9wavefront6targetE1EEEvT1_, .Lfunc_end809-_ZN7rocprim17ROCPRIM_400000_NS6detail17trampoline_kernelINS0_14default_configENS1_25transform_config_selectorIyLb0EEEZNS1_14transform_implILb0ES3_S5_NS0_18transform_iteratorINS0_17counting_iteratorImlEEZNS1_24adjacent_difference_implIS3_Lb1ELb0EPyN6thrust23THRUST_200600_302600_NS16discard_iteratorINSD_11use_defaultEEENSD_5minusIyEEEE10hipError_tPvRmT2_T3_mT4_P12ihipStream_tbEUlmE_yEESB_NS0_8identityIvEEEESJ_SM_SN_mSO_SQ_bEUlT_E_NS1_11comp_targetILNS1_3genE4ELNS1_11target_archE910ELNS1_3gpuE8ELNS1_3repE0EEENS1_30default_config_static_selectorELNS0_4arch9wavefront6targetE1EEEvT1_
                                        ; -- End function
	.set _ZN7rocprim17ROCPRIM_400000_NS6detail17trampoline_kernelINS0_14default_configENS1_25transform_config_selectorIyLb0EEEZNS1_14transform_implILb0ES3_S5_NS0_18transform_iteratorINS0_17counting_iteratorImlEEZNS1_24adjacent_difference_implIS3_Lb1ELb0EPyN6thrust23THRUST_200600_302600_NS16discard_iteratorINSD_11use_defaultEEENSD_5minusIyEEEE10hipError_tPvRmT2_T3_mT4_P12ihipStream_tbEUlmE_yEESB_NS0_8identityIvEEEESJ_SM_SN_mSO_SQ_bEUlT_E_NS1_11comp_targetILNS1_3genE4ELNS1_11target_archE910ELNS1_3gpuE8ELNS1_3repE0EEENS1_30default_config_static_selectorELNS0_4arch9wavefront6targetE1EEEvT1_.num_vgpr, 0
	.set _ZN7rocprim17ROCPRIM_400000_NS6detail17trampoline_kernelINS0_14default_configENS1_25transform_config_selectorIyLb0EEEZNS1_14transform_implILb0ES3_S5_NS0_18transform_iteratorINS0_17counting_iteratorImlEEZNS1_24adjacent_difference_implIS3_Lb1ELb0EPyN6thrust23THRUST_200600_302600_NS16discard_iteratorINSD_11use_defaultEEENSD_5minusIyEEEE10hipError_tPvRmT2_T3_mT4_P12ihipStream_tbEUlmE_yEESB_NS0_8identityIvEEEESJ_SM_SN_mSO_SQ_bEUlT_E_NS1_11comp_targetILNS1_3genE4ELNS1_11target_archE910ELNS1_3gpuE8ELNS1_3repE0EEENS1_30default_config_static_selectorELNS0_4arch9wavefront6targetE1EEEvT1_.num_agpr, 0
	.set _ZN7rocprim17ROCPRIM_400000_NS6detail17trampoline_kernelINS0_14default_configENS1_25transform_config_selectorIyLb0EEEZNS1_14transform_implILb0ES3_S5_NS0_18transform_iteratorINS0_17counting_iteratorImlEEZNS1_24adjacent_difference_implIS3_Lb1ELb0EPyN6thrust23THRUST_200600_302600_NS16discard_iteratorINSD_11use_defaultEEENSD_5minusIyEEEE10hipError_tPvRmT2_T3_mT4_P12ihipStream_tbEUlmE_yEESB_NS0_8identityIvEEEESJ_SM_SN_mSO_SQ_bEUlT_E_NS1_11comp_targetILNS1_3genE4ELNS1_11target_archE910ELNS1_3gpuE8ELNS1_3repE0EEENS1_30default_config_static_selectorELNS0_4arch9wavefront6targetE1EEEvT1_.numbered_sgpr, 0
	.set _ZN7rocprim17ROCPRIM_400000_NS6detail17trampoline_kernelINS0_14default_configENS1_25transform_config_selectorIyLb0EEEZNS1_14transform_implILb0ES3_S5_NS0_18transform_iteratorINS0_17counting_iteratorImlEEZNS1_24adjacent_difference_implIS3_Lb1ELb0EPyN6thrust23THRUST_200600_302600_NS16discard_iteratorINSD_11use_defaultEEENSD_5minusIyEEEE10hipError_tPvRmT2_T3_mT4_P12ihipStream_tbEUlmE_yEESB_NS0_8identityIvEEEESJ_SM_SN_mSO_SQ_bEUlT_E_NS1_11comp_targetILNS1_3genE4ELNS1_11target_archE910ELNS1_3gpuE8ELNS1_3repE0EEENS1_30default_config_static_selectorELNS0_4arch9wavefront6targetE1EEEvT1_.num_named_barrier, 0
	.set _ZN7rocprim17ROCPRIM_400000_NS6detail17trampoline_kernelINS0_14default_configENS1_25transform_config_selectorIyLb0EEEZNS1_14transform_implILb0ES3_S5_NS0_18transform_iteratorINS0_17counting_iteratorImlEEZNS1_24adjacent_difference_implIS3_Lb1ELb0EPyN6thrust23THRUST_200600_302600_NS16discard_iteratorINSD_11use_defaultEEENSD_5minusIyEEEE10hipError_tPvRmT2_T3_mT4_P12ihipStream_tbEUlmE_yEESB_NS0_8identityIvEEEESJ_SM_SN_mSO_SQ_bEUlT_E_NS1_11comp_targetILNS1_3genE4ELNS1_11target_archE910ELNS1_3gpuE8ELNS1_3repE0EEENS1_30default_config_static_selectorELNS0_4arch9wavefront6targetE1EEEvT1_.private_seg_size, 0
	.set _ZN7rocprim17ROCPRIM_400000_NS6detail17trampoline_kernelINS0_14default_configENS1_25transform_config_selectorIyLb0EEEZNS1_14transform_implILb0ES3_S5_NS0_18transform_iteratorINS0_17counting_iteratorImlEEZNS1_24adjacent_difference_implIS3_Lb1ELb0EPyN6thrust23THRUST_200600_302600_NS16discard_iteratorINSD_11use_defaultEEENSD_5minusIyEEEE10hipError_tPvRmT2_T3_mT4_P12ihipStream_tbEUlmE_yEESB_NS0_8identityIvEEEESJ_SM_SN_mSO_SQ_bEUlT_E_NS1_11comp_targetILNS1_3genE4ELNS1_11target_archE910ELNS1_3gpuE8ELNS1_3repE0EEENS1_30default_config_static_selectorELNS0_4arch9wavefront6targetE1EEEvT1_.uses_vcc, 0
	.set _ZN7rocprim17ROCPRIM_400000_NS6detail17trampoline_kernelINS0_14default_configENS1_25transform_config_selectorIyLb0EEEZNS1_14transform_implILb0ES3_S5_NS0_18transform_iteratorINS0_17counting_iteratorImlEEZNS1_24adjacent_difference_implIS3_Lb1ELb0EPyN6thrust23THRUST_200600_302600_NS16discard_iteratorINSD_11use_defaultEEENSD_5minusIyEEEE10hipError_tPvRmT2_T3_mT4_P12ihipStream_tbEUlmE_yEESB_NS0_8identityIvEEEESJ_SM_SN_mSO_SQ_bEUlT_E_NS1_11comp_targetILNS1_3genE4ELNS1_11target_archE910ELNS1_3gpuE8ELNS1_3repE0EEENS1_30default_config_static_selectorELNS0_4arch9wavefront6targetE1EEEvT1_.uses_flat_scratch, 0
	.set _ZN7rocprim17ROCPRIM_400000_NS6detail17trampoline_kernelINS0_14default_configENS1_25transform_config_selectorIyLb0EEEZNS1_14transform_implILb0ES3_S5_NS0_18transform_iteratorINS0_17counting_iteratorImlEEZNS1_24adjacent_difference_implIS3_Lb1ELb0EPyN6thrust23THRUST_200600_302600_NS16discard_iteratorINSD_11use_defaultEEENSD_5minusIyEEEE10hipError_tPvRmT2_T3_mT4_P12ihipStream_tbEUlmE_yEESB_NS0_8identityIvEEEESJ_SM_SN_mSO_SQ_bEUlT_E_NS1_11comp_targetILNS1_3genE4ELNS1_11target_archE910ELNS1_3gpuE8ELNS1_3repE0EEENS1_30default_config_static_selectorELNS0_4arch9wavefront6targetE1EEEvT1_.has_dyn_sized_stack, 0
	.set _ZN7rocprim17ROCPRIM_400000_NS6detail17trampoline_kernelINS0_14default_configENS1_25transform_config_selectorIyLb0EEEZNS1_14transform_implILb0ES3_S5_NS0_18transform_iteratorINS0_17counting_iteratorImlEEZNS1_24adjacent_difference_implIS3_Lb1ELb0EPyN6thrust23THRUST_200600_302600_NS16discard_iteratorINSD_11use_defaultEEENSD_5minusIyEEEE10hipError_tPvRmT2_T3_mT4_P12ihipStream_tbEUlmE_yEESB_NS0_8identityIvEEEESJ_SM_SN_mSO_SQ_bEUlT_E_NS1_11comp_targetILNS1_3genE4ELNS1_11target_archE910ELNS1_3gpuE8ELNS1_3repE0EEENS1_30default_config_static_selectorELNS0_4arch9wavefront6targetE1EEEvT1_.has_recursion, 0
	.set _ZN7rocprim17ROCPRIM_400000_NS6detail17trampoline_kernelINS0_14default_configENS1_25transform_config_selectorIyLb0EEEZNS1_14transform_implILb0ES3_S5_NS0_18transform_iteratorINS0_17counting_iteratorImlEEZNS1_24adjacent_difference_implIS3_Lb1ELb0EPyN6thrust23THRUST_200600_302600_NS16discard_iteratorINSD_11use_defaultEEENSD_5minusIyEEEE10hipError_tPvRmT2_T3_mT4_P12ihipStream_tbEUlmE_yEESB_NS0_8identityIvEEEESJ_SM_SN_mSO_SQ_bEUlT_E_NS1_11comp_targetILNS1_3genE4ELNS1_11target_archE910ELNS1_3gpuE8ELNS1_3repE0EEENS1_30default_config_static_selectorELNS0_4arch9wavefront6targetE1EEEvT1_.has_indirect_call, 0
	.section	.AMDGPU.csdata,"",@progbits
; Kernel info:
; codeLenInByte = 0
; TotalNumSgprs: 4
; NumVgprs: 0
; ScratchSize: 0
; MemoryBound: 0
; FloatMode: 240
; IeeeMode: 1
; LDSByteSize: 0 bytes/workgroup (compile time only)
; SGPRBlocks: 0
; VGPRBlocks: 0
; NumSGPRsForWavesPerEU: 4
; NumVGPRsForWavesPerEU: 1
; Occupancy: 10
; WaveLimiterHint : 0
; COMPUTE_PGM_RSRC2:SCRATCH_EN: 0
; COMPUTE_PGM_RSRC2:USER_SGPR: 6
; COMPUTE_PGM_RSRC2:TRAP_HANDLER: 0
; COMPUTE_PGM_RSRC2:TGID_X_EN: 1
; COMPUTE_PGM_RSRC2:TGID_Y_EN: 0
; COMPUTE_PGM_RSRC2:TGID_Z_EN: 0
; COMPUTE_PGM_RSRC2:TIDIG_COMP_CNT: 0
	.section	.text._ZN7rocprim17ROCPRIM_400000_NS6detail17trampoline_kernelINS0_14default_configENS1_25transform_config_selectorIyLb0EEEZNS1_14transform_implILb0ES3_S5_NS0_18transform_iteratorINS0_17counting_iteratorImlEEZNS1_24adjacent_difference_implIS3_Lb1ELb0EPyN6thrust23THRUST_200600_302600_NS16discard_iteratorINSD_11use_defaultEEENSD_5minusIyEEEE10hipError_tPvRmT2_T3_mT4_P12ihipStream_tbEUlmE_yEESB_NS0_8identityIvEEEESJ_SM_SN_mSO_SQ_bEUlT_E_NS1_11comp_targetILNS1_3genE3ELNS1_11target_archE908ELNS1_3gpuE7ELNS1_3repE0EEENS1_30default_config_static_selectorELNS0_4arch9wavefront6targetE1EEEvT1_,"axG",@progbits,_ZN7rocprim17ROCPRIM_400000_NS6detail17trampoline_kernelINS0_14default_configENS1_25transform_config_selectorIyLb0EEEZNS1_14transform_implILb0ES3_S5_NS0_18transform_iteratorINS0_17counting_iteratorImlEEZNS1_24adjacent_difference_implIS3_Lb1ELb0EPyN6thrust23THRUST_200600_302600_NS16discard_iteratorINSD_11use_defaultEEENSD_5minusIyEEEE10hipError_tPvRmT2_T3_mT4_P12ihipStream_tbEUlmE_yEESB_NS0_8identityIvEEEESJ_SM_SN_mSO_SQ_bEUlT_E_NS1_11comp_targetILNS1_3genE3ELNS1_11target_archE908ELNS1_3gpuE7ELNS1_3repE0EEENS1_30default_config_static_selectorELNS0_4arch9wavefront6targetE1EEEvT1_,comdat
	.protected	_ZN7rocprim17ROCPRIM_400000_NS6detail17trampoline_kernelINS0_14default_configENS1_25transform_config_selectorIyLb0EEEZNS1_14transform_implILb0ES3_S5_NS0_18transform_iteratorINS0_17counting_iteratorImlEEZNS1_24adjacent_difference_implIS3_Lb1ELb0EPyN6thrust23THRUST_200600_302600_NS16discard_iteratorINSD_11use_defaultEEENSD_5minusIyEEEE10hipError_tPvRmT2_T3_mT4_P12ihipStream_tbEUlmE_yEESB_NS0_8identityIvEEEESJ_SM_SN_mSO_SQ_bEUlT_E_NS1_11comp_targetILNS1_3genE3ELNS1_11target_archE908ELNS1_3gpuE7ELNS1_3repE0EEENS1_30default_config_static_selectorELNS0_4arch9wavefront6targetE1EEEvT1_ ; -- Begin function _ZN7rocprim17ROCPRIM_400000_NS6detail17trampoline_kernelINS0_14default_configENS1_25transform_config_selectorIyLb0EEEZNS1_14transform_implILb0ES3_S5_NS0_18transform_iteratorINS0_17counting_iteratorImlEEZNS1_24adjacent_difference_implIS3_Lb1ELb0EPyN6thrust23THRUST_200600_302600_NS16discard_iteratorINSD_11use_defaultEEENSD_5minusIyEEEE10hipError_tPvRmT2_T3_mT4_P12ihipStream_tbEUlmE_yEESB_NS0_8identityIvEEEESJ_SM_SN_mSO_SQ_bEUlT_E_NS1_11comp_targetILNS1_3genE3ELNS1_11target_archE908ELNS1_3gpuE7ELNS1_3repE0EEENS1_30default_config_static_selectorELNS0_4arch9wavefront6targetE1EEEvT1_
	.globl	_ZN7rocprim17ROCPRIM_400000_NS6detail17trampoline_kernelINS0_14default_configENS1_25transform_config_selectorIyLb0EEEZNS1_14transform_implILb0ES3_S5_NS0_18transform_iteratorINS0_17counting_iteratorImlEEZNS1_24adjacent_difference_implIS3_Lb1ELb0EPyN6thrust23THRUST_200600_302600_NS16discard_iteratorINSD_11use_defaultEEENSD_5minusIyEEEE10hipError_tPvRmT2_T3_mT4_P12ihipStream_tbEUlmE_yEESB_NS0_8identityIvEEEESJ_SM_SN_mSO_SQ_bEUlT_E_NS1_11comp_targetILNS1_3genE3ELNS1_11target_archE908ELNS1_3gpuE7ELNS1_3repE0EEENS1_30default_config_static_selectorELNS0_4arch9wavefront6targetE1EEEvT1_
	.p2align	8
	.type	_ZN7rocprim17ROCPRIM_400000_NS6detail17trampoline_kernelINS0_14default_configENS1_25transform_config_selectorIyLb0EEEZNS1_14transform_implILb0ES3_S5_NS0_18transform_iteratorINS0_17counting_iteratorImlEEZNS1_24adjacent_difference_implIS3_Lb1ELb0EPyN6thrust23THRUST_200600_302600_NS16discard_iteratorINSD_11use_defaultEEENSD_5minusIyEEEE10hipError_tPvRmT2_T3_mT4_P12ihipStream_tbEUlmE_yEESB_NS0_8identityIvEEEESJ_SM_SN_mSO_SQ_bEUlT_E_NS1_11comp_targetILNS1_3genE3ELNS1_11target_archE908ELNS1_3gpuE7ELNS1_3repE0EEENS1_30default_config_static_selectorELNS0_4arch9wavefront6targetE1EEEvT1_,@function
_ZN7rocprim17ROCPRIM_400000_NS6detail17trampoline_kernelINS0_14default_configENS1_25transform_config_selectorIyLb0EEEZNS1_14transform_implILb0ES3_S5_NS0_18transform_iteratorINS0_17counting_iteratorImlEEZNS1_24adjacent_difference_implIS3_Lb1ELb0EPyN6thrust23THRUST_200600_302600_NS16discard_iteratorINSD_11use_defaultEEENSD_5minusIyEEEE10hipError_tPvRmT2_T3_mT4_P12ihipStream_tbEUlmE_yEESB_NS0_8identityIvEEEESJ_SM_SN_mSO_SQ_bEUlT_E_NS1_11comp_targetILNS1_3genE3ELNS1_11target_archE908ELNS1_3gpuE7ELNS1_3repE0EEENS1_30default_config_static_selectorELNS0_4arch9wavefront6targetE1EEEvT1_: ; @_ZN7rocprim17ROCPRIM_400000_NS6detail17trampoline_kernelINS0_14default_configENS1_25transform_config_selectorIyLb0EEEZNS1_14transform_implILb0ES3_S5_NS0_18transform_iteratorINS0_17counting_iteratorImlEEZNS1_24adjacent_difference_implIS3_Lb1ELb0EPyN6thrust23THRUST_200600_302600_NS16discard_iteratorINSD_11use_defaultEEENSD_5minusIyEEEE10hipError_tPvRmT2_T3_mT4_P12ihipStream_tbEUlmE_yEESB_NS0_8identityIvEEEESJ_SM_SN_mSO_SQ_bEUlT_E_NS1_11comp_targetILNS1_3genE3ELNS1_11target_archE908ELNS1_3gpuE7ELNS1_3repE0EEENS1_30default_config_static_selectorELNS0_4arch9wavefront6targetE1EEEvT1_
; %bb.0:
	.section	.rodata,"a",@progbits
	.p2align	6, 0x0
	.amdhsa_kernel _ZN7rocprim17ROCPRIM_400000_NS6detail17trampoline_kernelINS0_14default_configENS1_25transform_config_selectorIyLb0EEEZNS1_14transform_implILb0ES3_S5_NS0_18transform_iteratorINS0_17counting_iteratorImlEEZNS1_24adjacent_difference_implIS3_Lb1ELb0EPyN6thrust23THRUST_200600_302600_NS16discard_iteratorINSD_11use_defaultEEENSD_5minusIyEEEE10hipError_tPvRmT2_T3_mT4_P12ihipStream_tbEUlmE_yEESB_NS0_8identityIvEEEESJ_SM_SN_mSO_SQ_bEUlT_E_NS1_11comp_targetILNS1_3genE3ELNS1_11target_archE908ELNS1_3gpuE7ELNS1_3repE0EEENS1_30default_config_static_selectorELNS0_4arch9wavefront6targetE1EEEvT1_
		.amdhsa_group_segment_fixed_size 0
		.amdhsa_private_segment_fixed_size 0
		.amdhsa_kernarg_size 56
		.amdhsa_user_sgpr_count 6
		.amdhsa_user_sgpr_private_segment_buffer 1
		.amdhsa_user_sgpr_dispatch_ptr 0
		.amdhsa_user_sgpr_queue_ptr 0
		.amdhsa_user_sgpr_kernarg_segment_ptr 1
		.amdhsa_user_sgpr_dispatch_id 0
		.amdhsa_user_sgpr_flat_scratch_init 0
		.amdhsa_user_sgpr_private_segment_size 0
		.amdhsa_uses_dynamic_stack 0
		.amdhsa_system_sgpr_private_segment_wavefront_offset 0
		.amdhsa_system_sgpr_workgroup_id_x 1
		.amdhsa_system_sgpr_workgroup_id_y 0
		.amdhsa_system_sgpr_workgroup_id_z 0
		.amdhsa_system_sgpr_workgroup_info 0
		.amdhsa_system_vgpr_workitem_id 0
		.amdhsa_next_free_vgpr 1
		.amdhsa_next_free_sgpr 0
		.amdhsa_reserve_vcc 0
		.amdhsa_reserve_flat_scratch 0
		.amdhsa_float_round_mode_32 0
		.amdhsa_float_round_mode_16_64 0
		.amdhsa_float_denorm_mode_32 3
		.amdhsa_float_denorm_mode_16_64 3
		.amdhsa_dx10_clamp 1
		.amdhsa_ieee_mode 1
		.amdhsa_fp16_overflow 0
		.amdhsa_exception_fp_ieee_invalid_op 0
		.amdhsa_exception_fp_denorm_src 0
		.amdhsa_exception_fp_ieee_div_zero 0
		.amdhsa_exception_fp_ieee_overflow 0
		.amdhsa_exception_fp_ieee_underflow 0
		.amdhsa_exception_fp_ieee_inexact 0
		.amdhsa_exception_int_div_zero 0
	.end_amdhsa_kernel
	.section	.text._ZN7rocprim17ROCPRIM_400000_NS6detail17trampoline_kernelINS0_14default_configENS1_25transform_config_selectorIyLb0EEEZNS1_14transform_implILb0ES3_S5_NS0_18transform_iteratorINS0_17counting_iteratorImlEEZNS1_24adjacent_difference_implIS3_Lb1ELb0EPyN6thrust23THRUST_200600_302600_NS16discard_iteratorINSD_11use_defaultEEENSD_5minusIyEEEE10hipError_tPvRmT2_T3_mT4_P12ihipStream_tbEUlmE_yEESB_NS0_8identityIvEEEESJ_SM_SN_mSO_SQ_bEUlT_E_NS1_11comp_targetILNS1_3genE3ELNS1_11target_archE908ELNS1_3gpuE7ELNS1_3repE0EEENS1_30default_config_static_selectorELNS0_4arch9wavefront6targetE1EEEvT1_,"axG",@progbits,_ZN7rocprim17ROCPRIM_400000_NS6detail17trampoline_kernelINS0_14default_configENS1_25transform_config_selectorIyLb0EEEZNS1_14transform_implILb0ES3_S5_NS0_18transform_iteratorINS0_17counting_iteratorImlEEZNS1_24adjacent_difference_implIS3_Lb1ELb0EPyN6thrust23THRUST_200600_302600_NS16discard_iteratorINSD_11use_defaultEEENSD_5minusIyEEEE10hipError_tPvRmT2_T3_mT4_P12ihipStream_tbEUlmE_yEESB_NS0_8identityIvEEEESJ_SM_SN_mSO_SQ_bEUlT_E_NS1_11comp_targetILNS1_3genE3ELNS1_11target_archE908ELNS1_3gpuE7ELNS1_3repE0EEENS1_30default_config_static_selectorELNS0_4arch9wavefront6targetE1EEEvT1_,comdat
.Lfunc_end810:
	.size	_ZN7rocprim17ROCPRIM_400000_NS6detail17trampoline_kernelINS0_14default_configENS1_25transform_config_selectorIyLb0EEEZNS1_14transform_implILb0ES3_S5_NS0_18transform_iteratorINS0_17counting_iteratorImlEEZNS1_24adjacent_difference_implIS3_Lb1ELb0EPyN6thrust23THRUST_200600_302600_NS16discard_iteratorINSD_11use_defaultEEENSD_5minusIyEEEE10hipError_tPvRmT2_T3_mT4_P12ihipStream_tbEUlmE_yEESB_NS0_8identityIvEEEESJ_SM_SN_mSO_SQ_bEUlT_E_NS1_11comp_targetILNS1_3genE3ELNS1_11target_archE908ELNS1_3gpuE7ELNS1_3repE0EEENS1_30default_config_static_selectorELNS0_4arch9wavefront6targetE1EEEvT1_, .Lfunc_end810-_ZN7rocprim17ROCPRIM_400000_NS6detail17trampoline_kernelINS0_14default_configENS1_25transform_config_selectorIyLb0EEEZNS1_14transform_implILb0ES3_S5_NS0_18transform_iteratorINS0_17counting_iteratorImlEEZNS1_24adjacent_difference_implIS3_Lb1ELb0EPyN6thrust23THRUST_200600_302600_NS16discard_iteratorINSD_11use_defaultEEENSD_5minusIyEEEE10hipError_tPvRmT2_T3_mT4_P12ihipStream_tbEUlmE_yEESB_NS0_8identityIvEEEESJ_SM_SN_mSO_SQ_bEUlT_E_NS1_11comp_targetILNS1_3genE3ELNS1_11target_archE908ELNS1_3gpuE7ELNS1_3repE0EEENS1_30default_config_static_selectorELNS0_4arch9wavefront6targetE1EEEvT1_
                                        ; -- End function
	.set _ZN7rocprim17ROCPRIM_400000_NS6detail17trampoline_kernelINS0_14default_configENS1_25transform_config_selectorIyLb0EEEZNS1_14transform_implILb0ES3_S5_NS0_18transform_iteratorINS0_17counting_iteratorImlEEZNS1_24adjacent_difference_implIS3_Lb1ELb0EPyN6thrust23THRUST_200600_302600_NS16discard_iteratorINSD_11use_defaultEEENSD_5minusIyEEEE10hipError_tPvRmT2_T3_mT4_P12ihipStream_tbEUlmE_yEESB_NS0_8identityIvEEEESJ_SM_SN_mSO_SQ_bEUlT_E_NS1_11comp_targetILNS1_3genE3ELNS1_11target_archE908ELNS1_3gpuE7ELNS1_3repE0EEENS1_30default_config_static_selectorELNS0_4arch9wavefront6targetE1EEEvT1_.num_vgpr, 0
	.set _ZN7rocprim17ROCPRIM_400000_NS6detail17trampoline_kernelINS0_14default_configENS1_25transform_config_selectorIyLb0EEEZNS1_14transform_implILb0ES3_S5_NS0_18transform_iteratorINS0_17counting_iteratorImlEEZNS1_24adjacent_difference_implIS3_Lb1ELb0EPyN6thrust23THRUST_200600_302600_NS16discard_iteratorINSD_11use_defaultEEENSD_5minusIyEEEE10hipError_tPvRmT2_T3_mT4_P12ihipStream_tbEUlmE_yEESB_NS0_8identityIvEEEESJ_SM_SN_mSO_SQ_bEUlT_E_NS1_11comp_targetILNS1_3genE3ELNS1_11target_archE908ELNS1_3gpuE7ELNS1_3repE0EEENS1_30default_config_static_selectorELNS0_4arch9wavefront6targetE1EEEvT1_.num_agpr, 0
	.set _ZN7rocprim17ROCPRIM_400000_NS6detail17trampoline_kernelINS0_14default_configENS1_25transform_config_selectorIyLb0EEEZNS1_14transform_implILb0ES3_S5_NS0_18transform_iteratorINS0_17counting_iteratorImlEEZNS1_24adjacent_difference_implIS3_Lb1ELb0EPyN6thrust23THRUST_200600_302600_NS16discard_iteratorINSD_11use_defaultEEENSD_5minusIyEEEE10hipError_tPvRmT2_T3_mT4_P12ihipStream_tbEUlmE_yEESB_NS0_8identityIvEEEESJ_SM_SN_mSO_SQ_bEUlT_E_NS1_11comp_targetILNS1_3genE3ELNS1_11target_archE908ELNS1_3gpuE7ELNS1_3repE0EEENS1_30default_config_static_selectorELNS0_4arch9wavefront6targetE1EEEvT1_.numbered_sgpr, 0
	.set _ZN7rocprim17ROCPRIM_400000_NS6detail17trampoline_kernelINS0_14default_configENS1_25transform_config_selectorIyLb0EEEZNS1_14transform_implILb0ES3_S5_NS0_18transform_iteratorINS0_17counting_iteratorImlEEZNS1_24adjacent_difference_implIS3_Lb1ELb0EPyN6thrust23THRUST_200600_302600_NS16discard_iteratorINSD_11use_defaultEEENSD_5minusIyEEEE10hipError_tPvRmT2_T3_mT4_P12ihipStream_tbEUlmE_yEESB_NS0_8identityIvEEEESJ_SM_SN_mSO_SQ_bEUlT_E_NS1_11comp_targetILNS1_3genE3ELNS1_11target_archE908ELNS1_3gpuE7ELNS1_3repE0EEENS1_30default_config_static_selectorELNS0_4arch9wavefront6targetE1EEEvT1_.num_named_barrier, 0
	.set _ZN7rocprim17ROCPRIM_400000_NS6detail17trampoline_kernelINS0_14default_configENS1_25transform_config_selectorIyLb0EEEZNS1_14transform_implILb0ES3_S5_NS0_18transform_iteratorINS0_17counting_iteratorImlEEZNS1_24adjacent_difference_implIS3_Lb1ELb0EPyN6thrust23THRUST_200600_302600_NS16discard_iteratorINSD_11use_defaultEEENSD_5minusIyEEEE10hipError_tPvRmT2_T3_mT4_P12ihipStream_tbEUlmE_yEESB_NS0_8identityIvEEEESJ_SM_SN_mSO_SQ_bEUlT_E_NS1_11comp_targetILNS1_3genE3ELNS1_11target_archE908ELNS1_3gpuE7ELNS1_3repE0EEENS1_30default_config_static_selectorELNS0_4arch9wavefront6targetE1EEEvT1_.private_seg_size, 0
	.set _ZN7rocprim17ROCPRIM_400000_NS6detail17trampoline_kernelINS0_14default_configENS1_25transform_config_selectorIyLb0EEEZNS1_14transform_implILb0ES3_S5_NS0_18transform_iteratorINS0_17counting_iteratorImlEEZNS1_24adjacent_difference_implIS3_Lb1ELb0EPyN6thrust23THRUST_200600_302600_NS16discard_iteratorINSD_11use_defaultEEENSD_5minusIyEEEE10hipError_tPvRmT2_T3_mT4_P12ihipStream_tbEUlmE_yEESB_NS0_8identityIvEEEESJ_SM_SN_mSO_SQ_bEUlT_E_NS1_11comp_targetILNS1_3genE3ELNS1_11target_archE908ELNS1_3gpuE7ELNS1_3repE0EEENS1_30default_config_static_selectorELNS0_4arch9wavefront6targetE1EEEvT1_.uses_vcc, 0
	.set _ZN7rocprim17ROCPRIM_400000_NS6detail17trampoline_kernelINS0_14default_configENS1_25transform_config_selectorIyLb0EEEZNS1_14transform_implILb0ES3_S5_NS0_18transform_iteratorINS0_17counting_iteratorImlEEZNS1_24adjacent_difference_implIS3_Lb1ELb0EPyN6thrust23THRUST_200600_302600_NS16discard_iteratorINSD_11use_defaultEEENSD_5minusIyEEEE10hipError_tPvRmT2_T3_mT4_P12ihipStream_tbEUlmE_yEESB_NS0_8identityIvEEEESJ_SM_SN_mSO_SQ_bEUlT_E_NS1_11comp_targetILNS1_3genE3ELNS1_11target_archE908ELNS1_3gpuE7ELNS1_3repE0EEENS1_30default_config_static_selectorELNS0_4arch9wavefront6targetE1EEEvT1_.uses_flat_scratch, 0
	.set _ZN7rocprim17ROCPRIM_400000_NS6detail17trampoline_kernelINS0_14default_configENS1_25transform_config_selectorIyLb0EEEZNS1_14transform_implILb0ES3_S5_NS0_18transform_iteratorINS0_17counting_iteratorImlEEZNS1_24adjacent_difference_implIS3_Lb1ELb0EPyN6thrust23THRUST_200600_302600_NS16discard_iteratorINSD_11use_defaultEEENSD_5minusIyEEEE10hipError_tPvRmT2_T3_mT4_P12ihipStream_tbEUlmE_yEESB_NS0_8identityIvEEEESJ_SM_SN_mSO_SQ_bEUlT_E_NS1_11comp_targetILNS1_3genE3ELNS1_11target_archE908ELNS1_3gpuE7ELNS1_3repE0EEENS1_30default_config_static_selectorELNS0_4arch9wavefront6targetE1EEEvT1_.has_dyn_sized_stack, 0
	.set _ZN7rocprim17ROCPRIM_400000_NS6detail17trampoline_kernelINS0_14default_configENS1_25transform_config_selectorIyLb0EEEZNS1_14transform_implILb0ES3_S5_NS0_18transform_iteratorINS0_17counting_iteratorImlEEZNS1_24adjacent_difference_implIS3_Lb1ELb0EPyN6thrust23THRUST_200600_302600_NS16discard_iteratorINSD_11use_defaultEEENSD_5minusIyEEEE10hipError_tPvRmT2_T3_mT4_P12ihipStream_tbEUlmE_yEESB_NS0_8identityIvEEEESJ_SM_SN_mSO_SQ_bEUlT_E_NS1_11comp_targetILNS1_3genE3ELNS1_11target_archE908ELNS1_3gpuE7ELNS1_3repE0EEENS1_30default_config_static_selectorELNS0_4arch9wavefront6targetE1EEEvT1_.has_recursion, 0
	.set _ZN7rocprim17ROCPRIM_400000_NS6detail17trampoline_kernelINS0_14default_configENS1_25transform_config_selectorIyLb0EEEZNS1_14transform_implILb0ES3_S5_NS0_18transform_iteratorINS0_17counting_iteratorImlEEZNS1_24adjacent_difference_implIS3_Lb1ELb0EPyN6thrust23THRUST_200600_302600_NS16discard_iteratorINSD_11use_defaultEEENSD_5minusIyEEEE10hipError_tPvRmT2_T3_mT4_P12ihipStream_tbEUlmE_yEESB_NS0_8identityIvEEEESJ_SM_SN_mSO_SQ_bEUlT_E_NS1_11comp_targetILNS1_3genE3ELNS1_11target_archE908ELNS1_3gpuE7ELNS1_3repE0EEENS1_30default_config_static_selectorELNS0_4arch9wavefront6targetE1EEEvT1_.has_indirect_call, 0
	.section	.AMDGPU.csdata,"",@progbits
; Kernel info:
; codeLenInByte = 0
; TotalNumSgprs: 4
; NumVgprs: 0
; ScratchSize: 0
; MemoryBound: 0
; FloatMode: 240
; IeeeMode: 1
; LDSByteSize: 0 bytes/workgroup (compile time only)
; SGPRBlocks: 0
; VGPRBlocks: 0
; NumSGPRsForWavesPerEU: 4
; NumVGPRsForWavesPerEU: 1
; Occupancy: 10
; WaveLimiterHint : 0
; COMPUTE_PGM_RSRC2:SCRATCH_EN: 0
; COMPUTE_PGM_RSRC2:USER_SGPR: 6
; COMPUTE_PGM_RSRC2:TRAP_HANDLER: 0
; COMPUTE_PGM_RSRC2:TGID_X_EN: 1
; COMPUTE_PGM_RSRC2:TGID_Y_EN: 0
; COMPUTE_PGM_RSRC2:TGID_Z_EN: 0
; COMPUTE_PGM_RSRC2:TIDIG_COMP_CNT: 0
	.section	.text._ZN7rocprim17ROCPRIM_400000_NS6detail17trampoline_kernelINS0_14default_configENS1_25transform_config_selectorIyLb0EEEZNS1_14transform_implILb0ES3_S5_NS0_18transform_iteratorINS0_17counting_iteratorImlEEZNS1_24adjacent_difference_implIS3_Lb1ELb0EPyN6thrust23THRUST_200600_302600_NS16discard_iteratorINSD_11use_defaultEEENSD_5minusIyEEEE10hipError_tPvRmT2_T3_mT4_P12ihipStream_tbEUlmE_yEESB_NS0_8identityIvEEEESJ_SM_SN_mSO_SQ_bEUlT_E_NS1_11comp_targetILNS1_3genE2ELNS1_11target_archE906ELNS1_3gpuE6ELNS1_3repE0EEENS1_30default_config_static_selectorELNS0_4arch9wavefront6targetE1EEEvT1_,"axG",@progbits,_ZN7rocprim17ROCPRIM_400000_NS6detail17trampoline_kernelINS0_14default_configENS1_25transform_config_selectorIyLb0EEEZNS1_14transform_implILb0ES3_S5_NS0_18transform_iteratorINS0_17counting_iteratorImlEEZNS1_24adjacent_difference_implIS3_Lb1ELb0EPyN6thrust23THRUST_200600_302600_NS16discard_iteratorINSD_11use_defaultEEENSD_5minusIyEEEE10hipError_tPvRmT2_T3_mT4_P12ihipStream_tbEUlmE_yEESB_NS0_8identityIvEEEESJ_SM_SN_mSO_SQ_bEUlT_E_NS1_11comp_targetILNS1_3genE2ELNS1_11target_archE906ELNS1_3gpuE6ELNS1_3repE0EEENS1_30default_config_static_selectorELNS0_4arch9wavefront6targetE1EEEvT1_,comdat
	.protected	_ZN7rocprim17ROCPRIM_400000_NS6detail17trampoline_kernelINS0_14default_configENS1_25transform_config_selectorIyLb0EEEZNS1_14transform_implILb0ES3_S5_NS0_18transform_iteratorINS0_17counting_iteratorImlEEZNS1_24adjacent_difference_implIS3_Lb1ELb0EPyN6thrust23THRUST_200600_302600_NS16discard_iteratorINSD_11use_defaultEEENSD_5minusIyEEEE10hipError_tPvRmT2_T3_mT4_P12ihipStream_tbEUlmE_yEESB_NS0_8identityIvEEEESJ_SM_SN_mSO_SQ_bEUlT_E_NS1_11comp_targetILNS1_3genE2ELNS1_11target_archE906ELNS1_3gpuE6ELNS1_3repE0EEENS1_30default_config_static_selectorELNS0_4arch9wavefront6targetE1EEEvT1_ ; -- Begin function _ZN7rocprim17ROCPRIM_400000_NS6detail17trampoline_kernelINS0_14default_configENS1_25transform_config_selectorIyLb0EEEZNS1_14transform_implILb0ES3_S5_NS0_18transform_iteratorINS0_17counting_iteratorImlEEZNS1_24adjacent_difference_implIS3_Lb1ELb0EPyN6thrust23THRUST_200600_302600_NS16discard_iteratorINSD_11use_defaultEEENSD_5minusIyEEEE10hipError_tPvRmT2_T3_mT4_P12ihipStream_tbEUlmE_yEESB_NS0_8identityIvEEEESJ_SM_SN_mSO_SQ_bEUlT_E_NS1_11comp_targetILNS1_3genE2ELNS1_11target_archE906ELNS1_3gpuE6ELNS1_3repE0EEENS1_30default_config_static_selectorELNS0_4arch9wavefront6targetE1EEEvT1_
	.globl	_ZN7rocprim17ROCPRIM_400000_NS6detail17trampoline_kernelINS0_14default_configENS1_25transform_config_selectorIyLb0EEEZNS1_14transform_implILb0ES3_S5_NS0_18transform_iteratorINS0_17counting_iteratorImlEEZNS1_24adjacent_difference_implIS3_Lb1ELb0EPyN6thrust23THRUST_200600_302600_NS16discard_iteratorINSD_11use_defaultEEENSD_5minusIyEEEE10hipError_tPvRmT2_T3_mT4_P12ihipStream_tbEUlmE_yEESB_NS0_8identityIvEEEESJ_SM_SN_mSO_SQ_bEUlT_E_NS1_11comp_targetILNS1_3genE2ELNS1_11target_archE906ELNS1_3gpuE6ELNS1_3repE0EEENS1_30default_config_static_selectorELNS0_4arch9wavefront6targetE1EEEvT1_
	.p2align	8
	.type	_ZN7rocprim17ROCPRIM_400000_NS6detail17trampoline_kernelINS0_14default_configENS1_25transform_config_selectorIyLb0EEEZNS1_14transform_implILb0ES3_S5_NS0_18transform_iteratorINS0_17counting_iteratorImlEEZNS1_24adjacent_difference_implIS3_Lb1ELb0EPyN6thrust23THRUST_200600_302600_NS16discard_iteratorINSD_11use_defaultEEENSD_5minusIyEEEE10hipError_tPvRmT2_T3_mT4_P12ihipStream_tbEUlmE_yEESB_NS0_8identityIvEEEESJ_SM_SN_mSO_SQ_bEUlT_E_NS1_11comp_targetILNS1_3genE2ELNS1_11target_archE906ELNS1_3gpuE6ELNS1_3repE0EEENS1_30default_config_static_selectorELNS0_4arch9wavefront6targetE1EEEvT1_,@function
_ZN7rocprim17ROCPRIM_400000_NS6detail17trampoline_kernelINS0_14default_configENS1_25transform_config_selectorIyLb0EEEZNS1_14transform_implILb0ES3_S5_NS0_18transform_iteratorINS0_17counting_iteratorImlEEZNS1_24adjacent_difference_implIS3_Lb1ELb0EPyN6thrust23THRUST_200600_302600_NS16discard_iteratorINSD_11use_defaultEEENSD_5minusIyEEEE10hipError_tPvRmT2_T3_mT4_P12ihipStream_tbEUlmE_yEESB_NS0_8identityIvEEEESJ_SM_SN_mSO_SQ_bEUlT_E_NS1_11comp_targetILNS1_3genE2ELNS1_11target_archE906ELNS1_3gpuE6ELNS1_3repE0EEENS1_30default_config_static_selectorELNS0_4arch9wavefront6targetE1EEEvT1_: ; @_ZN7rocprim17ROCPRIM_400000_NS6detail17trampoline_kernelINS0_14default_configENS1_25transform_config_selectorIyLb0EEEZNS1_14transform_implILb0ES3_S5_NS0_18transform_iteratorINS0_17counting_iteratorImlEEZNS1_24adjacent_difference_implIS3_Lb1ELb0EPyN6thrust23THRUST_200600_302600_NS16discard_iteratorINSD_11use_defaultEEENSD_5minusIyEEEE10hipError_tPvRmT2_T3_mT4_P12ihipStream_tbEUlmE_yEESB_NS0_8identityIvEEEESJ_SM_SN_mSO_SQ_bEUlT_E_NS1_11comp_targetILNS1_3genE2ELNS1_11target_archE906ELNS1_3gpuE6ELNS1_3repE0EEENS1_30default_config_static_selectorELNS0_4arch9wavefront6targetE1EEEvT1_
; %bb.0:
	s_load_dword s1, s[4:5], 0x38
	s_load_dword s7, s[4:5], 0x20
	s_lshl_b32 s0, s6, 9
	s_waitcnt lgkmcnt(0)
	s_add_i32 s1, s1, -1
	s_cmp_lg_u32 s6, s1
	s_cselect_b64 s[2:3], -1, 0
	s_sub_i32 s1, s7, s0
	v_cmp_gt_u32_e32 vcc, s1, v0
	s_or_b64 s[2:3], s[2:3], vcc
	s_and_saveexec_b64 s[6:7], s[2:3]
	s_cbranch_execz .LBB811_2
; %bb.1:
	s_load_dwordx2 s[2:3], s[4:5], 0x18
	s_load_dwordx2 s[6:7], s[4:5], 0x28
	s_load_dwordx4 s[8:11], s[4:5], 0x0
	s_load_dword s1, s[4:5], 0x10
	s_waitcnt lgkmcnt(0)
	s_lshl_b64 s[4:5], s[2:3], 3
	s_add_u32 s4, s6, s4
	s_addc_u32 s5, s7, s5
	s_add_u32 s2, s8, s2
	s_addc_u32 s3, s9, s3
	;; [unrolled: 2-line block ×3, first 2 shown]
	v_mov_b32_e32 v1, s3
	v_add_co_u32_e32 v2, vcc, s2, v0
	v_addc_co_u32_e32 v3, vcc, 0, v1, vcc
	v_mad_u64_u32 v[1:2], s[2:3], v2, s1, 0
	v_mad_u64_u32 v[2:3], s[2:3], v3, s1, v[2:3]
	v_mov_b32_e32 v3, s11
	s_mov_b32 s1, 0
	v_lshlrev_b64 v[1:2], 3, v[1:2]
	s_lshl_b64 s[0:1], s[0:1], 3
	v_add_co_u32_e32 v1, vcc, s10, v1
	v_addc_co_u32_e32 v2, vcc, v3, v2, vcc
	global_load_dwordx2 v[2:3], v[1:2], off
	v_mov_b32_e32 v1, 0
	s_add_u32 s0, s4, s0
	v_lshlrev_b64 v[0:1], 3, v[0:1]
	s_addc_u32 s1, s5, s1
	v_mov_b32_e32 v4, s1
	v_add_co_u32_e32 v0, vcc, s0, v0
	v_addc_co_u32_e32 v1, vcc, v4, v1, vcc
	s_waitcnt vmcnt(0)
	global_store_dwordx2 v[0:1], v[2:3], off
.LBB811_2:
	s_endpgm
	.section	.rodata,"a",@progbits
	.p2align	6, 0x0
	.amdhsa_kernel _ZN7rocprim17ROCPRIM_400000_NS6detail17trampoline_kernelINS0_14default_configENS1_25transform_config_selectorIyLb0EEEZNS1_14transform_implILb0ES3_S5_NS0_18transform_iteratorINS0_17counting_iteratorImlEEZNS1_24adjacent_difference_implIS3_Lb1ELb0EPyN6thrust23THRUST_200600_302600_NS16discard_iteratorINSD_11use_defaultEEENSD_5minusIyEEEE10hipError_tPvRmT2_T3_mT4_P12ihipStream_tbEUlmE_yEESB_NS0_8identityIvEEEESJ_SM_SN_mSO_SQ_bEUlT_E_NS1_11comp_targetILNS1_3genE2ELNS1_11target_archE906ELNS1_3gpuE6ELNS1_3repE0EEENS1_30default_config_static_selectorELNS0_4arch9wavefront6targetE1EEEvT1_
		.amdhsa_group_segment_fixed_size 0
		.amdhsa_private_segment_fixed_size 0
		.amdhsa_kernarg_size 312
		.amdhsa_user_sgpr_count 6
		.amdhsa_user_sgpr_private_segment_buffer 1
		.amdhsa_user_sgpr_dispatch_ptr 0
		.amdhsa_user_sgpr_queue_ptr 0
		.amdhsa_user_sgpr_kernarg_segment_ptr 1
		.amdhsa_user_sgpr_dispatch_id 0
		.amdhsa_user_sgpr_flat_scratch_init 0
		.amdhsa_user_sgpr_private_segment_size 0
		.amdhsa_uses_dynamic_stack 0
		.amdhsa_system_sgpr_private_segment_wavefront_offset 0
		.amdhsa_system_sgpr_workgroup_id_x 1
		.amdhsa_system_sgpr_workgroup_id_y 0
		.amdhsa_system_sgpr_workgroup_id_z 0
		.amdhsa_system_sgpr_workgroup_info 0
		.amdhsa_system_vgpr_workitem_id 0
		.amdhsa_next_free_vgpr 5
		.amdhsa_next_free_sgpr 12
		.amdhsa_reserve_vcc 1
		.amdhsa_reserve_flat_scratch 0
		.amdhsa_float_round_mode_32 0
		.amdhsa_float_round_mode_16_64 0
		.amdhsa_float_denorm_mode_32 3
		.amdhsa_float_denorm_mode_16_64 3
		.amdhsa_dx10_clamp 1
		.amdhsa_ieee_mode 1
		.amdhsa_fp16_overflow 0
		.amdhsa_exception_fp_ieee_invalid_op 0
		.amdhsa_exception_fp_denorm_src 0
		.amdhsa_exception_fp_ieee_div_zero 0
		.amdhsa_exception_fp_ieee_overflow 0
		.amdhsa_exception_fp_ieee_underflow 0
		.amdhsa_exception_fp_ieee_inexact 0
		.amdhsa_exception_int_div_zero 0
	.end_amdhsa_kernel
	.section	.text._ZN7rocprim17ROCPRIM_400000_NS6detail17trampoline_kernelINS0_14default_configENS1_25transform_config_selectorIyLb0EEEZNS1_14transform_implILb0ES3_S5_NS0_18transform_iteratorINS0_17counting_iteratorImlEEZNS1_24adjacent_difference_implIS3_Lb1ELb0EPyN6thrust23THRUST_200600_302600_NS16discard_iteratorINSD_11use_defaultEEENSD_5minusIyEEEE10hipError_tPvRmT2_T3_mT4_P12ihipStream_tbEUlmE_yEESB_NS0_8identityIvEEEESJ_SM_SN_mSO_SQ_bEUlT_E_NS1_11comp_targetILNS1_3genE2ELNS1_11target_archE906ELNS1_3gpuE6ELNS1_3repE0EEENS1_30default_config_static_selectorELNS0_4arch9wavefront6targetE1EEEvT1_,"axG",@progbits,_ZN7rocprim17ROCPRIM_400000_NS6detail17trampoline_kernelINS0_14default_configENS1_25transform_config_selectorIyLb0EEEZNS1_14transform_implILb0ES3_S5_NS0_18transform_iteratorINS0_17counting_iteratorImlEEZNS1_24adjacent_difference_implIS3_Lb1ELb0EPyN6thrust23THRUST_200600_302600_NS16discard_iteratorINSD_11use_defaultEEENSD_5minusIyEEEE10hipError_tPvRmT2_T3_mT4_P12ihipStream_tbEUlmE_yEESB_NS0_8identityIvEEEESJ_SM_SN_mSO_SQ_bEUlT_E_NS1_11comp_targetILNS1_3genE2ELNS1_11target_archE906ELNS1_3gpuE6ELNS1_3repE0EEENS1_30default_config_static_selectorELNS0_4arch9wavefront6targetE1EEEvT1_,comdat
.Lfunc_end811:
	.size	_ZN7rocprim17ROCPRIM_400000_NS6detail17trampoline_kernelINS0_14default_configENS1_25transform_config_selectorIyLb0EEEZNS1_14transform_implILb0ES3_S5_NS0_18transform_iteratorINS0_17counting_iteratorImlEEZNS1_24adjacent_difference_implIS3_Lb1ELb0EPyN6thrust23THRUST_200600_302600_NS16discard_iteratorINSD_11use_defaultEEENSD_5minusIyEEEE10hipError_tPvRmT2_T3_mT4_P12ihipStream_tbEUlmE_yEESB_NS0_8identityIvEEEESJ_SM_SN_mSO_SQ_bEUlT_E_NS1_11comp_targetILNS1_3genE2ELNS1_11target_archE906ELNS1_3gpuE6ELNS1_3repE0EEENS1_30default_config_static_selectorELNS0_4arch9wavefront6targetE1EEEvT1_, .Lfunc_end811-_ZN7rocprim17ROCPRIM_400000_NS6detail17trampoline_kernelINS0_14default_configENS1_25transform_config_selectorIyLb0EEEZNS1_14transform_implILb0ES3_S5_NS0_18transform_iteratorINS0_17counting_iteratorImlEEZNS1_24adjacent_difference_implIS3_Lb1ELb0EPyN6thrust23THRUST_200600_302600_NS16discard_iteratorINSD_11use_defaultEEENSD_5minusIyEEEE10hipError_tPvRmT2_T3_mT4_P12ihipStream_tbEUlmE_yEESB_NS0_8identityIvEEEESJ_SM_SN_mSO_SQ_bEUlT_E_NS1_11comp_targetILNS1_3genE2ELNS1_11target_archE906ELNS1_3gpuE6ELNS1_3repE0EEENS1_30default_config_static_selectorELNS0_4arch9wavefront6targetE1EEEvT1_
                                        ; -- End function
	.set _ZN7rocprim17ROCPRIM_400000_NS6detail17trampoline_kernelINS0_14default_configENS1_25transform_config_selectorIyLb0EEEZNS1_14transform_implILb0ES3_S5_NS0_18transform_iteratorINS0_17counting_iteratorImlEEZNS1_24adjacent_difference_implIS3_Lb1ELb0EPyN6thrust23THRUST_200600_302600_NS16discard_iteratorINSD_11use_defaultEEENSD_5minusIyEEEE10hipError_tPvRmT2_T3_mT4_P12ihipStream_tbEUlmE_yEESB_NS0_8identityIvEEEESJ_SM_SN_mSO_SQ_bEUlT_E_NS1_11comp_targetILNS1_3genE2ELNS1_11target_archE906ELNS1_3gpuE6ELNS1_3repE0EEENS1_30default_config_static_selectorELNS0_4arch9wavefront6targetE1EEEvT1_.num_vgpr, 5
	.set _ZN7rocprim17ROCPRIM_400000_NS6detail17trampoline_kernelINS0_14default_configENS1_25transform_config_selectorIyLb0EEEZNS1_14transform_implILb0ES3_S5_NS0_18transform_iteratorINS0_17counting_iteratorImlEEZNS1_24adjacent_difference_implIS3_Lb1ELb0EPyN6thrust23THRUST_200600_302600_NS16discard_iteratorINSD_11use_defaultEEENSD_5minusIyEEEE10hipError_tPvRmT2_T3_mT4_P12ihipStream_tbEUlmE_yEESB_NS0_8identityIvEEEESJ_SM_SN_mSO_SQ_bEUlT_E_NS1_11comp_targetILNS1_3genE2ELNS1_11target_archE906ELNS1_3gpuE6ELNS1_3repE0EEENS1_30default_config_static_selectorELNS0_4arch9wavefront6targetE1EEEvT1_.num_agpr, 0
	.set _ZN7rocprim17ROCPRIM_400000_NS6detail17trampoline_kernelINS0_14default_configENS1_25transform_config_selectorIyLb0EEEZNS1_14transform_implILb0ES3_S5_NS0_18transform_iteratorINS0_17counting_iteratorImlEEZNS1_24adjacent_difference_implIS3_Lb1ELb0EPyN6thrust23THRUST_200600_302600_NS16discard_iteratorINSD_11use_defaultEEENSD_5minusIyEEEE10hipError_tPvRmT2_T3_mT4_P12ihipStream_tbEUlmE_yEESB_NS0_8identityIvEEEESJ_SM_SN_mSO_SQ_bEUlT_E_NS1_11comp_targetILNS1_3genE2ELNS1_11target_archE906ELNS1_3gpuE6ELNS1_3repE0EEENS1_30default_config_static_selectorELNS0_4arch9wavefront6targetE1EEEvT1_.numbered_sgpr, 12
	.set _ZN7rocprim17ROCPRIM_400000_NS6detail17trampoline_kernelINS0_14default_configENS1_25transform_config_selectorIyLb0EEEZNS1_14transform_implILb0ES3_S5_NS0_18transform_iteratorINS0_17counting_iteratorImlEEZNS1_24adjacent_difference_implIS3_Lb1ELb0EPyN6thrust23THRUST_200600_302600_NS16discard_iteratorINSD_11use_defaultEEENSD_5minusIyEEEE10hipError_tPvRmT2_T3_mT4_P12ihipStream_tbEUlmE_yEESB_NS0_8identityIvEEEESJ_SM_SN_mSO_SQ_bEUlT_E_NS1_11comp_targetILNS1_3genE2ELNS1_11target_archE906ELNS1_3gpuE6ELNS1_3repE0EEENS1_30default_config_static_selectorELNS0_4arch9wavefront6targetE1EEEvT1_.num_named_barrier, 0
	.set _ZN7rocprim17ROCPRIM_400000_NS6detail17trampoline_kernelINS0_14default_configENS1_25transform_config_selectorIyLb0EEEZNS1_14transform_implILb0ES3_S5_NS0_18transform_iteratorINS0_17counting_iteratorImlEEZNS1_24adjacent_difference_implIS3_Lb1ELb0EPyN6thrust23THRUST_200600_302600_NS16discard_iteratorINSD_11use_defaultEEENSD_5minusIyEEEE10hipError_tPvRmT2_T3_mT4_P12ihipStream_tbEUlmE_yEESB_NS0_8identityIvEEEESJ_SM_SN_mSO_SQ_bEUlT_E_NS1_11comp_targetILNS1_3genE2ELNS1_11target_archE906ELNS1_3gpuE6ELNS1_3repE0EEENS1_30default_config_static_selectorELNS0_4arch9wavefront6targetE1EEEvT1_.private_seg_size, 0
	.set _ZN7rocprim17ROCPRIM_400000_NS6detail17trampoline_kernelINS0_14default_configENS1_25transform_config_selectorIyLb0EEEZNS1_14transform_implILb0ES3_S5_NS0_18transform_iteratorINS0_17counting_iteratorImlEEZNS1_24adjacent_difference_implIS3_Lb1ELb0EPyN6thrust23THRUST_200600_302600_NS16discard_iteratorINSD_11use_defaultEEENSD_5minusIyEEEE10hipError_tPvRmT2_T3_mT4_P12ihipStream_tbEUlmE_yEESB_NS0_8identityIvEEEESJ_SM_SN_mSO_SQ_bEUlT_E_NS1_11comp_targetILNS1_3genE2ELNS1_11target_archE906ELNS1_3gpuE6ELNS1_3repE0EEENS1_30default_config_static_selectorELNS0_4arch9wavefront6targetE1EEEvT1_.uses_vcc, 1
	.set _ZN7rocprim17ROCPRIM_400000_NS6detail17trampoline_kernelINS0_14default_configENS1_25transform_config_selectorIyLb0EEEZNS1_14transform_implILb0ES3_S5_NS0_18transform_iteratorINS0_17counting_iteratorImlEEZNS1_24adjacent_difference_implIS3_Lb1ELb0EPyN6thrust23THRUST_200600_302600_NS16discard_iteratorINSD_11use_defaultEEENSD_5minusIyEEEE10hipError_tPvRmT2_T3_mT4_P12ihipStream_tbEUlmE_yEESB_NS0_8identityIvEEEESJ_SM_SN_mSO_SQ_bEUlT_E_NS1_11comp_targetILNS1_3genE2ELNS1_11target_archE906ELNS1_3gpuE6ELNS1_3repE0EEENS1_30default_config_static_selectorELNS0_4arch9wavefront6targetE1EEEvT1_.uses_flat_scratch, 0
	.set _ZN7rocprim17ROCPRIM_400000_NS6detail17trampoline_kernelINS0_14default_configENS1_25transform_config_selectorIyLb0EEEZNS1_14transform_implILb0ES3_S5_NS0_18transform_iteratorINS0_17counting_iteratorImlEEZNS1_24adjacent_difference_implIS3_Lb1ELb0EPyN6thrust23THRUST_200600_302600_NS16discard_iteratorINSD_11use_defaultEEENSD_5minusIyEEEE10hipError_tPvRmT2_T3_mT4_P12ihipStream_tbEUlmE_yEESB_NS0_8identityIvEEEESJ_SM_SN_mSO_SQ_bEUlT_E_NS1_11comp_targetILNS1_3genE2ELNS1_11target_archE906ELNS1_3gpuE6ELNS1_3repE0EEENS1_30default_config_static_selectorELNS0_4arch9wavefront6targetE1EEEvT1_.has_dyn_sized_stack, 0
	.set _ZN7rocprim17ROCPRIM_400000_NS6detail17trampoline_kernelINS0_14default_configENS1_25transform_config_selectorIyLb0EEEZNS1_14transform_implILb0ES3_S5_NS0_18transform_iteratorINS0_17counting_iteratorImlEEZNS1_24adjacent_difference_implIS3_Lb1ELb0EPyN6thrust23THRUST_200600_302600_NS16discard_iteratorINSD_11use_defaultEEENSD_5minusIyEEEE10hipError_tPvRmT2_T3_mT4_P12ihipStream_tbEUlmE_yEESB_NS0_8identityIvEEEESJ_SM_SN_mSO_SQ_bEUlT_E_NS1_11comp_targetILNS1_3genE2ELNS1_11target_archE906ELNS1_3gpuE6ELNS1_3repE0EEENS1_30default_config_static_selectorELNS0_4arch9wavefront6targetE1EEEvT1_.has_recursion, 0
	.set _ZN7rocprim17ROCPRIM_400000_NS6detail17trampoline_kernelINS0_14default_configENS1_25transform_config_selectorIyLb0EEEZNS1_14transform_implILb0ES3_S5_NS0_18transform_iteratorINS0_17counting_iteratorImlEEZNS1_24adjacent_difference_implIS3_Lb1ELb0EPyN6thrust23THRUST_200600_302600_NS16discard_iteratorINSD_11use_defaultEEENSD_5minusIyEEEE10hipError_tPvRmT2_T3_mT4_P12ihipStream_tbEUlmE_yEESB_NS0_8identityIvEEEESJ_SM_SN_mSO_SQ_bEUlT_E_NS1_11comp_targetILNS1_3genE2ELNS1_11target_archE906ELNS1_3gpuE6ELNS1_3repE0EEENS1_30default_config_static_selectorELNS0_4arch9wavefront6targetE1EEEvT1_.has_indirect_call, 0
	.section	.AMDGPU.csdata,"",@progbits
; Kernel info:
; codeLenInByte = 232
; TotalNumSgprs: 16
; NumVgprs: 5
; ScratchSize: 0
; MemoryBound: 0
; FloatMode: 240
; IeeeMode: 1
; LDSByteSize: 0 bytes/workgroup (compile time only)
; SGPRBlocks: 1
; VGPRBlocks: 1
; NumSGPRsForWavesPerEU: 16
; NumVGPRsForWavesPerEU: 5
; Occupancy: 10
; WaveLimiterHint : 0
; COMPUTE_PGM_RSRC2:SCRATCH_EN: 0
; COMPUTE_PGM_RSRC2:USER_SGPR: 6
; COMPUTE_PGM_RSRC2:TRAP_HANDLER: 0
; COMPUTE_PGM_RSRC2:TGID_X_EN: 1
; COMPUTE_PGM_RSRC2:TGID_Y_EN: 0
; COMPUTE_PGM_RSRC2:TGID_Z_EN: 0
; COMPUTE_PGM_RSRC2:TIDIG_COMP_CNT: 0
	.section	.text._ZN7rocprim17ROCPRIM_400000_NS6detail17trampoline_kernelINS0_14default_configENS1_25transform_config_selectorIyLb0EEEZNS1_14transform_implILb0ES3_S5_NS0_18transform_iteratorINS0_17counting_iteratorImlEEZNS1_24adjacent_difference_implIS3_Lb1ELb0EPyN6thrust23THRUST_200600_302600_NS16discard_iteratorINSD_11use_defaultEEENSD_5minusIyEEEE10hipError_tPvRmT2_T3_mT4_P12ihipStream_tbEUlmE_yEESB_NS0_8identityIvEEEESJ_SM_SN_mSO_SQ_bEUlT_E_NS1_11comp_targetILNS1_3genE10ELNS1_11target_archE1201ELNS1_3gpuE5ELNS1_3repE0EEENS1_30default_config_static_selectorELNS0_4arch9wavefront6targetE1EEEvT1_,"axG",@progbits,_ZN7rocprim17ROCPRIM_400000_NS6detail17trampoline_kernelINS0_14default_configENS1_25transform_config_selectorIyLb0EEEZNS1_14transform_implILb0ES3_S5_NS0_18transform_iteratorINS0_17counting_iteratorImlEEZNS1_24adjacent_difference_implIS3_Lb1ELb0EPyN6thrust23THRUST_200600_302600_NS16discard_iteratorINSD_11use_defaultEEENSD_5minusIyEEEE10hipError_tPvRmT2_T3_mT4_P12ihipStream_tbEUlmE_yEESB_NS0_8identityIvEEEESJ_SM_SN_mSO_SQ_bEUlT_E_NS1_11comp_targetILNS1_3genE10ELNS1_11target_archE1201ELNS1_3gpuE5ELNS1_3repE0EEENS1_30default_config_static_selectorELNS0_4arch9wavefront6targetE1EEEvT1_,comdat
	.protected	_ZN7rocprim17ROCPRIM_400000_NS6detail17trampoline_kernelINS0_14default_configENS1_25transform_config_selectorIyLb0EEEZNS1_14transform_implILb0ES3_S5_NS0_18transform_iteratorINS0_17counting_iteratorImlEEZNS1_24adjacent_difference_implIS3_Lb1ELb0EPyN6thrust23THRUST_200600_302600_NS16discard_iteratorINSD_11use_defaultEEENSD_5minusIyEEEE10hipError_tPvRmT2_T3_mT4_P12ihipStream_tbEUlmE_yEESB_NS0_8identityIvEEEESJ_SM_SN_mSO_SQ_bEUlT_E_NS1_11comp_targetILNS1_3genE10ELNS1_11target_archE1201ELNS1_3gpuE5ELNS1_3repE0EEENS1_30default_config_static_selectorELNS0_4arch9wavefront6targetE1EEEvT1_ ; -- Begin function _ZN7rocprim17ROCPRIM_400000_NS6detail17trampoline_kernelINS0_14default_configENS1_25transform_config_selectorIyLb0EEEZNS1_14transform_implILb0ES3_S5_NS0_18transform_iteratorINS0_17counting_iteratorImlEEZNS1_24adjacent_difference_implIS3_Lb1ELb0EPyN6thrust23THRUST_200600_302600_NS16discard_iteratorINSD_11use_defaultEEENSD_5minusIyEEEE10hipError_tPvRmT2_T3_mT4_P12ihipStream_tbEUlmE_yEESB_NS0_8identityIvEEEESJ_SM_SN_mSO_SQ_bEUlT_E_NS1_11comp_targetILNS1_3genE10ELNS1_11target_archE1201ELNS1_3gpuE5ELNS1_3repE0EEENS1_30default_config_static_selectorELNS0_4arch9wavefront6targetE1EEEvT1_
	.globl	_ZN7rocprim17ROCPRIM_400000_NS6detail17trampoline_kernelINS0_14default_configENS1_25transform_config_selectorIyLb0EEEZNS1_14transform_implILb0ES3_S5_NS0_18transform_iteratorINS0_17counting_iteratorImlEEZNS1_24adjacent_difference_implIS3_Lb1ELb0EPyN6thrust23THRUST_200600_302600_NS16discard_iteratorINSD_11use_defaultEEENSD_5minusIyEEEE10hipError_tPvRmT2_T3_mT4_P12ihipStream_tbEUlmE_yEESB_NS0_8identityIvEEEESJ_SM_SN_mSO_SQ_bEUlT_E_NS1_11comp_targetILNS1_3genE10ELNS1_11target_archE1201ELNS1_3gpuE5ELNS1_3repE0EEENS1_30default_config_static_selectorELNS0_4arch9wavefront6targetE1EEEvT1_
	.p2align	8
	.type	_ZN7rocprim17ROCPRIM_400000_NS6detail17trampoline_kernelINS0_14default_configENS1_25transform_config_selectorIyLb0EEEZNS1_14transform_implILb0ES3_S5_NS0_18transform_iteratorINS0_17counting_iteratorImlEEZNS1_24adjacent_difference_implIS3_Lb1ELb0EPyN6thrust23THRUST_200600_302600_NS16discard_iteratorINSD_11use_defaultEEENSD_5minusIyEEEE10hipError_tPvRmT2_T3_mT4_P12ihipStream_tbEUlmE_yEESB_NS0_8identityIvEEEESJ_SM_SN_mSO_SQ_bEUlT_E_NS1_11comp_targetILNS1_3genE10ELNS1_11target_archE1201ELNS1_3gpuE5ELNS1_3repE0EEENS1_30default_config_static_selectorELNS0_4arch9wavefront6targetE1EEEvT1_,@function
_ZN7rocprim17ROCPRIM_400000_NS6detail17trampoline_kernelINS0_14default_configENS1_25transform_config_selectorIyLb0EEEZNS1_14transform_implILb0ES3_S5_NS0_18transform_iteratorINS0_17counting_iteratorImlEEZNS1_24adjacent_difference_implIS3_Lb1ELb0EPyN6thrust23THRUST_200600_302600_NS16discard_iteratorINSD_11use_defaultEEENSD_5minusIyEEEE10hipError_tPvRmT2_T3_mT4_P12ihipStream_tbEUlmE_yEESB_NS0_8identityIvEEEESJ_SM_SN_mSO_SQ_bEUlT_E_NS1_11comp_targetILNS1_3genE10ELNS1_11target_archE1201ELNS1_3gpuE5ELNS1_3repE0EEENS1_30default_config_static_selectorELNS0_4arch9wavefront6targetE1EEEvT1_: ; @_ZN7rocprim17ROCPRIM_400000_NS6detail17trampoline_kernelINS0_14default_configENS1_25transform_config_selectorIyLb0EEEZNS1_14transform_implILb0ES3_S5_NS0_18transform_iteratorINS0_17counting_iteratorImlEEZNS1_24adjacent_difference_implIS3_Lb1ELb0EPyN6thrust23THRUST_200600_302600_NS16discard_iteratorINSD_11use_defaultEEENSD_5minusIyEEEE10hipError_tPvRmT2_T3_mT4_P12ihipStream_tbEUlmE_yEESB_NS0_8identityIvEEEESJ_SM_SN_mSO_SQ_bEUlT_E_NS1_11comp_targetILNS1_3genE10ELNS1_11target_archE1201ELNS1_3gpuE5ELNS1_3repE0EEENS1_30default_config_static_selectorELNS0_4arch9wavefront6targetE1EEEvT1_
; %bb.0:
	.section	.rodata,"a",@progbits
	.p2align	6, 0x0
	.amdhsa_kernel _ZN7rocprim17ROCPRIM_400000_NS6detail17trampoline_kernelINS0_14default_configENS1_25transform_config_selectorIyLb0EEEZNS1_14transform_implILb0ES3_S5_NS0_18transform_iteratorINS0_17counting_iteratorImlEEZNS1_24adjacent_difference_implIS3_Lb1ELb0EPyN6thrust23THRUST_200600_302600_NS16discard_iteratorINSD_11use_defaultEEENSD_5minusIyEEEE10hipError_tPvRmT2_T3_mT4_P12ihipStream_tbEUlmE_yEESB_NS0_8identityIvEEEESJ_SM_SN_mSO_SQ_bEUlT_E_NS1_11comp_targetILNS1_3genE10ELNS1_11target_archE1201ELNS1_3gpuE5ELNS1_3repE0EEENS1_30default_config_static_selectorELNS0_4arch9wavefront6targetE1EEEvT1_
		.amdhsa_group_segment_fixed_size 0
		.amdhsa_private_segment_fixed_size 0
		.amdhsa_kernarg_size 56
		.amdhsa_user_sgpr_count 6
		.amdhsa_user_sgpr_private_segment_buffer 1
		.amdhsa_user_sgpr_dispatch_ptr 0
		.amdhsa_user_sgpr_queue_ptr 0
		.amdhsa_user_sgpr_kernarg_segment_ptr 1
		.amdhsa_user_sgpr_dispatch_id 0
		.amdhsa_user_sgpr_flat_scratch_init 0
		.amdhsa_user_sgpr_private_segment_size 0
		.amdhsa_uses_dynamic_stack 0
		.amdhsa_system_sgpr_private_segment_wavefront_offset 0
		.amdhsa_system_sgpr_workgroup_id_x 1
		.amdhsa_system_sgpr_workgroup_id_y 0
		.amdhsa_system_sgpr_workgroup_id_z 0
		.amdhsa_system_sgpr_workgroup_info 0
		.amdhsa_system_vgpr_workitem_id 0
		.amdhsa_next_free_vgpr 1
		.amdhsa_next_free_sgpr 0
		.amdhsa_reserve_vcc 0
		.amdhsa_reserve_flat_scratch 0
		.amdhsa_float_round_mode_32 0
		.amdhsa_float_round_mode_16_64 0
		.amdhsa_float_denorm_mode_32 3
		.amdhsa_float_denorm_mode_16_64 3
		.amdhsa_dx10_clamp 1
		.amdhsa_ieee_mode 1
		.amdhsa_fp16_overflow 0
		.amdhsa_exception_fp_ieee_invalid_op 0
		.amdhsa_exception_fp_denorm_src 0
		.amdhsa_exception_fp_ieee_div_zero 0
		.amdhsa_exception_fp_ieee_overflow 0
		.amdhsa_exception_fp_ieee_underflow 0
		.amdhsa_exception_fp_ieee_inexact 0
		.amdhsa_exception_int_div_zero 0
	.end_amdhsa_kernel
	.section	.text._ZN7rocprim17ROCPRIM_400000_NS6detail17trampoline_kernelINS0_14default_configENS1_25transform_config_selectorIyLb0EEEZNS1_14transform_implILb0ES3_S5_NS0_18transform_iteratorINS0_17counting_iteratorImlEEZNS1_24adjacent_difference_implIS3_Lb1ELb0EPyN6thrust23THRUST_200600_302600_NS16discard_iteratorINSD_11use_defaultEEENSD_5minusIyEEEE10hipError_tPvRmT2_T3_mT4_P12ihipStream_tbEUlmE_yEESB_NS0_8identityIvEEEESJ_SM_SN_mSO_SQ_bEUlT_E_NS1_11comp_targetILNS1_3genE10ELNS1_11target_archE1201ELNS1_3gpuE5ELNS1_3repE0EEENS1_30default_config_static_selectorELNS0_4arch9wavefront6targetE1EEEvT1_,"axG",@progbits,_ZN7rocprim17ROCPRIM_400000_NS6detail17trampoline_kernelINS0_14default_configENS1_25transform_config_selectorIyLb0EEEZNS1_14transform_implILb0ES3_S5_NS0_18transform_iteratorINS0_17counting_iteratorImlEEZNS1_24adjacent_difference_implIS3_Lb1ELb0EPyN6thrust23THRUST_200600_302600_NS16discard_iteratorINSD_11use_defaultEEENSD_5minusIyEEEE10hipError_tPvRmT2_T3_mT4_P12ihipStream_tbEUlmE_yEESB_NS0_8identityIvEEEESJ_SM_SN_mSO_SQ_bEUlT_E_NS1_11comp_targetILNS1_3genE10ELNS1_11target_archE1201ELNS1_3gpuE5ELNS1_3repE0EEENS1_30default_config_static_selectorELNS0_4arch9wavefront6targetE1EEEvT1_,comdat
.Lfunc_end812:
	.size	_ZN7rocprim17ROCPRIM_400000_NS6detail17trampoline_kernelINS0_14default_configENS1_25transform_config_selectorIyLb0EEEZNS1_14transform_implILb0ES3_S5_NS0_18transform_iteratorINS0_17counting_iteratorImlEEZNS1_24adjacent_difference_implIS3_Lb1ELb0EPyN6thrust23THRUST_200600_302600_NS16discard_iteratorINSD_11use_defaultEEENSD_5minusIyEEEE10hipError_tPvRmT2_T3_mT4_P12ihipStream_tbEUlmE_yEESB_NS0_8identityIvEEEESJ_SM_SN_mSO_SQ_bEUlT_E_NS1_11comp_targetILNS1_3genE10ELNS1_11target_archE1201ELNS1_3gpuE5ELNS1_3repE0EEENS1_30default_config_static_selectorELNS0_4arch9wavefront6targetE1EEEvT1_, .Lfunc_end812-_ZN7rocprim17ROCPRIM_400000_NS6detail17trampoline_kernelINS0_14default_configENS1_25transform_config_selectorIyLb0EEEZNS1_14transform_implILb0ES3_S5_NS0_18transform_iteratorINS0_17counting_iteratorImlEEZNS1_24adjacent_difference_implIS3_Lb1ELb0EPyN6thrust23THRUST_200600_302600_NS16discard_iteratorINSD_11use_defaultEEENSD_5minusIyEEEE10hipError_tPvRmT2_T3_mT4_P12ihipStream_tbEUlmE_yEESB_NS0_8identityIvEEEESJ_SM_SN_mSO_SQ_bEUlT_E_NS1_11comp_targetILNS1_3genE10ELNS1_11target_archE1201ELNS1_3gpuE5ELNS1_3repE0EEENS1_30default_config_static_selectorELNS0_4arch9wavefront6targetE1EEEvT1_
                                        ; -- End function
	.set _ZN7rocprim17ROCPRIM_400000_NS6detail17trampoline_kernelINS0_14default_configENS1_25transform_config_selectorIyLb0EEEZNS1_14transform_implILb0ES3_S5_NS0_18transform_iteratorINS0_17counting_iteratorImlEEZNS1_24adjacent_difference_implIS3_Lb1ELb0EPyN6thrust23THRUST_200600_302600_NS16discard_iteratorINSD_11use_defaultEEENSD_5minusIyEEEE10hipError_tPvRmT2_T3_mT4_P12ihipStream_tbEUlmE_yEESB_NS0_8identityIvEEEESJ_SM_SN_mSO_SQ_bEUlT_E_NS1_11comp_targetILNS1_3genE10ELNS1_11target_archE1201ELNS1_3gpuE5ELNS1_3repE0EEENS1_30default_config_static_selectorELNS0_4arch9wavefront6targetE1EEEvT1_.num_vgpr, 0
	.set _ZN7rocprim17ROCPRIM_400000_NS6detail17trampoline_kernelINS0_14default_configENS1_25transform_config_selectorIyLb0EEEZNS1_14transform_implILb0ES3_S5_NS0_18transform_iteratorINS0_17counting_iteratorImlEEZNS1_24adjacent_difference_implIS3_Lb1ELb0EPyN6thrust23THRUST_200600_302600_NS16discard_iteratorINSD_11use_defaultEEENSD_5minusIyEEEE10hipError_tPvRmT2_T3_mT4_P12ihipStream_tbEUlmE_yEESB_NS0_8identityIvEEEESJ_SM_SN_mSO_SQ_bEUlT_E_NS1_11comp_targetILNS1_3genE10ELNS1_11target_archE1201ELNS1_3gpuE5ELNS1_3repE0EEENS1_30default_config_static_selectorELNS0_4arch9wavefront6targetE1EEEvT1_.num_agpr, 0
	.set _ZN7rocprim17ROCPRIM_400000_NS6detail17trampoline_kernelINS0_14default_configENS1_25transform_config_selectorIyLb0EEEZNS1_14transform_implILb0ES3_S5_NS0_18transform_iteratorINS0_17counting_iteratorImlEEZNS1_24adjacent_difference_implIS3_Lb1ELb0EPyN6thrust23THRUST_200600_302600_NS16discard_iteratorINSD_11use_defaultEEENSD_5minusIyEEEE10hipError_tPvRmT2_T3_mT4_P12ihipStream_tbEUlmE_yEESB_NS0_8identityIvEEEESJ_SM_SN_mSO_SQ_bEUlT_E_NS1_11comp_targetILNS1_3genE10ELNS1_11target_archE1201ELNS1_3gpuE5ELNS1_3repE0EEENS1_30default_config_static_selectorELNS0_4arch9wavefront6targetE1EEEvT1_.numbered_sgpr, 0
	.set _ZN7rocprim17ROCPRIM_400000_NS6detail17trampoline_kernelINS0_14default_configENS1_25transform_config_selectorIyLb0EEEZNS1_14transform_implILb0ES3_S5_NS0_18transform_iteratorINS0_17counting_iteratorImlEEZNS1_24adjacent_difference_implIS3_Lb1ELb0EPyN6thrust23THRUST_200600_302600_NS16discard_iteratorINSD_11use_defaultEEENSD_5minusIyEEEE10hipError_tPvRmT2_T3_mT4_P12ihipStream_tbEUlmE_yEESB_NS0_8identityIvEEEESJ_SM_SN_mSO_SQ_bEUlT_E_NS1_11comp_targetILNS1_3genE10ELNS1_11target_archE1201ELNS1_3gpuE5ELNS1_3repE0EEENS1_30default_config_static_selectorELNS0_4arch9wavefront6targetE1EEEvT1_.num_named_barrier, 0
	.set _ZN7rocprim17ROCPRIM_400000_NS6detail17trampoline_kernelINS0_14default_configENS1_25transform_config_selectorIyLb0EEEZNS1_14transform_implILb0ES3_S5_NS0_18transform_iteratorINS0_17counting_iteratorImlEEZNS1_24adjacent_difference_implIS3_Lb1ELb0EPyN6thrust23THRUST_200600_302600_NS16discard_iteratorINSD_11use_defaultEEENSD_5minusIyEEEE10hipError_tPvRmT2_T3_mT4_P12ihipStream_tbEUlmE_yEESB_NS0_8identityIvEEEESJ_SM_SN_mSO_SQ_bEUlT_E_NS1_11comp_targetILNS1_3genE10ELNS1_11target_archE1201ELNS1_3gpuE5ELNS1_3repE0EEENS1_30default_config_static_selectorELNS0_4arch9wavefront6targetE1EEEvT1_.private_seg_size, 0
	.set _ZN7rocprim17ROCPRIM_400000_NS6detail17trampoline_kernelINS0_14default_configENS1_25transform_config_selectorIyLb0EEEZNS1_14transform_implILb0ES3_S5_NS0_18transform_iteratorINS0_17counting_iteratorImlEEZNS1_24adjacent_difference_implIS3_Lb1ELb0EPyN6thrust23THRUST_200600_302600_NS16discard_iteratorINSD_11use_defaultEEENSD_5minusIyEEEE10hipError_tPvRmT2_T3_mT4_P12ihipStream_tbEUlmE_yEESB_NS0_8identityIvEEEESJ_SM_SN_mSO_SQ_bEUlT_E_NS1_11comp_targetILNS1_3genE10ELNS1_11target_archE1201ELNS1_3gpuE5ELNS1_3repE0EEENS1_30default_config_static_selectorELNS0_4arch9wavefront6targetE1EEEvT1_.uses_vcc, 0
	.set _ZN7rocprim17ROCPRIM_400000_NS6detail17trampoline_kernelINS0_14default_configENS1_25transform_config_selectorIyLb0EEEZNS1_14transform_implILb0ES3_S5_NS0_18transform_iteratorINS0_17counting_iteratorImlEEZNS1_24adjacent_difference_implIS3_Lb1ELb0EPyN6thrust23THRUST_200600_302600_NS16discard_iteratorINSD_11use_defaultEEENSD_5minusIyEEEE10hipError_tPvRmT2_T3_mT4_P12ihipStream_tbEUlmE_yEESB_NS0_8identityIvEEEESJ_SM_SN_mSO_SQ_bEUlT_E_NS1_11comp_targetILNS1_3genE10ELNS1_11target_archE1201ELNS1_3gpuE5ELNS1_3repE0EEENS1_30default_config_static_selectorELNS0_4arch9wavefront6targetE1EEEvT1_.uses_flat_scratch, 0
	.set _ZN7rocprim17ROCPRIM_400000_NS6detail17trampoline_kernelINS0_14default_configENS1_25transform_config_selectorIyLb0EEEZNS1_14transform_implILb0ES3_S5_NS0_18transform_iteratorINS0_17counting_iteratorImlEEZNS1_24adjacent_difference_implIS3_Lb1ELb0EPyN6thrust23THRUST_200600_302600_NS16discard_iteratorINSD_11use_defaultEEENSD_5minusIyEEEE10hipError_tPvRmT2_T3_mT4_P12ihipStream_tbEUlmE_yEESB_NS0_8identityIvEEEESJ_SM_SN_mSO_SQ_bEUlT_E_NS1_11comp_targetILNS1_3genE10ELNS1_11target_archE1201ELNS1_3gpuE5ELNS1_3repE0EEENS1_30default_config_static_selectorELNS0_4arch9wavefront6targetE1EEEvT1_.has_dyn_sized_stack, 0
	.set _ZN7rocprim17ROCPRIM_400000_NS6detail17trampoline_kernelINS0_14default_configENS1_25transform_config_selectorIyLb0EEEZNS1_14transform_implILb0ES3_S5_NS0_18transform_iteratorINS0_17counting_iteratorImlEEZNS1_24adjacent_difference_implIS3_Lb1ELb0EPyN6thrust23THRUST_200600_302600_NS16discard_iteratorINSD_11use_defaultEEENSD_5minusIyEEEE10hipError_tPvRmT2_T3_mT4_P12ihipStream_tbEUlmE_yEESB_NS0_8identityIvEEEESJ_SM_SN_mSO_SQ_bEUlT_E_NS1_11comp_targetILNS1_3genE10ELNS1_11target_archE1201ELNS1_3gpuE5ELNS1_3repE0EEENS1_30default_config_static_selectorELNS0_4arch9wavefront6targetE1EEEvT1_.has_recursion, 0
	.set _ZN7rocprim17ROCPRIM_400000_NS6detail17trampoline_kernelINS0_14default_configENS1_25transform_config_selectorIyLb0EEEZNS1_14transform_implILb0ES3_S5_NS0_18transform_iteratorINS0_17counting_iteratorImlEEZNS1_24adjacent_difference_implIS3_Lb1ELb0EPyN6thrust23THRUST_200600_302600_NS16discard_iteratorINSD_11use_defaultEEENSD_5minusIyEEEE10hipError_tPvRmT2_T3_mT4_P12ihipStream_tbEUlmE_yEESB_NS0_8identityIvEEEESJ_SM_SN_mSO_SQ_bEUlT_E_NS1_11comp_targetILNS1_3genE10ELNS1_11target_archE1201ELNS1_3gpuE5ELNS1_3repE0EEENS1_30default_config_static_selectorELNS0_4arch9wavefront6targetE1EEEvT1_.has_indirect_call, 0
	.section	.AMDGPU.csdata,"",@progbits
; Kernel info:
; codeLenInByte = 0
; TotalNumSgprs: 4
; NumVgprs: 0
; ScratchSize: 0
; MemoryBound: 0
; FloatMode: 240
; IeeeMode: 1
; LDSByteSize: 0 bytes/workgroup (compile time only)
; SGPRBlocks: 0
; VGPRBlocks: 0
; NumSGPRsForWavesPerEU: 4
; NumVGPRsForWavesPerEU: 1
; Occupancy: 10
; WaveLimiterHint : 0
; COMPUTE_PGM_RSRC2:SCRATCH_EN: 0
; COMPUTE_PGM_RSRC2:USER_SGPR: 6
; COMPUTE_PGM_RSRC2:TRAP_HANDLER: 0
; COMPUTE_PGM_RSRC2:TGID_X_EN: 1
; COMPUTE_PGM_RSRC2:TGID_Y_EN: 0
; COMPUTE_PGM_RSRC2:TGID_Z_EN: 0
; COMPUTE_PGM_RSRC2:TIDIG_COMP_CNT: 0
	.section	.text._ZN7rocprim17ROCPRIM_400000_NS6detail17trampoline_kernelINS0_14default_configENS1_25transform_config_selectorIyLb0EEEZNS1_14transform_implILb0ES3_S5_NS0_18transform_iteratorINS0_17counting_iteratorImlEEZNS1_24adjacent_difference_implIS3_Lb1ELb0EPyN6thrust23THRUST_200600_302600_NS16discard_iteratorINSD_11use_defaultEEENSD_5minusIyEEEE10hipError_tPvRmT2_T3_mT4_P12ihipStream_tbEUlmE_yEESB_NS0_8identityIvEEEESJ_SM_SN_mSO_SQ_bEUlT_E_NS1_11comp_targetILNS1_3genE10ELNS1_11target_archE1200ELNS1_3gpuE4ELNS1_3repE0EEENS1_30default_config_static_selectorELNS0_4arch9wavefront6targetE1EEEvT1_,"axG",@progbits,_ZN7rocprim17ROCPRIM_400000_NS6detail17trampoline_kernelINS0_14default_configENS1_25transform_config_selectorIyLb0EEEZNS1_14transform_implILb0ES3_S5_NS0_18transform_iteratorINS0_17counting_iteratorImlEEZNS1_24adjacent_difference_implIS3_Lb1ELb0EPyN6thrust23THRUST_200600_302600_NS16discard_iteratorINSD_11use_defaultEEENSD_5minusIyEEEE10hipError_tPvRmT2_T3_mT4_P12ihipStream_tbEUlmE_yEESB_NS0_8identityIvEEEESJ_SM_SN_mSO_SQ_bEUlT_E_NS1_11comp_targetILNS1_3genE10ELNS1_11target_archE1200ELNS1_3gpuE4ELNS1_3repE0EEENS1_30default_config_static_selectorELNS0_4arch9wavefront6targetE1EEEvT1_,comdat
	.protected	_ZN7rocprim17ROCPRIM_400000_NS6detail17trampoline_kernelINS0_14default_configENS1_25transform_config_selectorIyLb0EEEZNS1_14transform_implILb0ES3_S5_NS0_18transform_iteratorINS0_17counting_iteratorImlEEZNS1_24adjacent_difference_implIS3_Lb1ELb0EPyN6thrust23THRUST_200600_302600_NS16discard_iteratorINSD_11use_defaultEEENSD_5minusIyEEEE10hipError_tPvRmT2_T3_mT4_P12ihipStream_tbEUlmE_yEESB_NS0_8identityIvEEEESJ_SM_SN_mSO_SQ_bEUlT_E_NS1_11comp_targetILNS1_3genE10ELNS1_11target_archE1200ELNS1_3gpuE4ELNS1_3repE0EEENS1_30default_config_static_selectorELNS0_4arch9wavefront6targetE1EEEvT1_ ; -- Begin function _ZN7rocprim17ROCPRIM_400000_NS6detail17trampoline_kernelINS0_14default_configENS1_25transform_config_selectorIyLb0EEEZNS1_14transform_implILb0ES3_S5_NS0_18transform_iteratorINS0_17counting_iteratorImlEEZNS1_24adjacent_difference_implIS3_Lb1ELb0EPyN6thrust23THRUST_200600_302600_NS16discard_iteratorINSD_11use_defaultEEENSD_5minusIyEEEE10hipError_tPvRmT2_T3_mT4_P12ihipStream_tbEUlmE_yEESB_NS0_8identityIvEEEESJ_SM_SN_mSO_SQ_bEUlT_E_NS1_11comp_targetILNS1_3genE10ELNS1_11target_archE1200ELNS1_3gpuE4ELNS1_3repE0EEENS1_30default_config_static_selectorELNS0_4arch9wavefront6targetE1EEEvT1_
	.globl	_ZN7rocprim17ROCPRIM_400000_NS6detail17trampoline_kernelINS0_14default_configENS1_25transform_config_selectorIyLb0EEEZNS1_14transform_implILb0ES3_S5_NS0_18transform_iteratorINS0_17counting_iteratorImlEEZNS1_24adjacent_difference_implIS3_Lb1ELb0EPyN6thrust23THRUST_200600_302600_NS16discard_iteratorINSD_11use_defaultEEENSD_5minusIyEEEE10hipError_tPvRmT2_T3_mT4_P12ihipStream_tbEUlmE_yEESB_NS0_8identityIvEEEESJ_SM_SN_mSO_SQ_bEUlT_E_NS1_11comp_targetILNS1_3genE10ELNS1_11target_archE1200ELNS1_3gpuE4ELNS1_3repE0EEENS1_30default_config_static_selectorELNS0_4arch9wavefront6targetE1EEEvT1_
	.p2align	8
	.type	_ZN7rocprim17ROCPRIM_400000_NS6detail17trampoline_kernelINS0_14default_configENS1_25transform_config_selectorIyLb0EEEZNS1_14transform_implILb0ES3_S5_NS0_18transform_iteratorINS0_17counting_iteratorImlEEZNS1_24adjacent_difference_implIS3_Lb1ELb0EPyN6thrust23THRUST_200600_302600_NS16discard_iteratorINSD_11use_defaultEEENSD_5minusIyEEEE10hipError_tPvRmT2_T3_mT4_P12ihipStream_tbEUlmE_yEESB_NS0_8identityIvEEEESJ_SM_SN_mSO_SQ_bEUlT_E_NS1_11comp_targetILNS1_3genE10ELNS1_11target_archE1200ELNS1_3gpuE4ELNS1_3repE0EEENS1_30default_config_static_selectorELNS0_4arch9wavefront6targetE1EEEvT1_,@function
_ZN7rocprim17ROCPRIM_400000_NS6detail17trampoline_kernelINS0_14default_configENS1_25transform_config_selectorIyLb0EEEZNS1_14transform_implILb0ES3_S5_NS0_18transform_iteratorINS0_17counting_iteratorImlEEZNS1_24adjacent_difference_implIS3_Lb1ELb0EPyN6thrust23THRUST_200600_302600_NS16discard_iteratorINSD_11use_defaultEEENSD_5minusIyEEEE10hipError_tPvRmT2_T3_mT4_P12ihipStream_tbEUlmE_yEESB_NS0_8identityIvEEEESJ_SM_SN_mSO_SQ_bEUlT_E_NS1_11comp_targetILNS1_3genE10ELNS1_11target_archE1200ELNS1_3gpuE4ELNS1_3repE0EEENS1_30default_config_static_selectorELNS0_4arch9wavefront6targetE1EEEvT1_: ; @_ZN7rocprim17ROCPRIM_400000_NS6detail17trampoline_kernelINS0_14default_configENS1_25transform_config_selectorIyLb0EEEZNS1_14transform_implILb0ES3_S5_NS0_18transform_iteratorINS0_17counting_iteratorImlEEZNS1_24adjacent_difference_implIS3_Lb1ELb0EPyN6thrust23THRUST_200600_302600_NS16discard_iteratorINSD_11use_defaultEEENSD_5minusIyEEEE10hipError_tPvRmT2_T3_mT4_P12ihipStream_tbEUlmE_yEESB_NS0_8identityIvEEEESJ_SM_SN_mSO_SQ_bEUlT_E_NS1_11comp_targetILNS1_3genE10ELNS1_11target_archE1200ELNS1_3gpuE4ELNS1_3repE0EEENS1_30default_config_static_selectorELNS0_4arch9wavefront6targetE1EEEvT1_
; %bb.0:
	.section	.rodata,"a",@progbits
	.p2align	6, 0x0
	.amdhsa_kernel _ZN7rocprim17ROCPRIM_400000_NS6detail17trampoline_kernelINS0_14default_configENS1_25transform_config_selectorIyLb0EEEZNS1_14transform_implILb0ES3_S5_NS0_18transform_iteratorINS0_17counting_iteratorImlEEZNS1_24adjacent_difference_implIS3_Lb1ELb0EPyN6thrust23THRUST_200600_302600_NS16discard_iteratorINSD_11use_defaultEEENSD_5minusIyEEEE10hipError_tPvRmT2_T3_mT4_P12ihipStream_tbEUlmE_yEESB_NS0_8identityIvEEEESJ_SM_SN_mSO_SQ_bEUlT_E_NS1_11comp_targetILNS1_3genE10ELNS1_11target_archE1200ELNS1_3gpuE4ELNS1_3repE0EEENS1_30default_config_static_selectorELNS0_4arch9wavefront6targetE1EEEvT1_
		.amdhsa_group_segment_fixed_size 0
		.amdhsa_private_segment_fixed_size 0
		.amdhsa_kernarg_size 56
		.amdhsa_user_sgpr_count 6
		.amdhsa_user_sgpr_private_segment_buffer 1
		.amdhsa_user_sgpr_dispatch_ptr 0
		.amdhsa_user_sgpr_queue_ptr 0
		.amdhsa_user_sgpr_kernarg_segment_ptr 1
		.amdhsa_user_sgpr_dispatch_id 0
		.amdhsa_user_sgpr_flat_scratch_init 0
		.amdhsa_user_sgpr_private_segment_size 0
		.amdhsa_uses_dynamic_stack 0
		.amdhsa_system_sgpr_private_segment_wavefront_offset 0
		.amdhsa_system_sgpr_workgroup_id_x 1
		.amdhsa_system_sgpr_workgroup_id_y 0
		.amdhsa_system_sgpr_workgroup_id_z 0
		.amdhsa_system_sgpr_workgroup_info 0
		.amdhsa_system_vgpr_workitem_id 0
		.amdhsa_next_free_vgpr 1
		.amdhsa_next_free_sgpr 0
		.amdhsa_reserve_vcc 0
		.amdhsa_reserve_flat_scratch 0
		.amdhsa_float_round_mode_32 0
		.amdhsa_float_round_mode_16_64 0
		.amdhsa_float_denorm_mode_32 3
		.amdhsa_float_denorm_mode_16_64 3
		.amdhsa_dx10_clamp 1
		.amdhsa_ieee_mode 1
		.amdhsa_fp16_overflow 0
		.amdhsa_exception_fp_ieee_invalid_op 0
		.amdhsa_exception_fp_denorm_src 0
		.amdhsa_exception_fp_ieee_div_zero 0
		.amdhsa_exception_fp_ieee_overflow 0
		.amdhsa_exception_fp_ieee_underflow 0
		.amdhsa_exception_fp_ieee_inexact 0
		.amdhsa_exception_int_div_zero 0
	.end_amdhsa_kernel
	.section	.text._ZN7rocprim17ROCPRIM_400000_NS6detail17trampoline_kernelINS0_14default_configENS1_25transform_config_selectorIyLb0EEEZNS1_14transform_implILb0ES3_S5_NS0_18transform_iteratorINS0_17counting_iteratorImlEEZNS1_24adjacent_difference_implIS3_Lb1ELb0EPyN6thrust23THRUST_200600_302600_NS16discard_iteratorINSD_11use_defaultEEENSD_5minusIyEEEE10hipError_tPvRmT2_T3_mT4_P12ihipStream_tbEUlmE_yEESB_NS0_8identityIvEEEESJ_SM_SN_mSO_SQ_bEUlT_E_NS1_11comp_targetILNS1_3genE10ELNS1_11target_archE1200ELNS1_3gpuE4ELNS1_3repE0EEENS1_30default_config_static_selectorELNS0_4arch9wavefront6targetE1EEEvT1_,"axG",@progbits,_ZN7rocprim17ROCPRIM_400000_NS6detail17trampoline_kernelINS0_14default_configENS1_25transform_config_selectorIyLb0EEEZNS1_14transform_implILb0ES3_S5_NS0_18transform_iteratorINS0_17counting_iteratorImlEEZNS1_24adjacent_difference_implIS3_Lb1ELb0EPyN6thrust23THRUST_200600_302600_NS16discard_iteratorINSD_11use_defaultEEENSD_5minusIyEEEE10hipError_tPvRmT2_T3_mT4_P12ihipStream_tbEUlmE_yEESB_NS0_8identityIvEEEESJ_SM_SN_mSO_SQ_bEUlT_E_NS1_11comp_targetILNS1_3genE10ELNS1_11target_archE1200ELNS1_3gpuE4ELNS1_3repE0EEENS1_30default_config_static_selectorELNS0_4arch9wavefront6targetE1EEEvT1_,comdat
.Lfunc_end813:
	.size	_ZN7rocprim17ROCPRIM_400000_NS6detail17trampoline_kernelINS0_14default_configENS1_25transform_config_selectorIyLb0EEEZNS1_14transform_implILb0ES3_S5_NS0_18transform_iteratorINS0_17counting_iteratorImlEEZNS1_24adjacent_difference_implIS3_Lb1ELb0EPyN6thrust23THRUST_200600_302600_NS16discard_iteratorINSD_11use_defaultEEENSD_5minusIyEEEE10hipError_tPvRmT2_T3_mT4_P12ihipStream_tbEUlmE_yEESB_NS0_8identityIvEEEESJ_SM_SN_mSO_SQ_bEUlT_E_NS1_11comp_targetILNS1_3genE10ELNS1_11target_archE1200ELNS1_3gpuE4ELNS1_3repE0EEENS1_30default_config_static_selectorELNS0_4arch9wavefront6targetE1EEEvT1_, .Lfunc_end813-_ZN7rocprim17ROCPRIM_400000_NS6detail17trampoline_kernelINS0_14default_configENS1_25transform_config_selectorIyLb0EEEZNS1_14transform_implILb0ES3_S5_NS0_18transform_iteratorINS0_17counting_iteratorImlEEZNS1_24adjacent_difference_implIS3_Lb1ELb0EPyN6thrust23THRUST_200600_302600_NS16discard_iteratorINSD_11use_defaultEEENSD_5minusIyEEEE10hipError_tPvRmT2_T3_mT4_P12ihipStream_tbEUlmE_yEESB_NS0_8identityIvEEEESJ_SM_SN_mSO_SQ_bEUlT_E_NS1_11comp_targetILNS1_3genE10ELNS1_11target_archE1200ELNS1_3gpuE4ELNS1_3repE0EEENS1_30default_config_static_selectorELNS0_4arch9wavefront6targetE1EEEvT1_
                                        ; -- End function
	.set _ZN7rocprim17ROCPRIM_400000_NS6detail17trampoline_kernelINS0_14default_configENS1_25transform_config_selectorIyLb0EEEZNS1_14transform_implILb0ES3_S5_NS0_18transform_iteratorINS0_17counting_iteratorImlEEZNS1_24adjacent_difference_implIS3_Lb1ELb0EPyN6thrust23THRUST_200600_302600_NS16discard_iteratorINSD_11use_defaultEEENSD_5minusIyEEEE10hipError_tPvRmT2_T3_mT4_P12ihipStream_tbEUlmE_yEESB_NS0_8identityIvEEEESJ_SM_SN_mSO_SQ_bEUlT_E_NS1_11comp_targetILNS1_3genE10ELNS1_11target_archE1200ELNS1_3gpuE4ELNS1_3repE0EEENS1_30default_config_static_selectorELNS0_4arch9wavefront6targetE1EEEvT1_.num_vgpr, 0
	.set _ZN7rocprim17ROCPRIM_400000_NS6detail17trampoline_kernelINS0_14default_configENS1_25transform_config_selectorIyLb0EEEZNS1_14transform_implILb0ES3_S5_NS0_18transform_iteratorINS0_17counting_iteratorImlEEZNS1_24adjacent_difference_implIS3_Lb1ELb0EPyN6thrust23THRUST_200600_302600_NS16discard_iteratorINSD_11use_defaultEEENSD_5minusIyEEEE10hipError_tPvRmT2_T3_mT4_P12ihipStream_tbEUlmE_yEESB_NS0_8identityIvEEEESJ_SM_SN_mSO_SQ_bEUlT_E_NS1_11comp_targetILNS1_3genE10ELNS1_11target_archE1200ELNS1_3gpuE4ELNS1_3repE0EEENS1_30default_config_static_selectorELNS0_4arch9wavefront6targetE1EEEvT1_.num_agpr, 0
	.set _ZN7rocprim17ROCPRIM_400000_NS6detail17trampoline_kernelINS0_14default_configENS1_25transform_config_selectorIyLb0EEEZNS1_14transform_implILb0ES3_S5_NS0_18transform_iteratorINS0_17counting_iteratorImlEEZNS1_24adjacent_difference_implIS3_Lb1ELb0EPyN6thrust23THRUST_200600_302600_NS16discard_iteratorINSD_11use_defaultEEENSD_5minusIyEEEE10hipError_tPvRmT2_T3_mT4_P12ihipStream_tbEUlmE_yEESB_NS0_8identityIvEEEESJ_SM_SN_mSO_SQ_bEUlT_E_NS1_11comp_targetILNS1_3genE10ELNS1_11target_archE1200ELNS1_3gpuE4ELNS1_3repE0EEENS1_30default_config_static_selectorELNS0_4arch9wavefront6targetE1EEEvT1_.numbered_sgpr, 0
	.set _ZN7rocprim17ROCPRIM_400000_NS6detail17trampoline_kernelINS0_14default_configENS1_25transform_config_selectorIyLb0EEEZNS1_14transform_implILb0ES3_S5_NS0_18transform_iteratorINS0_17counting_iteratorImlEEZNS1_24adjacent_difference_implIS3_Lb1ELb0EPyN6thrust23THRUST_200600_302600_NS16discard_iteratorINSD_11use_defaultEEENSD_5minusIyEEEE10hipError_tPvRmT2_T3_mT4_P12ihipStream_tbEUlmE_yEESB_NS0_8identityIvEEEESJ_SM_SN_mSO_SQ_bEUlT_E_NS1_11comp_targetILNS1_3genE10ELNS1_11target_archE1200ELNS1_3gpuE4ELNS1_3repE0EEENS1_30default_config_static_selectorELNS0_4arch9wavefront6targetE1EEEvT1_.num_named_barrier, 0
	.set _ZN7rocprim17ROCPRIM_400000_NS6detail17trampoline_kernelINS0_14default_configENS1_25transform_config_selectorIyLb0EEEZNS1_14transform_implILb0ES3_S5_NS0_18transform_iteratorINS0_17counting_iteratorImlEEZNS1_24adjacent_difference_implIS3_Lb1ELb0EPyN6thrust23THRUST_200600_302600_NS16discard_iteratorINSD_11use_defaultEEENSD_5minusIyEEEE10hipError_tPvRmT2_T3_mT4_P12ihipStream_tbEUlmE_yEESB_NS0_8identityIvEEEESJ_SM_SN_mSO_SQ_bEUlT_E_NS1_11comp_targetILNS1_3genE10ELNS1_11target_archE1200ELNS1_3gpuE4ELNS1_3repE0EEENS1_30default_config_static_selectorELNS0_4arch9wavefront6targetE1EEEvT1_.private_seg_size, 0
	.set _ZN7rocprim17ROCPRIM_400000_NS6detail17trampoline_kernelINS0_14default_configENS1_25transform_config_selectorIyLb0EEEZNS1_14transform_implILb0ES3_S5_NS0_18transform_iteratorINS0_17counting_iteratorImlEEZNS1_24adjacent_difference_implIS3_Lb1ELb0EPyN6thrust23THRUST_200600_302600_NS16discard_iteratorINSD_11use_defaultEEENSD_5minusIyEEEE10hipError_tPvRmT2_T3_mT4_P12ihipStream_tbEUlmE_yEESB_NS0_8identityIvEEEESJ_SM_SN_mSO_SQ_bEUlT_E_NS1_11comp_targetILNS1_3genE10ELNS1_11target_archE1200ELNS1_3gpuE4ELNS1_3repE0EEENS1_30default_config_static_selectorELNS0_4arch9wavefront6targetE1EEEvT1_.uses_vcc, 0
	.set _ZN7rocprim17ROCPRIM_400000_NS6detail17trampoline_kernelINS0_14default_configENS1_25transform_config_selectorIyLb0EEEZNS1_14transform_implILb0ES3_S5_NS0_18transform_iteratorINS0_17counting_iteratorImlEEZNS1_24adjacent_difference_implIS3_Lb1ELb0EPyN6thrust23THRUST_200600_302600_NS16discard_iteratorINSD_11use_defaultEEENSD_5minusIyEEEE10hipError_tPvRmT2_T3_mT4_P12ihipStream_tbEUlmE_yEESB_NS0_8identityIvEEEESJ_SM_SN_mSO_SQ_bEUlT_E_NS1_11comp_targetILNS1_3genE10ELNS1_11target_archE1200ELNS1_3gpuE4ELNS1_3repE0EEENS1_30default_config_static_selectorELNS0_4arch9wavefront6targetE1EEEvT1_.uses_flat_scratch, 0
	.set _ZN7rocprim17ROCPRIM_400000_NS6detail17trampoline_kernelINS0_14default_configENS1_25transform_config_selectorIyLb0EEEZNS1_14transform_implILb0ES3_S5_NS0_18transform_iteratorINS0_17counting_iteratorImlEEZNS1_24adjacent_difference_implIS3_Lb1ELb0EPyN6thrust23THRUST_200600_302600_NS16discard_iteratorINSD_11use_defaultEEENSD_5minusIyEEEE10hipError_tPvRmT2_T3_mT4_P12ihipStream_tbEUlmE_yEESB_NS0_8identityIvEEEESJ_SM_SN_mSO_SQ_bEUlT_E_NS1_11comp_targetILNS1_3genE10ELNS1_11target_archE1200ELNS1_3gpuE4ELNS1_3repE0EEENS1_30default_config_static_selectorELNS0_4arch9wavefront6targetE1EEEvT1_.has_dyn_sized_stack, 0
	.set _ZN7rocprim17ROCPRIM_400000_NS6detail17trampoline_kernelINS0_14default_configENS1_25transform_config_selectorIyLb0EEEZNS1_14transform_implILb0ES3_S5_NS0_18transform_iteratorINS0_17counting_iteratorImlEEZNS1_24adjacent_difference_implIS3_Lb1ELb0EPyN6thrust23THRUST_200600_302600_NS16discard_iteratorINSD_11use_defaultEEENSD_5minusIyEEEE10hipError_tPvRmT2_T3_mT4_P12ihipStream_tbEUlmE_yEESB_NS0_8identityIvEEEESJ_SM_SN_mSO_SQ_bEUlT_E_NS1_11comp_targetILNS1_3genE10ELNS1_11target_archE1200ELNS1_3gpuE4ELNS1_3repE0EEENS1_30default_config_static_selectorELNS0_4arch9wavefront6targetE1EEEvT1_.has_recursion, 0
	.set _ZN7rocprim17ROCPRIM_400000_NS6detail17trampoline_kernelINS0_14default_configENS1_25transform_config_selectorIyLb0EEEZNS1_14transform_implILb0ES3_S5_NS0_18transform_iteratorINS0_17counting_iteratorImlEEZNS1_24adjacent_difference_implIS3_Lb1ELb0EPyN6thrust23THRUST_200600_302600_NS16discard_iteratorINSD_11use_defaultEEENSD_5minusIyEEEE10hipError_tPvRmT2_T3_mT4_P12ihipStream_tbEUlmE_yEESB_NS0_8identityIvEEEESJ_SM_SN_mSO_SQ_bEUlT_E_NS1_11comp_targetILNS1_3genE10ELNS1_11target_archE1200ELNS1_3gpuE4ELNS1_3repE0EEENS1_30default_config_static_selectorELNS0_4arch9wavefront6targetE1EEEvT1_.has_indirect_call, 0
	.section	.AMDGPU.csdata,"",@progbits
; Kernel info:
; codeLenInByte = 0
; TotalNumSgprs: 4
; NumVgprs: 0
; ScratchSize: 0
; MemoryBound: 0
; FloatMode: 240
; IeeeMode: 1
; LDSByteSize: 0 bytes/workgroup (compile time only)
; SGPRBlocks: 0
; VGPRBlocks: 0
; NumSGPRsForWavesPerEU: 4
; NumVGPRsForWavesPerEU: 1
; Occupancy: 10
; WaveLimiterHint : 0
; COMPUTE_PGM_RSRC2:SCRATCH_EN: 0
; COMPUTE_PGM_RSRC2:USER_SGPR: 6
; COMPUTE_PGM_RSRC2:TRAP_HANDLER: 0
; COMPUTE_PGM_RSRC2:TGID_X_EN: 1
; COMPUTE_PGM_RSRC2:TGID_Y_EN: 0
; COMPUTE_PGM_RSRC2:TGID_Z_EN: 0
; COMPUTE_PGM_RSRC2:TIDIG_COMP_CNT: 0
	.section	.text._ZN7rocprim17ROCPRIM_400000_NS6detail17trampoline_kernelINS0_14default_configENS1_25transform_config_selectorIyLb0EEEZNS1_14transform_implILb0ES3_S5_NS0_18transform_iteratorINS0_17counting_iteratorImlEEZNS1_24adjacent_difference_implIS3_Lb1ELb0EPyN6thrust23THRUST_200600_302600_NS16discard_iteratorINSD_11use_defaultEEENSD_5minusIyEEEE10hipError_tPvRmT2_T3_mT4_P12ihipStream_tbEUlmE_yEESB_NS0_8identityIvEEEESJ_SM_SN_mSO_SQ_bEUlT_E_NS1_11comp_targetILNS1_3genE9ELNS1_11target_archE1100ELNS1_3gpuE3ELNS1_3repE0EEENS1_30default_config_static_selectorELNS0_4arch9wavefront6targetE1EEEvT1_,"axG",@progbits,_ZN7rocprim17ROCPRIM_400000_NS6detail17trampoline_kernelINS0_14default_configENS1_25transform_config_selectorIyLb0EEEZNS1_14transform_implILb0ES3_S5_NS0_18transform_iteratorINS0_17counting_iteratorImlEEZNS1_24adjacent_difference_implIS3_Lb1ELb0EPyN6thrust23THRUST_200600_302600_NS16discard_iteratorINSD_11use_defaultEEENSD_5minusIyEEEE10hipError_tPvRmT2_T3_mT4_P12ihipStream_tbEUlmE_yEESB_NS0_8identityIvEEEESJ_SM_SN_mSO_SQ_bEUlT_E_NS1_11comp_targetILNS1_3genE9ELNS1_11target_archE1100ELNS1_3gpuE3ELNS1_3repE0EEENS1_30default_config_static_selectorELNS0_4arch9wavefront6targetE1EEEvT1_,comdat
	.protected	_ZN7rocprim17ROCPRIM_400000_NS6detail17trampoline_kernelINS0_14default_configENS1_25transform_config_selectorIyLb0EEEZNS1_14transform_implILb0ES3_S5_NS0_18transform_iteratorINS0_17counting_iteratorImlEEZNS1_24adjacent_difference_implIS3_Lb1ELb0EPyN6thrust23THRUST_200600_302600_NS16discard_iteratorINSD_11use_defaultEEENSD_5minusIyEEEE10hipError_tPvRmT2_T3_mT4_P12ihipStream_tbEUlmE_yEESB_NS0_8identityIvEEEESJ_SM_SN_mSO_SQ_bEUlT_E_NS1_11comp_targetILNS1_3genE9ELNS1_11target_archE1100ELNS1_3gpuE3ELNS1_3repE0EEENS1_30default_config_static_selectorELNS0_4arch9wavefront6targetE1EEEvT1_ ; -- Begin function _ZN7rocprim17ROCPRIM_400000_NS6detail17trampoline_kernelINS0_14default_configENS1_25transform_config_selectorIyLb0EEEZNS1_14transform_implILb0ES3_S5_NS0_18transform_iteratorINS0_17counting_iteratorImlEEZNS1_24adjacent_difference_implIS3_Lb1ELb0EPyN6thrust23THRUST_200600_302600_NS16discard_iteratorINSD_11use_defaultEEENSD_5minusIyEEEE10hipError_tPvRmT2_T3_mT4_P12ihipStream_tbEUlmE_yEESB_NS0_8identityIvEEEESJ_SM_SN_mSO_SQ_bEUlT_E_NS1_11comp_targetILNS1_3genE9ELNS1_11target_archE1100ELNS1_3gpuE3ELNS1_3repE0EEENS1_30default_config_static_selectorELNS0_4arch9wavefront6targetE1EEEvT1_
	.globl	_ZN7rocprim17ROCPRIM_400000_NS6detail17trampoline_kernelINS0_14default_configENS1_25transform_config_selectorIyLb0EEEZNS1_14transform_implILb0ES3_S5_NS0_18transform_iteratorINS0_17counting_iteratorImlEEZNS1_24adjacent_difference_implIS3_Lb1ELb0EPyN6thrust23THRUST_200600_302600_NS16discard_iteratorINSD_11use_defaultEEENSD_5minusIyEEEE10hipError_tPvRmT2_T3_mT4_P12ihipStream_tbEUlmE_yEESB_NS0_8identityIvEEEESJ_SM_SN_mSO_SQ_bEUlT_E_NS1_11comp_targetILNS1_3genE9ELNS1_11target_archE1100ELNS1_3gpuE3ELNS1_3repE0EEENS1_30default_config_static_selectorELNS0_4arch9wavefront6targetE1EEEvT1_
	.p2align	8
	.type	_ZN7rocprim17ROCPRIM_400000_NS6detail17trampoline_kernelINS0_14default_configENS1_25transform_config_selectorIyLb0EEEZNS1_14transform_implILb0ES3_S5_NS0_18transform_iteratorINS0_17counting_iteratorImlEEZNS1_24adjacent_difference_implIS3_Lb1ELb0EPyN6thrust23THRUST_200600_302600_NS16discard_iteratorINSD_11use_defaultEEENSD_5minusIyEEEE10hipError_tPvRmT2_T3_mT4_P12ihipStream_tbEUlmE_yEESB_NS0_8identityIvEEEESJ_SM_SN_mSO_SQ_bEUlT_E_NS1_11comp_targetILNS1_3genE9ELNS1_11target_archE1100ELNS1_3gpuE3ELNS1_3repE0EEENS1_30default_config_static_selectorELNS0_4arch9wavefront6targetE1EEEvT1_,@function
_ZN7rocprim17ROCPRIM_400000_NS6detail17trampoline_kernelINS0_14default_configENS1_25transform_config_selectorIyLb0EEEZNS1_14transform_implILb0ES3_S5_NS0_18transform_iteratorINS0_17counting_iteratorImlEEZNS1_24adjacent_difference_implIS3_Lb1ELb0EPyN6thrust23THRUST_200600_302600_NS16discard_iteratorINSD_11use_defaultEEENSD_5minusIyEEEE10hipError_tPvRmT2_T3_mT4_P12ihipStream_tbEUlmE_yEESB_NS0_8identityIvEEEESJ_SM_SN_mSO_SQ_bEUlT_E_NS1_11comp_targetILNS1_3genE9ELNS1_11target_archE1100ELNS1_3gpuE3ELNS1_3repE0EEENS1_30default_config_static_selectorELNS0_4arch9wavefront6targetE1EEEvT1_: ; @_ZN7rocprim17ROCPRIM_400000_NS6detail17trampoline_kernelINS0_14default_configENS1_25transform_config_selectorIyLb0EEEZNS1_14transform_implILb0ES3_S5_NS0_18transform_iteratorINS0_17counting_iteratorImlEEZNS1_24adjacent_difference_implIS3_Lb1ELb0EPyN6thrust23THRUST_200600_302600_NS16discard_iteratorINSD_11use_defaultEEENSD_5minusIyEEEE10hipError_tPvRmT2_T3_mT4_P12ihipStream_tbEUlmE_yEESB_NS0_8identityIvEEEESJ_SM_SN_mSO_SQ_bEUlT_E_NS1_11comp_targetILNS1_3genE9ELNS1_11target_archE1100ELNS1_3gpuE3ELNS1_3repE0EEENS1_30default_config_static_selectorELNS0_4arch9wavefront6targetE1EEEvT1_
; %bb.0:
	.section	.rodata,"a",@progbits
	.p2align	6, 0x0
	.amdhsa_kernel _ZN7rocprim17ROCPRIM_400000_NS6detail17trampoline_kernelINS0_14default_configENS1_25transform_config_selectorIyLb0EEEZNS1_14transform_implILb0ES3_S5_NS0_18transform_iteratorINS0_17counting_iteratorImlEEZNS1_24adjacent_difference_implIS3_Lb1ELb0EPyN6thrust23THRUST_200600_302600_NS16discard_iteratorINSD_11use_defaultEEENSD_5minusIyEEEE10hipError_tPvRmT2_T3_mT4_P12ihipStream_tbEUlmE_yEESB_NS0_8identityIvEEEESJ_SM_SN_mSO_SQ_bEUlT_E_NS1_11comp_targetILNS1_3genE9ELNS1_11target_archE1100ELNS1_3gpuE3ELNS1_3repE0EEENS1_30default_config_static_selectorELNS0_4arch9wavefront6targetE1EEEvT1_
		.amdhsa_group_segment_fixed_size 0
		.amdhsa_private_segment_fixed_size 0
		.amdhsa_kernarg_size 56
		.amdhsa_user_sgpr_count 6
		.amdhsa_user_sgpr_private_segment_buffer 1
		.amdhsa_user_sgpr_dispatch_ptr 0
		.amdhsa_user_sgpr_queue_ptr 0
		.amdhsa_user_sgpr_kernarg_segment_ptr 1
		.amdhsa_user_sgpr_dispatch_id 0
		.amdhsa_user_sgpr_flat_scratch_init 0
		.amdhsa_user_sgpr_private_segment_size 0
		.amdhsa_uses_dynamic_stack 0
		.amdhsa_system_sgpr_private_segment_wavefront_offset 0
		.amdhsa_system_sgpr_workgroup_id_x 1
		.amdhsa_system_sgpr_workgroup_id_y 0
		.amdhsa_system_sgpr_workgroup_id_z 0
		.amdhsa_system_sgpr_workgroup_info 0
		.amdhsa_system_vgpr_workitem_id 0
		.amdhsa_next_free_vgpr 1
		.amdhsa_next_free_sgpr 0
		.amdhsa_reserve_vcc 0
		.amdhsa_reserve_flat_scratch 0
		.amdhsa_float_round_mode_32 0
		.amdhsa_float_round_mode_16_64 0
		.amdhsa_float_denorm_mode_32 3
		.amdhsa_float_denorm_mode_16_64 3
		.amdhsa_dx10_clamp 1
		.amdhsa_ieee_mode 1
		.amdhsa_fp16_overflow 0
		.amdhsa_exception_fp_ieee_invalid_op 0
		.amdhsa_exception_fp_denorm_src 0
		.amdhsa_exception_fp_ieee_div_zero 0
		.amdhsa_exception_fp_ieee_overflow 0
		.amdhsa_exception_fp_ieee_underflow 0
		.amdhsa_exception_fp_ieee_inexact 0
		.amdhsa_exception_int_div_zero 0
	.end_amdhsa_kernel
	.section	.text._ZN7rocprim17ROCPRIM_400000_NS6detail17trampoline_kernelINS0_14default_configENS1_25transform_config_selectorIyLb0EEEZNS1_14transform_implILb0ES3_S5_NS0_18transform_iteratorINS0_17counting_iteratorImlEEZNS1_24adjacent_difference_implIS3_Lb1ELb0EPyN6thrust23THRUST_200600_302600_NS16discard_iteratorINSD_11use_defaultEEENSD_5minusIyEEEE10hipError_tPvRmT2_T3_mT4_P12ihipStream_tbEUlmE_yEESB_NS0_8identityIvEEEESJ_SM_SN_mSO_SQ_bEUlT_E_NS1_11comp_targetILNS1_3genE9ELNS1_11target_archE1100ELNS1_3gpuE3ELNS1_3repE0EEENS1_30default_config_static_selectorELNS0_4arch9wavefront6targetE1EEEvT1_,"axG",@progbits,_ZN7rocprim17ROCPRIM_400000_NS6detail17trampoline_kernelINS0_14default_configENS1_25transform_config_selectorIyLb0EEEZNS1_14transform_implILb0ES3_S5_NS0_18transform_iteratorINS0_17counting_iteratorImlEEZNS1_24adjacent_difference_implIS3_Lb1ELb0EPyN6thrust23THRUST_200600_302600_NS16discard_iteratorINSD_11use_defaultEEENSD_5minusIyEEEE10hipError_tPvRmT2_T3_mT4_P12ihipStream_tbEUlmE_yEESB_NS0_8identityIvEEEESJ_SM_SN_mSO_SQ_bEUlT_E_NS1_11comp_targetILNS1_3genE9ELNS1_11target_archE1100ELNS1_3gpuE3ELNS1_3repE0EEENS1_30default_config_static_selectorELNS0_4arch9wavefront6targetE1EEEvT1_,comdat
.Lfunc_end814:
	.size	_ZN7rocprim17ROCPRIM_400000_NS6detail17trampoline_kernelINS0_14default_configENS1_25transform_config_selectorIyLb0EEEZNS1_14transform_implILb0ES3_S5_NS0_18transform_iteratorINS0_17counting_iteratorImlEEZNS1_24adjacent_difference_implIS3_Lb1ELb0EPyN6thrust23THRUST_200600_302600_NS16discard_iteratorINSD_11use_defaultEEENSD_5minusIyEEEE10hipError_tPvRmT2_T3_mT4_P12ihipStream_tbEUlmE_yEESB_NS0_8identityIvEEEESJ_SM_SN_mSO_SQ_bEUlT_E_NS1_11comp_targetILNS1_3genE9ELNS1_11target_archE1100ELNS1_3gpuE3ELNS1_3repE0EEENS1_30default_config_static_selectorELNS0_4arch9wavefront6targetE1EEEvT1_, .Lfunc_end814-_ZN7rocprim17ROCPRIM_400000_NS6detail17trampoline_kernelINS0_14default_configENS1_25transform_config_selectorIyLb0EEEZNS1_14transform_implILb0ES3_S5_NS0_18transform_iteratorINS0_17counting_iteratorImlEEZNS1_24adjacent_difference_implIS3_Lb1ELb0EPyN6thrust23THRUST_200600_302600_NS16discard_iteratorINSD_11use_defaultEEENSD_5minusIyEEEE10hipError_tPvRmT2_T3_mT4_P12ihipStream_tbEUlmE_yEESB_NS0_8identityIvEEEESJ_SM_SN_mSO_SQ_bEUlT_E_NS1_11comp_targetILNS1_3genE9ELNS1_11target_archE1100ELNS1_3gpuE3ELNS1_3repE0EEENS1_30default_config_static_selectorELNS0_4arch9wavefront6targetE1EEEvT1_
                                        ; -- End function
	.set _ZN7rocprim17ROCPRIM_400000_NS6detail17trampoline_kernelINS0_14default_configENS1_25transform_config_selectorIyLb0EEEZNS1_14transform_implILb0ES3_S5_NS0_18transform_iteratorINS0_17counting_iteratorImlEEZNS1_24adjacent_difference_implIS3_Lb1ELb0EPyN6thrust23THRUST_200600_302600_NS16discard_iteratorINSD_11use_defaultEEENSD_5minusIyEEEE10hipError_tPvRmT2_T3_mT4_P12ihipStream_tbEUlmE_yEESB_NS0_8identityIvEEEESJ_SM_SN_mSO_SQ_bEUlT_E_NS1_11comp_targetILNS1_3genE9ELNS1_11target_archE1100ELNS1_3gpuE3ELNS1_3repE0EEENS1_30default_config_static_selectorELNS0_4arch9wavefront6targetE1EEEvT1_.num_vgpr, 0
	.set _ZN7rocprim17ROCPRIM_400000_NS6detail17trampoline_kernelINS0_14default_configENS1_25transform_config_selectorIyLb0EEEZNS1_14transform_implILb0ES3_S5_NS0_18transform_iteratorINS0_17counting_iteratorImlEEZNS1_24adjacent_difference_implIS3_Lb1ELb0EPyN6thrust23THRUST_200600_302600_NS16discard_iteratorINSD_11use_defaultEEENSD_5minusIyEEEE10hipError_tPvRmT2_T3_mT4_P12ihipStream_tbEUlmE_yEESB_NS0_8identityIvEEEESJ_SM_SN_mSO_SQ_bEUlT_E_NS1_11comp_targetILNS1_3genE9ELNS1_11target_archE1100ELNS1_3gpuE3ELNS1_3repE0EEENS1_30default_config_static_selectorELNS0_4arch9wavefront6targetE1EEEvT1_.num_agpr, 0
	.set _ZN7rocprim17ROCPRIM_400000_NS6detail17trampoline_kernelINS0_14default_configENS1_25transform_config_selectorIyLb0EEEZNS1_14transform_implILb0ES3_S5_NS0_18transform_iteratorINS0_17counting_iteratorImlEEZNS1_24adjacent_difference_implIS3_Lb1ELb0EPyN6thrust23THRUST_200600_302600_NS16discard_iteratorINSD_11use_defaultEEENSD_5minusIyEEEE10hipError_tPvRmT2_T3_mT4_P12ihipStream_tbEUlmE_yEESB_NS0_8identityIvEEEESJ_SM_SN_mSO_SQ_bEUlT_E_NS1_11comp_targetILNS1_3genE9ELNS1_11target_archE1100ELNS1_3gpuE3ELNS1_3repE0EEENS1_30default_config_static_selectorELNS0_4arch9wavefront6targetE1EEEvT1_.numbered_sgpr, 0
	.set _ZN7rocprim17ROCPRIM_400000_NS6detail17trampoline_kernelINS0_14default_configENS1_25transform_config_selectorIyLb0EEEZNS1_14transform_implILb0ES3_S5_NS0_18transform_iteratorINS0_17counting_iteratorImlEEZNS1_24adjacent_difference_implIS3_Lb1ELb0EPyN6thrust23THRUST_200600_302600_NS16discard_iteratorINSD_11use_defaultEEENSD_5minusIyEEEE10hipError_tPvRmT2_T3_mT4_P12ihipStream_tbEUlmE_yEESB_NS0_8identityIvEEEESJ_SM_SN_mSO_SQ_bEUlT_E_NS1_11comp_targetILNS1_3genE9ELNS1_11target_archE1100ELNS1_3gpuE3ELNS1_3repE0EEENS1_30default_config_static_selectorELNS0_4arch9wavefront6targetE1EEEvT1_.num_named_barrier, 0
	.set _ZN7rocprim17ROCPRIM_400000_NS6detail17trampoline_kernelINS0_14default_configENS1_25transform_config_selectorIyLb0EEEZNS1_14transform_implILb0ES3_S5_NS0_18transform_iteratorINS0_17counting_iteratorImlEEZNS1_24adjacent_difference_implIS3_Lb1ELb0EPyN6thrust23THRUST_200600_302600_NS16discard_iteratorINSD_11use_defaultEEENSD_5minusIyEEEE10hipError_tPvRmT2_T3_mT4_P12ihipStream_tbEUlmE_yEESB_NS0_8identityIvEEEESJ_SM_SN_mSO_SQ_bEUlT_E_NS1_11comp_targetILNS1_3genE9ELNS1_11target_archE1100ELNS1_3gpuE3ELNS1_3repE0EEENS1_30default_config_static_selectorELNS0_4arch9wavefront6targetE1EEEvT1_.private_seg_size, 0
	.set _ZN7rocprim17ROCPRIM_400000_NS6detail17trampoline_kernelINS0_14default_configENS1_25transform_config_selectorIyLb0EEEZNS1_14transform_implILb0ES3_S5_NS0_18transform_iteratorINS0_17counting_iteratorImlEEZNS1_24adjacent_difference_implIS3_Lb1ELb0EPyN6thrust23THRUST_200600_302600_NS16discard_iteratorINSD_11use_defaultEEENSD_5minusIyEEEE10hipError_tPvRmT2_T3_mT4_P12ihipStream_tbEUlmE_yEESB_NS0_8identityIvEEEESJ_SM_SN_mSO_SQ_bEUlT_E_NS1_11comp_targetILNS1_3genE9ELNS1_11target_archE1100ELNS1_3gpuE3ELNS1_3repE0EEENS1_30default_config_static_selectorELNS0_4arch9wavefront6targetE1EEEvT1_.uses_vcc, 0
	.set _ZN7rocprim17ROCPRIM_400000_NS6detail17trampoline_kernelINS0_14default_configENS1_25transform_config_selectorIyLb0EEEZNS1_14transform_implILb0ES3_S5_NS0_18transform_iteratorINS0_17counting_iteratorImlEEZNS1_24adjacent_difference_implIS3_Lb1ELb0EPyN6thrust23THRUST_200600_302600_NS16discard_iteratorINSD_11use_defaultEEENSD_5minusIyEEEE10hipError_tPvRmT2_T3_mT4_P12ihipStream_tbEUlmE_yEESB_NS0_8identityIvEEEESJ_SM_SN_mSO_SQ_bEUlT_E_NS1_11comp_targetILNS1_3genE9ELNS1_11target_archE1100ELNS1_3gpuE3ELNS1_3repE0EEENS1_30default_config_static_selectorELNS0_4arch9wavefront6targetE1EEEvT1_.uses_flat_scratch, 0
	.set _ZN7rocprim17ROCPRIM_400000_NS6detail17trampoline_kernelINS0_14default_configENS1_25transform_config_selectorIyLb0EEEZNS1_14transform_implILb0ES3_S5_NS0_18transform_iteratorINS0_17counting_iteratorImlEEZNS1_24adjacent_difference_implIS3_Lb1ELb0EPyN6thrust23THRUST_200600_302600_NS16discard_iteratorINSD_11use_defaultEEENSD_5minusIyEEEE10hipError_tPvRmT2_T3_mT4_P12ihipStream_tbEUlmE_yEESB_NS0_8identityIvEEEESJ_SM_SN_mSO_SQ_bEUlT_E_NS1_11comp_targetILNS1_3genE9ELNS1_11target_archE1100ELNS1_3gpuE3ELNS1_3repE0EEENS1_30default_config_static_selectorELNS0_4arch9wavefront6targetE1EEEvT1_.has_dyn_sized_stack, 0
	.set _ZN7rocprim17ROCPRIM_400000_NS6detail17trampoline_kernelINS0_14default_configENS1_25transform_config_selectorIyLb0EEEZNS1_14transform_implILb0ES3_S5_NS0_18transform_iteratorINS0_17counting_iteratorImlEEZNS1_24adjacent_difference_implIS3_Lb1ELb0EPyN6thrust23THRUST_200600_302600_NS16discard_iteratorINSD_11use_defaultEEENSD_5minusIyEEEE10hipError_tPvRmT2_T3_mT4_P12ihipStream_tbEUlmE_yEESB_NS0_8identityIvEEEESJ_SM_SN_mSO_SQ_bEUlT_E_NS1_11comp_targetILNS1_3genE9ELNS1_11target_archE1100ELNS1_3gpuE3ELNS1_3repE0EEENS1_30default_config_static_selectorELNS0_4arch9wavefront6targetE1EEEvT1_.has_recursion, 0
	.set _ZN7rocprim17ROCPRIM_400000_NS6detail17trampoline_kernelINS0_14default_configENS1_25transform_config_selectorIyLb0EEEZNS1_14transform_implILb0ES3_S5_NS0_18transform_iteratorINS0_17counting_iteratorImlEEZNS1_24adjacent_difference_implIS3_Lb1ELb0EPyN6thrust23THRUST_200600_302600_NS16discard_iteratorINSD_11use_defaultEEENSD_5minusIyEEEE10hipError_tPvRmT2_T3_mT4_P12ihipStream_tbEUlmE_yEESB_NS0_8identityIvEEEESJ_SM_SN_mSO_SQ_bEUlT_E_NS1_11comp_targetILNS1_3genE9ELNS1_11target_archE1100ELNS1_3gpuE3ELNS1_3repE0EEENS1_30default_config_static_selectorELNS0_4arch9wavefront6targetE1EEEvT1_.has_indirect_call, 0
	.section	.AMDGPU.csdata,"",@progbits
; Kernel info:
; codeLenInByte = 0
; TotalNumSgprs: 4
; NumVgprs: 0
; ScratchSize: 0
; MemoryBound: 0
; FloatMode: 240
; IeeeMode: 1
; LDSByteSize: 0 bytes/workgroup (compile time only)
; SGPRBlocks: 0
; VGPRBlocks: 0
; NumSGPRsForWavesPerEU: 4
; NumVGPRsForWavesPerEU: 1
; Occupancy: 10
; WaveLimiterHint : 0
; COMPUTE_PGM_RSRC2:SCRATCH_EN: 0
; COMPUTE_PGM_RSRC2:USER_SGPR: 6
; COMPUTE_PGM_RSRC2:TRAP_HANDLER: 0
; COMPUTE_PGM_RSRC2:TGID_X_EN: 1
; COMPUTE_PGM_RSRC2:TGID_Y_EN: 0
; COMPUTE_PGM_RSRC2:TGID_Z_EN: 0
; COMPUTE_PGM_RSRC2:TIDIG_COMP_CNT: 0
	.section	.text._ZN7rocprim17ROCPRIM_400000_NS6detail17trampoline_kernelINS0_14default_configENS1_25transform_config_selectorIyLb0EEEZNS1_14transform_implILb0ES3_S5_NS0_18transform_iteratorINS0_17counting_iteratorImlEEZNS1_24adjacent_difference_implIS3_Lb1ELb0EPyN6thrust23THRUST_200600_302600_NS16discard_iteratorINSD_11use_defaultEEENSD_5minusIyEEEE10hipError_tPvRmT2_T3_mT4_P12ihipStream_tbEUlmE_yEESB_NS0_8identityIvEEEESJ_SM_SN_mSO_SQ_bEUlT_E_NS1_11comp_targetILNS1_3genE8ELNS1_11target_archE1030ELNS1_3gpuE2ELNS1_3repE0EEENS1_30default_config_static_selectorELNS0_4arch9wavefront6targetE1EEEvT1_,"axG",@progbits,_ZN7rocprim17ROCPRIM_400000_NS6detail17trampoline_kernelINS0_14default_configENS1_25transform_config_selectorIyLb0EEEZNS1_14transform_implILb0ES3_S5_NS0_18transform_iteratorINS0_17counting_iteratorImlEEZNS1_24adjacent_difference_implIS3_Lb1ELb0EPyN6thrust23THRUST_200600_302600_NS16discard_iteratorINSD_11use_defaultEEENSD_5minusIyEEEE10hipError_tPvRmT2_T3_mT4_P12ihipStream_tbEUlmE_yEESB_NS0_8identityIvEEEESJ_SM_SN_mSO_SQ_bEUlT_E_NS1_11comp_targetILNS1_3genE8ELNS1_11target_archE1030ELNS1_3gpuE2ELNS1_3repE0EEENS1_30default_config_static_selectorELNS0_4arch9wavefront6targetE1EEEvT1_,comdat
	.protected	_ZN7rocprim17ROCPRIM_400000_NS6detail17trampoline_kernelINS0_14default_configENS1_25transform_config_selectorIyLb0EEEZNS1_14transform_implILb0ES3_S5_NS0_18transform_iteratorINS0_17counting_iteratorImlEEZNS1_24adjacent_difference_implIS3_Lb1ELb0EPyN6thrust23THRUST_200600_302600_NS16discard_iteratorINSD_11use_defaultEEENSD_5minusIyEEEE10hipError_tPvRmT2_T3_mT4_P12ihipStream_tbEUlmE_yEESB_NS0_8identityIvEEEESJ_SM_SN_mSO_SQ_bEUlT_E_NS1_11comp_targetILNS1_3genE8ELNS1_11target_archE1030ELNS1_3gpuE2ELNS1_3repE0EEENS1_30default_config_static_selectorELNS0_4arch9wavefront6targetE1EEEvT1_ ; -- Begin function _ZN7rocprim17ROCPRIM_400000_NS6detail17trampoline_kernelINS0_14default_configENS1_25transform_config_selectorIyLb0EEEZNS1_14transform_implILb0ES3_S5_NS0_18transform_iteratorINS0_17counting_iteratorImlEEZNS1_24adjacent_difference_implIS3_Lb1ELb0EPyN6thrust23THRUST_200600_302600_NS16discard_iteratorINSD_11use_defaultEEENSD_5minusIyEEEE10hipError_tPvRmT2_T3_mT4_P12ihipStream_tbEUlmE_yEESB_NS0_8identityIvEEEESJ_SM_SN_mSO_SQ_bEUlT_E_NS1_11comp_targetILNS1_3genE8ELNS1_11target_archE1030ELNS1_3gpuE2ELNS1_3repE0EEENS1_30default_config_static_selectorELNS0_4arch9wavefront6targetE1EEEvT1_
	.globl	_ZN7rocprim17ROCPRIM_400000_NS6detail17trampoline_kernelINS0_14default_configENS1_25transform_config_selectorIyLb0EEEZNS1_14transform_implILb0ES3_S5_NS0_18transform_iteratorINS0_17counting_iteratorImlEEZNS1_24adjacent_difference_implIS3_Lb1ELb0EPyN6thrust23THRUST_200600_302600_NS16discard_iteratorINSD_11use_defaultEEENSD_5minusIyEEEE10hipError_tPvRmT2_T3_mT4_P12ihipStream_tbEUlmE_yEESB_NS0_8identityIvEEEESJ_SM_SN_mSO_SQ_bEUlT_E_NS1_11comp_targetILNS1_3genE8ELNS1_11target_archE1030ELNS1_3gpuE2ELNS1_3repE0EEENS1_30default_config_static_selectorELNS0_4arch9wavefront6targetE1EEEvT1_
	.p2align	8
	.type	_ZN7rocprim17ROCPRIM_400000_NS6detail17trampoline_kernelINS0_14default_configENS1_25transform_config_selectorIyLb0EEEZNS1_14transform_implILb0ES3_S5_NS0_18transform_iteratorINS0_17counting_iteratorImlEEZNS1_24adjacent_difference_implIS3_Lb1ELb0EPyN6thrust23THRUST_200600_302600_NS16discard_iteratorINSD_11use_defaultEEENSD_5minusIyEEEE10hipError_tPvRmT2_T3_mT4_P12ihipStream_tbEUlmE_yEESB_NS0_8identityIvEEEESJ_SM_SN_mSO_SQ_bEUlT_E_NS1_11comp_targetILNS1_3genE8ELNS1_11target_archE1030ELNS1_3gpuE2ELNS1_3repE0EEENS1_30default_config_static_selectorELNS0_4arch9wavefront6targetE1EEEvT1_,@function
_ZN7rocprim17ROCPRIM_400000_NS6detail17trampoline_kernelINS0_14default_configENS1_25transform_config_selectorIyLb0EEEZNS1_14transform_implILb0ES3_S5_NS0_18transform_iteratorINS0_17counting_iteratorImlEEZNS1_24adjacent_difference_implIS3_Lb1ELb0EPyN6thrust23THRUST_200600_302600_NS16discard_iteratorINSD_11use_defaultEEENSD_5minusIyEEEE10hipError_tPvRmT2_T3_mT4_P12ihipStream_tbEUlmE_yEESB_NS0_8identityIvEEEESJ_SM_SN_mSO_SQ_bEUlT_E_NS1_11comp_targetILNS1_3genE8ELNS1_11target_archE1030ELNS1_3gpuE2ELNS1_3repE0EEENS1_30default_config_static_selectorELNS0_4arch9wavefront6targetE1EEEvT1_: ; @_ZN7rocprim17ROCPRIM_400000_NS6detail17trampoline_kernelINS0_14default_configENS1_25transform_config_selectorIyLb0EEEZNS1_14transform_implILb0ES3_S5_NS0_18transform_iteratorINS0_17counting_iteratorImlEEZNS1_24adjacent_difference_implIS3_Lb1ELb0EPyN6thrust23THRUST_200600_302600_NS16discard_iteratorINSD_11use_defaultEEENSD_5minusIyEEEE10hipError_tPvRmT2_T3_mT4_P12ihipStream_tbEUlmE_yEESB_NS0_8identityIvEEEESJ_SM_SN_mSO_SQ_bEUlT_E_NS1_11comp_targetILNS1_3genE8ELNS1_11target_archE1030ELNS1_3gpuE2ELNS1_3repE0EEENS1_30default_config_static_selectorELNS0_4arch9wavefront6targetE1EEEvT1_
; %bb.0:
	.section	.rodata,"a",@progbits
	.p2align	6, 0x0
	.amdhsa_kernel _ZN7rocprim17ROCPRIM_400000_NS6detail17trampoline_kernelINS0_14default_configENS1_25transform_config_selectorIyLb0EEEZNS1_14transform_implILb0ES3_S5_NS0_18transform_iteratorINS0_17counting_iteratorImlEEZNS1_24adjacent_difference_implIS3_Lb1ELb0EPyN6thrust23THRUST_200600_302600_NS16discard_iteratorINSD_11use_defaultEEENSD_5minusIyEEEE10hipError_tPvRmT2_T3_mT4_P12ihipStream_tbEUlmE_yEESB_NS0_8identityIvEEEESJ_SM_SN_mSO_SQ_bEUlT_E_NS1_11comp_targetILNS1_3genE8ELNS1_11target_archE1030ELNS1_3gpuE2ELNS1_3repE0EEENS1_30default_config_static_selectorELNS0_4arch9wavefront6targetE1EEEvT1_
		.amdhsa_group_segment_fixed_size 0
		.amdhsa_private_segment_fixed_size 0
		.amdhsa_kernarg_size 56
		.amdhsa_user_sgpr_count 6
		.amdhsa_user_sgpr_private_segment_buffer 1
		.amdhsa_user_sgpr_dispatch_ptr 0
		.amdhsa_user_sgpr_queue_ptr 0
		.amdhsa_user_sgpr_kernarg_segment_ptr 1
		.amdhsa_user_sgpr_dispatch_id 0
		.amdhsa_user_sgpr_flat_scratch_init 0
		.amdhsa_user_sgpr_private_segment_size 0
		.amdhsa_uses_dynamic_stack 0
		.amdhsa_system_sgpr_private_segment_wavefront_offset 0
		.amdhsa_system_sgpr_workgroup_id_x 1
		.amdhsa_system_sgpr_workgroup_id_y 0
		.amdhsa_system_sgpr_workgroup_id_z 0
		.amdhsa_system_sgpr_workgroup_info 0
		.amdhsa_system_vgpr_workitem_id 0
		.amdhsa_next_free_vgpr 1
		.amdhsa_next_free_sgpr 0
		.amdhsa_reserve_vcc 0
		.amdhsa_reserve_flat_scratch 0
		.amdhsa_float_round_mode_32 0
		.amdhsa_float_round_mode_16_64 0
		.amdhsa_float_denorm_mode_32 3
		.amdhsa_float_denorm_mode_16_64 3
		.amdhsa_dx10_clamp 1
		.amdhsa_ieee_mode 1
		.amdhsa_fp16_overflow 0
		.amdhsa_exception_fp_ieee_invalid_op 0
		.amdhsa_exception_fp_denorm_src 0
		.amdhsa_exception_fp_ieee_div_zero 0
		.amdhsa_exception_fp_ieee_overflow 0
		.amdhsa_exception_fp_ieee_underflow 0
		.amdhsa_exception_fp_ieee_inexact 0
		.amdhsa_exception_int_div_zero 0
	.end_amdhsa_kernel
	.section	.text._ZN7rocprim17ROCPRIM_400000_NS6detail17trampoline_kernelINS0_14default_configENS1_25transform_config_selectorIyLb0EEEZNS1_14transform_implILb0ES3_S5_NS0_18transform_iteratorINS0_17counting_iteratorImlEEZNS1_24adjacent_difference_implIS3_Lb1ELb0EPyN6thrust23THRUST_200600_302600_NS16discard_iteratorINSD_11use_defaultEEENSD_5minusIyEEEE10hipError_tPvRmT2_T3_mT4_P12ihipStream_tbEUlmE_yEESB_NS0_8identityIvEEEESJ_SM_SN_mSO_SQ_bEUlT_E_NS1_11comp_targetILNS1_3genE8ELNS1_11target_archE1030ELNS1_3gpuE2ELNS1_3repE0EEENS1_30default_config_static_selectorELNS0_4arch9wavefront6targetE1EEEvT1_,"axG",@progbits,_ZN7rocprim17ROCPRIM_400000_NS6detail17trampoline_kernelINS0_14default_configENS1_25transform_config_selectorIyLb0EEEZNS1_14transform_implILb0ES3_S5_NS0_18transform_iteratorINS0_17counting_iteratorImlEEZNS1_24adjacent_difference_implIS3_Lb1ELb0EPyN6thrust23THRUST_200600_302600_NS16discard_iteratorINSD_11use_defaultEEENSD_5minusIyEEEE10hipError_tPvRmT2_T3_mT4_P12ihipStream_tbEUlmE_yEESB_NS0_8identityIvEEEESJ_SM_SN_mSO_SQ_bEUlT_E_NS1_11comp_targetILNS1_3genE8ELNS1_11target_archE1030ELNS1_3gpuE2ELNS1_3repE0EEENS1_30default_config_static_selectorELNS0_4arch9wavefront6targetE1EEEvT1_,comdat
.Lfunc_end815:
	.size	_ZN7rocprim17ROCPRIM_400000_NS6detail17trampoline_kernelINS0_14default_configENS1_25transform_config_selectorIyLb0EEEZNS1_14transform_implILb0ES3_S5_NS0_18transform_iteratorINS0_17counting_iteratorImlEEZNS1_24adjacent_difference_implIS3_Lb1ELb0EPyN6thrust23THRUST_200600_302600_NS16discard_iteratorINSD_11use_defaultEEENSD_5minusIyEEEE10hipError_tPvRmT2_T3_mT4_P12ihipStream_tbEUlmE_yEESB_NS0_8identityIvEEEESJ_SM_SN_mSO_SQ_bEUlT_E_NS1_11comp_targetILNS1_3genE8ELNS1_11target_archE1030ELNS1_3gpuE2ELNS1_3repE0EEENS1_30default_config_static_selectorELNS0_4arch9wavefront6targetE1EEEvT1_, .Lfunc_end815-_ZN7rocprim17ROCPRIM_400000_NS6detail17trampoline_kernelINS0_14default_configENS1_25transform_config_selectorIyLb0EEEZNS1_14transform_implILb0ES3_S5_NS0_18transform_iteratorINS0_17counting_iteratorImlEEZNS1_24adjacent_difference_implIS3_Lb1ELb0EPyN6thrust23THRUST_200600_302600_NS16discard_iteratorINSD_11use_defaultEEENSD_5minusIyEEEE10hipError_tPvRmT2_T3_mT4_P12ihipStream_tbEUlmE_yEESB_NS0_8identityIvEEEESJ_SM_SN_mSO_SQ_bEUlT_E_NS1_11comp_targetILNS1_3genE8ELNS1_11target_archE1030ELNS1_3gpuE2ELNS1_3repE0EEENS1_30default_config_static_selectorELNS0_4arch9wavefront6targetE1EEEvT1_
                                        ; -- End function
	.set _ZN7rocprim17ROCPRIM_400000_NS6detail17trampoline_kernelINS0_14default_configENS1_25transform_config_selectorIyLb0EEEZNS1_14transform_implILb0ES3_S5_NS0_18transform_iteratorINS0_17counting_iteratorImlEEZNS1_24adjacent_difference_implIS3_Lb1ELb0EPyN6thrust23THRUST_200600_302600_NS16discard_iteratorINSD_11use_defaultEEENSD_5minusIyEEEE10hipError_tPvRmT2_T3_mT4_P12ihipStream_tbEUlmE_yEESB_NS0_8identityIvEEEESJ_SM_SN_mSO_SQ_bEUlT_E_NS1_11comp_targetILNS1_3genE8ELNS1_11target_archE1030ELNS1_3gpuE2ELNS1_3repE0EEENS1_30default_config_static_selectorELNS0_4arch9wavefront6targetE1EEEvT1_.num_vgpr, 0
	.set _ZN7rocprim17ROCPRIM_400000_NS6detail17trampoline_kernelINS0_14default_configENS1_25transform_config_selectorIyLb0EEEZNS1_14transform_implILb0ES3_S5_NS0_18transform_iteratorINS0_17counting_iteratorImlEEZNS1_24adjacent_difference_implIS3_Lb1ELb0EPyN6thrust23THRUST_200600_302600_NS16discard_iteratorINSD_11use_defaultEEENSD_5minusIyEEEE10hipError_tPvRmT2_T3_mT4_P12ihipStream_tbEUlmE_yEESB_NS0_8identityIvEEEESJ_SM_SN_mSO_SQ_bEUlT_E_NS1_11comp_targetILNS1_3genE8ELNS1_11target_archE1030ELNS1_3gpuE2ELNS1_3repE0EEENS1_30default_config_static_selectorELNS0_4arch9wavefront6targetE1EEEvT1_.num_agpr, 0
	.set _ZN7rocprim17ROCPRIM_400000_NS6detail17trampoline_kernelINS0_14default_configENS1_25transform_config_selectorIyLb0EEEZNS1_14transform_implILb0ES3_S5_NS0_18transform_iteratorINS0_17counting_iteratorImlEEZNS1_24adjacent_difference_implIS3_Lb1ELb0EPyN6thrust23THRUST_200600_302600_NS16discard_iteratorINSD_11use_defaultEEENSD_5minusIyEEEE10hipError_tPvRmT2_T3_mT4_P12ihipStream_tbEUlmE_yEESB_NS0_8identityIvEEEESJ_SM_SN_mSO_SQ_bEUlT_E_NS1_11comp_targetILNS1_3genE8ELNS1_11target_archE1030ELNS1_3gpuE2ELNS1_3repE0EEENS1_30default_config_static_selectorELNS0_4arch9wavefront6targetE1EEEvT1_.numbered_sgpr, 0
	.set _ZN7rocprim17ROCPRIM_400000_NS6detail17trampoline_kernelINS0_14default_configENS1_25transform_config_selectorIyLb0EEEZNS1_14transform_implILb0ES3_S5_NS0_18transform_iteratorINS0_17counting_iteratorImlEEZNS1_24adjacent_difference_implIS3_Lb1ELb0EPyN6thrust23THRUST_200600_302600_NS16discard_iteratorINSD_11use_defaultEEENSD_5minusIyEEEE10hipError_tPvRmT2_T3_mT4_P12ihipStream_tbEUlmE_yEESB_NS0_8identityIvEEEESJ_SM_SN_mSO_SQ_bEUlT_E_NS1_11comp_targetILNS1_3genE8ELNS1_11target_archE1030ELNS1_3gpuE2ELNS1_3repE0EEENS1_30default_config_static_selectorELNS0_4arch9wavefront6targetE1EEEvT1_.num_named_barrier, 0
	.set _ZN7rocprim17ROCPRIM_400000_NS6detail17trampoline_kernelINS0_14default_configENS1_25transform_config_selectorIyLb0EEEZNS1_14transform_implILb0ES3_S5_NS0_18transform_iteratorINS0_17counting_iteratorImlEEZNS1_24adjacent_difference_implIS3_Lb1ELb0EPyN6thrust23THRUST_200600_302600_NS16discard_iteratorINSD_11use_defaultEEENSD_5minusIyEEEE10hipError_tPvRmT2_T3_mT4_P12ihipStream_tbEUlmE_yEESB_NS0_8identityIvEEEESJ_SM_SN_mSO_SQ_bEUlT_E_NS1_11comp_targetILNS1_3genE8ELNS1_11target_archE1030ELNS1_3gpuE2ELNS1_3repE0EEENS1_30default_config_static_selectorELNS0_4arch9wavefront6targetE1EEEvT1_.private_seg_size, 0
	.set _ZN7rocprim17ROCPRIM_400000_NS6detail17trampoline_kernelINS0_14default_configENS1_25transform_config_selectorIyLb0EEEZNS1_14transform_implILb0ES3_S5_NS0_18transform_iteratorINS0_17counting_iteratorImlEEZNS1_24adjacent_difference_implIS3_Lb1ELb0EPyN6thrust23THRUST_200600_302600_NS16discard_iteratorINSD_11use_defaultEEENSD_5minusIyEEEE10hipError_tPvRmT2_T3_mT4_P12ihipStream_tbEUlmE_yEESB_NS0_8identityIvEEEESJ_SM_SN_mSO_SQ_bEUlT_E_NS1_11comp_targetILNS1_3genE8ELNS1_11target_archE1030ELNS1_3gpuE2ELNS1_3repE0EEENS1_30default_config_static_selectorELNS0_4arch9wavefront6targetE1EEEvT1_.uses_vcc, 0
	.set _ZN7rocprim17ROCPRIM_400000_NS6detail17trampoline_kernelINS0_14default_configENS1_25transform_config_selectorIyLb0EEEZNS1_14transform_implILb0ES3_S5_NS0_18transform_iteratorINS0_17counting_iteratorImlEEZNS1_24adjacent_difference_implIS3_Lb1ELb0EPyN6thrust23THRUST_200600_302600_NS16discard_iteratorINSD_11use_defaultEEENSD_5minusIyEEEE10hipError_tPvRmT2_T3_mT4_P12ihipStream_tbEUlmE_yEESB_NS0_8identityIvEEEESJ_SM_SN_mSO_SQ_bEUlT_E_NS1_11comp_targetILNS1_3genE8ELNS1_11target_archE1030ELNS1_3gpuE2ELNS1_3repE0EEENS1_30default_config_static_selectorELNS0_4arch9wavefront6targetE1EEEvT1_.uses_flat_scratch, 0
	.set _ZN7rocprim17ROCPRIM_400000_NS6detail17trampoline_kernelINS0_14default_configENS1_25transform_config_selectorIyLb0EEEZNS1_14transform_implILb0ES3_S5_NS0_18transform_iteratorINS0_17counting_iteratorImlEEZNS1_24adjacent_difference_implIS3_Lb1ELb0EPyN6thrust23THRUST_200600_302600_NS16discard_iteratorINSD_11use_defaultEEENSD_5minusIyEEEE10hipError_tPvRmT2_T3_mT4_P12ihipStream_tbEUlmE_yEESB_NS0_8identityIvEEEESJ_SM_SN_mSO_SQ_bEUlT_E_NS1_11comp_targetILNS1_3genE8ELNS1_11target_archE1030ELNS1_3gpuE2ELNS1_3repE0EEENS1_30default_config_static_selectorELNS0_4arch9wavefront6targetE1EEEvT1_.has_dyn_sized_stack, 0
	.set _ZN7rocprim17ROCPRIM_400000_NS6detail17trampoline_kernelINS0_14default_configENS1_25transform_config_selectorIyLb0EEEZNS1_14transform_implILb0ES3_S5_NS0_18transform_iteratorINS0_17counting_iteratorImlEEZNS1_24adjacent_difference_implIS3_Lb1ELb0EPyN6thrust23THRUST_200600_302600_NS16discard_iteratorINSD_11use_defaultEEENSD_5minusIyEEEE10hipError_tPvRmT2_T3_mT4_P12ihipStream_tbEUlmE_yEESB_NS0_8identityIvEEEESJ_SM_SN_mSO_SQ_bEUlT_E_NS1_11comp_targetILNS1_3genE8ELNS1_11target_archE1030ELNS1_3gpuE2ELNS1_3repE0EEENS1_30default_config_static_selectorELNS0_4arch9wavefront6targetE1EEEvT1_.has_recursion, 0
	.set _ZN7rocprim17ROCPRIM_400000_NS6detail17trampoline_kernelINS0_14default_configENS1_25transform_config_selectorIyLb0EEEZNS1_14transform_implILb0ES3_S5_NS0_18transform_iteratorINS0_17counting_iteratorImlEEZNS1_24adjacent_difference_implIS3_Lb1ELb0EPyN6thrust23THRUST_200600_302600_NS16discard_iteratorINSD_11use_defaultEEENSD_5minusIyEEEE10hipError_tPvRmT2_T3_mT4_P12ihipStream_tbEUlmE_yEESB_NS0_8identityIvEEEESJ_SM_SN_mSO_SQ_bEUlT_E_NS1_11comp_targetILNS1_3genE8ELNS1_11target_archE1030ELNS1_3gpuE2ELNS1_3repE0EEENS1_30default_config_static_selectorELNS0_4arch9wavefront6targetE1EEEvT1_.has_indirect_call, 0
	.section	.AMDGPU.csdata,"",@progbits
; Kernel info:
; codeLenInByte = 0
; TotalNumSgprs: 4
; NumVgprs: 0
; ScratchSize: 0
; MemoryBound: 0
; FloatMode: 240
; IeeeMode: 1
; LDSByteSize: 0 bytes/workgroup (compile time only)
; SGPRBlocks: 0
; VGPRBlocks: 0
; NumSGPRsForWavesPerEU: 4
; NumVGPRsForWavesPerEU: 1
; Occupancy: 10
; WaveLimiterHint : 0
; COMPUTE_PGM_RSRC2:SCRATCH_EN: 0
; COMPUTE_PGM_RSRC2:USER_SGPR: 6
; COMPUTE_PGM_RSRC2:TRAP_HANDLER: 0
; COMPUTE_PGM_RSRC2:TGID_X_EN: 1
; COMPUTE_PGM_RSRC2:TGID_Y_EN: 0
; COMPUTE_PGM_RSRC2:TGID_Z_EN: 0
; COMPUTE_PGM_RSRC2:TIDIG_COMP_CNT: 0
	.section	.text._ZN7rocprim17ROCPRIM_400000_NS6detail17trampoline_kernelINS0_14default_configENS1_35adjacent_difference_config_selectorILb1EyEEZNS1_24adjacent_difference_implIS3_Lb1ELb0EPyN6thrust23THRUST_200600_302600_NS16discard_iteratorINS9_11use_defaultEEENS9_5minusIyEEEE10hipError_tPvRmT2_T3_mT4_P12ihipStream_tbEUlT_E_NS1_11comp_targetILNS1_3genE0ELNS1_11target_archE4294967295ELNS1_3gpuE0ELNS1_3repE0EEENS1_30default_config_static_selectorELNS0_4arch9wavefront6targetE1EEEvT1_,"axG",@progbits,_ZN7rocprim17ROCPRIM_400000_NS6detail17trampoline_kernelINS0_14default_configENS1_35adjacent_difference_config_selectorILb1EyEEZNS1_24adjacent_difference_implIS3_Lb1ELb0EPyN6thrust23THRUST_200600_302600_NS16discard_iteratorINS9_11use_defaultEEENS9_5minusIyEEEE10hipError_tPvRmT2_T3_mT4_P12ihipStream_tbEUlT_E_NS1_11comp_targetILNS1_3genE0ELNS1_11target_archE4294967295ELNS1_3gpuE0ELNS1_3repE0EEENS1_30default_config_static_selectorELNS0_4arch9wavefront6targetE1EEEvT1_,comdat
	.protected	_ZN7rocprim17ROCPRIM_400000_NS6detail17trampoline_kernelINS0_14default_configENS1_35adjacent_difference_config_selectorILb1EyEEZNS1_24adjacent_difference_implIS3_Lb1ELb0EPyN6thrust23THRUST_200600_302600_NS16discard_iteratorINS9_11use_defaultEEENS9_5minusIyEEEE10hipError_tPvRmT2_T3_mT4_P12ihipStream_tbEUlT_E_NS1_11comp_targetILNS1_3genE0ELNS1_11target_archE4294967295ELNS1_3gpuE0ELNS1_3repE0EEENS1_30default_config_static_selectorELNS0_4arch9wavefront6targetE1EEEvT1_ ; -- Begin function _ZN7rocprim17ROCPRIM_400000_NS6detail17trampoline_kernelINS0_14default_configENS1_35adjacent_difference_config_selectorILb1EyEEZNS1_24adjacent_difference_implIS3_Lb1ELb0EPyN6thrust23THRUST_200600_302600_NS16discard_iteratorINS9_11use_defaultEEENS9_5minusIyEEEE10hipError_tPvRmT2_T3_mT4_P12ihipStream_tbEUlT_E_NS1_11comp_targetILNS1_3genE0ELNS1_11target_archE4294967295ELNS1_3gpuE0ELNS1_3repE0EEENS1_30default_config_static_selectorELNS0_4arch9wavefront6targetE1EEEvT1_
	.globl	_ZN7rocprim17ROCPRIM_400000_NS6detail17trampoline_kernelINS0_14default_configENS1_35adjacent_difference_config_selectorILb1EyEEZNS1_24adjacent_difference_implIS3_Lb1ELb0EPyN6thrust23THRUST_200600_302600_NS16discard_iteratorINS9_11use_defaultEEENS9_5minusIyEEEE10hipError_tPvRmT2_T3_mT4_P12ihipStream_tbEUlT_E_NS1_11comp_targetILNS1_3genE0ELNS1_11target_archE4294967295ELNS1_3gpuE0ELNS1_3repE0EEENS1_30default_config_static_selectorELNS0_4arch9wavefront6targetE1EEEvT1_
	.p2align	8
	.type	_ZN7rocprim17ROCPRIM_400000_NS6detail17trampoline_kernelINS0_14default_configENS1_35adjacent_difference_config_selectorILb1EyEEZNS1_24adjacent_difference_implIS3_Lb1ELb0EPyN6thrust23THRUST_200600_302600_NS16discard_iteratorINS9_11use_defaultEEENS9_5minusIyEEEE10hipError_tPvRmT2_T3_mT4_P12ihipStream_tbEUlT_E_NS1_11comp_targetILNS1_3genE0ELNS1_11target_archE4294967295ELNS1_3gpuE0ELNS1_3repE0EEENS1_30default_config_static_selectorELNS0_4arch9wavefront6targetE1EEEvT1_,@function
_ZN7rocprim17ROCPRIM_400000_NS6detail17trampoline_kernelINS0_14default_configENS1_35adjacent_difference_config_selectorILb1EyEEZNS1_24adjacent_difference_implIS3_Lb1ELb0EPyN6thrust23THRUST_200600_302600_NS16discard_iteratorINS9_11use_defaultEEENS9_5minusIyEEEE10hipError_tPvRmT2_T3_mT4_P12ihipStream_tbEUlT_E_NS1_11comp_targetILNS1_3genE0ELNS1_11target_archE4294967295ELNS1_3gpuE0ELNS1_3repE0EEENS1_30default_config_static_selectorELNS0_4arch9wavefront6targetE1EEEvT1_: ; @_ZN7rocprim17ROCPRIM_400000_NS6detail17trampoline_kernelINS0_14default_configENS1_35adjacent_difference_config_selectorILb1EyEEZNS1_24adjacent_difference_implIS3_Lb1ELb0EPyN6thrust23THRUST_200600_302600_NS16discard_iteratorINS9_11use_defaultEEENS9_5minusIyEEEE10hipError_tPvRmT2_T3_mT4_P12ihipStream_tbEUlT_E_NS1_11comp_targetILNS1_3genE0ELNS1_11target_archE4294967295ELNS1_3gpuE0ELNS1_3repE0EEENS1_30default_config_static_selectorELNS0_4arch9wavefront6targetE1EEEvT1_
; %bb.0:
	.section	.rodata,"a",@progbits
	.p2align	6, 0x0
	.amdhsa_kernel _ZN7rocprim17ROCPRIM_400000_NS6detail17trampoline_kernelINS0_14default_configENS1_35adjacent_difference_config_selectorILb1EyEEZNS1_24adjacent_difference_implIS3_Lb1ELb0EPyN6thrust23THRUST_200600_302600_NS16discard_iteratorINS9_11use_defaultEEENS9_5minusIyEEEE10hipError_tPvRmT2_T3_mT4_P12ihipStream_tbEUlT_E_NS1_11comp_targetILNS1_3genE0ELNS1_11target_archE4294967295ELNS1_3gpuE0ELNS1_3repE0EEENS1_30default_config_static_selectorELNS0_4arch9wavefront6targetE1EEEvT1_
		.amdhsa_group_segment_fixed_size 0
		.amdhsa_private_segment_fixed_size 0
		.amdhsa_kernarg_size 64
		.amdhsa_user_sgpr_count 6
		.amdhsa_user_sgpr_private_segment_buffer 1
		.amdhsa_user_sgpr_dispatch_ptr 0
		.amdhsa_user_sgpr_queue_ptr 0
		.amdhsa_user_sgpr_kernarg_segment_ptr 1
		.amdhsa_user_sgpr_dispatch_id 0
		.amdhsa_user_sgpr_flat_scratch_init 0
		.amdhsa_user_sgpr_private_segment_size 0
		.amdhsa_uses_dynamic_stack 0
		.amdhsa_system_sgpr_private_segment_wavefront_offset 0
		.amdhsa_system_sgpr_workgroup_id_x 1
		.amdhsa_system_sgpr_workgroup_id_y 0
		.amdhsa_system_sgpr_workgroup_id_z 0
		.amdhsa_system_sgpr_workgroup_info 0
		.amdhsa_system_vgpr_workitem_id 0
		.amdhsa_next_free_vgpr 1
		.amdhsa_next_free_sgpr 0
		.amdhsa_reserve_vcc 0
		.amdhsa_reserve_flat_scratch 0
		.amdhsa_float_round_mode_32 0
		.amdhsa_float_round_mode_16_64 0
		.amdhsa_float_denorm_mode_32 3
		.amdhsa_float_denorm_mode_16_64 3
		.amdhsa_dx10_clamp 1
		.amdhsa_ieee_mode 1
		.amdhsa_fp16_overflow 0
		.amdhsa_exception_fp_ieee_invalid_op 0
		.amdhsa_exception_fp_denorm_src 0
		.amdhsa_exception_fp_ieee_div_zero 0
		.amdhsa_exception_fp_ieee_overflow 0
		.amdhsa_exception_fp_ieee_underflow 0
		.amdhsa_exception_fp_ieee_inexact 0
		.amdhsa_exception_int_div_zero 0
	.end_amdhsa_kernel
	.section	.text._ZN7rocprim17ROCPRIM_400000_NS6detail17trampoline_kernelINS0_14default_configENS1_35adjacent_difference_config_selectorILb1EyEEZNS1_24adjacent_difference_implIS3_Lb1ELb0EPyN6thrust23THRUST_200600_302600_NS16discard_iteratorINS9_11use_defaultEEENS9_5minusIyEEEE10hipError_tPvRmT2_T3_mT4_P12ihipStream_tbEUlT_E_NS1_11comp_targetILNS1_3genE0ELNS1_11target_archE4294967295ELNS1_3gpuE0ELNS1_3repE0EEENS1_30default_config_static_selectorELNS0_4arch9wavefront6targetE1EEEvT1_,"axG",@progbits,_ZN7rocprim17ROCPRIM_400000_NS6detail17trampoline_kernelINS0_14default_configENS1_35adjacent_difference_config_selectorILb1EyEEZNS1_24adjacent_difference_implIS3_Lb1ELb0EPyN6thrust23THRUST_200600_302600_NS16discard_iteratorINS9_11use_defaultEEENS9_5minusIyEEEE10hipError_tPvRmT2_T3_mT4_P12ihipStream_tbEUlT_E_NS1_11comp_targetILNS1_3genE0ELNS1_11target_archE4294967295ELNS1_3gpuE0ELNS1_3repE0EEENS1_30default_config_static_selectorELNS0_4arch9wavefront6targetE1EEEvT1_,comdat
.Lfunc_end816:
	.size	_ZN7rocprim17ROCPRIM_400000_NS6detail17trampoline_kernelINS0_14default_configENS1_35adjacent_difference_config_selectorILb1EyEEZNS1_24adjacent_difference_implIS3_Lb1ELb0EPyN6thrust23THRUST_200600_302600_NS16discard_iteratorINS9_11use_defaultEEENS9_5minusIyEEEE10hipError_tPvRmT2_T3_mT4_P12ihipStream_tbEUlT_E_NS1_11comp_targetILNS1_3genE0ELNS1_11target_archE4294967295ELNS1_3gpuE0ELNS1_3repE0EEENS1_30default_config_static_selectorELNS0_4arch9wavefront6targetE1EEEvT1_, .Lfunc_end816-_ZN7rocprim17ROCPRIM_400000_NS6detail17trampoline_kernelINS0_14default_configENS1_35adjacent_difference_config_selectorILb1EyEEZNS1_24adjacent_difference_implIS3_Lb1ELb0EPyN6thrust23THRUST_200600_302600_NS16discard_iteratorINS9_11use_defaultEEENS9_5minusIyEEEE10hipError_tPvRmT2_T3_mT4_P12ihipStream_tbEUlT_E_NS1_11comp_targetILNS1_3genE0ELNS1_11target_archE4294967295ELNS1_3gpuE0ELNS1_3repE0EEENS1_30default_config_static_selectorELNS0_4arch9wavefront6targetE1EEEvT1_
                                        ; -- End function
	.set _ZN7rocprim17ROCPRIM_400000_NS6detail17trampoline_kernelINS0_14default_configENS1_35adjacent_difference_config_selectorILb1EyEEZNS1_24adjacent_difference_implIS3_Lb1ELb0EPyN6thrust23THRUST_200600_302600_NS16discard_iteratorINS9_11use_defaultEEENS9_5minusIyEEEE10hipError_tPvRmT2_T3_mT4_P12ihipStream_tbEUlT_E_NS1_11comp_targetILNS1_3genE0ELNS1_11target_archE4294967295ELNS1_3gpuE0ELNS1_3repE0EEENS1_30default_config_static_selectorELNS0_4arch9wavefront6targetE1EEEvT1_.num_vgpr, 0
	.set _ZN7rocprim17ROCPRIM_400000_NS6detail17trampoline_kernelINS0_14default_configENS1_35adjacent_difference_config_selectorILb1EyEEZNS1_24adjacent_difference_implIS3_Lb1ELb0EPyN6thrust23THRUST_200600_302600_NS16discard_iteratorINS9_11use_defaultEEENS9_5minusIyEEEE10hipError_tPvRmT2_T3_mT4_P12ihipStream_tbEUlT_E_NS1_11comp_targetILNS1_3genE0ELNS1_11target_archE4294967295ELNS1_3gpuE0ELNS1_3repE0EEENS1_30default_config_static_selectorELNS0_4arch9wavefront6targetE1EEEvT1_.num_agpr, 0
	.set _ZN7rocprim17ROCPRIM_400000_NS6detail17trampoline_kernelINS0_14default_configENS1_35adjacent_difference_config_selectorILb1EyEEZNS1_24adjacent_difference_implIS3_Lb1ELb0EPyN6thrust23THRUST_200600_302600_NS16discard_iteratorINS9_11use_defaultEEENS9_5minusIyEEEE10hipError_tPvRmT2_T3_mT4_P12ihipStream_tbEUlT_E_NS1_11comp_targetILNS1_3genE0ELNS1_11target_archE4294967295ELNS1_3gpuE0ELNS1_3repE0EEENS1_30default_config_static_selectorELNS0_4arch9wavefront6targetE1EEEvT1_.numbered_sgpr, 0
	.set _ZN7rocprim17ROCPRIM_400000_NS6detail17trampoline_kernelINS0_14default_configENS1_35adjacent_difference_config_selectorILb1EyEEZNS1_24adjacent_difference_implIS3_Lb1ELb0EPyN6thrust23THRUST_200600_302600_NS16discard_iteratorINS9_11use_defaultEEENS9_5minusIyEEEE10hipError_tPvRmT2_T3_mT4_P12ihipStream_tbEUlT_E_NS1_11comp_targetILNS1_3genE0ELNS1_11target_archE4294967295ELNS1_3gpuE0ELNS1_3repE0EEENS1_30default_config_static_selectorELNS0_4arch9wavefront6targetE1EEEvT1_.num_named_barrier, 0
	.set _ZN7rocprim17ROCPRIM_400000_NS6detail17trampoline_kernelINS0_14default_configENS1_35adjacent_difference_config_selectorILb1EyEEZNS1_24adjacent_difference_implIS3_Lb1ELb0EPyN6thrust23THRUST_200600_302600_NS16discard_iteratorINS9_11use_defaultEEENS9_5minusIyEEEE10hipError_tPvRmT2_T3_mT4_P12ihipStream_tbEUlT_E_NS1_11comp_targetILNS1_3genE0ELNS1_11target_archE4294967295ELNS1_3gpuE0ELNS1_3repE0EEENS1_30default_config_static_selectorELNS0_4arch9wavefront6targetE1EEEvT1_.private_seg_size, 0
	.set _ZN7rocprim17ROCPRIM_400000_NS6detail17trampoline_kernelINS0_14default_configENS1_35adjacent_difference_config_selectorILb1EyEEZNS1_24adjacent_difference_implIS3_Lb1ELb0EPyN6thrust23THRUST_200600_302600_NS16discard_iteratorINS9_11use_defaultEEENS9_5minusIyEEEE10hipError_tPvRmT2_T3_mT4_P12ihipStream_tbEUlT_E_NS1_11comp_targetILNS1_3genE0ELNS1_11target_archE4294967295ELNS1_3gpuE0ELNS1_3repE0EEENS1_30default_config_static_selectorELNS0_4arch9wavefront6targetE1EEEvT1_.uses_vcc, 0
	.set _ZN7rocprim17ROCPRIM_400000_NS6detail17trampoline_kernelINS0_14default_configENS1_35adjacent_difference_config_selectorILb1EyEEZNS1_24adjacent_difference_implIS3_Lb1ELb0EPyN6thrust23THRUST_200600_302600_NS16discard_iteratorINS9_11use_defaultEEENS9_5minusIyEEEE10hipError_tPvRmT2_T3_mT4_P12ihipStream_tbEUlT_E_NS1_11comp_targetILNS1_3genE0ELNS1_11target_archE4294967295ELNS1_3gpuE0ELNS1_3repE0EEENS1_30default_config_static_selectorELNS0_4arch9wavefront6targetE1EEEvT1_.uses_flat_scratch, 0
	.set _ZN7rocprim17ROCPRIM_400000_NS6detail17trampoline_kernelINS0_14default_configENS1_35adjacent_difference_config_selectorILb1EyEEZNS1_24adjacent_difference_implIS3_Lb1ELb0EPyN6thrust23THRUST_200600_302600_NS16discard_iteratorINS9_11use_defaultEEENS9_5minusIyEEEE10hipError_tPvRmT2_T3_mT4_P12ihipStream_tbEUlT_E_NS1_11comp_targetILNS1_3genE0ELNS1_11target_archE4294967295ELNS1_3gpuE0ELNS1_3repE0EEENS1_30default_config_static_selectorELNS0_4arch9wavefront6targetE1EEEvT1_.has_dyn_sized_stack, 0
	.set _ZN7rocprim17ROCPRIM_400000_NS6detail17trampoline_kernelINS0_14default_configENS1_35adjacent_difference_config_selectorILb1EyEEZNS1_24adjacent_difference_implIS3_Lb1ELb0EPyN6thrust23THRUST_200600_302600_NS16discard_iteratorINS9_11use_defaultEEENS9_5minusIyEEEE10hipError_tPvRmT2_T3_mT4_P12ihipStream_tbEUlT_E_NS1_11comp_targetILNS1_3genE0ELNS1_11target_archE4294967295ELNS1_3gpuE0ELNS1_3repE0EEENS1_30default_config_static_selectorELNS0_4arch9wavefront6targetE1EEEvT1_.has_recursion, 0
	.set _ZN7rocprim17ROCPRIM_400000_NS6detail17trampoline_kernelINS0_14default_configENS1_35adjacent_difference_config_selectorILb1EyEEZNS1_24adjacent_difference_implIS3_Lb1ELb0EPyN6thrust23THRUST_200600_302600_NS16discard_iteratorINS9_11use_defaultEEENS9_5minusIyEEEE10hipError_tPvRmT2_T3_mT4_P12ihipStream_tbEUlT_E_NS1_11comp_targetILNS1_3genE0ELNS1_11target_archE4294967295ELNS1_3gpuE0ELNS1_3repE0EEENS1_30default_config_static_selectorELNS0_4arch9wavefront6targetE1EEEvT1_.has_indirect_call, 0
	.section	.AMDGPU.csdata,"",@progbits
; Kernel info:
; codeLenInByte = 0
; TotalNumSgprs: 4
; NumVgprs: 0
; ScratchSize: 0
; MemoryBound: 0
; FloatMode: 240
; IeeeMode: 1
; LDSByteSize: 0 bytes/workgroup (compile time only)
; SGPRBlocks: 0
; VGPRBlocks: 0
; NumSGPRsForWavesPerEU: 4
; NumVGPRsForWavesPerEU: 1
; Occupancy: 10
; WaveLimiterHint : 0
; COMPUTE_PGM_RSRC2:SCRATCH_EN: 0
; COMPUTE_PGM_RSRC2:USER_SGPR: 6
; COMPUTE_PGM_RSRC2:TRAP_HANDLER: 0
; COMPUTE_PGM_RSRC2:TGID_X_EN: 1
; COMPUTE_PGM_RSRC2:TGID_Y_EN: 0
; COMPUTE_PGM_RSRC2:TGID_Z_EN: 0
; COMPUTE_PGM_RSRC2:TIDIG_COMP_CNT: 0
	.section	.text._ZN7rocprim17ROCPRIM_400000_NS6detail17trampoline_kernelINS0_14default_configENS1_35adjacent_difference_config_selectorILb1EyEEZNS1_24adjacent_difference_implIS3_Lb1ELb0EPyN6thrust23THRUST_200600_302600_NS16discard_iteratorINS9_11use_defaultEEENS9_5minusIyEEEE10hipError_tPvRmT2_T3_mT4_P12ihipStream_tbEUlT_E_NS1_11comp_targetILNS1_3genE10ELNS1_11target_archE1201ELNS1_3gpuE5ELNS1_3repE0EEENS1_30default_config_static_selectorELNS0_4arch9wavefront6targetE1EEEvT1_,"axG",@progbits,_ZN7rocprim17ROCPRIM_400000_NS6detail17trampoline_kernelINS0_14default_configENS1_35adjacent_difference_config_selectorILb1EyEEZNS1_24adjacent_difference_implIS3_Lb1ELb0EPyN6thrust23THRUST_200600_302600_NS16discard_iteratorINS9_11use_defaultEEENS9_5minusIyEEEE10hipError_tPvRmT2_T3_mT4_P12ihipStream_tbEUlT_E_NS1_11comp_targetILNS1_3genE10ELNS1_11target_archE1201ELNS1_3gpuE5ELNS1_3repE0EEENS1_30default_config_static_selectorELNS0_4arch9wavefront6targetE1EEEvT1_,comdat
	.protected	_ZN7rocprim17ROCPRIM_400000_NS6detail17trampoline_kernelINS0_14default_configENS1_35adjacent_difference_config_selectorILb1EyEEZNS1_24adjacent_difference_implIS3_Lb1ELb0EPyN6thrust23THRUST_200600_302600_NS16discard_iteratorINS9_11use_defaultEEENS9_5minusIyEEEE10hipError_tPvRmT2_T3_mT4_P12ihipStream_tbEUlT_E_NS1_11comp_targetILNS1_3genE10ELNS1_11target_archE1201ELNS1_3gpuE5ELNS1_3repE0EEENS1_30default_config_static_selectorELNS0_4arch9wavefront6targetE1EEEvT1_ ; -- Begin function _ZN7rocprim17ROCPRIM_400000_NS6detail17trampoline_kernelINS0_14default_configENS1_35adjacent_difference_config_selectorILb1EyEEZNS1_24adjacent_difference_implIS3_Lb1ELb0EPyN6thrust23THRUST_200600_302600_NS16discard_iteratorINS9_11use_defaultEEENS9_5minusIyEEEE10hipError_tPvRmT2_T3_mT4_P12ihipStream_tbEUlT_E_NS1_11comp_targetILNS1_3genE10ELNS1_11target_archE1201ELNS1_3gpuE5ELNS1_3repE0EEENS1_30default_config_static_selectorELNS0_4arch9wavefront6targetE1EEEvT1_
	.globl	_ZN7rocprim17ROCPRIM_400000_NS6detail17trampoline_kernelINS0_14default_configENS1_35adjacent_difference_config_selectorILb1EyEEZNS1_24adjacent_difference_implIS3_Lb1ELb0EPyN6thrust23THRUST_200600_302600_NS16discard_iteratorINS9_11use_defaultEEENS9_5minusIyEEEE10hipError_tPvRmT2_T3_mT4_P12ihipStream_tbEUlT_E_NS1_11comp_targetILNS1_3genE10ELNS1_11target_archE1201ELNS1_3gpuE5ELNS1_3repE0EEENS1_30default_config_static_selectorELNS0_4arch9wavefront6targetE1EEEvT1_
	.p2align	8
	.type	_ZN7rocprim17ROCPRIM_400000_NS6detail17trampoline_kernelINS0_14default_configENS1_35adjacent_difference_config_selectorILb1EyEEZNS1_24adjacent_difference_implIS3_Lb1ELb0EPyN6thrust23THRUST_200600_302600_NS16discard_iteratorINS9_11use_defaultEEENS9_5minusIyEEEE10hipError_tPvRmT2_T3_mT4_P12ihipStream_tbEUlT_E_NS1_11comp_targetILNS1_3genE10ELNS1_11target_archE1201ELNS1_3gpuE5ELNS1_3repE0EEENS1_30default_config_static_selectorELNS0_4arch9wavefront6targetE1EEEvT1_,@function
_ZN7rocprim17ROCPRIM_400000_NS6detail17trampoline_kernelINS0_14default_configENS1_35adjacent_difference_config_selectorILb1EyEEZNS1_24adjacent_difference_implIS3_Lb1ELb0EPyN6thrust23THRUST_200600_302600_NS16discard_iteratorINS9_11use_defaultEEENS9_5minusIyEEEE10hipError_tPvRmT2_T3_mT4_P12ihipStream_tbEUlT_E_NS1_11comp_targetILNS1_3genE10ELNS1_11target_archE1201ELNS1_3gpuE5ELNS1_3repE0EEENS1_30default_config_static_selectorELNS0_4arch9wavefront6targetE1EEEvT1_: ; @_ZN7rocprim17ROCPRIM_400000_NS6detail17trampoline_kernelINS0_14default_configENS1_35adjacent_difference_config_selectorILb1EyEEZNS1_24adjacent_difference_implIS3_Lb1ELb0EPyN6thrust23THRUST_200600_302600_NS16discard_iteratorINS9_11use_defaultEEENS9_5minusIyEEEE10hipError_tPvRmT2_T3_mT4_P12ihipStream_tbEUlT_E_NS1_11comp_targetILNS1_3genE10ELNS1_11target_archE1201ELNS1_3gpuE5ELNS1_3repE0EEENS1_30default_config_static_selectorELNS0_4arch9wavefront6targetE1EEEvT1_
; %bb.0:
	.section	.rodata,"a",@progbits
	.p2align	6, 0x0
	.amdhsa_kernel _ZN7rocprim17ROCPRIM_400000_NS6detail17trampoline_kernelINS0_14default_configENS1_35adjacent_difference_config_selectorILb1EyEEZNS1_24adjacent_difference_implIS3_Lb1ELb0EPyN6thrust23THRUST_200600_302600_NS16discard_iteratorINS9_11use_defaultEEENS9_5minusIyEEEE10hipError_tPvRmT2_T3_mT4_P12ihipStream_tbEUlT_E_NS1_11comp_targetILNS1_3genE10ELNS1_11target_archE1201ELNS1_3gpuE5ELNS1_3repE0EEENS1_30default_config_static_selectorELNS0_4arch9wavefront6targetE1EEEvT1_
		.amdhsa_group_segment_fixed_size 0
		.amdhsa_private_segment_fixed_size 0
		.amdhsa_kernarg_size 64
		.amdhsa_user_sgpr_count 6
		.amdhsa_user_sgpr_private_segment_buffer 1
		.amdhsa_user_sgpr_dispatch_ptr 0
		.amdhsa_user_sgpr_queue_ptr 0
		.amdhsa_user_sgpr_kernarg_segment_ptr 1
		.amdhsa_user_sgpr_dispatch_id 0
		.amdhsa_user_sgpr_flat_scratch_init 0
		.amdhsa_user_sgpr_private_segment_size 0
		.amdhsa_uses_dynamic_stack 0
		.amdhsa_system_sgpr_private_segment_wavefront_offset 0
		.amdhsa_system_sgpr_workgroup_id_x 1
		.amdhsa_system_sgpr_workgroup_id_y 0
		.amdhsa_system_sgpr_workgroup_id_z 0
		.amdhsa_system_sgpr_workgroup_info 0
		.amdhsa_system_vgpr_workitem_id 0
		.amdhsa_next_free_vgpr 1
		.amdhsa_next_free_sgpr 0
		.amdhsa_reserve_vcc 0
		.amdhsa_reserve_flat_scratch 0
		.amdhsa_float_round_mode_32 0
		.amdhsa_float_round_mode_16_64 0
		.amdhsa_float_denorm_mode_32 3
		.amdhsa_float_denorm_mode_16_64 3
		.amdhsa_dx10_clamp 1
		.amdhsa_ieee_mode 1
		.amdhsa_fp16_overflow 0
		.amdhsa_exception_fp_ieee_invalid_op 0
		.amdhsa_exception_fp_denorm_src 0
		.amdhsa_exception_fp_ieee_div_zero 0
		.amdhsa_exception_fp_ieee_overflow 0
		.amdhsa_exception_fp_ieee_underflow 0
		.amdhsa_exception_fp_ieee_inexact 0
		.amdhsa_exception_int_div_zero 0
	.end_amdhsa_kernel
	.section	.text._ZN7rocprim17ROCPRIM_400000_NS6detail17trampoline_kernelINS0_14default_configENS1_35adjacent_difference_config_selectorILb1EyEEZNS1_24adjacent_difference_implIS3_Lb1ELb0EPyN6thrust23THRUST_200600_302600_NS16discard_iteratorINS9_11use_defaultEEENS9_5minusIyEEEE10hipError_tPvRmT2_T3_mT4_P12ihipStream_tbEUlT_E_NS1_11comp_targetILNS1_3genE10ELNS1_11target_archE1201ELNS1_3gpuE5ELNS1_3repE0EEENS1_30default_config_static_selectorELNS0_4arch9wavefront6targetE1EEEvT1_,"axG",@progbits,_ZN7rocprim17ROCPRIM_400000_NS6detail17trampoline_kernelINS0_14default_configENS1_35adjacent_difference_config_selectorILb1EyEEZNS1_24adjacent_difference_implIS3_Lb1ELb0EPyN6thrust23THRUST_200600_302600_NS16discard_iteratorINS9_11use_defaultEEENS9_5minusIyEEEE10hipError_tPvRmT2_T3_mT4_P12ihipStream_tbEUlT_E_NS1_11comp_targetILNS1_3genE10ELNS1_11target_archE1201ELNS1_3gpuE5ELNS1_3repE0EEENS1_30default_config_static_selectorELNS0_4arch9wavefront6targetE1EEEvT1_,comdat
.Lfunc_end817:
	.size	_ZN7rocprim17ROCPRIM_400000_NS6detail17trampoline_kernelINS0_14default_configENS1_35adjacent_difference_config_selectorILb1EyEEZNS1_24adjacent_difference_implIS3_Lb1ELb0EPyN6thrust23THRUST_200600_302600_NS16discard_iteratorINS9_11use_defaultEEENS9_5minusIyEEEE10hipError_tPvRmT2_T3_mT4_P12ihipStream_tbEUlT_E_NS1_11comp_targetILNS1_3genE10ELNS1_11target_archE1201ELNS1_3gpuE5ELNS1_3repE0EEENS1_30default_config_static_selectorELNS0_4arch9wavefront6targetE1EEEvT1_, .Lfunc_end817-_ZN7rocprim17ROCPRIM_400000_NS6detail17trampoline_kernelINS0_14default_configENS1_35adjacent_difference_config_selectorILb1EyEEZNS1_24adjacent_difference_implIS3_Lb1ELb0EPyN6thrust23THRUST_200600_302600_NS16discard_iteratorINS9_11use_defaultEEENS9_5minusIyEEEE10hipError_tPvRmT2_T3_mT4_P12ihipStream_tbEUlT_E_NS1_11comp_targetILNS1_3genE10ELNS1_11target_archE1201ELNS1_3gpuE5ELNS1_3repE0EEENS1_30default_config_static_selectorELNS0_4arch9wavefront6targetE1EEEvT1_
                                        ; -- End function
	.set _ZN7rocprim17ROCPRIM_400000_NS6detail17trampoline_kernelINS0_14default_configENS1_35adjacent_difference_config_selectorILb1EyEEZNS1_24adjacent_difference_implIS3_Lb1ELb0EPyN6thrust23THRUST_200600_302600_NS16discard_iteratorINS9_11use_defaultEEENS9_5minusIyEEEE10hipError_tPvRmT2_T3_mT4_P12ihipStream_tbEUlT_E_NS1_11comp_targetILNS1_3genE10ELNS1_11target_archE1201ELNS1_3gpuE5ELNS1_3repE0EEENS1_30default_config_static_selectorELNS0_4arch9wavefront6targetE1EEEvT1_.num_vgpr, 0
	.set _ZN7rocprim17ROCPRIM_400000_NS6detail17trampoline_kernelINS0_14default_configENS1_35adjacent_difference_config_selectorILb1EyEEZNS1_24adjacent_difference_implIS3_Lb1ELb0EPyN6thrust23THRUST_200600_302600_NS16discard_iteratorINS9_11use_defaultEEENS9_5minusIyEEEE10hipError_tPvRmT2_T3_mT4_P12ihipStream_tbEUlT_E_NS1_11comp_targetILNS1_3genE10ELNS1_11target_archE1201ELNS1_3gpuE5ELNS1_3repE0EEENS1_30default_config_static_selectorELNS0_4arch9wavefront6targetE1EEEvT1_.num_agpr, 0
	.set _ZN7rocprim17ROCPRIM_400000_NS6detail17trampoline_kernelINS0_14default_configENS1_35adjacent_difference_config_selectorILb1EyEEZNS1_24adjacent_difference_implIS3_Lb1ELb0EPyN6thrust23THRUST_200600_302600_NS16discard_iteratorINS9_11use_defaultEEENS9_5minusIyEEEE10hipError_tPvRmT2_T3_mT4_P12ihipStream_tbEUlT_E_NS1_11comp_targetILNS1_3genE10ELNS1_11target_archE1201ELNS1_3gpuE5ELNS1_3repE0EEENS1_30default_config_static_selectorELNS0_4arch9wavefront6targetE1EEEvT1_.numbered_sgpr, 0
	.set _ZN7rocprim17ROCPRIM_400000_NS6detail17trampoline_kernelINS0_14default_configENS1_35adjacent_difference_config_selectorILb1EyEEZNS1_24adjacent_difference_implIS3_Lb1ELb0EPyN6thrust23THRUST_200600_302600_NS16discard_iteratorINS9_11use_defaultEEENS9_5minusIyEEEE10hipError_tPvRmT2_T3_mT4_P12ihipStream_tbEUlT_E_NS1_11comp_targetILNS1_3genE10ELNS1_11target_archE1201ELNS1_3gpuE5ELNS1_3repE0EEENS1_30default_config_static_selectorELNS0_4arch9wavefront6targetE1EEEvT1_.num_named_barrier, 0
	.set _ZN7rocprim17ROCPRIM_400000_NS6detail17trampoline_kernelINS0_14default_configENS1_35adjacent_difference_config_selectorILb1EyEEZNS1_24adjacent_difference_implIS3_Lb1ELb0EPyN6thrust23THRUST_200600_302600_NS16discard_iteratorINS9_11use_defaultEEENS9_5minusIyEEEE10hipError_tPvRmT2_T3_mT4_P12ihipStream_tbEUlT_E_NS1_11comp_targetILNS1_3genE10ELNS1_11target_archE1201ELNS1_3gpuE5ELNS1_3repE0EEENS1_30default_config_static_selectorELNS0_4arch9wavefront6targetE1EEEvT1_.private_seg_size, 0
	.set _ZN7rocprim17ROCPRIM_400000_NS6detail17trampoline_kernelINS0_14default_configENS1_35adjacent_difference_config_selectorILb1EyEEZNS1_24adjacent_difference_implIS3_Lb1ELb0EPyN6thrust23THRUST_200600_302600_NS16discard_iteratorINS9_11use_defaultEEENS9_5minusIyEEEE10hipError_tPvRmT2_T3_mT4_P12ihipStream_tbEUlT_E_NS1_11comp_targetILNS1_3genE10ELNS1_11target_archE1201ELNS1_3gpuE5ELNS1_3repE0EEENS1_30default_config_static_selectorELNS0_4arch9wavefront6targetE1EEEvT1_.uses_vcc, 0
	.set _ZN7rocprim17ROCPRIM_400000_NS6detail17trampoline_kernelINS0_14default_configENS1_35adjacent_difference_config_selectorILb1EyEEZNS1_24adjacent_difference_implIS3_Lb1ELb0EPyN6thrust23THRUST_200600_302600_NS16discard_iteratorINS9_11use_defaultEEENS9_5minusIyEEEE10hipError_tPvRmT2_T3_mT4_P12ihipStream_tbEUlT_E_NS1_11comp_targetILNS1_3genE10ELNS1_11target_archE1201ELNS1_3gpuE5ELNS1_3repE0EEENS1_30default_config_static_selectorELNS0_4arch9wavefront6targetE1EEEvT1_.uses_flat_scratch, 0
	.set _ZN7rocprim17ROCPRIM_400000_NS6detail17trampoline_kernelINS0_14default_configENS1_35adjacent_difference_config_selectorILb1EyEEZNS1_24adjacent_difference_implIS3_Lb1ELb0EPyN6thrust23THRUST_200600_302600_NS16discard_iteratorINS9_11use_defaultEEENS9_5minusIyEEEE10hipError_tPvRmT2_T3_mT4_P12ihipStream_tbEUlT_E_NS1_11comp_targetILNS1_3genE10ELNS1_11target_archE1201ELNS1_3gpuE5ELNS1_3repE0EEENS1_30default_config_static_selectorELNS0_4arch9wavefront6targetE1EEEvT1_.has_dyn_sized_stack, 0
	.set _ZN7rocprim17ROCPRIM_400000_NS6detail17trampoline_kernelINS0_14default_configENS1_35adjacent_difference_config_selectorILb1EyEEZNS1_24adjacent_difference_implIS3_Lb1ELb0EPyN6thrust23THRUST_200600_302600_NS16discard_iteratorINS9_11use_defaultEEENS9_5minusIyEEEE10hipError_tPvRmT2_T3_mT4_P12ihipStream_tbEUlT_E_NS1_11comp_targetILNS1_3genE10ELNS1_11target_archE1201ELNS1_3gpuE5ELNS1_3repE0EEENS1_30default_config_static_selectorELNS0_4arch9wavefront6targetE1EEEvT1_.has_recursion, 0
	.set _ZN7rocprim17ROCPRIM_400000_NS6detail17trampoline_kernelINS0_14default_configENS1_35adjacent_difference_config_selectorILb1EyEEZNS1_24adjacent_difference_implIS3_Lb1ELb0EPyN6thrust23THRUST_200600_302600_NS16discard_iteratorINS9_11use_defaultEEENS9_5minusIyEEEE10hipError_tPvRmT2_T3_mT4_P12ihipStream_tbEUlT_E_NS1_11comp_targetILNS1_3genE10ELNS1_11target_archE1201ELNS1_3gpuE5ELNS1_3repE0EEENS1_30default_config_static_selectorELNS0_4arch9wavefront6targetE1EEEvT1_.has_indirect_call, 0
	.section	.AMDGPU.csdata,"",@progbits
; Kernel info:
; codeLenInByte = 0
; TotalNumSgprs: 4
; NumVgprs: 0
; ScratchSize: 0
; MemoryBound: 0
; FloatMode: 240
; IeeeMode: 1
; LDSByteSize: 0 bytes/workgroup (compile time only)
; SGPRBlocks: 0
; VGPRBlocks: 0
; NumSGPRsForWavesPerEU: 4
; NumVGPRsForWavesPerEU: 1
; Occupancy: 10
; WaveLimiterHint : 0
; COMPUTE_PGM_RSRC2:SCRATCH_EN: 0
; COMPUTE_PGM_RSRC2:USER_SGPR: 6
; COMPUTE_PGM_RSRC2:TRAP_HANDLER: 0
; COMPUTE_PGM_RSRC2:TGID_X_EN: 1
; COMPUTE_PGM_RSRC2:TGID_Y_EN: 0
; COMPUTE_PGM_RSRC2:TGID_Z_EN: 0
; COMPUTE_PGM_RSRC2:TIDIG_COMP_CNT: 0
	.section	.text._ZN7rocprim17ROCPRIM_400000_NS6detail17trampoline_kernelINS0_14default_configENS1_35adjacent_difference_config_selectorILb1EyEEZNS1_24adjacent_difference_implIS3_Lb1ELb0EPyN6thrust23THRUST_200600_302600_NS16discard_iteratorINS9_11use_defaultEEENS9_5minusIyEEEE10hipError_tPvRmT2_T3_mT4_P12ihipStream_tbEUlT_E_NS1_11comp_targetILNS1_3genE5ELNS1_11target_archE942ELNS1_3gpuE9ELNS1_3repE0EEENS1_30default_config_static_selectorELNS0_4arch9wavefront6targetE1EEEvT1_,"axG",@progbits,_ZN7rocprim17ROCPRIM_400000_NS6detail17trampoline_kernelINS0_14default_configENS1_35adjacent_difference_config_selectorILb1EyEEZNS1_24adjacent_difference_implIS3_Lb1ELb0EPyN6thrust23THRUST_200600_302600_NS16discard_iteratorINS9_11use_defaultEEENS9_5minusIyEEEE10hipError_tPvRmT2_T3_mT4_P12ihipStream_tbEUlT_E_NS1_11comp_targetILNS1_3genE5ELNS1_11target_archE942ELNS1_3gpuE9ELNS1_3repE0EEENS1_30default_config_static_selectorELNS0_4arch9wavefront6targetE1EEEvT1_,comdat
	.protected	_ZN7rocprim17ROCPRIM_400000_NS6detail17trampoline_kernelINS0_14default_configENS1_35adjacent_difference_config_selectorILb1EyEEZNS1_24adjacent_difference_implIS3_Lb1ELb0EPyN6thrust23THRUST_200600_302600_NS16discard_iteratorINS9_11use_defaultEEENS9_5minusIyEEEE10hipError_tPvRmT2_T3_mT4_P12ihipStream_tbEUlT_E_NS1_11comp_targetILNS1_3genE5ELNS1_11target_archE942ELNS1_3gpuE9ELNS1_3repE0EEENS1_30default_config_static_selectorELNS0_4arch9wavefront6targetE1EEEvT1_ ; -- Begin function _ZN7rocprim17ROCPRIM_400000_NS6detail17trampoline_kernelINS0_14default_configENS1_35adjacent_difference_config_selectorILb1EyEEZNS1_24adjacent_difference_implIS3_Lb1ELb0EPyN6thrust23THRUST_200600_302600_NS16discard_iteratorINS9_11use_defaultEEENS9_5minusIyEEEE10hipError_tPvRmT2_T3_mT4_P12ihipStream_tbEUlT_E_NS1_11comp_targetILNS1_3genE5ELNS1_11target_archE942ELNS1_3gpuE9ELNS1_3repE0EEENS1_30default_config_static_selectorELNS0_4arch9wavefront6targetE1EEEvT1_
	.globl	_ZN7rocprim17ROCPRIM_400000_NS6detail17trampoline_kernelINS0_14default_configENS1_35adjacent_difference_config_selectorILb1EyEEZNS1_24adjacent_difference_implIS3_Lb1ELb0EPyN6thrust23THRUST_200600_302600_NS16discard_iteratorINS9_11use_defaultEEENS9_5minusIyEEEE10hipError_tPvRmT2_T3_mT4_P12ihipStream_tbEUlT_E_NS1_11comp_targetILNS1_3genE5ELNS1_11target_archE942ELNS1_3gpuE9ELNS1_3repE0EEENS1_30default_config_static_selectorELNS0_4arch9wavefront6targetE1EEEvT1_
	.p2align	8
	.type	_ZN7rocprim17ROCPRIM_400000_NS6detail17trampoline_kernelINS0_14default_configENS1_35adjacent_difference_config_selectorILb1EyEEZNS1_24adjacent_difference_implIS3_Lb1ELb0EPyN6thrust23THRUST_200600_302600_NS16discard_iteratorINS9_11use_defaultEEENS9_5minusIyEEEE10hipError_tPvRmT2_T3_mT4_P12ihipStream_tbEUlT_E_NS1_11comp_targetILNS1_3genE5ELNS1_11target_archE942ELNS1_3gpuE9ELNS1_3repE0EEENS1_30default_config_static_selectorELNS0_4arch9wavefront6targetE1EEEvT1_,@function
_ZN7rocprim17ROCPRIM_400000_NS6detail17trampoline_kernelINS0_14default_configENS1_35adjacent_difference_config_selectorILb1EyEEZNS1_24adjacent_difference_implIS3_Lb1ELb0EPyN6thrust23THRUST_200600_302600_NS16discard_iteratorINS9_11use_defaultEEENS9_5minusIyEEEE10hipError_tPvRmT2_T3_mT4_P12ihipStream_tbEUlT_E_NS1_11comp_targetILNS1_3genE5ELNS1_11target_archE942ELNS1_3gpuE9ELNS1_3repE0EEENS1_30default_config_static_selectorELNS0_4arch9wavefront6targetE1EEEvT1_: ; @_ZN7rocprim17ROCPRIM_400000_NS6detail17trampoline_kernelINS0_14default_configENS1_35adjacent_difference_config_selectorILb1EyEEZNS1_24adjacent_difference_implIS3_Lb1ELb0EPyN6thrust23THRUST_200600_302600_NS16discard_iteratorINS9_11use_defaultEEENS9_5minusIyEEEE10hipError_tPvRmT2_T3_mT4_P12ihipStream_tbEUlT_E_NS1_11comp_targetILNS1_3genE5ELNS1_11target_archE942ELNS1_3gpuE9ELNS1_3repE0EEENS1_30default_config_static_selectorELNS0_4arch9wavefront6targetE1EEEvT1_
; %bb.0:
	.section	.rodata,"a",@progbits
	.p2align	6, 0x0
	.amdhsa_kernel _ZN7rocprim17ROCPRIM_400000_NS6detail17trampoline_kernelINS0_14default_configENS1_35adjacent_difference_config_selectorILb1EyEEZNS1_24adjacent_difference_implIS3_Lb1ELb0EPyN6thrust23THRUST_200600_302600_NS16discard_iteratorINS9_11use_defaultEEENS9_5minusIyEEEE10hipError_tPvRmT2_T3_mT4_P12ihipStream_tbEUlT_E_NS1_11comp_targetILNS1_3genE5ELNS1_11target_archE942ELNS1_3gpuE9ELNS1_3repE0EEENS1_30default_config_static_selectorELNS0_4arch9wavefront6targetE1EEEvT1_
		.amdhsa_group_segment_fixed_size 0
		.amdhsa_private_segment_fixed_size 0
		.amdhsa_kernarg_size 64
		.amdhsa_user_sgpr_count 6
		.amdhsa_user_sgpr_private_segment_buffer 1
		.amdhsa_user_sgpr_dispatch_ptr 0
		.amdhsa_user_sgpr_queue_ptr 0
		.amdhsa_user_sgpr_kernarg_segment_ptr 1
		.amdhsa_user_sgpr_dispatch_id 0
		.amdhsa_user_sgpr_flat_scratch_init 0
		.amdhsa_user_sgpr_private_segment_size 0
		.amdhsa_uses_dynamic_stack 0
		.amdhsa_system_sgpr_private_segment_wavefront_offset 0
		.amdhsa_system_sgpr_workgroup_id_x 1
		.amdhsa_system_sgpr_workgroup_id_y 0
		.amdhsa_system_sgpr_workgroup_id_z 0
		.amdhsa_system_sgpr_workgroup_info 0
		.amdhsa_system_vgpr_workitem_id 0
		.amdhsa_next_free_vgpr 1
		.amdhsa_next_free_sgpr 0
		.amdhsa_reserve_vcc 0
		.amdhsa_reserve_flat_scratch 0
		.amdhsa_float_round_mode_32 0
		.amdhsa_float_round_mode_16_64 0
		.amdhsa_float_denorm_mode_32 3
		.amdhsa_float_denorm_mode_16_64 3
		.amdhsa_dx10_clamp 1
		.amdhsa_ieee_mode 1
		.amdhsa_fp16_overflow 0
		.amdhsa_exception_fp_ieee_invalid_op 0
		.amdhsa_exception_fp_denorm_src 0
		.amdhsa_exception_fp_ieee_div_zero 0
		.amdhsa_exception_fp_ieee_overflow 0
		.amdhsa_exception_fp_ieee_underflow 0
		.amdhsa_exception_fp_ieee_inexact 0
		.amdhsa_exception_int_div_zero 0
	.end_amdhsa_kernel
	.section	.text._ZN7rocprim17ROCPRIM_400000_NS6detail17trampoline_kernelINS0_14default_configENS1_35adjacent_difference_config_selectorILb1EyEEZNS1_24adjacent_difference_implIS3_Lb1ELb0EPyN6thrust23THRUST_200600_302600_NS16discard_iteratorINS9_11use_defaultEEENS9_5minusIyEEEE10hipError_tPvRmT2_T3_mT4_P12ihipStream_tbEUlT_E_NS1_11comp_targetILNS1_3genE5ELNS1_11target_archE942ELNS1_3gpuE9ELNS1_3repE0EEENS1_30default_config_static_selectorELNS0_4arch9wavefront6targetE1EEEvT1_,"axG",@progbits,_ZN7rocprim17ROCPRIM_400000_NS6detail17trampoline_kernelINS0_14default_configENS1_35adjacent_difference_config_selectorILb1EyEEZNS1_24adjacent_difference_implIS3_Lb1ELb0EPyN6thrust23THRUST_200600_302600_NS16discard_iteratorINS9_11use_defaultEEENS9_5minusIyEEEE10hipError_tPvRmT2_T3_mT4_P12ihipStream_tbEUlT_E_NS1_11comp_targetILNS1_3genE5ELNS1_11target_archE942ELNS1_3gpuE9ELNS1_3repE0EEENS1_30default_config_static_selectorELNS0_4arch9wavefront6targetE1EEEvT1_,comdat
.Lfunc_end818:
	.size	_ZN7rocprim17ROCPRIM_400000_NS6detail17trampoline_kernelINS0_14default_configENS1_35adjacent_difference_config_selectorILb1EyEEZNS1_24adjacent_difference_implIS3_Lb1ELb0EPyN6thrust23THRUST_200600_302600_NS16discard_iteratorINS9_11use_defaultEEENS9_5minusIyEEEE10hipError_tPvRmT2_T3_mT4_P12ihipStream_tbEUlT_E_NS1_11comp_targetILNS1_3genE5ELNS1_11target_archE942ELNS1_3gpuE9ELNS1_3repE0EEENS1_30default_config_static_selectorELNS0_4arch9wavefront6targetE1EEEvT1_, .Lfunc_end818-_ZN7rocprim17ROCPRIM_400000_NS6detail17trampoline_kernelINS0_14default_configENS1_35adjacent_difference_config_selectorILb1EyEEZNS1_24adjacent_difference_implIS3_Lb1ELb0EPyN6thrust23THRUST_200600_302600_NS16discard_iteratorINS9_11use_defaultEEENS9_5minusIyEEEE10hipError_tPvRmT2_T3_mT4_P12ihipStream_tbEUlT_E_NS1_11comp_targetILNS1_3genE5ELNS1_11target_archE942ELNS1_3gpuE9ELNS1_3repE0EEENS1_30default_config_static_selectorELNS0_4arch9wavefront6targetE1EEEvT1_
                                        ; -- End function
	.set _ZN7rocprim17ROCPRIM_400000_NS6detail17trampoline_kernelINS0_14default_configENS1_35adjacent_difference_config_selectorILb1EyEEZNS1_24adjacent_difference_implIS3_Lb1ELb0EPyN6thrust23THRUST_200600_302600_NS16discard_iteratorINS9_11use_defaultEEENS9_5minusIyEEEE10hipError_tPvRmT2_T3_mT4_P12ihipStream_tbEUlT_E_NS1_11comp_targetILNS1_3genE5ELNS1_11target_archE942ELNS1_3gpuE9ELNS1_3repE0EEENS1_30default_config_static_selectorELNS0_4arch9wavefront6targetE1EEEvT1_.num_vgpr, 0
	.set _ZN7rocprim17ROCPRIM_400000_NS6detail17trampoline_kernelINS0_14default_configENS1_35adjacent_difference_config_selectorILb1EyEEZNS1_24adjacent_difference_implIS3_Lb1ELb0EPyN6thrust23THRUST_200600_302600_NS16discard_iteratorINS9_11use_defaultEEENS9_5minusIyEEEE10hipError_tPvRmT2_T3_mT4_P12ihipStream_tbEUlT_E_NS1_11comp_targetILNS1_3genE5ELNS1_11target_archE942ELNS1_3gpuE9ELNS1_3repE0EEENS1_30default_config_static_selectorELNS0_4arch9wavefront6targetE1EEEvT1_.num_agpr, 0
	.set _ZN7rocprim17ROCPRIM_400000_NS6detail17trampoline_kernelINS0_14default_configENS1_35adjacent_difference_config_selectorILb1EyEEZNS1_24adjacent_difference_implIS3_Lb1ELb0EPyN6thrust23THRUST_200600_302600_NS16discard_iteratorINS9_11use_defaultEEENS9_5minusIyEEEE10hipError_tPvRmT2_T3_mT4_P12ihipStream_tbEUlT_E_NS1_11comp_targetILNS1_3genE5ELNS1_11target_archE942ELNS1_3gpuE9ELNS1_3repE0EEENS1_30default_config_static_selectorELNS0_4arch9wavefront6targetE1EEEvT1_.numbered_sgpr, 0
	.set _ZN7rocprim17ROCPRIM_400000_NS6detail17trampoline_kernelINS0_14default_configENS1_35adjacent_difference_config_selectorILb1EyEEZNS1_24adjacent_difference_implIS3_Lb1ELb0EPyN6thrust23THRUST_200600_302600_NS16discard_iteratorINS9_11use_defaultEEENS9_5minusIyEEEE10hipError_tPvRmT2_T3_mT4_P12ihipStream_tbEUlT_E_NS1_11comp_targetILNS1_3genE5ELNS1_11target_archE942ELNS1_3gpuE9ELNS1_3repE0EEENS1_30default_config_static_selectorELNS0_4arch9wavefront6targetE1EEEvT1_.num_named_barrier, 0
	.set _ZN7rocprim17ROCPRIM_400000_NS6detail17trampoline_kernelINS0_14default_configENS1_35adjacent_difference_config_selectorILb1EyEEZNS1_24adjacent_difference_implIS3_Lb1ELb0EPyN6thrust23THRUST_200600_302600_NS16discard_iteratorINS9_11use_defaultEEENS9_5minusIyEEEE10hipError_tPvRmT2_T3_mT4_P12ihipStream_tbEUlT_E_NS1_11comp_targetILNS1_3genE5ELNS1_11target_archE942ELNS1_3gpuE9ELNS1_3repE0EEENS1_30default_config_static_selectorELNS0_4arch9wavefront6targetE1EEEvT1_.private_seg_size, 0
	.set _ZN7rocprim17ROCPRIM_400000_NS6detail17trampoline_kernelINS0_14default_configENS1_35adjacent_difference_config_selectorILb1EyEEZNS1_24adjacent_difference_implIS3_Lb1ELb0EPyN6thrust23THRUST_200600_302600_NS16discard_iteratorINS9_11use_defaultEEENS9_5minusIyEEEE10hipError_tPvRmT2_T3_mT4_P12ihipStream_tbEUlT_E_NS1_11comp_targetILNS1_3genE5ELNS1_11target_archE942ELNS1_3gpuE9ELNS1_3repE0EEENS1_30default_config_static_selectorELNS0_4arch9wavefront6targetE1EEEvT1_.uses_vcc, 0
	.set _ZN7rocprim17ROCPRIM_400000_NS6detail17trampoline_kernelINS0_14default_configENS1_35adjacent_difference_config_selectorILb1EyEEZNS1_24adjacent_difference_implIS3_Lb1ELb0EPyN6thrust23THRUST_200600_302600_NS16discard_iteratorINS9_11use_defaultEEENS9_5minusIyEEEE10hipError_tPvRmT2_T3_mT4_P12ihipStream_tbEUlT_E_NS1_11comp_targetILNS1_3genE5ELNS1_11target_archE942ELNS1_3gpuE9ELNS1_3repE0EEENS1_30default_config_static_selectorELNS0_4arch9wavefront6targetE1EEEvT1_.uses_flat_scratch, 0
	.set _ZN7rocprim17ROCPRIM_400000_NS6detail17trampoline_kernelINS0_14default_configENS1_35adjacent_difference_config_selectorILb1EyEEZNS1_24adjacent_difference_implIS3_Lb1ELb0EPyN6thrust23THRUST_200600_302600_NS16discard_iteratorINS9_11use_defaultEEENS9_5minusIyEEEE10hipError_tPvRmT2_T3_mT4_P12ihipStream_tbEUlT_E_NS1_11comp_targetILNS1_3genE5ELNS1_11target_archE942ELNS1_3gpuE9ELNS1_3repE0EEENS1_30default_config_static_selectorELNS0_4arch9wavefront6targetE1EEEvT1_.has_dyn_sized_stack, 0
	.set _ZN7rocprim17ROCPRIM_400000_NS6detail17trampoline_kernelINS0_14default_configENS1_35adjacent_difference_config_selectorILb1EyEEZNS1_24adjacent_difference_implIS3_Lb1ELb0EPyN6thrust23THRUST_200600_302600_NS16discard_iteratorINS9_11use_defaultEEENS9_5minusIyEEEE10hipError_tPvRmT2_T3_mT4_P12ihipStream_tbEUlT_E_NS1_11comp_targetILNS1_3genE5ELNS1_11target_archE942ELNS1_3gpuE9ELNS1_3repE0EEENS1_30default_config_static_selectorELNS0_4arch9wavefront6targetE1EEEvT1_.has_recursion, 0
	.set _ZN7rocprim17ROCPRIM_400000_NS6detail17trampoline_kernelINS0_14default_configENS1_35adjacent_difference_config_selectorILb1EyEEZNS1_24adjacent_difference_implIS3_Lb1ELb0EPyN6thrust23THRUST_200600_302600_NS16discard_iteratorINS9_11use_defaultEEENS9_5minusIyEEEE10hipError_tPvRmT2_T3_mT4_P12ihipStream_tbEUlT_E_NS1_11comp_targetILNS1_3genE5ELNS1_11target_archE942ELNS1_3gpuE9ELNS1_3repE0EEENS1_30default_config_static_selectorELNS0_4arch9wavefront6targetE1EEEvT1_.has_indirect_call, 0
	.section	.AMDGPU.csdata,"",@progbits
; Kernel info:
; codeLenInByte = 0
; TotalNumSgprs: 4
; NumVgprs: 0
; ScratchSize: 0
; MemoryBound: 0
; FloatMode: 240
; IeeeMode: 1
; LDSByteSize: 0 bytes/workgroup (compile time only)
; SGPRBlocks: 0
; VGPRBlocks: 0
; NumSGPRsForWavesPerEU: 4
; NumVGPRsForWavesPerEU: 1
; Occupancy: 10
; WaveLimiterHint : 0
; COMPUTE_PGM_RSRC2:SCRATCH_EN: 0
; COMPUTE_PGM_RSRC2:USER_SGPR: 6
; COMPUTE_PGM_RSRC2:TRAP_HANDLER: 0
; COMPUTE_PGM_RSRC2:TGID_X_EN: 1
; COMPUTE_PGM_RSRC2:TGID_Y_EN: 0
; COMPUTE_PGM_RSRC2:TGID_Z_EN: 0
; COMPUTE_PGM_RSRC2:TIDIG_COMP_CNT: 0
	.section	.text._ZN7rocprim17ROCPRIM_400000_NS6detail17trampoline_kernelINS0_14default_configENS1_35adjacent_difference_config_selectorILb1EyEEZNS1_24adjacent_difference_implIS3_Lb1ELb0EPyN6thrust23THRUST_200600_302600_NS16discard_iteratorINS9_11use_defaultEEENS9_5minusIyEEEE10hipError_tPvRmT2_T3_mT4_P12ihipStream_tbEUlT_E_NS1_11comp_targetILNS1_3genE4ELNS1_11target_archE910ELNS1_3gpuE8ELNS1_3repE0EEENS1_30default_config_static_selectorELNS0_4arch9wavefront6targetE1EEEvT1_,"axG",@progbits,_ZN7rocprim17ROCPRIM_400000_NS6detail17trampoline_kernelINS0_14default_configENS1_35adjacent_difference_config_selectorILb1EyEEZNS1_24adjacent_difference_implIS3_Lb1ELb0EPyN6thrust23THRUST_200600_302600_NS16discard_iteratorINS9_11use_defaultEEENS9_5minusIyEEEE10hipError_tPvRmT2_T3_mT4_P12ihipStream_tbEUlT_E_NS1_11comp_targetILNS1_3genE4ELNS1_11target_archE910ELNS1_3gpuE8ELNS1_3repE0EEENS1_30default_config_static_selectorELNS0_4arch9wavefront6targetE1EEEvT1_,comdat
	.protected	_ZN7rocprim17ROCPRIM_400000_NS6detail17trampoline_kernelINS0_14default_configENS1_35adjacent_difference_config_selectorILb1EyEEZNS1_24adjacent_difference_implIS3_Lb1ELb0EPyN6thrust23THRUST_200600_302600_NS16discard_iteratorINS9_11use_defaultEEENS9_5minusIyEEEE10hipError_tPvRmT2_T3_mT4_P12ihipStream_tbEUlT_E_NS1_11comp_targetILNS1_3genE4ELNS1_11target_archE910ELNS1_3gpuE8ELNS1_3repE0EEENS1_30default_config_static_selectorELNS0_4arch9wavefront6targetE1EEEvT1_ ; -- Begin function _ZN7rocprim17ROCPRIM_400000_NS6detail17trampoline_kernelINS0_14default_configENS1_35adjacent_difference_config_selectorILb1EyEEZNS1_24adjacent_difference_implIS3_Lb1ELb0EPyN6thrust23THRUST_200600_302600_NS16discard_iteratorINS9_11use_defaultEEENS9_5minusIyEEEE10hipError_tPvRmT2_T3_mT4_P12ihipStream_tbEUlT_E_NS1_11comp_targetILNS1_3genE4ELNS1_11target_archE910ELNS1_3gpuE8ELNS1_3repE0EEENS1_30default_config_static_selectorELNS0_4arch9wavefront6targetE1EEEvT1_
	.globl	_ZN7rocprim17ROCPRIM_400000_NS6detail17trampoline_kernelINS0_14default_configENS1_35adjacent_difference_config_selectorILb1EyEEZNS1_24adjacent_difference_implIS3_Lb1ELb0EPyN6thrust23THRUST_200600_302600_NS16discard_iteratorINS9_11use_defaultEEENS9_5minusIyEEEE10hipError_tPvRmT2_T3_mT4_P12ihipStream_tbEUlT_E_NS1_11comp_targetILNS1_3genE4ELNS1_11target_archE910ELNS1_3gpuE8ELNS1_3repE0EEENS1_30default_config_static_selectorELNS0_4arch9wavefront6targetE1EEEvT1_
	.p2align	8
	.type	_ZN7rocprim17ROCPRIM_400000_NS6detail17trampoline_kernelINS0_14default_configENS1_35adjacent_difference_config_selectorILb1EyEEZNS1_24adjacent_difference_implIS3_Lb1ELb0EPyN6thrust23THRUST_200600_302600_NS16discard_iteratorINS9_11use_defaultEEENS9_5minusIyEEEE10hipError_tPvRmT2_T3_mT4_P12ihipStream_tbEUlT_E_NS1_11comp_targetILNS1_3genE4ELNS1_11target_archE910ELNS1_3gpuE8ELNS1_3repE0EEENS1_30default_config_static_selectorELNS0_4arch9wavefront6targetE1EEEvT1_,@function
_ZN7rocprim17ROCPRIM_400000_NS6detail17trampoline_kernelINS0_14default_configENS1_35adjacent_difference_config_selectorILb1EyEEZNS1_24adjacent_difference_implIS3_Lb1ELb0EPyN6thrust23THRUST_200600_302600_NS16discard_iteratorINS9_11use_defaultEEENS9_5minusIyEEEE10hipError_tPvRmT2_T3_mT4_P12ihipStream_tbEUlT_E_NS1_11comp_targetILNS1_3genE4ELNS1_11target_archE910ELNS1_3gpuE8ELNS1_3repE0EEENS1_30default_config_static_selectorELNS0_4arch9wavefront6targetE1EEEvT1_: ; @_ZN7rocprim17ROCPRIM_400000_NS6detail17trampoline_kernelINS0_14default_configENS1_35adjacent_difference_config_selectorILb1EyEEZNS1_24adjacent_difference_implIS3_Lb1ELb0EPyN6thrust23THRUST_200600_302600_NS16discard_iteratorINS9_11use_defaultEEENS9_5minusIyEEEE10hipError_tPvRmT2_T3_mT4_P12ihipStream_tbEUlT_E_NS1_11comp_targetILNS1_3genE4ELNS1_11target_archE910ELNS1_3gpuE8ELNS1_3repE0EEENS1_30default_config_static_selectorELNS0_4arch9wavefront6targetE1EEEvT1_
; %bb.0:
	.section	.rodata,"a",@progbits
	.p2align	6, 0x0
	.amdhsa_kernel _ZN7rocprim17ROCPRIM_400000_NS6detail17trampoline_kernelINS0_14default_configENS1_35adjacent_difference_config_selectorILb1EyEEZNS1_24adjacent_difference_implIS3_Lb1ELb0EPyN6thrust23THRUST_200600_302600_NS16discard_iteratorINS9_11use_defaultEEENS9_5minusIyEEEE10hipError_tPvRmT2_T3_mT4_P12ihipStream_tbEUlT_E_NS1_11comp_targetILNS1_3genE4ELNS1_11target_archE910ELNS1_3gpuE8ELNS1_3repE0EEENS1_30default_config_static_selectorELNS0_4arch9wavefront6targetE1EEEvT1_
		.amdhsa_group_segment_fixed_size 0
		.amdhsa_private_segment_fixed_size 0
		.amdhsa_kernarg_size 64
		.amdhsa_user_sgpr_count 6
		.amdhsa_user_sgpr_private_segment_buffer 1
		.amdhsa_user_sgpr_dispatch_ptr 0
		.amdhsa_user_sgpr_queue_ptr 0
		.amdhsa_user_sgpr_kernarg_segment_ptr 1
		.amdhsa_user_sgpr_dispatch_id 0
		.amdhsa_user_sgpr_flat_scratch_init 0
		.amdhsa_user_sgpr_private_segment_size 0
		.amdhsa_uses_dynamic_stack 0
		.amdhsa_system_sgpr_private_segment_wavefront_offset 0
		.amdhsa_system_sgpr_workgroup_id_x 1
		.amdhsa_system_sgpr_workgroup_id_y 0
		.amdhsa_system_sgpr_workgroup_id_z 0
		.amdhsa_system_sgpr_workgroup_info 0
		.amdhsa_system_vgpr_workitem_id 0
		.amdhsa_next_free_vgpr 1
		.amdhsa_next_free_sgpr 0
		.amdhsa_reserve_vcc 0
		.amdhsa_reserve_flat_scratch 0
		.amdhsa_float_round_mode_32 0
		.amdhsa_float_round_mode_16_64 0
		.amdhsa_float_denorm_mode_32 3
		.amdhsa_float_denorm_mode_16_64 3
		.amdhsa_dx10_clamp 1
		.amdhsa_ieee_mode 1
		.amdhsa_fp16_overflow 0
		.amdhsa_exception_fp_ieee_invalid_op 0
		.amdhsa_exception_fp_denorm_src 0
		.amdhsa_exception_fp_ieee_div_zero 0
		.amdhsa_exception_fp_ieee_overflow 0
		.amdhsa_exception_fp_ieee_underflow 0
		.amdhsa_exception_fp_ieee_inexact 0
		.amdhsa_exception_int_div_zero 0
	.end_amdhsa_kernel
	.section	.text._ZN7rocprim17ROCPRIM_400000_NS6detail17trampoline_kernelINS0_14default_configENS1_35adjacent_difference_config_selectorILb1EyEEZNS1_24adjacent_difference_implIS3_Lb1ELb0EPyN6thrust23THRUST_200600_302600_NS16discard_iteratorINS9_11use_defaultEEENS9_5minusIyEEEE10hipError_tPvRmT2_T3_mT4_P12ihipStream_tbEUlT_E_NS1_11comp_targetILNS1_3genE4ELNS1_11target_archE910ELNS1_3gpuE8ELNS1_3repE0EEENS1_30default_config_static_selectorELNS0_4arch9wavefront6targetE1EEEvT1_,"axG",@progbits,_ZN7rocprim17ROCPRIM_400000_NS6detail17trampoline_kernelINS0_14default_configENS1_35adjacent_difference_config_selectorILb1EyEEZNS1_24adjacent_difference_implIS3_Lb1ELb0EPyN6thrust23THRUST_200600_302600_NS16discard_iteratorINS9_11use_defaultEEENS9_5minusIyEEEE10hipError_tPvRmT2_T3_mT4_P12ihipStream_tbEUlT_E_NS1_11comp_targetILNS1_3genE4ELNS1_11target_archE910ELNS1_3gpuE8ELNS1_3repE0EEENS1_30default_config_static_selectorELNS0_4arch9wavefront6targetE1EEEvT1_,comdat
.Lfunc_end819:
	.size	_ZN7rocprim17ROCPRIM_400000_NS6detail17trampoline_kernelINS0_14default_configENS1_35adjacent_difference_config_selectorILb1EyEEZNS1_24adjacent_difference_implIS3_Lb1ELb0EPyN6thrust23THRUST_200600_302600_NS16discard_iteratorINS9_11use_defaultEEENS9_5minusIyEEEE10hipError_tPvRmT2_T3_mT4_P12ihipStream_tbEUlT_E_NS1_11comp_targetILNS1_3genE4ELNS1_11target_archE910ELNS1_3gpuE8ELNS1_3repE0EEENS1_30default_config_static_selectorELNS0_4arch9wavefront6targetE1EEEvT1_, .Lfunc_end819-_ZN7rocprim17ROCPRIM_400000_NS6detail17trampoline_kernelINS0_14default_configENS1_35adjacent_difference_config_selectorILb1EyEEZNS1_24adjacent_difference_implIS3_Lb1ELb0EPyN6thrust23THRUST_200600_302600_NS16discard_iteratorINS9_11use_defaultEEENS9_5minusIyEEEE10hipError_tPvRmT2_T3_mT4_P12ihipStream_tbEUlT_E_NS1_11comp_targetILNS1_3genE4ELNS1_11target_archE910ELNS1_3gpuE8ELNS1_3repE0EEENS1_30default_config_static_selectorELNS0_4arch9wavefront6targetE1EEEvT1_
                                        ; -- End function
	.set _ZN7rocprim17ROCPRIM_400000_NS6detail17trampoline_kernelINS0_14default_configENS1_35adjacent_difference_config_selectorILb1EyEEZNS1_24adjacent_difference_implIS3_Lb1ELb0EPyN6thrust23THRUST_200600_302600_NS16discard_iteratorINS9_11use_defaultEEENS9_5minusIyEEEE10hipError_tPvRmT2_T3_mT4_P12ihipStream_tbEUlT_E_NS1_11comp_targetILNS1_3genE4ELNS1_11target_archE910ELNS1_3gpuE8ELNS1_3repE0EEENS1_30default_config_static_selectorELNS0_4arch9wavefront6targetE1EEEvT1_.num_vgpr, 0
	.set _ZN7rocprim17ROCPRIM_400000_NS6detail17trampoline_kernelINS0_14default_configENS1_35adjacent_difference_config_selectorILb1EyEEZNS1_24adjacent_difference_implIS3_Lb1ELb0EPyN6thrust23THRUST_200600_302600_NS16discard_iteratorINS9_11use_defaultEEENS9_5minusIyEEEE10hipError_tPvRmT2_T3_mT4_P12ihipStream_tbEUlT_E_NS1_11comp_targetILNS1_3genE4ELNS1_11target_archE910ELNS1_3gpuE8ELNS1_3repE0EEENS1_30default_config_static_selectorELNS0_4arch9wavefront6targetE1EEEvT1_.num_agpr, 0
	.set _ZN7rocprim17ROCPRIM_400000_NS6detail17trampoline_kernelINS0_14default_configENS1_35adjacent_difference_config_selectorILb1EyEEZNS1_24adjacent_difference_implIS3_Lb1ELb0EPyN6thrust23THRUST_200600_302600_NS16discard_iteratorINS9_11use_defaultEEENS9_5minusIyEEEE10hipError_tPvRmT2_T3_mT4_P12ihipStream_tbEUlT_E_NS1_11comp_targetILNS1_3genE4ELNS1_11target_archE910ELNS1_3gpuE8ELNS1_3repE0EEENS1_30default_config_static_selectorELNS0_4arch9wavefront6targetE1EEEvT1_.numbered_sgpr, 0
	.set _ZN7rocprim17ROCPRIM_400000_NS6detail17trampoline_kernelINS0_14default_configENS1_35adjacent_difference_config_selectorILb1EyEEZNS1_24adjacent_difference_implIS3_Lb1ELb0EPyN6thrust23THRUST_200600_302600_NS16discard_iteratorINS9_11use_defaultEEENS9_5minusIyEEEE10hipError_tPvRmT2_T3_mT4_P12ihipStream_tbEUlT_E_NS1_11comp_targetILNS1_3genE4ELNS1_11target_archE910ELNS1_3gpuE8ELNS1_3repE0EEENS1_30default_config_static_selectorELNS0_4arch9wavefront6targetE1EEEvT1_.num_named_barrier, 0
	.set _ZN7rocprim17ROCPRIM_400000_NS6detail17trampoline_kernelINS0_14default_configENS1_35adjacent_difference_config_selectorILb1EyEEZNS1_24adjacent_difference_implIS3_Lb1ELb0EPyN6thrust23THRUST_200600_302600_NS16discard_iteratorINS9_11use_defaultEEENS9_5minusIyEEEE10hipError_tPvRmT2_T3_mT4_P12ihipStream_tbEUlT_E_NS1_11comp_targetILNS1_3genE4ELNS1_11target_archE910ELNS1_3gpuE8ELNS1_3repE0EEENS1_30default_config_static_selectorELNS0_4arch9wavefront6targetE1EEEvT1_.private_seg_size, 0
	.set _ZN7rocprim17ROCPRIM_400000_NS6detail17trampoline_kernelINS0_14default_configENS1_35adjacent_difference_config_selectorILb1EyEEZNS1_24adjacent_difference_implIS3_Lb1ELb0EPyN6thrust23THRUST_200600_302600_NS16discard_iteratorINS9_11use_defaultEEENS9_5minusIyEEEE10hipError_tPvRmT2_T3_mT4_P12ihipStream_tbEUlT_E_NS1_11comp_targetILNS1_3genE4ELNS1_11target_archE910ELNS1_3gpuE8ELNS1_3repE0EEENS1_30default_config_static_selectorELNS0_4arch9wavefront6targetE1EEEvT1_.uses_vcc, 0
	.set _ZN7rocprim17ROCPRIM_400000_NS6detail17trampoline_kernelINS0_14default_configENS1_35adjacent_difference_config_selectorILb1EyEEZNS1_24adjacent_difference_implIS3_Lb1ELb0EPyN6thrust23THRUST_200600_302600_NS16discard_iteratorINS9_11use_defaultEEENS9_5minusIyEEEE10hipError_tPvRmT2_T3_mT4_P12ihipStream_tbEUlT_E_NS1_11comp_targetILNS1_3genE4ELNS1_11target_archE910ELNS1_3gpuE8ELNS1_3repE0EEENS1_30default_config_static_selectorELNS0_4arch9wavefront6targetE1EEEvT1_.uses_flat_scratch, 0
	.set _ZN7rocprim17ROCPRIM_400000_NS6detail17trampoline_kernelINS0_14default_configENS1_35adjacent_difference_config_selectorILb1EyEEZNS1_24adjacent_difference_implIS3_Lb1ELb0EPyN6thrust23THRUST_200600_302600_NS16discard_iteratorINS9_11use_defaultEEENS9_5minusIyEEEE10hipError_tPvRmT2_T3_mT4_P12ihipStream_tbEUlT_E_NS1_11comp_targetILNS1_3genE4ELNS1_11target_archE910ELNS1_3gpuE8ELNS1_3repE0EEENS1_30default_config_static_selectorELNS0_4arch9wavefront6targetE1EEEvT1_.has_dyn_sized_stack, 0
	.set _ZN7rocprim17ROCPRIM_400000_NS6detail17trampoline_kernelINS0_14default_configENS1_35adjacent_difference_config_selectorILb1EyEEZNS1_24adjacent_difference_implIS3_Lb1ELb0EPyN6thrust23THRUST_200600_302600_NS16discard_iteratorINS9_11use_defaultEEENS9_5minusIyEEEE10hipError_tPvRmT2_T3_mT4_P12ihipStream_tbEUlT_E_NS1_11comp_targetILNS1_3genE4ELNS1_11target_archE910ELNS1_3gpuE8ELNS1_3repE0EEENS1_30default_config_static_selectorELNS0_4arch9wavefront6targetE1EEEvT1_.has_recursion, 0
	.set _ZN7rocprim17ROCPRIM_400000_NS6detail17trampoline_kernelINS0_14default_configENS1_35adjacent_difference_config_selectorILb1EyEEZNS1_24adjacent_difference_implIS3_Lb1ELb0EPyN6thrust23THRUST_200600_302600_NS16discard_iteratorINS9_11use_defaultEEENS9_5minusIyEEEE10hipError_tPvRmT2_T3_mT4_P12ihipStream_tbEUlT_E_NS1_11comp_targetILNS1_3genE4ELNS1_11target_archE910ELNS1_3gpuE8ELNS1_3repE0EEENS1_30default_config_static_selectorELNS0_4arch9wavefront6targetE1EEEvT1_.has_indirect_call, 0
	.section	.AMDGPU.csdata,"",@progbits
; Kernel info:
; codeLenInByte = 0
; TotalNumSgprs: 4
; NumVgprs: 0
; ScratchSize: 0
; MemoryBound: 0
; FloatMode: 240
; IeeeMode: 1
; LDSByteSize: 0 bytes/workgroup (compile time only)
; SGPRBlocks: 0
; VGPRBlocks: 0
; NumSGPRsForWavesPerEU: 4
; NumVGPRsForWavesPerEU: 1
; Occupancy: 10
; WaveLimiterHint : 0
; COMPUTE_PGM_RSRC2:SCRATCH_EN: 0
; COMPUTE_PGM_RSRC2:USER_SGPR: 6
; COMPUTE_PGM_RSRC2:TRAP_HANDLER: 0
; COMPUTE_PGM_RSRC2:TGID_X_EN: 1
; COMPUTE_PGM_RSRC2:TGID_Y_EN: 0
; COMPUTE_PGM_RSRC2:TGID_Z_EN: 0
; COMPUTE_PGM_RSRC2:TIDIG_COMP_CNT: 0
	.section	.text._ZN7rocprim17ROCPRIM_400000_NS6detail17trampoline_kernelINS0_14default_configENS1_35adjacent_difference_config_selectorILb1EyEEZNS1_24adjacent_difference_implIS3_Lb1ELb0EPyN6thrust23THRUST_200600_302600_NS16discard_iteratorINS9_11use_defaultEEENS9_5minusIyEEEE10hipError_tPvRmT2_T3_mT4_P12ihipStream_tbEUlT_E_NS1_11comp_targetILNS1_3genE3ELNS1_11target_archE908ELNS1_3gpuE7ELNS1_3repE0EEENS1_30default_config_static_selectorELNS0_4arch9wavefront6targetE1EEEvT1_,"axG",@progbits,_ZN7rocprim17ROCPRIM_400000_NS6detail17trampoline_kernelINS0_14default_configENS1_35adjacent_difference_config_selectorILb1EyEEZNS1_24adjacent_difference_implIS3_Lb1ELb0EPyN6thrust23THRUST_200600_302600_NS16discard_iteratorINS9_11use_defaultEEENS9_5minusIyEEEE10hipError_tPvRmT2_T3_mT4_P12ihipStream_tbEUlT_E_NS1_11comp_targetILNS1_3genE3ELNS1_11target_archE908ELNS1_3gpuE7ELNS1_3repE0EEENS1_30default_config_static_selectorELNS0_4arch9wavefront6targetE1EEEvT1_,comdat
	.protected	_ZN7rocprim17ROCPRIM_400000_NS6detail17trampoline_kernelINS0_14default_configENS1_35adjacent_difference_config_selectorILb1EyEEZNS1_24adjacent_difference_implIS3_Lb1ELb0EPyN6thrust23THRUST_200600_302600_NS16discard_iteratorINS9_11use_defaultEEENS9_5minusIyEEEE10hipError_tPvRmT2_T3_mT4_P12ihipStream_tbEUlT_E_NS1_11comp_targetILNS1_3genE3ELNS1_11target_archE908ELNS1_3gpuE7ELNS1_3repE0EEENS1_30default_config_static_selectorELNS0_4arch9wavefront6targetE1EEEvT1_ ; -- Begin function _ZN7rocprim17ROCPRIM_400000_NS6detail17trampoline_kernelINS0_14default_configENS1_35adjacent_difference_config_selectorILb1EyEEZNS1_24adjacent_difference_implIS3_Lb1ELb0EPyN6thrust23THRUST_200600_302600_NS16discard_iteratorINS9_11use_defaultEEENS9_5minusIyEEEE10hipError_tPvRmT2_T3_mT4_P12ihipStream_tbEUlT_E_NS1_11comp_targetILNS1_3genE3ELNS1_11target_archE908ELNS1_3gpuE7ELNS1_3repE0EEENS1_30default_config_static_selectorELNS0_4arch9wavefront6targetE1EEEvT1_
	.globl	_ZN7rocprim17ROCPRIM_400000_NS6detail17trampoline_kernelINS0_14default_configENS1_35adjacent_difference_config_selectorILb1EyEEZNS1_24adjacent_difference_implIS3_Lb1ELb0EPyN6thrust23THRUST_200600_302600_NS16discard_iteratorINS9_11use_defaultEEENS9_5minusIyEEEE10hipError_tPvRmT2_T3_mT4_P12ihipStream_tbEUlT_E_NS1_11comp_targetILNS1_3genE3ELNS1_11target_archE908ELNS1_3gpuE7ELNS1_3repE0EEENS1_30default_config_static_selectorELNS0_4arch9wavefront6targetE1EEEvT1_
	.p2align	8
	.type	_ZN7rocprim17ROCPRIM_400000_NS6detail17trampoline_kernelINS0_14default_configENS1_35adjacent_difference_config_selectorILb1EyEEZNS1_24adjacent_difference_implIS3_Lb1ELb0EPyN6thrust23THRUST_200600_302600_NS16discard_iteratorINS9_11use_defaultEEENS9_5minusIyEEEE10hipError_tPvRmT2_T3_mT4_P12ihipStream_tbEUlT_E_NS1_11comp_targetILNS1_3genE3ELNS1_11target_archE908ELNS1_3gpuE7ELNS1_3repE0EEENS1_30default_config_static_selectorELNS0_4arch9wavefront6targetE1EEEvT1_,@function
_ZN7rocprim17ROCPRIM_400000_NS6detail17trampoline_kernelINS0_14default_configENS1_35adjacent_difference_config_selectorILb1EyEEZNS1_24adjacent_difference_implIS3_Lb1ELb0EPyN6thrust23THRUST_200600_302600_NS16discard_iteratorINS9_11use_defaultEEENS9_5minusIyEEEE10hipError_tPvRmT2_T3_mT4_P12ihipStream_tbEUlT_E_NS1_11comp_targetILNS1_3genE3ELNS1_11target_archE908ELNS1_3gpuE7ELNS1_3repE0EEENS1_30default_config_static_selectorELNS0_4arch9wavefront6targetE1EEEvT1_: ; @_ZN7rocprim17ROCPRIM_400000_NS6detail17trampoline_kernelINS0_14default_configENS1_35adjacent_difference_config_selectorILb1EyEEZNS1_24adjacent_difference_implIS3_Lb1ELb0EPyN6thrust23THRUST_200600_302600_NS16discard_iteratorINS9_11use_defaultEEENS9_5minusIyEEEE10hipError_tPvRmT2_T3_mT4_P12ihipStream_tbEUlT_E_NS1_11comp_targetILNS1_3genE3ELNS1_11target_archE908ELNS1_3gpuE7ELNS1_3repE0EEENS1_30default_config_static_selectorELNS0_4arch9wavefront6targetE1EEEvT1_
; %bb.0:
	.section	.rodata,"a",@progbits
	.p2align	6, 0x0
	.amdhsa_kernel _ZN7rocprim17ROCPRIM_400000_NS6detail17trampoline_kernelINS0_14default_configENS1_35adjacent_difference_config_selectorILb1EyEEZNS1_24adjacent_difference_implIS3_Lb1ELb0EPyN6thrust23THRUST_200600_302600_NS16discard_iteratorINS9_11use_defaultEEENS9_5minusIyEEEE10hipError_tPvRmT2_T3_mT4_P12ihipStream_tbEUlT_E_NS1_11comp_targetILNS1_3genE3ELNS1_11target_archE908ELNS1_3gpuE7ELNS1_3repE0EEENS1_30default_config_static_selectorELNS0_4arch9wavefront6targetE1EEEvT1_
		.amdhsa_group_segment_fixed_size 0
		.amdhsa_private_segment_fixed_size 0
		.amdhsa_kernarg_size 64
		.amdhsa_user_sgpr_count 6
		.amdhsa_user_sgpr_private_segment_buffer 1
		.amdhsa_user_sgpr_dispatch_ptr 0
		.amdhsa_user_sgpr_queue_ptr 0
		.amdhsa_user_sgpr_kernarg_segment_ptr 1
		.amdhsa_user_sgpr_dispatch_id 0
		.amdhsa_user_sgpr_flat_scratch_init 0
		.amdhsa_user_sgpr_private_segment_size 0
		.amdhsa_uses_dynamic_stack 0
		.amdhsa_system_sgpr_private_segment_wavefront_offset 0
		.amdhsa_system_sgpr_workgroup_id_x 1
		.amdhsa_system_sgpr_workgroup_id_y 0
		.amdhsa_system_sgpr_workgroup_id_z 0
		.amdhsa_system_sgpr_workgroup_info 0
		.amdhsa_system_vgpr_workitem_id 0
		.amdhsa_next_free_vgpr 1
		.amdhsa_next_free_sgpr 0
		.amdhsa_reserve_vcc 0
		.amdhsa_reserve_flat_scratch 0
		.amdhsa_float_round_mode_32 0
		.amdhsa_float_round_mode_16_64 0
		.amdhsa_float_denorm_mode_32 3
		.amdhsa_float_denorm_mode_16_64 3
		.amdhsa_dx10_clamp 1
		.amdhsa_ieee_mode 1
		.amdhsa_fp16_overflow 0
		.amdhsa_exception_fp_ieee_invalid_op 0
		.amdhsa_exception_fp_denorm_src 0
		.amdhsa_exception_fp_ieee_div_zero 0
		.amdhsa_exception_fp_ieee_overflow 0
		.amdhsa_exception_fp_ieee_underflow 0
		.amdhsa_exception_fp_ieee_inexact 0
		.amdhsa_exception_int_div_zero 0
	.end_amdhsa_kernel
	.section	.text._ZN7rocprim17ROCPRIM_400000_NS6detail17trampoline_kernelINS0_14default_configENS1_35adjacent_difference_config_selectorILb1EyEEZNS1_24adjacent_difference_implIS3_Lb1ELb0EPyN6thrust23THRUST_200600_302600_NS16discard_iteratorINS9_11use_defaultEEENS9_5minusIyEEEE10hipError_tPvRmT2_T3_mT4_P12ihipStream_tbEUlT_E_NS1_11comp_targetILNS1_3genE3ELNS1_11target_archE908ELNS1_3gpuE7ELNS1_3repE0EEENS1_30default_config_static_selectorELNS0_4arch9wavefront6targetE1EEEvT1_,"axG",@progbits,_ZN7rocprim17ROCPRIM_400000_NS6detail17trampoline_kernelINS0_14default_configENS1_35adjacent_difference_config_selectorILb1EyEEZNS1_24adjacent_difference_implIS3_Lb1ELb0EPyN6thrust23THRUST_200600_302600_NS16discard_iteratorINS9_11use_defaultEEENS9_5minusIyEEEE10hipError_tPvRmT2_T3_mT4_P12ihipStream_tbEUlT_E_NS1_11comp_targetILNS1_3genE3ELNS1_11target_archE908ELNS1_3gpuE7ELNS1_3repE0EEENS1_30default_config_static_selectorELNS0_4arch9wavefront6targetE1EEEvT1_,comdat
.Lfunc_end820:
	.size	_ZN7rocprim17ROCPRIM_400000_NS6detail17trampoline_kernelINS0_14default_configENS1_35adjacent_difference_config_selectorILb1EyEEZNS1_24adjacent_difference_implIS3_Lb1ELb0EPyN6thrust23THRUST_200600_302600_NS16discard_iteratorINS9_11use_defaultEEENS9_5minusIyEEEE10hipError_tPvRmT2_T3_mT4_P12ihipStream_tbEUlT_E_NS1_11comp_targetILNS1_3genE3ELNS1_11target_archE908ELNS1_3gpuE7ELNS1_3repE0EEENS1_30default_config_static_selectorELNS0_4arch9wavefront6targetE1EEEvT1_, .Lfunc_end820-_ZN7rocprim17ROCPRIM_400000_NS6detail17trampoline_kernelINS0_14default_configENS1_35adjacent_difference_config_selectorILb1EyEEZNS1_24adjacent_difference_implIS3_Lb1ELb0EPyN6thrust23THRUST_200600_302600_NS16discard_iteratorINS9_11use_defaultEEENS9_5minusIyEEEE10hipError_tPvRmT2_T3_mT4_P12ihipStream_tbEUlT_E_NS1_11comp_targetILNS1_3genE3ELNS1_11target_archE908ELNS1_3gpuE7ELNS1_3repE0EEENS1_30default_config_static_selectorELNS0_4arch9wavefront6targetE1EEEvT1_
                                        ; -- End function
	.set _ZN7rocprim17ROCPRIM_400000_NS6detail17trampoline_kernelINS0_14default_configENS1_35adjacent_difference_config_selectorILb1EyEEZNS1_24adjacent_difference_implIS3_Lb1ELb0EPyN6thrust23THRUST_200600_302600_NS16discard_iteratorINS9_11use_defaultEEENS9_5minusIyEEEE10hipError_tPvRmT2_T3_mT4_P12ihipStream_tbEUlT_E_NS1_11comp_targetILNS1_3genE3ELNS1_11target_archE908ELNS1_3gpuE7ELNS1_3repE0EEENS1_30default_config_static_selectorELNS0_4arch9wavefront6targetE1EEEvT1_.num_vgpr, 0
	.set _ZN7rocprim17ROCPRIM_400000_NS6detail17trampoline_kernelINS0_14default_configENS1_35adjacent_difference_config_selectorILb1EyEEZNS1_24adjacent_difference_implIS3_Lb1ELb0EPyN6thrust23THRUST_200600_302600_NS16discard_iteratorINS9_11use_defaultEEENS9_5minusIyEEEE10hipError_tPvRmT2_T3_mT4_P12ihipStream_tbEUlT_E_NS1_11comp_targetILNS1_3genE3ELNS1_11target_archE908ELNS1_3gpuE7ELNS1_3repE0EEENS1_30default_config_static_selectorELNS0_4arch9wavefront6targetE1EEEvT1_.num_agpr, 0
	.set _ZN7rocprim17ROCPRIM_400000_NS6detail17trampoline_kernelINS0_14default_configENS1_35adjacent_difference_config_selectorILb1EyEEZNS1_24adjacent_difference_implIS3_Lb1ELb0EPyN6thrust23THRUST_200600_302600_NS16discard_iteratorINS9_11use_defaultEEENS9_5minusIyEEEE10hipError_tPvRmT2_T3_mT4_P12ihipStream_tbEUlT_E_NS1_11comp_targetILNS1_3genE3ELNS1_11target_archE908ELNS1_3gpuE7ELNS1_3repE0EEENS1_30default_config_static_selectorELNS0_4arch9wavefront6targetE1EEEvT1_.numbered_sgpr, 0
	.set _ZN7rocprim17ROCPRIM_400000_NS6detail17trampoline_kernelINS0_14default_configENS1_35adjacent_difference_config_selectorILb1EyEEZNS1_24adjacent_difference_implIS3_Lb1ELb0EPyN6thrust23THRUST_200600_302600_NS16discard_iteratorINS9_11use_defaultEEENS9_5minusIyEEEE10hipError_tPvRmT2_T3_mT4_P12ihipStream_tbEUlT_E_NS1_11comp_targetILNS1_3genE3ELNS1_11target_archE908ELNS1_3gpuE7ELNS1_3repE0EEENS1_30default_config_static_selectorELNS0_4arch9wavefront6targetE1EEEvT1_.num_named_barrier, 0
	.set _ZN7rocprim17ROCPRIM_400000_NS6detail17trampoline_kernelINS0_14default_configENS1_35adjacent_difference_config_selectorILb1EyEEZNS1_24adjacent_difference_implIS3_Lb1ELb0EPyN6thrust23THRUST_200600_302600_NS16discard_iteratorINS9_11use_defaultEEENS9_5minusIyEEEE10hipError_tPvRmT2_T3_mT4_P12ihipStream_tbEUlT_E_NS1_11comp_targetILNS1_3genE3ELNS1_11target_archE908ELNS1_3gpuE7ELNS1_3repE0EEENS1_30default_config_static_selectorELNS0_4arch9wavefront6targetE1EEEvT1_.private_seg_size, 0
	.set _ZN7rocprim17ROCPRIM_400000_NS6detail17trampoline_kernelINS0_14default_configENS1_35adjacent_difference_config_selectorILb1EyEEZNS1_24adjacent_difference_implIS3_Lb1ELb0EPyN6thrust23THRUST_200600_302600_NS16discard_iteratorINS9_11use_defaultEEENS9_5minusIyEEEE10hipError_tPvRmT2_T3_mT4_P12ihipStream_tbEUlT_E_NS1_11comp_targetILNS1_3genE3ELNS1_11target_archE908ELNS1_3gpuE7ELNS1_3repE0EEENS1_30default_config_static_selectorELNS0_4arch9wavefront6targetE1EEEvT1_.uses_vcc, 0
	.set _ZN7rocprim17ROCPRIM_400000_NS6detail17trampoline_kernelINS0_14default_configENS1_35adjacent_difference_config_selectorILb1EyEEZNS1_24adjacent_difference_implIS3_Lb1ELb0EPyN6thrust23THRUST_200600_302600_NS16discard_iteratorINS9_11use_defaultEEENS9_5minusIyEEEE10hipError_tPvRmT2_T3_mT4_P12ihipStream_tbEUlT_E_NS1_11comp_targetILNS1_3genE3ELNS1_11target_archE908ELNS1_3gpuE7ELNS1_3repE0EEENS1_30default_config_static_selectorELNS0_4arch9wavefront6targetE1EEEvT1_.uses_flat_scratch, 0
	.set _ZN7rocprim17ROCPRIM_400000_NS6detail17trampoline_kernelINS0_14default_configENS1_35adjacent_difference_config_selectorILb1EyEEZNS1_24adjacent_difference_implIS3_Lb1ELb0EPyN6thrust23THRUST_200600_302600_NS16discard_iteratorINS9_11use_defaultEEENS9_5minusIyEEEE10hipError_tPvRmT2_T3_mT4_P12ihipStream_tbEUlT_E_NS1_11comp_targetILNS1_3genE3ELNS1_11target_archE908ELNS1_3gpuE7ELNS1_3repE0EEENS1_30default_config_static_selectorELNS0_4arch9wavefront6targetE1EEEvT1_.has_dyn_sized_stack, 0
	.set _ZN7rocprim17ROCPRIM_400000_NS6detail17trampoline_kernelINS0_14default_configENS1_35adjacent_difference_config_selectorILb1EyEEZNS1_24adjacent_difference_implIS3_Lb1ELb0EPyN6thrust23THRUST_200600_302600_NS16discard_iteratorINS9_11use_defaultEEENS9_5minusIyEEEE10hipError_tPvRmT2_T3_mT4_P12ihipStream_tbEUlT_E_NS1_11comp_targetILNS1_3genE3ELNS1_11target_archE908ELNS1_3gpuE7ELNS1_3repE0EEENS1_30default_config_static_selectorELNS0_4arch9wavefront6targetE1EEEvT1_.has_recursion, 0
	.set _ZN7rocprim17ROCPRIM_400000_NS6detail17trampoline_kernelINS0_14default_configENS1_35adjacent_difference_config_selectorILb1EyEEZNS1_24adjacent_difference_implIS3_Lb1ELb0EPyN6thrust23THRUST_200600_302600_NS16discard_iteratorINS9_11use_defaultEEENS9_5minusIyEEEE10hipError_tPvRmT2_T3_mT4_P12ihipStream_tbEUlT_E_NS1_11comp_targetILNS1_3genE3ELNS1_11target_archE908ELNS1_3gpuE7ELNS1_3repE0EEENS1_30default_config_static_selectorELNS0_4arch9wavefront6targetE1EEEvT1_.has_indirect_call, 0
	.section	.AMDGPU.csdata,"",@progbits
; Kernel info:
; codeLenInByte = 0
; TotalNumSgprs: 4
; NumVgprs: 0
; ScratchSize: 0
; MemoryBound: 0
; FloatMode: 240
; IeeeMode: 1
; LDSByteSize: 0 bytes/workgroup (compile time only)
; SGPRBlocks: 0
; VGPRBlocks: 0
; NumSGPRsForWavesPerEU: 4
; NumVGPRsForWavesPerEU: 1
; Occupancy: 10
; WaveLimiterHint : 0
; COMPUTE_PGM_RSRC2:SCRATCH_EN: 0
; COMPUTE_PGM_RSRC2:USER_SGPR: 6
; COMPUTE_PGM_RSRC2:TRAP_HANDLER: 0
; COMPUTE_PGM_RSRC2:TGID_X_EN: 1
; COMPUTE_PGM_RSRC2:TGID_Y_EN: 0
; COMPUTE_PGM_RSRC2:TGID_Z_EN: 0
; COMPUTE_PGM_RSRC2:TIDIG_COMP_CNT: 0
	.section	.text._ZN7rocprim17ROCPRIM_400000_NS6detail17trampoline_kernelINS0_14default_configENS1_35adjacent_difference_config_selectorILb1EyEEZNS1_24adjacent_difference_implIS3_Lb1ELb0EPyN6thrust23THRUST_200600_302600_NS16discard_iteratorINS9_11use_defaultEEENS9_5minusIyEEEE10hipError_tPvRmT2_T3_mT4_P12ihipStream_tbEUlT_E_NS1_11comp_targetILNS1_3genE2ELNS1_11target_archE906ELNS1_3gpuE6ELNS1_3repE0EEENS1_30default_config_static_selectorELNS0_4arch9wavefront6targetE1EEEvT1_,"axG",@progbits,_ZN7rocprim17ROCPRIM_400000_NS6detail17trampoline_kernelINS0_14default_configENS1_35adjacent_difference_config_selectorILb1EyEEZNS1_24adjacent_difference_implIS3_Lb1ELb0EPyN6thrust23THRUST_200600_302600_NS16discard_iteratorINS9_11use_defaultEEENS9_5minusIyEEEE10hipError_tPvRmT2_T3_mT4_P12ihipStream_tbEUlT_E_NS1_11comp_targetILNS1_3genE2ELNS1_11target_archE906ELNS1_3gpuE6ELNS1_3repE0EEENS1_30default_config_static_selectorELNS0_4arch9wavefront6targetE1EEEvT1_,comdat
	.protected	_ZN7rocprim17ROCPRIM_400000_NS6detail17trampoline_kernelINS0_14default_configENS1_35adjacent_difference_config_selectorILb1EyEEZNS1_24adjacent_difference_implIS3_Lb1ELb0EPyN6thrust23THRUST_200600_302600_NS16discard_iteratorINS9_11use_defaultEEENS9_5minusIyEEEE10hipError_tPvRmT2_T3_mT4_P12ihipStream_tbEUlT_E_NS1_11comp_targetILNS1_3genE2ELNS1_11target_archE906ELNS1_3gpuE6ELNS1_3repE0EEENS1_30default_config_static_selectorELNS0_4arch9wavefront6targetE1EEEvT1_ ; -- Begin function _ZN7rocprim17ROCPRIM_400000_NS6detail17trampoline_kernelINS0_14default_configENS1_35adjacent_difference_config_selectorILb1EyEEZNS1_24adjacent_difference_implIS3_Lb1ELb0EPyN6thrust23THRUST_200600_302600_NS16discard_iteratorINS9_11use_defaultEEENS9_5minusIyEEEE10hipError_tPvRmT2_T3_mT4_P12ihipStream_tbEUlT_E_NS1_11comp_targetILNS1_3genE2ELNS1_11target_archE906ELNS1_3gpuE6ELNS1_3repE0EEENS1_30default_config_static_selectorELNS0_4arch9wavefront6targetE1EEEvT1_
	.globl	_ZN7rocprim17ROCPRIM_400000_NS6detail17trampoline_kernelINS0_14default_configENS1_35adjacent_difference_config_selectorILb1EyEEZNS1_24adjacent_difference_implIS3_Lb1ELb0EPyN6thrust23THRUST_200600_302600_NS16discard_iteratorINS9_11use_defaultEEENS9_5minusIyEEEE10hipError_tPvRmT2_T3_mT4_P12ihipStream_tbEUlT_E_NS1_11comp_targetILNS1_3genE2ELNS1_11target_archE906ELNS1_3gpuE6ELNS1_3repE0EEENS1_30default_config_static_selectorELNS0_4arch9wavefront6targetE1EEEvT1_
	.p2align	8
	.type	_ZN7rocprim17ROCPRIM_400000_NS6detail17trampoline_kernelINS0_14default_configENS1_35adjacent_difference_config_selectorILb1EyEEZNS1_24adjacent_difference_implIS3_Lb1ELb0EPyN6thrust23THRUST_200600_302600_NS16discard_iteratorINS9_11use_defaultEEENS9_5minusIyEEEE10hipError_tPvRmT2_T3_mT4_P12ihipStream_tbEUlT_E_NS1_11comp_targetILNS1_3genE2ELNS1_11target_archE906ELNS1_3gpuE6ELNS1_3repE0EEENS1_30default_config_static_selectorELNS0_4arch9wavefront6targetE1EEEvT1_,@function
_ZN7rocprim17ROCPRIM_400000_NS6detail17trampoline_kernelINS0_14default_configENS1_35adjacent_difference_config_selectorILb1EyEEZNS1_24adjacent_difference_implIS3_Lb1ELb0EPyN6thrust23THRUST_200600_302600_NS16discard_iteratorINS9_11use_defaultEEENS9_5minusIyEEEE10hipError_tPvRmT2_T3_mT4_P12ihipStream_tbEUlT_E_NS1_11comp_targetILNS1_3genE2ELNS1_11target_archE906ELNS1_3gpuE6ELNS1_3repE0EEENS1_30default_config_static_selectorELNS0_4arch9wavefront6targetE1EEEvT1_: ; @_ZN7rocprim17ROCPRIM_400000_NS6detail17trampoline_kernelINS0_14default_configENS1_35adjacent_difference_config_selectorILb1EyEEZNS1_24adjacent_difference_implIS3_Lb1ELb0EPyN6thrust23THRUST_200600_302600_NS16discard_iteratorINS9_11use_defaultEEENS9_5minusIyEEEE10hipError_tPvRmT2_T3_mT4_P12ihipStream_tbEUlT_E_NS1_11comp_targetILNS1_3genE2ELNS1_11target_archE906ELNS1_3gpuE6ELNS1_3repE0EEENS1_30default_config_static_selectorELNS0_4arch9wavefront6targetE1EEEvT1_
; %bb.0:
	s_load_dwordx4 s[12:15], s[4:5], 0x0
	s_load_dwordx2 s[2:3], s[4:5], 0x20
	s_load_dwordx4 s[8:11], s[4:5], 0x30
	s_mul_i32 s16, s6, 0x580
	s_mov_b32 s7, 0
	s_waitcnt lgkmcnt(0)
	s_lshl_b64 s[0:1], s[14:15], 3
	s_add_u32 s22, s12, s0
	s_addc_u32 s23, s13, s1
	s_mul_i32 s5, s3, 0xba2e8ba3
	s_mul_hi_u32 s12, s2, 0xba2e8ba3
	s_mul_hi_u32 s4, s3, 0xba2e8ba3
	s_add_u32 s5, s5, s12
	s_mul_i32 s1, s2, 0x2e8ba2e8
	s_addc_u32 s4, s4, 0
	s_mul_hi_u32 s0, s2, 0x2e8ba2e8
	s_add_u32 s1, s1, s5
	s_addc_u32 s0, s0, 0
	s_add_u32 s0, s4, s0
	s_addc_u32 s1, 0, 0
	s_mul_i32 s5, s3, 0x2e8ba2e8
	s_mul_hi_u32 s4, s3, 0x2e8ba2e8
	s_add_u32 s0, s5, s0
	s_addc_u32 s1, s4, s1
	s_lshr_b64 s[4:5], s[0:1], 8
	s_lshr_b32 s0, s1, 8
	s_mulk_i32 s0, 0x580
	s_mul_hi_u32 s1, s4, 0x580
	s_add_i32 s1, s1, s0
	s_mul_i32 s0, s4, 0x580
	s_sub_u32 s0, s2, s0
	s_subb_u32 s1, s3, s1
	s_cmp_lg_u64 s[0:1], 0
	s_cselect_b64 s[0:1], -1, 0
	v_cndmask_b32_e64 v1, 0, 1, s[0:1]
	v_readfirstlane_b32 s0, v1
	s_add_u32 s4, s4, s0
	s_addc_u32 s5, s5, 0
	s_add_u32 s12, s10, s6
	s_addc_u32 s13, s11, 0
	s_add_u32 s14, s4, -1
	s_addc_u32 s15, s5, -1
	v_mov_b32_e32 v1, s14
	v_mov_b32_e32 v2, s15
	v_cmp_ge_u64_e64 s[0:1], s[12:13], v[1:2]
	s_mov_b64 s[18:19], -1
	s_and_b64 vcc, exec, s[0:1]
	s_cbranch_vccz .LBB821_24
; %bb.1:
	s_mul_i32 s3, s14, 0xfffffa80
	s_mov_b32 s17, s7
	s_add_i32 s3, s3, s2
	s_lshl_b64 s[18:19], s[16:17], 3
	s_add_u32 s18, s22, s18
	s_addc_u32 s19, s23, s19
	v_cmp_gt_u32_e32 vcc, s3, v0
                                        ; implicit-def: $vgpr1_vgpr2
	s_and_saveexec_b64 s[20:21], vcc
	s_cbranch_execz .LBB821_3
; %bb.2:
	v_lshlrev_b32_e32 v1, 3, v0
	global_load_dwordx2 v[1:2], v1, s[18:19]
.LBB821_3:
	s_or_b64 exec, exec, s[20:21]
	v_or_b32_e32 v3, 0x80, v0
	v_cmp_gt_u32_e32 vcc, s3, v3
                                        ; implicit-def: $vgpr3_vgpr4
	s_and_saveexec_b64 s[20:21], vcc
	s_cbranch_execz .LBB821_5
; %bb.4:
	v_lshlrev_b32_e32 v3, 3, v0
	global_load_dwordx2 v[3:4], v3, s[18:19] offset:1024
.LBB821_5:
	s_or_b64 exec, exec, s[20:21]
	v_or_b32_e32 v5, 0x100, v0
	v_cmp_gt_u32_e32 vcc, s3, v5
                                        ; implicit-def: $vgpr5_vgpr6
	s_and_saveexec_b64 s[20:21], vcc
	s_cbranch_execz .LBB821_7
; %bb.6:
	v_lshlrev_b32_e32 v5, 3, v0
	global_load_dwordx2 v[5:6], v5, s[18:19] offset:2048
.LBB821_7:
	s_or_b64 exec, exec, s[20:21]
	v_or_b32_e32 v7, 0x180, v0
	v_cmp_gt_u32_e32 vcc, s3, v7
                                        ; implicit-def: $vgpr7_vgpr8
	s_and_saveexec_b64 s[20:21], vcc
	s_cbranch_execz .LBB821_9
; %bb.8:
	v_lshlrev_b32_e32 v7, 3, v0
	global_load_dwordx2 v[7:8], v7, s[18:19] offset:3072
.LBB821_9:
	s_or_b64 exec, exec, s[20:21]
	v_or_b32_e32 v11, 0x200, v0
	v_cmp_gt_u32_e32 vcc, s3, v11
                                        ; implicit-def: $vgpr9_vgpr10
	s_and_saveexec_b64 s[20:21], vcc
	s_cbranch_execz .LBB821_11
; %bb.10:
	v_lshlrev_b32_e32 v9, 3, v11
	global_load_dwordx2 v[9:10], v9, s[18:19]
.LBB821_11:
	s_or_b64 exec, exec, s[20:21]
	v_or_b32_e32 v13, 0x280, v0
	v_cmp_gt_u32_e32 vcc, s3, v13
                                        ; implicit-def: $vgpr11_vgpr12
	s_and_saveexec_b64 s[20:21], vcc
	s_cbranch_execz .LBB821_13
; %bb.12:
	v_lshlrev_b32_e32 v11, 3, v13
	global_load_dwordx2 v[11:12], v11, s[18:19]
.LBB821_13:
	s_or_b64 exec, exec, s[20:21]
	v_or_b32_e32 v15, 0x300, v0
	v_cmp_gt_u32_e32 vcc, s3, v15
                                        ; implicit-def: $vgpr13_vgpr14
	s_and_saveexec_b64 s[20:21], vcc
	s_cbranch_execz .LBB821_15
; %bb.14:
	v_lshlrev_b32_e32 v13, 3, v15
	global_load_dwordx2 v[13:14], v13, s[18:19]
.LBB821_15:
	s_or_b64 exec, exec, s[20:21]
	v_or_b32_e32 v17, 0x380, v0
	v_cmp_gt_u32_e32 vcc, s3, v17
                                        ; implicit-def: $vgpr15_vgpr16
	s_and_saveexec_b64 s[20:21], vcc
	s_cbranch_execz .LBB821_17
; %bb.16:
	v_lshlrev_b32_e32 v15, 3, v17
	global_load_dwordx2 v[15:16], v15, s[18:19]
.LBB821_17:
	s_or_b64 exec, exec, s[20:21]
	v_or_b32_e32 v19, 0x400, v0
	v_cmp_gt_u32_e32 vcc, s3, v19
                                        ; implicit-def: $vgpr17_vgpr18
	s_and_saveexec_b64 s[20:21], vcc
	s_cbranch_execz .LBB821_19
; %bb.18:
	v_lshlrev_b32_e32 v17, 3, v19
	global_load_dwordx2 v[17:18], v17, s[18:19]
.LBB821_19:
	s_or_b64 exec, exec, s[20:21]
	v_or_b32_e32 v21, 0x480, v0
	v_cmp_gt_u32_e32 vcc, s3, v21
                                        ; implicit-def: $vgpr19_vgpr20
	s_and_saveexec_b64 s[20:21], vcc
	s_cbranch_execz .LBB821_21
; %bb.20:
	v_lshlrev_b32_e32 v19, 3, v21
	global_load_dwordx2 v[19:20], v19, s[18:19]
.LBB821_21:
	s_or_b64 exec, exec, s[20:21]
	v_or_b32_e32 v23, 0x500, v0
	v_cmp_gt_u32_e32 vcc, s3, v23
                                        ; implicit-def: $vgpr21_vgpr22
	s_and_saveexec_b64 s[20:21], vcc
	s_cbranch_execz .LBB821_23
; %bb.22:
	v_lshlrev_b32_e32 v21, 3, v23
	global_load_dwordx2 v[21:22], v21, s[18:19]
.LBB821_23:
	s_or_b64 exec, exec, s[20:21]
	v_lshlrev_b32_e32 v23, 3, v0
	s_mov_b64 s[18:19], 0
	s_waitcnt vmcnt(0)
	ds_write2st64_b64 v23, v[1:2], v[3:4] offset1:2
	ds_write2st64_b64 v23, v[5:6], v[7:8] offset0:4 offset1:6
	ds_write2st64_b64 v23, v[9:10], v[11:12] offset0:8 offset1:10
	;; [unrolled: 1-line block ×4, first 2 shown]
	ds_write_b64 v23, v[21:22] offset:10240
	s_waitcnt lgkmcnt(0)
	s_barrier
.LBB821_24:
	s_and_b64 vcc, exec, s[18:19]
	v_lshlrev_b32_e32 v45, 3, v0
	s_cbranch_vccz .LBB821_26
; %bb.25:
	s_mov_b32 s17, 0
	s_lshl_b64 s[16:17], s[16:17], 3
	s_add_u32 s16, s22, s16
	s_addc_u32 s17, s23, s17
	v_mov_b32_e32 v1, s17
	v_add_co_u32_e32 v19, vcc, s16, v45
	v_addc_co_u32_e32 v20, vcc, 0, v1, vcc
	v_add_co_u32_e32 v9, vcc, 0x1000, v19
	v_addc_co_u32_e32 v10, vcc, 0, v20, vcc
	global_load_dwordx2 v[1:2], v45, s[16:17]
	global_load_dwordx2 v[3:4], v45, s[16:17] offset:1024
	global_load_dwordx2 v[5:6], v45, s[16:17] offset:2048
	;; [unrolled: 1-line block ×3, first 2 shown]
	global_load_dwordx2 v[11:12], v[9:10], off
	global_load_dwordx2 v[13:14], v[9:10], off offset:1024
	global_load_dwordx2 v[15:16], v[9:10], off offset:2048
	global_load_dwordx2 v[17:18], v[9:10], off offset:3072
	v_add_co_u32_e32 v9, vcc, 0x2000, v19
	v_addc_co_u32_e32 v10, vcc, 0, v20, vcc
	global_load_dwordx2 v[19:20], v[9:10], off
	global_load_dwordx2 v[21:22], v[9:10], off offset:1024
	global_load_dwordx2 v[23:24], v[9:10], off offset:2048
	s_waitcnt vmcnt(9)
	ds_write2st64_b64 v45, v[1:2], v[3:4] offset1:2
	s_waitcnt vmcnt(7)
	ds_write2st64_b64 v45, v[5:6], v[7:8] offset0:4 offset1:6
	s_waitcnt vmcnt(5)
	ds_write2st64_b64 v45, v[11:12], v[13:14] offset0:8 offset1:10
	;; [unrolled: 2-line block ×4, first 2 shown]
	s_waitcnt vmcnt(0)
	ds_write_b64 v45, v[23:24] offset:10240
	s_waitcnt lgkmcnt(0)
	s_barrier
.LBB821_26:
	v_mul_u32_u24_e32 v21, 0x58, v0
	ds_read2_b64 v[1:4], v21 offset1:1
	ds_read2_b64 v[5:8], v21 offset0:2 offset1:3
	ds_read2_b64 v[9:12], v21 offset0:4 offset1:5
	;; [unrolled: 1-line block ×4, first 2 shown]
	ds_read_b64 v[21:22], v21 offset:80
	s_cmp_eq_u64 s[12:13], 0
	s_waitcnt lgkmcnt(0)
	s_barrier
	s_cbranch_scc1 .LBB821_31
; %bb.27:
	s_lshl_b64 s[10:11], s[10:11], 3
	s_add_u32 s3, s8, s10
	s_addc_u32 s8, s9, s11
	s_lshl_b64 s[6:7], s[6:7], 3
	s_add_u32 s3, s3, s6
	s_addc_u32 s7, s8, s7
	s_add_u32 s6, s3, -8
	s_addc_u32 s7, s7, -1
	s_load_dwordx2 s[6:7], s[6:7], 0x0
	s_cmp_eq_u64 s[12:13], s[14:15]
	s_cbranch_scc1 .LBB821_32
; %bb.28:
	s_waitcnt lgkmcnt(0)
	v_mov_b32_e32 v24, s7
	v_cmp_ne_u32_e32 vcc, 0, v0
	v_mov_b32_e32 v23, s6
	ds_write_b64 v45, v[21:22]
	s_waitcnt lgkmcnt(0)
	s_barrier
	s_and_saveexec_b64 s[8:9], vcc
; %bb.29:
	v_add_u32_e32 v23, -8, v45
	ds_read_b64 v[23:24], v23
; %bb.30:
	s_or_b64 exec, exec, s[8:9]
	s_waitcnt lgkmcnt(0)
	v_sub_co_u32_e32 v35, vcc, v1, v23
	v_subb_co_u32_e32 v36, vcc, v2, v24, vcc
	s_mov_b64 s[8:9], 0
	s_branch .LBB821_33
.LBB821_31:
                                        ; implicit-def: $vgpr35_vgpr36
                                        ; implicit-def: $vgpr43_vgpr44
                                        ; implicit-def: $vgpr41_vgpr42
                                        ; implicit-def: $vgpr39_vgpr40
                                        ; implicit-def: $vgpr37_vgpr38
                                        ; implicit-def: $vgpr33_vgpr34
                                        ; implicit-def: $vgpr31_vgpr32
                                        ; implicit-def: $vgpr29_vgpr30
                                        ; implicit-def: $vgpr27_vgpr28
                                        ; implicit-def: $vgpr25_vgpr26
                                        ; implicit-def: $vgpr23_vgpr24
	s_branch .LBB821_38
.LBB821_32:
	s_mov_b64 s[8:9], -1
                                        ; implicit-def: $vgpr35_vgpr36
.LBB821_33:
	v_mov_b32_e32 v44, v2
	v_mov_b32_e32 v42, v4
	;; [unrolled: 1-line block ×10, first 2 shown]
	s_and_b64 vcc, exec, s[8:9]
	v_mov_b32_e32 v43, v1
	v_mov_b32_e32 v41, v3
	;; [unrolled: 1-line block ×10, first 2 shown]
	s_cbranch_vccz .LBB821_37
; %bb.34:
	s_waitcnt lgkmcnt(0)
	v_mov_b32_e32 v36, s7
	v_mul_u32_u24_e32 v46, 11, v0
	v_cmp_ne_u32_e32 vcc, 0, v0
	v_mov_b32_e32 v35, s6
	ds_write_b64 v45, v[21:22]
	s_waitcnt lgkmcnt(0)
	s_barrier
	s_and_saveexec_b64 s[6:7], vcc
; %bb.35:
	v_add_u32_e32 v23, -8, v45
	ds_read_b64 v[35:36], v23
; %bb.36:
	s_or_b64 exec, exec, s[6:7]
	s_mul_i32 s3, s12, 0xfffffa80
	s_add_i32 s3, s3, s2
	v_add_u32_e32 v23, 10, v46
	v_cmp_gt_u32_e32 vcc, s3, v23
	v_add_u32_e32 v25, 9, v46
	v_cndmask_b32_e32 v24, 0, v20, vcc
	v_cndmask_b32_e32 v23, 0, v19, vcc
	v_cmp_gt_u32_e32 vcc, s3, v25
	v_add_u32_e32 v27, 8, v46
	v_cndmask_b32_e32 v26, 0, v18, vcc
	v_cndmask_b32_e32 v25, 0, v17, vcc
	;; [unrolled: 4-line block ×9, first 2 shown]
	v_cmp_gt_u32_e32 vcc, s3, v43
	v_cndmask_b32_e32 v44, 0, v2, vcc
	v_cndmask_b32_e32 v43, 0, v1, vcc
	v_cmp_gt_u32_e32 vcc, s3, v46
	s_waitcnt lgkmcnt(0)
	v_cndmask_b32_e32 v35, 0, v35, vcc
	v_cndmask_b32_e32 v36, 0, v36, vcc
	v_sub_co_u32_e32 v35, vcc, v1, v35
	v_subb_co_u32_e32 v36, vcc, v2, v36, vcc
.LBB821_37:
	s_waitcnt lgkmcnt(0)
	s_cbranch_execnz .LBB821_48
.LBB821_38:
	s_cmp_eq_u64 s[4:5], 1
	v_cmp_ne_u32_e32 vcc, 0, v0
	s_cbranch_scc1 .LBB821_43
; %bb.39:
	v_mov_b32_e32 v36, v2
	v_mov_b32_e32 v43, 0
	;; [unrolled: 1-line block ×3, first 2 shown]
	ds_write_b64 v45, v[21:22]
	s_waitcnt lgkmcnt(0)
	s_barrier
	s_and_saveexec_b64 s[4:5], vcc
	s_cbranch_execz .LBB821_41
; %bb.40:
	v_add_u32_e32 v23, -8, v45
	ds_read_b64 v[23:24], v23
	v_mov_b32_e32 v43, v0
	s_waitcnt lgkmcnt(0)
	v_sub_co_u32_e32 v35, vcc, v1, v23
	v_subb_co_u32_e32 v36, vcc, v2, v24, vcc
.LBB821_41:
	s_or_b64 exec, exec, s[4:5]
	s_cbranch_execz .LBB821_44
; %bb.42:
	v_mov_b32_e32 v42, v4
	v_mov_b32_e32 v40, v6
	;; [unrolled: 1-line block ×19, first 2 shown]
	s_branch .LBB821_47
.LBB821_43:
                                        ; implicit-def: $vgpr35_vgpr36
                                        ; implicit-def: $vgpr43
.LBB821_44:
	v_mul_u32_u24_e32 v35, 11, v0
	v_add_u32_e32 v23, 10, v35
	v_cmp_gt_u32_e32 vcc, s2, v23
	v_add_u32_e32 v25, 9, v35
	v_cndmask_b32_e32 v24, 0, v20, vcc
	v_cndmask_b32_e32 v23, 0, v19, vcc
	v_cmp_gt_u32_e32 vcc, s2, v25
	v_add_u32_e32 v27, 8, v35
	v_cndmask_b32_e32 v26, 0, v18, vcc
	v_cndmask_b32_e32 v25, 0, v17, vcc
	;; [unrolled: 4-line block ×9, first 2 shown]
	v_cmp_gt_u32_e32 vcc, s2, v36
	v_cndmask_b32_e32 v44, 0, v2, vcc
	v_cndmask_b32_e32 v43, 0, v1, vcc
	v_cmp_ne_u32_e32 vcc, 0, v0
	v_cmp_gt_u32_e64 s[2:3], s2, v35
	s_and_b64 s[4:5], vcc, s[2:3]
	ds_write_b64 v45, v[21:22]
	s_waitcnt lgkmcnt(0)
	s_barrier
	s_and_saveexec_b64 s[2:3], s[4:5]
	s_cbranch_execz .LBB821_46
; %bb.45:
	v_add_u32_e32 v35, -8, v45
	ds_read_b64 v[35:36], v35
	s_waitcnt lgkmcnt(0)
	v_sub_co_u32_e32 v1, vcc, v1, v35
	v_subb_co_u32_e32 v2, vcc, v2, v36, vcc
.LBB821_46:
	s_or_b64 exec, exec, s[2:3]
	v_mov_b32_e32 v36, v2
	v_mov_b32_e32 v35, v1
	;; [unrolled: 1-line block ×4, first 2 shown]
.LBB821_47:
	v_mov_b32_e32 v44, v2
	v_mov_b32_e32 v43, v1
.LBB821_48:
	v_sub_co_u32_e32 v1, vcc, v3, v43
	v_subb_co_u32_e32 v2, vcc, v4, v44, vcc
	v_sub_co_u32_e32 v3, vcc, v5, v41
	v_subb_co_u32_e32 v4, vcc, v6, v42, vcc
	;; [unrolled: 2-line block ×10, first 2 shown]
	v_mul_u32_u24_e32 v0, 0x58, v0
	s_mov_b64 s[2:3], -1
	s_and_b64 vcc, exec, s[0:1]
	s_barrier
	ds_write2_b64 v0, v[35:36], v[1:2] offset1:1
	ds_write2_b64 v0, v[3:4], v[5:6] offset0:2 offset1:3
	ds_write2_b64 v0, v[7:8], v[9:10] offset0:4 offset1:5
	;; [unrolled: 1-line block ×4, first 2 shown]
	ds_write_b64 v0, v[19:20] offset:80
	s_waitcnt lgkmcnt(0)
	s_cbranch_vccnz .LBB821_51
; %bb.49:
	s_andn2_b64 vcc, exec, s[2:3]
	s_cbranch_vccz .LBB821_52
.LBB821_50:
	s_endpgm
.LBB821_51:
	s_barrier
	s_cbranch_execnz .LBB821_50
.LBB821_52:
	s_barrier
	s_endpgm
	.section	.rodata,"a",@progbits
	.p2align	6, 0x0
	.amdhsa_kernel _ZN7rocprim17ROCPRIM_400000_NS6detail17trampoline_kernelINS0_14default_configENS1_35adjacent_difference_config_selectorILb1EyEEZNS1_24adjacent_difference_implIS3_Lb1ELb0EPyN6thrust23THRUST_200600_302600_NS16discard_iteratorINS9_11use_defaultEEENS9_5minusIyEEEE10hipError_tPvRmT2_T3_mT4_P12ihipStream_tbEUlT_E_NS1_11comp_targetILNS1_3genE2ELNS1_11target_archE906ELNS1_3gpuE6ELNS1_3repE0EEENS1_30default_config_static_selectorELNS0_4arch9wavefront6targetE1EEEvT1_
		.amdhsa_group_segment_fixed_size 11264
		.amdhsa_private_segment_fixed_size 0
		.amdhsa_kernarg_size 64
		.amdhsa_user_sgpr_count 6
		.amdhsa_user_sgpr_private_segment_buffer 1
		.amdhsa_user_sgpr_dispatch_ptr 0
		.amdhsa_user_sgpr_queue_ptr 0
		.amdhsa_user_sgpr_kernarg_segment_ptr 1
		.amdhsa_user_sgpr_dispatch_id 0
		.amdhsa_user_sgpr_flat_scratch_init 0
		.amdhsa_user_sgpr_private_segment_size 0
		.amdhsa_uses_dynamic_stack 0
		.amdhsa_system_sgpr_private_segment_wavefront_offset 0
		.amdhsa_system_sgpr_workgroup_id_x 1
		.amdhsa_system_sgpr_workgroup_id_y 0
		.amdhsa_system_sgpr_workgroup_id_z 0
		.amdhsa_system_sgpr_workgroup_info 0
		.amdhsa_system_vgpr_workitem_id 0
		.amdhsa_next_free_vgpr 65
		.amdhsa_next_free_sgpr 98
		.amdhsa_reserve_vcc 1
		.amdhsa_reserve_flat_scratch 0
		.amdhsa_float_round_mode_32 0
		.amdhsa_float_round_mode_16_64 0
		.amdhsa_float_denorm_mode_32 3
		.amdhsa_float_denorm_mode_16_64 3
		.amdhsa_dx10_clamp 1
		.amdhsa_ieee_mode 1
		.amdhsa_fp16_overflow 0
		.amdhsa_exception_fp_ieee_invalid_op 0
		.amdhsa_exception_fp_denorm_src 0
		.amdhsa_exception_fp_ieee_div_zero 0
		.amdhsa_exception_fp_ieee_overflow 0
		.amdhsa_exception_fp_ieee_underflow 0
		.amdhsa_exception_fp_ieee_inexact 0
		.amdhsa_exception_int_div_zero 0
	.end_amdhsa_kernel
	.section	.text._ZN7rocprim17ROCPRIM_400000_NS6detail17trampoline_kernelINS0_14default_configENS1_35adjacent_difference_config_selectorILb1EyEEZNS1_24adjacent_difference_implIS3_Lb1ELb0EPyN6thrust23THRUST_200600_302600_NS16discard_iteratorINS9_11use_defaultEEENS9_5minusIyEEEE10hipError_tPvRmT2_T3_mT4_P12ihipStream_tbEUlT_E_NS1_11comp_targetILNS1_3genE2ELNS1_11target_archE906ELNS1_3gpuE6ELNS1_3repE0EEENS1_30default_config_static_selectorELNS0_4arch9wavefront6targetE1EEEvT1_,"axG",@progbits,_ZN7rocprim17ROCPRIM_400000_NS6detail17trampoline_kernelINS0_14default_configENS1_35adjacent_difference_config_selectorILb1EyEEZNS1_24adjacent_difference_implIS3_Lb1ELb0EPyN6thrust23THRUST_200600_302600_NS16discard_iteratorINS9_11use_defaultEEENS9_5minusIyEEEE10hipError_tPvRmT2_T3_mT4_P12ihipStream_tbEUlT_E_NS1_11comp_targetILNS1_3genE2ELNS1_11target_archE906ELNS1_3gpuE6ELNS1_3repE0EEENS1_30default_config_static_selectorELNS0_4arch9wavefront6targetE1EEEvT1_,comdat
.Lfunc_end821:
	.size	_ZN7rocprim17ROCPRIM_400000_NS6detail17trampoline_kernelINS0_14default_configENS1_35adjacent_difference_config_selectorILb1EyEEZNS1_24adjacent_difference_implIS3_Lb1ELb0EPyN6thrust23THRUST_200600_302600_NS16discard_iteratorINS9_11use_defaultEEENS9_5minusIyEEEE10hipError_tPvRmT2_T3_mT4_P12ihipStream_tbEUlT_E_NS1_11comp_targetILNS1_3genE2ELNS1_11target_archE906ELNS1_3gpuE6ELNS1_3repE0EEENS1_30default_config_static_selectorELNS0_4arch9wavefront6targetE1EEEvT1_, .Lfunc_end821-_ZN7rocprim17ROCPRIM_400000_NS6detail17trampoline_kernelINS0_14default_configENS1_35adjacent_difference_config_selectorILb1EyEEZNS1_24adjacent_difference_implIS3_Lb1ELb0EPyN6thrust23THRUST_200600_302600_NS16discard_iteratorINS9_11use_defaultEEENS9_5minusIyEEEE10hipError_tPvRmT2_T3_mT4_P12ihipStream_tbEUlT_E_NS1_11comp_targetILNS1_3genE2ELNS1_11target_archE906ELNS1_3gpuE6ELNS1_3repE0EEENS1_30default_config_static_selectorELNS0_4arch9wavefront6targetE1EEEvT1_
                                        ; -- End function
	.set _ZN7rocprim17ROCPRIM_400000_NS6detail17trampoline_kernelINS0_14default_configENS1_35adjacent_difference_config_selectorILb1EyEEZNS1_24adjacent_difference_implIS3_Lb1ELb0EPyN6thrust23THRUST_200600_302600_NS16discard_iteratorINS9_11use_defaultEEENS9_5minusIyEEEE10hipError_tPvRmT2_T3_mT4_P12ihipStream_tbEUlT_E_NS1_11comp_targetILNS1_3genE2ELNS1_11target_archE906ELNS1_3gpuE6ELNS1_3repE0EEENS1_30default_config_static_selectorELNS0_4arch9wavefront6targetE1EEEvT1_.num_vgpr, 47
	.set _ZN7rocprim17ROCPRIM_400000_NS6detail17trampoline_kernelINS0_14default_configENS1_35adjacent_difference_config_selectorILb1EyEEZNS1_24adjacent_difference_implIS3_Lb1ELb0EPyN6thrust23THRUST_200600_302600_NS16discard_iteratorINS9_11use_defaultEEENS9_5minusIyEEEE10hipError_tPvRmT2_T3_mT4_P12ihipStream_tbEUlT_E_NS1_11comp_targetILNS1_3genE2ELNS1_11target_archE906ELNS1_3gpuE6ELNS1_3repE0EEENS1_30default_config_static_selectorELNS0_4arch9wavefront6targetE1EEEvT1_.num_agpr, 0
	.set _ZN7rocprim17ROCPRIM_400000_NS6detail17trampoline_kernelINS0_14default_configENS1_35adjacent_difference_config_selectorILb1EyEEZNS1_24adjacent_difference_implIS3_Lb1ELb0EPyN6thrust23THRUST_200600_302600_NS16discard_iteratorINS9_11use_defaultEEENS9_5minusIyEEEE10hipError_tPvRmT2_T3_mT4_P12ihipStream_tbEUlT_E_NS1_11comp_targetILNS1_3genE2ELNS1_11target_archE906ELNS1_3gpuE6ELNS1_3repE0EEENS1_30default_config_static_selectorELNS0_4arch9wavefront6targetE1EEEvT1_.numbered_sgpr, 24
	.set _ZN7rocprim17ROCPRIM_400000_NS6detail17trampoline_kernelINS0_14default_configENS1_35adjacent_difference_config_selectorILb1EyEEZNS1_24adjacent_difference_implIS3_Lb1ELb0EPyN6thrust23THRUST_200600_302600_NS16discard_iteratorINS9_11use_defaultEEENS9_5minusIyEEEE10hipError_tPvRmT2_T3_mT4_P12ihipStream_tbEUlT_E_NS1_11comp_targetILNS1_3genE2ELNS1_11target_archE906ELNS1_3gpuE6ELNS1_3repE0EEENS1_30default_config_static_selectorELNS0_4arch9wavefront6targetE1EEEvT1_.num_named_barrier, 0
	.set _ZN7rocprim17ROCPRIM_400000_NS6detail17trampoline_kernelINS0_14default_configENS1_35adjacent_difference_config_selectorILb1EyEEZNS1_24adjacent_difference_implIS3_Lb1ELb0EPyN6thrust23THRUST_200600_302600_NS16discard_iteratorINS9_11use_defaultEEENS9_5minusIyEEEE10hipError_tPvRmT2_T3_mT4_P12ihipStream_tbEUlT_E_NS1_11comp_targetILNS1_3genE2ELNS1_11target_archE906ELNS1_3gpuE6ELNS1_3repE0EEENS1_30default_config_static_selectorELNS0_4arch9wavefront6targetE1EEEvT1_.private_seg_size, 0
	.set _ZN7rocprim17ROCPRIM_400000_NS6detail17trampoline_kernelINS0_14default_configENS1_35adjacent_difference_config_selectorILb1EyEEZNS1_24adjacent_difference_implIS3_Lb1ELb0EPyN6thrust23THRUST_200600_302600_NS16discard_iteratorINS9_11use_defaultEEENS9_5minusIyEEEE10hipError_tPvRmT2_T3_mT4_P12ihipStream_tbEUlT_E_NS1_11comp_targetILNS1_3genE2ELNS1_11target_archE906ELNS1_3gpuE6ELNS1_3repE0EEENS1_30default_config_static_selectorELNS0_4arch9wavefront6targetE1EEEvT1_.uses_vcc, 1
	.set _ZN7rocprim17ROCPRIM_400000_NS6detail17trampoline_kernelINS0_14default_configENS1_35adjacent_difference_config_selectorILb1EyEEZNS1_24adjacent_difference_implIS3_Lb1ELb0EPyN6thrust23THRUST_200600_302600_NS16discard_iteratorINS9_11use_defaultEEENS9_5minusIyEEEE10hipError_tPvRmT2_T3_mT4_P12ihipStream_tbEUlT_E_NS1_11comp_targetILNS1_3genE2ELNS1_11target_archE906ELNS1_3gpuE6ELNS1_3repE0EEENS1_30default_config_static_selectorELNS0_4arch9wavefront6targetE1EEEvT1_.uses_flat_scratch, 0
	.set _ZN7rocprim17ROCPRIM_400000_NS6detail17trampoline_kernelINS0_14default_configENS1_35adjacent_difference_config_selectorILb1EyEEZNS1_24adjacent_difference_implIS3_Lb1ELb0EPyN6thrust23THRUST_200600_302600_NS16discard_iteratorINS9_11use_defaultEEENS9_5minusIyEEEE10hipError_tPvRmT2_T3_mT4_P12ihipStream_tbEUlT_E_NS1_11comp_targetILNS1_3genE2ELNS1_11target_archE906ELNS1_3gpuE6ELNS1_3repE0EEENS1_30default_config_static_selectorELNS0_4arch9wavefront6targetE1EEEvT1_.has_dyn_sized_stack, 0
	.set _ZN7rocprim17ROCPRIM_400000_NS6detail17trampoline_kernelINS0_14default_configENS1_35adjacent_difference_config_selectorILb1EyEEZNS1_24adjacent_difference_implIS3_Lb1ELb0EPyN6thrust23THRUST_200600_302600_NS16discard_iteratorINS9_11use_defaultEEENS9_5minusIyEEEE10hipError_tPvRmT2_T3_mT4_P12ihipStream_tbEUlT_E_NS1_11comp_targetILNS1_3genE2ELNS1_11target_archE906ELNS1_3gpuE6ELNS1_3repE0EEENS1_30default_config_static_selectorELNS0_4arch9wavefront6targetE1EEEvT1_.has_recursion, 0
	.set _ZN7rocprim17ROCPRIM_400000_NS6detail17trampoline_kernelINS0_14default_configENS1_35adjacent_difference_config_selectorILb1EyEEZNS1_24adjacent_difference_implIS3_Lb1ELb0EPyN6thrust23THRUST_200600_302600_NS16discard_iteratorINS9_11use_defaultEEENS9_5minusIyEEEE10hipError_tPvRmT2_T3_mT4_P12ihipStream_tbEUlT_E_NS1_11comp_targetILNS1_3genE2ELNS1_11target_archE906ELNS1_3gpuE6ELNS1_3repE0EEENS1_30default_config_static_selectorELNS0_4arch9wavefront6targetE1EEEvT1_.has_indirect_call, 0
	.section	.AMDGPU.csdata,"",@progbits
; Kernel info:
; codeLenInByte = 2120
; TotalNumSgprs: 28
; NumVgprs: 47
; ScratchSize: 0
; MemoryBound: 0
; FloatMode: 240
; IeeeMode: 1
; LDSByteSize: 11264 bytes/workgroup (compile time only)
; SGPRBlocks: 12
; VGPRBlocks: 16
; NumSGPRsForWavesPerEU: 102
; NumVGPRsForWavesPerEU: 65
; Occupancy: 3
; WaveLimiterHint : 1
; COMPUTE_PGM_RSRC2:SCRATCH_EN: 0
; COMPUTE_PGM_RSRC2:USER_SGPR: 6
; COMPUTE_PGM_RSRC2:TRAP_HANDLER: 0
; COMPUTE_PGM_RSRC2:TGID_X_EN: 1
; COMPUTE_PGM_RSRC2:TGID_Y_EN: 0
; COMPUTE_PGM_RSRC2:TGID_Z_EN: 0
; COMPUTE_PGM_RSRC2:TIDIG_COMP_CNT: 0
	.section	.text._ZN7rocprim17ROCPRIM_400000_NS6detail17trampoline_kernelINS0_14default_configENS1_35adjacent_difference_config_selectorILb1EyEEZNS1_24adjacent_difference_implIS3_Lb1ELb0EPyN6thrust23THRUST_200600_302600_NS16discard_iteratorINS9_11use_defaultEEENS9_5minusIyEEEE10hipError_tPvRmT2_T3_mT4_P12ihipStream_tbEUlT_E_NS1_11comp_targetILNS1_3genE9ELNS1_11target_archE1100ELNS1_3gpuE3ELNS1_3repE0EEENS1_30default_config_static_selectorELNS0_4arch9wavefront6targetE1EEEvT1_,"axG",@progbits,_ZN7rocprim17ROCPRIM_400000_NS6detail17trampoline_kernelINS0_14default_configENS1_35adjacent_difference_config_selectorILb1EyEEZNS1_24adjacent_difference_implIS3_Lb1ELb0EPyN6thrust23THRUST_200600_302600_NS16discard_iteratorINS9_11use_defaultEEENS9_5minusIyEEEE10hipError_tPvRmT2_T3_mT4_P12ihipStream_tbEUlT_E_NS1_11comp_targetILNS1_3genE9ELNS1_11target_archE1100ELNS1_3gpuE3ELNS1_3repE0EEENS1_30default_config_static_selectorELNS0_4arch9wavefront6targetE1EEEvT1_,comdat
	.protected	_ZN7rocprim17ROCPRIM_400000_NS6detail17trampoline_kernelINS0_14default_configENS1_35adjacent_difference_config_selectorILb1EyEEZNS1_24adjacent_difference_implIS3_Lb1ELb0EPyN6thrust23THRUST_200600_302600_NS16discard_iteratorINS9_11use_defaultEEENS9_5minusIyEEEE10hipError_tPvRmT2_T3_mT4_P12ihipStream_tbEUlT_E_NS1_11comp_targetILNS1_3genE9ELNS1_11target_archE1100ELNS1_3gpuE3ELNS1_3repE0EEENS1_30default_config_static_selectorELNS0_4arch9wavefront6targetE1EEEvT1_ ; -- Begin function _ZN7rocprim17ROCPRIM_400000_NS6detail17trampoline_kernelINS0_14default_configENS1_35adjacent_difference_config_selectorILb1EyEEZNS1_24adjacent_difference_implIS3_Lb1ELb0EPyN6thrust23THRUST_200600_302600_NS16discard_iteratorINS9_11use_defaultEEENS9_5minusIyEEEE10hipError_tPvRmT2_T3_mT4_P12ihipStream_tbEUlT_E_NS1_11comp_targetILNS1_3genE9ELNS1_11target_archE1100ELNS1_3gpuE3ELNS1_3repE0EEENS1_30default_config_static_selectorELNS0_4arch9wavefront6targetE1EEEvT1_
	.globl	_ZN7rocprim17ROCPRIM_400000_NS6detail17trampoline_kernelINS0_14default_configENS1_35adjacent_difference_config_selectorILb1EyEEZNS1_24adjacent_difference_implIS3_Lb1ELb0EPyN6thrust23THRUST_200600_302600_NS16discard_iteratorINS9_11use_defaultEEENS9_5minusIyEEEE10hipError_tPvRmT2_T3_mT4_P12ihipStream_tbEUlT_E_NS1_11comp_targetILNS1_3genE9ELNS1_11target_archE1100ELNS1_3gpuE3ELNS1_3repE0EEENS1_30default_config_static_selectorELNS0_4arch9wavefront6targetE1EEEvT1_
	.p2align	8
	.type	_ZN7rocprim17ROCPRIM_400000_NS6detail17trampoline_kernelINS0_14default_configENS1_35adjacent_difference_config_selectorILb1EyEEZNS1_24adjacent_difference_implIS3_Lb1ELb0EPyN6thrust23THRUST_200600_302600_NS16discard_iteratorINS9_11use_defaultEEENS9_5minusIyEEEE10hipError_tPvRmT2_T3_mT4_P12ihipStream_tbEUlT_E_NS1_11comp_targetILNS1_3genE9ELNS1_11target_archE1100ELNS1_3gpuE3ELNS1_3repE0EEENS1_30default_config_static_selectorELNS0_4arch9wavefront6targetE1EEEvT1_,@function
_ZN7rocprim17ROCPRIM_400000_NS6detail17trampoline_kernelINS0_14default_configENS1_35adjacent_difference_config_selectorILb1EyEEZNS1_24adjacent_difference_implIS3_Lb1ELb0EPyN6thrust23THRUST_200600_302600_NS16discard_iteratorINS9_11use_defaultEEENS9_5minusIyEEEE10hipError_tPvRmT2_T3_mT4_P12ihipStream_tbEUlT_E_NS1_11comp_targetILNS1_3genE9ELNS1_11target_archE1100ELNS1_3gpuE3ELNS1_3repE0EEENS1_30default_config_static_selectorELNS0_4arch9wavefront6targetE1EEEvT1_: ; @_ZN7rocprim17ROCPRIM_400000_NS6detail17trampoline_kernelINS0_14default_configENS1_35adjacent_difference_config_selectorILb1EyEEZNS1_24adjacent_difference_implIS3_Lb1ELb0EPyN6thrust23THRUST_200600_302600_NS16discard_iteratorINS9_11use_defaultEEENS9_5minusIyEEEE10hipError_tPvRmT2_T3_mT4_P12ihipStream_tbEUlT_E_NS1_11comp_targetILNS1_3genE9ELNS1_11target_archE1100ELNS1_3gpuE3ELNS1_3repE0EEENS1_30default_config_static_selectorELNS0_4arch9wavefront6targetE1EEEvT1_
; %bb.0:
	.section	.rodata,"a",@progbits
	.p2align	6, 0x0
	.amdhsa_kernel _ZN7rocprim17ROCPRIM_400000_NS6detail17trampoline_kernelINS0_14default_configENS1_35adjacent_difference_config_selectorILb1EyEEZNS1_24adjacent_difference_implIS3_Lb1ELb0EPyN6thrust23THRUST_200600_302600_NS16discard_iteratorINS9_11use_defaultEEENS9_5minusIyEEEE10hipError_tPvRmT2_T3_mT4_P12ihipStream_tbEUlT_E_NS1_11comp_targetILNS1_3genE9ELNS1_11target_archE1100ELNS1_3gpuE3ELNS1_3repE0EEENS1_30default_config_static_selectorELNS0_4arch9wavefront6targetE1EEEvT1_
		.amdhsa_group_segment_fixed_size 0
		.amdhsa_private_segment_fixed_size 0
		.amdhsa_kernarg_size 64
		.amdhsa_user_sgpr_count 6
		.amdhsa_user_sgpr_private_segment_buffer 1
		.amdhsa_user_sgpr_dispatch_ptr 0
		.amdhsa_user_sgpr_queue_ptr 0
		.amdhsa_user_sgpr_kernarg_segment_ptr 1
		.amdhsa_user_sgpr_dispatch_id 0
		.amdhsa_user_sgpr_flat_scratch_init 0
		.amdhsa_user_sgpr_private_segment_size 0
		.amdhsa_uses_dynamic_stack 0
		.amdhsa_system_sgpr_private_segment_wavefront_offset 0
		.amdhsa_system_sgpr_workgroup_id_x 1
		.amdhsa_system_sgpr_workgroup_id_y 0
		.amdhsa_system_sgpr_workgroup_id_z 0
		.amdhsa_system_sgpr_workgroup_info 0
		.amdhsa_system_vgpr_workitem_id 0
		.amdhsa_next_free_vgpr 1
		.amdhsa_next_free_sgpr 0
		.amdhsa_reserve_vcc 0
		.amdhsa_reserve_flat_scratch 0
		.amdhsa_float_round_mode_32 0
		.amdhsa_float_round_mode_16_64 0
		.amdhsa_float_denorm_mode_32 3
		.amdhsa_float_denorm_mode_16_64 3
		.amdhsa_dx10_clamp 1
		.amdhsa_ieee_mode 1
		.amdhsa_fp16_overflow 0
		.amdhsa_exception_fp_ieee_invalid_op 0
		.amdhsa_exception_fp_denorm_src 0
		.amdhsa_exception_fp_ieee_div_zero 0
		.amdhsa_exception_fp_ieee_overflow 0
		.amdhsa_exception_fp_ieee_underflow 0
		.amdhsa_exception_fp_ieee_inexact 0
		.amdhsa_exception_int_div_zero 0
	.end_amdhsa_kernel
	.section	.text._ZN7rocprim17ROCPRIM_400000_NS6detail17trampoline_kernelINS0_14default_configENS1_35adjacent_difference_config_selectorILb1EyEEZNS1_24adjacent_difference_implIS3_Lb1ELb0EPyN6thrust23THRUST_200600_302600_NS16discard_iteratorINS9_11use_defaultEEENS9_5minusIyEEEE10hipError_tPvRmT2_T3_mT4_P12ihipStream_tbEUlT_E_NS1_11comp_targetILNS1_3genE9ELNS1_11target_archE1100ELNS1_3gpuE3ELNS1_3repE0EEENS1_30default_config_static_selectorELNS0_4arch9wavefront6targetE1EEEvT1_,"axG",@progbits,_ZN7rocprim17ROCPRIM_400000_NS6detail17trampoline_kernelINS0_14default_configENS1_35adjacent_difference_config_selectorILb1EyEEZNS1_24adjacent_difference_implIS3_Lb1ELb0EPyN6thrust23THRUST_200600_302600_NS16discard_iteratorINS9_11use_defaultEEENS9_5minusIyEEEE10hipError_tPvRmT2_T3_mT4_P12ihipStream_tbEUlT_E_NS1_11comp_targetILNS1_3genE9ELNS1_11target_archE1100ELNS1_3gpuE3ELNS1_3repE0EEENS1_30default_config_static_selectorELNS0_4arch9wavefront6targetE1EEEvT1_,comdat
.Lfunc_end822:
	.size	_ZN7rocprim17ROCPRIM_400000_NS6detail17trampoline_kernelINS0_14default_configENS1_35adjacent_difference_config_selectorILb1EyEEZNS1_24adjacent_difference_implIS3_Lb1ELb0EPyN6thrust23THRUST_200600_302600_NS16discard_iteratorINS9_11use_defaultEEENS9_5minusIyEEEE10hipError_tPvRmT2_T3_mT4_P12ihipStream_tbEUlT_E_NS1_11comp_targetILNS1_3genE9ELNS1_11target_archE1100ELNS1_3gpuE3ELNS1_3repE0EEENS1_30default_config_static_selectorELNS0_4arch9wavefront6targetE1EEEvT1_, .Lfunc_end822-_ZN7rocprim17ROCPRIM_400000_NS6detail17trampoline_kernelINS0_14default_configENS1_35adjacent_difference_config_selectorILb1EyEEZNS1_24adjacent_difference_implIS3_Lb1ELb0EPyN6thrust23THRUST_200600_302600_NS16discard_iteratorINS9_11use_defaultEEENS9_5minusIyEEEE10hipError_tPvRmT2_T3_mT4_P12ihipStream_tbEUlT_E_NS1_11comp_targetILNS1_3genE9ELNS1_11target_archE1100ELNS1_3gpuE3ELNS1_3repE0EEENS1_30default_config_static_selectorELNS0_4arch9wavefront6targetE1EEEvT1_
                                        ; -- End function
	.set _ZN7rocprim17ROCPRIM_400000_NS6detail17trampoline_kernelINS0_14default_configENS1_35adjacent_difference_config_selectorILb1EyEEZNS1_24adjacent_difference_implIS3_Lb1ELb0EPyN6thrust23THRUST_200600_302600_NS16discard_iteratorINS9_11use_defaultEEENS9_5minusIyEEEE10hipError_tPvRmT2_T3_mT4_P12ihipStream_tbEUlT_E_NS1_11comp_targetILNS1_3genE9ELNS1_11target_archE1100ELNS1_3gpuE3ELNS1_3repE0EEENS1_30default_config_static_selectorELNS0_4arch9wavefront6targetE1EEEvT1_.num_vgpr, 0
	.set _ZN7rocprim17ROCPRIM_400000_NS6detail17trampoline_kernelINS0_14default_configENS1_35adjacent_difference_config_selectorILb1EyEEZNS1_24adjacent_difference_implIS3_Lb1ELb0EPyN6thrust23THRUST_200600_302600_NS16discard_iteratorINS9_11use_defaultEEENS9_5minusIyEEEE10hipError_tPvRmT2_T3_mT4_P12ihipStream_tbEUlT_E_NS1_11comp_targetILNS1_3genE9ELNS1_11target_archE1100ELNS1_3gpuE3ELNS1_3repE0EEENS1_30default_config_static_selectorELNS0_4arch9wavefront6targetE1EEEvT1_.num_agpr, 0
	.set _ZN7rocprim17ROCPRIM_400000_NS6detail17trampoline_kernelINS0_14default_configENS1_35adjacent_difference_config_selectorILb1EyEEZNS1_24adjacent_difference_implIS3_Lb1ELb0EPyN6thrust23THRUST_200600_302600_NS16discard_iteratorINS9_11use_defaultEEENS9_5minusIyEEEE10hipError_tPvRmT2_T3_mT4_P12ihipStream_tbEUlT_E_NS1_11comp_targetILNS1_3genE9ELNS1_11target_archE1100ELNS1_3gpuE3ELNS1_3repE0EEENS1_30default_config_static_selectorELNS0_4arch9wavefront6targetE1EEEvT1_.numbered_sgpr, 0
	.set _ZN7rocprim17ROCPRIM_400000_NS6detail17trampoline_kernelINS0_14default_configENS1_35adjacent_difference_config_selectorILb1EyEEZNS1_24adjacent_difference_implIS3_Lb1ELb0EPyN6thrust23THRUST_200600_302600_NS16discard_iteratorINS9_11use_defaultEEENS9_5minusIyEEEE10hipError_tPvRmT2_T3_mT4_P12ihipStream_tbEUlT_E_NS1_11comp_targetILNS1_3genE9ELNS1_11target_archE1100ELNS1_3gpuE3ELNS1_3repE0EEENS1_30default_config_static_selectorELNS0_4arch9wavefront6targetE1EEEvT1_.num_named_barrier, 0
	.set _ZN7rocprim17ROCPRIM_400000_NS6detail17trampoline_kernelINS0_14default_configENS1_35adjacent_difference_config_selectorILb1EyEEZNS1_24adjacent_difference_implIS3_Lb1ELb0EPyN6thrust23THRUST_200600_302600_NS16discard_iteratorINS9_11use_defaultEEENS9_5minusIyEEEE10hipError_tPvRmT2_T3_mT4_P12ihipStream_tbEUlT_E_NS1_11comp_targetILNS1_3genE9ELNS1_11target_archE1100ELNS1_3gpuE3ELNS1_3repE0EEENS1_30default_config_static_selectorELNS0_4arch9wavefront6targetE1EEEvT1_.private_seg_size, 0
	.set _ZN7rocprim17ROCPRIM_400000_NS6detail17trampoline_kernelINS0_14default_configENS1_35adjacent_difference_config_selectorILb1EyEEZNS1_24adjacent_difference_implIS3_Lb1ELb0EPyN6thrust23THRUST_200600_302600_NS16discard_iteratorINS9_11use_defaultEEENS9_5minusIyEEEE10hipError_tPvRmT2_T3_mT4_P12ihipStream_tbEUlT_E_NS1_11comp_targetILNS1_3genE9ELNS1_11target_archE1100ELNS1_3gpuE3ELNS1_3repE0EEENS1_30default_config_static_selectorELNS0_4arch9wavefront6targetE1EEEvT1_.uses_vcc, 0
	.set _ZN7rocprim17ROCPRIM_400000_NS6detail17trampoline_kernelINS0_14default_configENS1_35adjacent_difference_config_selectorILb1EyEEZNS1_24adjacent_difference_implIS3_Lb1ELb0EPyN6thrust23THRUST_200600_302600_NS16discard_iteratorINS9_11use_defaultEEENS9_5minusIyEEEE10hipError_tPvRmT2_T3_mT4_P12ihipStream_tbEUlT_E_NS1_11comp_targetILNS1_3genE9ELNS1_11target_archE1100ELNS1_3gpuE3ELNS1_3repE0EEENS1_30default_config_static_selectorELNS0_4arch9wavefront6targetE1EEEvT1_.uses_flat_scratch, 0
	.set _ZN7rocprim17ROCPRIM_400000_NS6detail17trampoline_kernelINS0_14default_configENS1_35adjacent_difference_config_selectorILb1EyEEZNS1_24adjacent_difference_implIS3_Lb1ELb0EPyN6thrust23THRUST_200600_302600_NS16discard_iteratorINS9_11use_defaultEEENS9_5minusIyEEEE10hipError_tPvRmT2_T3_mT4_P12ihipStream_tbEUlT_E_NS1_11comp_targetILNS1_3genE9ELNS1_11target_archE1100ELNS1_3gpuE3ELNS1_3repE0EEENS1_30default_config_static_selectorELNS0_4arch9wavefront6targetE1EEEvT1_.has_dyn_sized_stack, 0
	.set _ZN7rocprim17ROCPRIM_400000_NS6detail17trampoline_kernelINS0_14default_configENS1_35adjacent_difference_config_selectorILb1EyEEZNS1_24adjacent_difference_implIS3_Lb1ELb0EPyN6thrust23THRUST_200600_302600_NS16discard_iteratorINS9_11use_defaultEEENS9_5minusIyEEEE10hipError_tPvRmT2_T3_mT4_P12ihipStream_tbEUlT_E_NS1_11comp_targetILNS1_3genE9ELNS1_11target_archE1100ELNS1_3gpuE3ELNS1_3repE0EEENS1_30default_config_static_selectorELNS0_4arch9wavefront6targetE1EEEvT1_.has_recursion, 0
	.set _ZN7rocprim17ROCPRIM_400000_NS6detail17trampoline_kernelINS0_14default_configENS1_35adjacent_difference_config_selectorILb1EyEEZNS1_24adjacent_difference_implIS3_Lb1ELb0EPyN6thrust23THRUST_200600_302600_NS16discard_iteratorINS9_11use_defaultEEENS9_5minusIyEEEE10hipError_tPvRmT2_T3_mT4_P12ihipStream_tbEUlT_E_NS1_11comp_targetILNS1_3genE9ELNS1_11target_archE1100ELNS1_3gpuE3ELNS1_3repE0EEENS1_30default_config_static_selectorELNS0_4arch9wavefront6targetE1EEEvT1_.has_indirect_call, 0
	.section	.AMDGPU.csdata,"",@progbits
; Kernel info:
; codeLenInByte = 0
; TotalNumSgprs: 4
; NumVgprs: 0
; ScratchSize: 0
; MemoryBound: 0
; FloatMode: 240
; IeeeMode: 1
; LDSByteSize: 0 bytes/workgroup (compile time only)
; SGPRBlocks: 0
; VGPRBlocks: 0
; NumSGPRsForWavesPerEU: 4
; NumVGPRsForWavesPerEU: 1
; Occupancy: 10
; WaveLimiterHint : 0
; COMPUTE_PGM_RSRC2:SCRATCH_EN: 0
; COMPUTE_PGM_RSRC2:USER_SGPR: 6
; COMPUTE_PGM_RSRC2:TRAP_HANDLER: 0
; COMPUTE_PGM_RSRC2:TGID_X_EN: 1
; COMPUTE_PGM_RSRC2:TGID_Y_EN: 0
; COMPUTE_PGM_RSRC2:TGID_Z_EN: 0
; COMPUTE_PGM_RSRC2:TIDIG_COMP_CNT: 0
	.section	.text._ZN7rocprim17ROCPRIM_400000_NS6detail17trampoline_kernelINS0_14default_configENS1_35adjacent_difference_config_selectorILb1EyEEZNS1_24adjacent_difference_implIS3_Lb1ELb0EPyN6thrust23THRUST_200600_302600_NS16discard_iteratorINS9_11use_defaultEEENS9_5minusIyEEEE10hipError_tPvRmT2_T3_mT4_P12ihipStream_tbEUlT_E_NS1_11comp_targetILNS1_3genE8ELNS1_11target_archE1030ELNS1_3gpuE2ELNS1_3repE0EEENS1_30default_config_static_selectorELNS0_4arch9wavefront6targetE1EEEvT1_,"axG",@progbits,_ZN7rocprim17ROCPRIM_400000_NS6detail17trampoline_kernelINS0_14default_configENS1_35adjacent_difference_config_selectorILb1EyEEZNS1_24adjacent_difference_implIS3_Lb1ELb0EPyN6thrust23THRUST_200600_302600_NS16discard_iteratorINS9_11use_defaultEEENS9_5minusIyEEEE10hipError_tPvRmT2_T3_mT4_P12ihipStream_tbEUlT_E_NS1_11comp_targetILNS1_3genE8ELNS1_11target_archE1030ELNS1_3gpuE2ELNS1_3repE0EEENS1_30default_config_static_selectorELNS0_4arch9wavefront6targetE1EEEvT1_,comdat
	.protected	_ZN7rocprim17ROCPRIM_400000_NS6detail17trampoline_kernelINS0_14default_configENS1_35adjacent_difference_config_selectorILb1EyEEZNS1_24adjacent_difference_implIS3_Lb1ELb0EPyN6thrust23THRUST_200600_302600_NS16discard_iteratorINS9_11use_defaultEEENS9_5minusIyEEEE10hipError_tPvRmT2_T3_mT4_P12ihipStream_tbEUlT_E_NS1_11comp_targetILNS1_3genE8ELNS1_11target_archE1030ELNS1_3gpuE2ELNS1_3repE0EEENS1_30default_config_static_selectorELNS0_4arch9wavefront6targetE1EEEvT1_ ; -- Begin function _ZN7rocprim17ROCPRIM_400000_NS6detail17trampoline_kernelINS0_14default_configENS1_35adjacent_difference_config_selectorILb1EyEEZNS1_24adjacent_difference_implIS3_Lb1ELb0EPyN6thrust23THRUST_200600_302600_NS16discard_iteratorINS9_11use_defaultEEENS9_5minusIyEEEE10hipError_tPvRmT2_T3_mT4_P12ihipStream_tbEUlT_E_NS1_11comp_targetILNS1_3genE8ELNS1_11target_archE1030ELNS1_3gpuE2ELNS1_3repE0EEENS1_30default_config_static_selectorELNS0_4arch9wavefront6targetE1EEEvT1_
	.globl	_ZN7rocprim17ROCPRIM_400000_NS6detail17trampoline_kernelINS0_14default_configENS1_35adjacent_difference_config_selectorILb1EyEEZNS1_24adjacent_difference_implIS3_Lb1ELb0EPyN6thrust23THRUST_200600_302600_NS16discard_iteratorINS9_11use_defaultEEENS9_5minusIyEEEE10hipError_tPvRmT2_T3_mT4_P12ihipStream_tbEUlT_E_NS1_11comp_targetILNS1_3genE8ELNS1_11target_archE1030ELNS1_3gpuE2ELNS1_3repE0EEENS1_30default_config_static_selectorELNS0_4arch9wavefront6targetE1EEEvT1_
	.p2align	8
	.type	_ZN7rocprim17ROCPRIM_400000_NS6detail17trampoline_kernelINS0_14default_configENS1_35adjacent_difference_config_selectorILb1EyEEZNS1_24adjacent_difference_implIS3_Lb1ELb0EPyN6thrust23THRUST_200600_302600_NS16discard_iteratorINS9_11use_defaultEEENS9_5minusIyEEEE10hipError_tPvRmT2_T3_mT4_P12ihipStream_tbEUlT_E_NS1_11comp_targetILNS1_3genE8ELNS1_11target_archE1030ELNS1_3gpuE2ELNS1_3repE0EEENS1_30default_config_static_selectorELNS0_4arch9wavefront6targetE1EEEvT1_,@function
_ZN7rocprim17ROCPRIM_400000_NS6detail17trampoline_kernelINS0_14default_configENS1_35adjacent_difference_config_selectorILb1EyEEZNS1_24adjacent_difference_implIS3_Lb1ELb0EPyN6thrust23THRUST_200600_302600_NS16discard_iteratorINS9_11use_defaultEEENS9_5minusIyEEEE10hipError_tPvRmT2_T3_mT4_P12ihipStream_tbEUlT_E_NS1_11comp_targetILNS1_3genE8ELNS1_11target_archE1030ELNS1_3gpuE2ELNS1_3repE0EEENS1_30default_config_static_selectorELNS0_4arch9wavefront6targetE1EEEvT1_: ; @_ZN7rocprim17ROCPRIM_400000_NS6detail17trampoline_kernelINS0_14default_configENS1_35adjacent_difference_config_selectorILb1EyEEZNS1_24adjacent_difference_implIS3_Lb1ELb0EPyN6thrust23THRUST_200600_302600_NS16discard_iteratorINS9_11use_defaultEEENS9_5minusIyEEEE10hipError_tPvRmT2_T3_mT4_P12ihipStream_tbEUlT_E_NS1_11comp_targetILNS1_3genE8ELNS1_11target_archE1030ELNS1_3gpuE2ELNS1_3repE0EEENS1_30default_config_static_selectorELNS0_4arch9wavefront6targetE1EEEvT1_
; %bb.0:
	.section	.rodata,"a",@progbits
	.p2align	6, 0x0
	.amdhsa_kernel _ZN7rocprim17ROCPRIM_400000_NS6detail17trampoline_kernelINS0_14default_configENS1_35adjacent_difference_config_selectorILb1EyEEZNS1_24adjacent_difference_implIS3_Lb1ELb0EPyN6thrust23THRUST_200600_302600_NS16discard_iteratorINS9_11use_defaultEEENS9_5minusIyEEEE10hipError_tPvRmT2_T3_mT4_P12ihipStream_tbEUlT_E_NS1_11comp_targetILNS1_3genE8ELNS1_11target_archE1030ELNS1_3gpuE2ELNS1_3repE0EEENS1_30default_config_static_selectorELNS0_4arch9wavefront6targetE1EEEvT1_
		.amdhsa_group_segment_fixed_size 0
		.amdhsa_private_segment_fixed_size 0
		.amdhsa_kernarg_size 64
		.amdhsa_user_sgpr_count 6
		.amdhsa_user_sgpr_private_segment_buffer 1
		.amdhsa_user_sgpr_dispatch_ptr 0
		.amdhsa_user_sgpr_queue_ptr 0
		.amdhsa_user_sgpr_kernarg_segment_ptr 1
		.amdhsa_user_sgpr_dispatch_id 0
		.amdhsa_user_sgpr_flat_scratch_init 0
		.amdhsa_user_sgpr_private_segment_size 0
		.amdhsa_uses_dynamic_stack 0
		.amdhsa_system_sgpr_private_segment_wavefront_offset 0
		.amdhsa_system_sgpr_workgroup_id_x 1
		.amdhsa_system_sgpr_workgroup_id_y 0
		.amdhsa_system_sgpr_workgroup_id_z 0
		.amdhsa_system_sgpr_workgroup_info 0
		.amdhsa_system_vgpr_workitem_id 0
		.amdhsa_next_free_vgpr 1
		.amdhsa_next_free_sgpr 0
		.amdhsa_reserve_vcc 0
		.amdhsa_reserve_flat_scratch 0
		.amdhsa_float_round_mode_32 0
		.amdhsa_float_round_mode_16_64 0
		.amdhsa_float_denorm_mode_32 3
		.amdhsa_float_denorm_mode_16_64 3
		.amdhsa_dx10_clamp 1
		.amdhsa_ieee_mode 1
		.amdhsa_fp16_overflow 0
		.amdhsa_exception_fp_ieee_invalid_op 0
		.amdhsa_exception_fp_denorm_src 0
		.amdhsa_exception_fp_ieee_div_zero 0
		.amdhsa_exception_fp_ieee_overflow 0
		.amdhsa_exception_fp_ieee_underflow 0
		.amdhsa_exception_fp_ieee_inexact 0
		.amdhsa_exception_int_div_zero 0
	.end_amdhsa_kernel
	.section	.text._ZN7rocprim17ROCPRIM_400000_NS6detail17trampoline_kernelINS0_14default_configENS1_35adjacent_difference_config_selectorILb1EyEEZNS1_24adjacent_difference_implIS3_Lb1ELb0EPyN6thrust23THRUST_200600_302600_NS16discard_iteratorINS9_11use_defaultEEENS9_5minusIyEEEE10hipError_tPvRmT2_T3_mT4_P12ihipStream_tbEUlT_E_NS1_11comp_targetILNS1_3genE8ELNS1_11target_archE1030ELNS1_3gpuE2ELNS1_3repE0EEENS1_30default_config_static_selectorELNS0_4arch9wavefront6targetE1EEEvT1_,"axG",@progbits,_ZN7rocprim17ROCPRIM_400000_NS6detail17trampoline_kernelINS0_14default_configENS1_35adjacent_difference_config_selectorILb1EyEEZNS1_24adjacent_difference_implIS3_Lb1ELb0EPyN6thrust23THRUST_200600_302600_NS16discard_iteratorINS9_11use_defaultEEENS9_5minusIyEEEE10hipError_tPvRmT2_T3_mT4_P12ihipStream_tbEUlT_E_NS1_11comp_targetILNS1_3genE8ELNS1_11target_archE1030ELNS1_3gpuE2ELNS1_3repE0EEENS1_30default_config_static_selectorELNS0_4arch9wavefront6targetE1EEEvT1_,comdat
.Lfunc_end823:
	.size	_ZN7rocprim17ROCPRIM_400000_NS6detail17trampoline_kernelINS0_14default_configENS1_35adjacent_difference_config_selectorILb1EyEEZNS1_24adjacent_difference_implIS3_Lb1ELb0EPyN6thrust23THRUST_200600_302600_NS16discard_iteratorINS9_11use_defaultEEENS9_5minusIyEEEE10hipError_tPvRmT2_T3_mT4_P12ihipStream_tbEUlT_E_NS1_11comp_targetILNS1_3genE8ELNS1_11target_archE1030ELNS1_3gpuE2ELNS1_3repE0EEENS1_30default_config_static_selectorELNS0_4arch9wavefront6targetE1EEEvT1_, .Lfunc_end823-_ZN7rocprim17ROCPRIM_400000_NS6detail17trampoline_kernelINS0_14default_configENS1_35adjacent_difference_config_selectorILb1EyEEZNS1_24adjacent_difference_implIS3_Lb1ELb0EPyN6thrust23THRUST_200600_302600_NS16discard_iteratorINS9_11use_defaultEEENS9_5minusIyEEEE10hipError_tPvRmT2_T3_mT4_P12ihipStream_tbEUlT_E_NS1_11comp_targetILNS1_3genE8ELNS1_11target_archE1030ELNS1_3gpuE2ELNS1_3repE0EEENS1_30default_config_static_selectorELNS0_4arch9wavefront6targetE1EEEvT1_
                                        ; -- End function
	.set _ZN7rocprim17ROCPRIM_400000_NS6detail17trampoline_kernelINS0_14default_configENS1_35adjacent_difference_config_selectorILb1EyEEZNS1_24adjacent_difference_implIS3_Lb1ELb0EPyN6thrust23THRUST_200600_302600_NS16discard_iteratorINS9_11use_defaultEEENS9_5minusIyEEEE10hipError_tPvRmT2_T3_mT4_P12ihipStream_tbEUlT_E_NS1_11comp_targetILNS1_3genE8ELNS1_11target_archE1030ELNS1_3gpuE2ELNS1_3repE0EEENS1_30default_config_static_selectorELNS0_4arch9wavefront6targetE1EEEvT1_.num_vgpr, 0
	.set _ZN7rocprim17ROCPRIM_400000_NS6detail17trampoline_kernelINS0_14default_configENS1_35adjacent_difference_config_selectorILb1EyEEZNS1_24adjacent_difference_implIS3_Lb1ELb0EPyN6thrust23THRUST_200600_302600_NS16discard_iteratorINS9_11use_defaultEEENS9_5minusIyEEEE10hipError_tPvRmT2_T3_mT4_P12ihipStream_tbEUlT_E_NS1_11comp_targetILNS1_3genE8ELNS1_11target_archE1030ELNS1_3gpuE2ELNS1_3repE0EEENS1_30default_config_static_selectorELNS0_4arch9wavefront6targetE1EEEvT1_.num_agpr, 0
	.set _ZN7rocprim17ROCPRIM_400000_NS6detail17trampoline_kernelINS0_14default_configENS1_35adjacent_difference_config_selectorILb1EyEEZNS1_24adjacent_difference_implIS3_Lb1ELb0EPyN6thrust23THRUST_200600_302600_NS16discard_iteratorINS9_11use_defaultEEENS9_5minusIyEEEE10hipError_tPvRmT2_T3_mT4_P12ihipStream_tbEUlT_E_NS1_11comp_targetILNS1_3genE8ELNS1_11target_archE1030ELNS1_3gpuE2ELNS1_3repE0EEENS1_30default_config_static_selectorELNS0_4arch9wavefront6targetE1EEEvT1_.numbered_sgpr, 0
	.set _ZN7rocprim17ROCPRIM_400000_NS6detail17trampoline_kernelINS0_14default_configENS1_35adjacent_difference_config_selectorILb1EyEEZNS1_24adjacent_difference_implIS3_Lb1ELb0EPyN6thrust23THRUST_200600_302600_NS16discard_iteratorINS9_11use_defaultEEENS9_5minusIyEEEE10hipError_tPvRmT2_T3_mT4_P12ihipStream_tbEUlT_E_NS1_11comp_targetILNS1_3genE8ELNS1_11target_archE1030ELNS1_3gpuE2ELNS1_3repE0EEENS1_30default_config_static_selectorELNS0_4arch9wavefront6targetE1EEEvT1_.num_named_barrier, 0
	.set _ZN7rocprim17ROCPRIM_400000_NS6detail17trampoline_kernelINS0_14default_configENS1_35adjacent_difference_config_selectorILb1EyEEZNS1_24adjacent_difference_implIS3_Lb1ELb0EPyN6thrust23THRUST_200600_302600_NS16discard_iteratorINS9_11use_defaultEEENS9_5minusIyEEEE10hipError_tPvRmT2_T3_mT4_P12ihipStream_tbEUlT_E_NS1_11comp_targetILNS1_3genE8ELNS1_11target_archE1030ELNS1_3gpuE2ELNS1_3repE0EEENS1_30default_config_static_selectorELNS0_4arch9wavefront6targetE1EEEvT1_.private_seg_size, 0
	.set _ZN7rocprim17ROCPRIM_400000_NS6detail17trampoline_kernelINS0_14default_configENS1_35adjacent_difference_config_selectorILb1EyEEZNS1_24adjacent_difference_implIS3_Lb1ELb0EPyN6thrust23THRUST_200600_302600_NS16discard_iteratorINS9_11use_defaultEEENS9_5minusIyEEEE10hipError_tPvRmT2_T3_mT4_P12ihipStream_tbEUlT_E_NS1_11comp_targetILNS1_3genE8ELNS1_11target_archE1030ELNS1_3gpuE2ELNS1_3repE0EEENS1_30default_config_static_selectorELNS0_4arch9wavefront6targetE1EEEvT1_.uses_vcc, 0
	.set _ZN7rocprim17ROCPRIM_400000_NS6detail17trampoline_kernelINS0_14default_configENS1_35adjacent_difference_config_selectorILb1EyEEZNS1_24adjacent_difference_implIS3_Lb1ELb0EPyN6thrust23THRUST_200600_302600_NS16discard_iteratorINS9_11use_defaultEEENS9_5minusIyEEEE10hipError_tPvRmT2_T3_mT4_P12ihipStream_tbEUlT_E_NS1_11comp_targetILNS1_3genE8ELNS1_11target_archE1030ELNS1_3gpuE2ELNS1_3repE0EEENS1_30default_config_static_selectorELNS0_4arch9wavefront6targetE1EEEvT1_.uses_flat_scratch, 0
	.set _ZN7rocprim17ROCPRIM_400000_NS6detail17trampoline_kernelINS0_14default_configENS1_35adjacent_difference_config_selectorILb1EyEEZNS1_24adjacent_difference_implIS3_Lb1ELb0EPyN6thrust23THRUST_200600_302600_NS16discard_iteratorINS9_11use_defaultEEENS9_5minusIyEEEE10hipError_tPvRmT2_T3_mT4_P12ihipStream_tbEUlT_E_NS1_11comp_targetILNS1_3genE8ELNS1_11target_archE1030ELNS1_3gpuE2ELNS1_3repE0EEENS1_30default_config_static_selectorELNS0_4arch9wavefront6targetE1EEEvT1_.has_dyn_sized_stack, 0
	.set _ZN7rocprim17ROCPRIM_400000_NS6detail17trampoline_kernelINS0_14default_configENS1_35adjacent_difference_config_selectorILb1EyEEZNS1_24adjacent_difference_implIS3_Lb1ELb0EPyN6thrust23THRUST_200600_302600_NS16discard_iteratorINS9_11use_defaultEEENS9_5minusIyEEEE10hipError_tPvRmT2_T3_mT4_P12ihipStream_tbEUlT_E_NS1_11comp_targetILNS1_3genE8ELNS1_11target_archE1030ELNS1_3gpuE2ELNS1_3repE0EEENS1_30default_config_static_selectorELNS0_4arch9wavefront6targetE1EEEvT1_.has_recursion, 0
	.set _ZN7rocprim17ROCPRIM_400000_NS6detail17trampoline_kernelINS0_14default_configENS1_35adjacent_difference_config_selectorILb1EyEEZNS1_24adjacent_difference_implIS3_Lb1ELb0EPyN6thrust23THRUST_200600_302600_NS16discard_iteratorINS9_11use_defaultEEENS9_5minusIyEEEE10hipError_tPvRmT2_T3_mT4_P12ihipStream_tbEUlT_E_NS1_11comp_targetILNS1_3genE8ELNS1_11target_archE1030ELNS1_3gpuE2ELNS1_3repE0EEENS1_30default_config_static_selectorELNS0_4arch9wavefront6targetE1EEEvT1_.has_indirect_call, 0
	.section	.AMDGPU.csdata,"",@progbits
; Kernel info:
; codeLenInByte = 0
; TotalNumSgprs: 4
; NumVgprs: 0
; ScratchSize: 0
; MemoryBound: 0
; FloatMode: 240
; IeeeMode: 1
; LDSByteSize: 0 bytes/workgroup (compile time only)
; SGPRBlocks: 0
; VGPRBlocks: 0
; NumSGPRsForWavesPerEU: 4
; NumVGPRsForWavesPerEU: 1
; Occupancy: 10
; WaveLimiterHint : 0
; COMPUTE_PGM_RSRC2:SCRATCH_EN: 0
; COMPUTE_PGM_RSRC2:USER_SGPR: 6
; COMPUTE_PGM_RSRC2:TRAP_HANDLER: 0
; COMPUTE_PGM_RSRC2:TGID_X_EN: 1
; COMPUTE_PGM_RSRC2:TGID_Y_EN: 0
; COMPUTE_PGM_RSRC2:TGID_Z_EN: 0
; COMPUTE_PGM_RSRC2:TIDIG_COMP_CNT: 0
	.section	.text._ZN7rocprim17ROCPRIM_400000_NS6detail17trampoline_kernelINS0_14default_configENS1_25transform_config_selectorIjLb0EEEZNS1_14transform_implILb0ES3_S5_NS0_18transform_iteratorINS0_17counting_iteratorImlEEZNS1_24adjacent_difference_implIS3_Lb1ELb0EPjN6thrust23THRUST_200600_302600_NS16discard_iteratorINSD_11use_defaultEEENSD_5minusIjEEEE10hipError_tPvRmT2_T3_mT4_P12ihipStream_tbEUlmE_jEESB_NS0_8identityIvEEEESJ_SM_SN_mSO_SQ_bEUlT_E_NS1_11comp_targetILNS1_3genE0ELNS1_11target_archE4294967295ELNS1_3gpuE0ELNS1_3repE0EEENS1_30default_config_static_selectorELNS0_4arch9wavefront6targetE1EEEvT1_,"axG",@progbits,_ZN7rocprim17ROCPRIM_400000_NS6detail17trampoline_kernelINS0_14default_configENS1_25transform_config_selectorIjLb0EEEZNS1_14transform_implILb0ES3_S5_NS0_18transform_iteratorINS0_17counting_iteratorImlEEZNS1_24adjacent_difference_implIS3_Lb1ELb0EPjN6thrust23THRUST_200600_302600_NS16discard_iteratorINSD_11use_defaultEEENSD_5minusIjEEEE10hipError_tPvRmT2_T3_mT4_P12ihipStream_tbEUlmE_jEESB_NS0_8identityIvEEEESJ_SM_SN_mSO_SQ_bEUlT_E_NS1_11comp_targetILNS1_3genE0ELNS1_11target_archE4294967295ELNS1_3gpuE0ELNS1_3repE0EEENS1_30default_config_static_selectorELNS0_4arch9wavefront6targetE1EEEvT1_,comdat
	.protected	_ZN7rocprim17ROCPRIM_400000_NS6detail17trampoline_kernelINS0_14default_configENS1_25transform_config_selectorIjLb0EEEZNS1_14transform_implILb0ES3_S5_NS0_18transform_iteratorINS0_17counting_iteratorImlEEZNS1_24adjacent_difference_implIS3_Lb1ELb0EPjN6thrust23THRUST_200600_302600_NS16discard_iteratorINSD_11use_defaultEEENSD_5minusIjEEEE10hipError_tPvRmT2_T3_mT4_P12ihipStream_tbEUlmE_jEESB_NS0_8identityIvEEEESJ_SM_SN_mSO_SQ_bEUlT_E_NS1_11comp_targetILNS1_3genE0ELNS1_11target_archE4294967295ELNS1_3gpuE0ELNS1_3repE0EEENS1_30default_config_static_selectorELNS0_4arch9wavefront6targetE1EEEvT1_ ; -- Begin function _ZN7rocprim17ROCPRIM_400000_NS6detail17trampoline_kernelINS0_14default_configENS1_25transform_config_selectorIjLb0EEEZNS1_14transform_implILb0ES3_S5_NS0_18transform_iteratorINS0_17counting_iteratorImlEEZNS1_24adjacent_difference_implIS3_Lb1ELb0EPjN6thrust23THRUST_200600_302600_NS16discard_iteratorINSD_11use_defaultEEENSD_5minusIjEEEE10hipError_tPvRmT2_T3_mT4_P12ihipStream_tbEUlmE_jEESB_NS0_8identityIvEEEESJ_SM_SN_mSO_SQ_bEUlT_E_NS1_11comp_targetILNS1_3genE0ELNS1_11target_archE4294967295ELNS1_3gpuE0ELNS1_3repE0EEENS1_30default_config_static_selectorELNS0_4arch9wavefront6targetE1EEEvT1_
	.globl	_ZN7rocprim17ROCPRIM_400000_NS6detail17trampoline_kernelINS0_14default_configENS1_25transform_config_selectorIjLb0EEEZNS1_14transform_implILb0ES3_S5_NS0_18transform_iteratorINS0_17counting_iteratorImlEEZNS1_24adjacent_difference_implIS3_Lb1ELb0EPjN6thrust23THRUST_200600_302600_NS16discard_iteratorINSD_11use_defaultEEENSD_5minusIjEEEE10hipError_tPvRmT2_T3_mT4_P12ihipStream_tbEUlmE_jEESB_NS0_8identityIvEEEESJ_SM_SN_mSO_SQ_bEUlT_E_NS1_11comp_targetILNS1_3genE0ELNS1_11target_archE4294967295ELNS1_3gpuE0ELNS1_3repE0EEENS1_30default_config_static_selectorELNS0_4arch9wavefront6targetE1EEEvT1_
	.p2align	8
	.type	_ZN7rocprim17ROCPRIM_400000_NS6detail17trampoline_kernelINS0_14default_configENS1_25transform_config_selectorIjLb0EEEZNS1_14transform_implILb0ES3_S5_NS0_18transform_iteratorINS0_17counting_iteratorImlEEZNS1_24adjacent_difference_implIS3_Lb1ELb0EPjN6thrust23THRUST_200600_302600_NS16discard_iteratorINSD_11use_defaultEEENSD_5minusIjEEEE10hipError_tPvRmT2_T3_mT4_P12ihipStream_tbEUlmE_jEESB_NS0_8identityIvEEEESJ_SM_SN_mSO_SQ_bEUlT_E_NS1_11comp_targetILNS1_3genE0ELNS1_11target_archE4294967295ELNS1_3gpuE0ELNS1_3repE0EEENS1_30default_config_static_selectorELNS0_4arch9wavefront6targetE1EEEvT1_,@function
_ZN7rocprim17ROCPRIM_400000_NS6detail17trampoline_kernelINS0_14default_configENS1_25transform_config_selectorIjLb0EEEZNS1_14transform_implILb0ES3_S5_NS0_18transform_iteratorINS0_17counting_iteratorImlEEZNS1_24adjacent_difference_implIS3_Lb1ELb0EPjN6thrust23THRUST_200600_302600_NS16discard_iteratorINSD_11use_defaultEEENSD_5minusIjEEEE10hipError_tPvRmT2_T3_mT4_P12ihipStream_tbEUlmE_jEESB_NS0_8identityIvEEEESJ_SM_SN_mSO_SQ_bEUlT_E_NS1_11comp_targetILNS1_3genE0ELNS1_11target_archE4294967295ELNS1_3gpuE0ELNS1_3repE0EEENS1_30default_config_static_selectorELNS0_4arch9wavefront6targetE1EEEvT1_: ; @_ZN7rocprim17ROCPRIM_400000_NS6detail17trampoline_kernelINS0_14default_configENS1_25transform_config_selectorIjLb0EEEZNS1_14transform_implILb0ES3_S5_NS0_18transform_iteratorINS0_17counting_iteratorImlEEZNS1_24adjacent_difference_implIS3_Lb1ELb0EPjN6thrust23THRUST_200600_302600_NS16discard_iteratorINSD_11use_defaultEEENSD_5minusIjEEEE10hipError_tPvRmT2_T3_mT4_P12ihipStream_tbEUlmE_jEESB_NS0_8identityIvEEEESJ_SM_SN_mSO_SQ_bEUlT_E_NS1_11comp_targetILNS1_3genE0ELNS1_11target_archE4294967295ELNS1_3gpuE0ELNS1_3repE0EEENS1_30default_config_static_selectorELNS0_4arch9wavefront6targetE1EEEvT1_
; %bb.0:
	.section	.rodata,"a",@progbits
	.p2align	6, 0x0
	.amdhsa_kernel _ZN7rocprim17ROCPRIM_400000_NS6detail17trampoline_kernelINS0_14default_configENS1_25transform_config_selectorIjLb0EEEZNS1_14transform_implILb0ES3_S5_NS0_18transform_iteratorINS0_17counting_iteratorImlEEZNS1_24adjacent_difference_implIS3_Lb1ELb0EPjN6thrust23THRUST_200600_302600_NS16discard_iteratorINSD_11use_defaultEEENSD_5minusIjEEEE10hipError_tPvRmT2_T3_mT4_P12ihipStream_tbEUlmE_jEESB_NS0_8identityIvEEEESJ_SM_SN_mSO_SQ_bEUlT_E_NS1_11comp_targetILNS1_3genE0ELNS1_11target_archE4294967295ELNS1_3gpuE0ELNS1_3repE0EEENS1_30default_config_static_selectorELNS0_4arch9wavefront6targetE1EEEvT1_
		.amdhsa_group_segment_fixed_size 0
		.amdhsa_private_segment_fixed_size 0
		.amdhsa_kernarg_size 56
		.amdhsa_user_sgpr_count 6
		.amdhsa_user_sgpr_private_segment_buffer 1
		.amdhsa_user_sgpr_dispatch_ptr 0
		.amdhsa_user_sgpr_queue_ptr 0
		.amdhsa_user_sgpr_kernarg_segment_ptr 1
		.amdhsa_user_sgpr_dispatch_id 0
		.amdhsa_user_sgpr_flat_scratch_init 0
		.amdhsa_user_sgpr_private_segment_size 0
		.amdhsa_uses_dynamic_stack 0
		.amdhsa_system_sgpr_private_segment_wavefront_offset 0
		.amdhsa_system_sgpr_workgroup_id_x 1
		.amdhsa_system_sgpr_workgroup_id_y 0
		.amdhsa_system_sgpr_workgroup_id_z 0
		.amdhsa_system_sgpr_workgroup_info 0
		.amdhsa_system_vgpr_workitem_id 0
		.amdhsa_next_free_vgpr 1
		.amdhsa_next_free_sgpr 0
		.amdhsa_reserve_vcc 0
		.amdhsa_reserve_flat_scratch 0
		.amdhsa_float_round_mode_32 0
		.amdhsa_float_round_mode_16_64 0
		.amdhsa_float_denorm_mode_32 3
		.amdhsa_float_denorm_mode_16_64 3
		.amdhsa_dx10_clamp 1
		.amdhsa_ieee_mode 1
		.amdhsa_fp16_overflow 0
		.amdhsa_exception_fp_ieee_invalid_op 0
		.amdhsa_exception_fp_denorm_src 0
		.amdhsa_exception_fp_ieee_div_zero 0
		.amdhsa_exception_fp_ieee_overflow 0
		.amdhsa_exception_fp_ieee_underflow 0
		.amdhsa_exception_fp_ieee_inexact 0
		.amdhsa_exception_int_div_zero 0
	.end_amdhsa_kernel
	.section	.text._ZN7rocprim17ROCPRIM_400000_NS6detail17trampoline_kernelINS0_14default_configENS1_25transform_config_selectorIjLb0EEEZNS1_14transform_implILb0ES3_S5_NS0_18transform_iteratorINS0_17counting_iteratorImlEEZNS1_24adjacent_difference_implIS3_Lb1ELb0EPjN6thrust23THRUST_200600_302600_NS16discard_iteratorINSD_11use_defaultEEENSD_5minusIjEEEE10hipError_tPvRmT2_T3_mT4_P12ihipStream_tbEUlmE_jEESB_NS0_8identityIvEEEESJ_SM_SN_mSO_SQ_bEUlT_E_NS1_11comp_targetILNS1_3genE0ELNS1_11target_archE4294967295ELNS1_3gpuE0ELNS1_3repE0EEENS1_30default_config_static_selectorELNS0_4arch9wavefront6targetE1EEEvT1_,"axG",@progbits,_ZN7rocprim17ROCPRIM_400000_NS6detail17trampoline_kernelINS0_14default_configENS1_25transform_config_selectorIjLb0EEEZNS1_14transform_implILb0ES3_S5_NS0_18transform_iteratorINS0_17counting_iteratorImlEEZNS1_24adjacent_difference_implIS3_Lb1ELb0EPjN6thrust23THRUST_200600_302600_NS16discard_iteratorINSD_11use_defaultEEENSD_5minusIjEEEE10hipError_tPvRmT2_T3_mT4_P12ihipStream_tbEUlmE_jEESB_NS0_8identityIvEEEESJ_SM_SN_mSO_SQ_bEUlT_E_NS1_11comp_targetILNS1_3genE0ELNS1_11target_archE4294967295ELNS1_3gpuE0ELNS1_3repE0EEENS1_30default_config_static_selectorELNS0_4arch9wavefront6targetE1EEEvT1_,comdat
.Lfunc_end824:
	.size	_ZN7rocprim17ROCPRIM_400000_NS6detail17trampoline_kernelINS0_14default_configENS1_25transform_config_selectorIjLb0EEEZNS1_14transform_implILb0ES3_S5_NS0_18transform_iteratorINS0_17counting_iteratorImlEEZNS1_24adjacent_difference_implIS3_Lb1ELb0EPjN6thrust23THRUST_200600_302600_NS16discard_iteratorINSD_11use_defaultEEENSD_5minusIjEEEE10hipError_tPvRmT2_T3_mT4_P12ihipStream_tbEUlmE_jEESB_NS0_8identityIvEEEESJ_SM_SN_mSO_SQ_bEUlT_E_NS1_11comp_targetILNS1_3genE0ELNS1_11target_archE4294967295ELNS1_3gpuE0ELNS1_3repE0EEENS1_30default_config_static_selectorELNS0_4arch9wavefront6targetE1EEEvT1_, .Lfunc_end824-_ZN7rocprim17ROCPRIM_400000_NS6detail17trampoline_kernelINS0_14default_configENS1_25transform_config_selectorIjLb0EEEZNS1_14transform_implILb0ES3_S5_NS0_18transform_iteratorINS0_17counting_iteratorImlEEZNS1_24adjacent_difference_implIS3_Lb1ELb0EPjN6thrust23THRUST_200600_302600_NS16discard_iteratorINSD_11use_defaultEEENSD_5minusIjEEEE10hipError_tPvRmT2_T3_mT4_P12ihipStream_tbEUlmE_jEESB_NS0_8identityIvEEEESJ_SM_SN_mSO_SQ_bEUlT_E_NS1_11comp_targetILNS1_3genE0ELNS1_11target_archE4294967295ELNS1_3gpuE0ELNS1_3repE0EEENS1_30default_config_static_selectorELNS0_4arch9wavefront6targetE1EEEvT1_
                                        ; -- End function
	.set _ZN7rocprim17ROCPRIM_400000_NS6detail17trampoline_kernelINS0_14default_configENS1_25transform_config_selectorIjLb0EEEZNS1_14transform_implILb0ES3_S5_NS0_18transform_iteratorINS0_17counting_iteratorImlEEZNS1_24adjacent_difference_implIS3_Lb1ELb0EPjN6thrust23THRUST_200600_302600_NS16discard_iteratorINSD_11use_defaultEEENSD_5minusIjEEEE10hipError_tPvRmT2_T3_mT4_P12ihipStream_tbEUlmE_jEESB_NS0_8identityIvEEEESJ_SM_SN_mSO_SQ_bEUlT_E_NS1_11comp_targetILNS1_3genE0ELNS1_11target_archE4294967295ELNS1_3gpuE0ELNS1_3repE0EEENS1_30default_config_static_selectorELNS0_4arch9wavefront6targetE1EEEvT1_.num_vgpr, 0
	.set _ZN7rocprim17ROCPRIM_400000_NS6detail17trampoline_kernelINS0_14default_configENS1_25transform_config_selectorIjLb0EEEZNS1_14transform_implILb0ES3_S5_NS0_18transform_iteratorINS0_17counting_iteratorImlEEZNS1_24adjacent_difference_implIS3_Lb1ELb0EPjN6thrust23THRUST_200600_302600_NS16discard_iteratorINSD_11use_defaultEEENSD_5minusIjEEEE10hipError_tPvRmT2_T3_mT4_P12ihipStream_tbEUlmE_jEESB_NS0_8identityIvEEEESJ_SM_SN_mSO_SQ_bEUlT_E_NS1_11comp_targetILNS1_3genE0ELNS1_11target_archE4294967295ELNS1_3gpuE0ELNS1_3repE0EEENS1_30default_config_static_selectorELNS0_4arch9wavefront6targetE1EEEvT1_.num_agpr, 0
	.set _ZN7rocprim17ROCPRIM_400000_NS6detail17trampoline_kernelINS0_14default_configENS1_25transform_config_selectorIjLb0EEEZNS1_14transform_implILb0ES3_S5_NS0_18transform_iteratorINS0_17counting_iteratorImlEEZNS1_24adjacent_difference_implIS3_Lb1ELb0EPjN6thrust23THRUST_200600_302600_NS16discard_iteratorINSD_11use_defaultEEENSD_5minusIjEEEE10hipError_tPvRmT2_T3_mT4_P12ihipStream_tbEUlmE_jEESB_NS0_8identityIvEEEESJ_SM_SN_mSO_SQ_bEUlT_E_NS1_11comp_targetILNS1_3genE0ELNS1_11target_archE4294967295ELNS1_3gpuE0ELNS1_3repE0EEENS1_30default_config_static_selectorELNS0_4arch9wavefront6targetE1EEEvT1_.numbered_sgpr, 0
	.set _ZN7rocprim17ROCPRIM_400000_NS6detail17trampoline_kernelINS0_14default_configENS1_25transform_config_selectorIjLb0EEEZNS1_14transform_implILb0ES3_S5_NS0_18transform_iteratorINS0_17counting_iteratorImlEEZNS1_24adjacent_difference_implIS3_Lb1ELb0EPjN6thrust23THRUST_200600_302600_NS16discard_iteratorINSD_11use_defaultEEENSD_5minusIjEEEE10hipError_tPvRmT2_T3_mT4_P12ihipStream_tbEUlmE_jEESB_NS0_8identityIvEEEESJ_SM_SN_mSO_SQ_bEUlT_E_NS1_11comp_targetILNS1_3genE0ELNS1_11target_archE4294967295ELNS1_3gpuE0ELNS1_3repE0EEENS1_30default_config_static_selectorELNS0_4arch9wavefront6targetE1EEEvT1_.num_named_barrier, 0
	.set _ZN7rocprim17ROCPRIM_400000_NS6detail17trampoline_kernelINS0_14default_configENS1_25transform_config_selectorIjLb0EEEZNS1_14transform_implILb0ES3_S5_NS0_18transform_iteratorINS0_17counting_iteratorImlEEZNS1_24adjacent_difference_implIS3_Lb1ELb0EPjN6thrust23THRUST_200600_302600_NS16discard_iteratorINSD_11use_defaultEEENSD_5minusIjEEEE10hipError_tPvRmT2_T3_mT4_P12ihipStream_tbEUlmE_jEESB_NS0_8identityIvEEEESJ_SM_SN_mSO_SQ_bEUlT_E_NS1_11comp_targetILNS1_3genE0ELNS1_11target_archE4294967295ELNS1_3gpuE0ELNS1_3repE0EEENS1_30default_config_static_selectorELNS0_4arch9wavefront6targetE1EEEvT1_.private_seg_size, 0
	.set _ZN7rocprim17ROCPRIM_400000_NS6detail17trampoline_kernelINS0_14default_configENS1_25transform_config_selectorIjLb0EEEZNS1_14transform_implILb0ES3_S5_NS0_18transform_iteratorINS0_17counting_iteratorImlEEZNS1_24adjacent_difference_implIS3_Lb1ELb0EPjN6thrust23THRUST_200600_302600_NS16discard_iteratorINSD_11use_defaultEEENSD_5minusIjEEEE10hipError_tPvRmT2_T3_mT4_P12ihipStream_tbEUlmE_jEESB_NS0_8identityIvEEEESJ_SM_SN_mSO_SQ_bEUlT_E_NS1_11comp_targetILNS1_3genE0ELNS1_11target_archE4294967295ELNS1_3gpuE0ELNS1_3repE0EEENS1_30default_config_static_selectorELNS0_4arch9wavefront6targetE1EEEvT1_.uses_vcc, 0
	.set _ZN7rocprim17ROCPRIM_400000_NS6detail17trampoline_kernelINS0_14default_configENS1_25transform_config_selectorIjLb0EEEZNS1_14transform_implILb0ES3_S5_NS0_18transform_iteratorINS0_17counting_iteratorImlEEZNS1_24adjacent_difference_implIS3_Lb1ELb0EPjN6thrust23THRUST_200600_302600_NS16discard_iteratorINSD_11use_defaultEEENSD_5minusIjEEEE10hipError_tPvRmT2_T3_mT4_P12ihipStream_tbEUlmE_jEESB_NS0_8identityIvEEEESJ_SM_SN_mSO_SQ_bEUlT_E_NS1_11comp_targetILNS1_3genE0ELNS1_11target_archE4294967295ELNS1_3gpuE0ELNS1_3repE0EEENS1_30default_config_static_selectorELNS0_4arch9wavefront6targetE1EEEvT1_.uses_flat_scratch, 0
	.set _ZN7rocprim17ROCPRIM_400000_NS6detail17trampoline_kernelINS0_14default_configENS1_25transform_config_selectorIjLb0EEEZNS1_14transform_implILb0ES3_S5_NS0_18transform_iteratorINS0_17counting_iteratorImlEEZNS1_24adjacent_difference_implIS3_Lb1ELb0EPjN6thrust23THRUST_200600_302600_NS16discard_iteratorINSD_11use_defaultEEENSD_5minusIjEEEE10hipError_tPvRmT2_T3_mT4_P12ihipStream_tbEUlmE_jEESB_NS0_8identityIvEEEESJ_SM_SN_mSO_SQ_bEUlT_E_NS1_11comp_targetILNS1_3genE0ELNS1_11target_archE4294967295ELNS1_3gpuE0ELNS1_3repE0EEENS1_30default_config_static_selectorELNS0_4arch9wavefront6targetE1EEEvT1_.has_dyn_sized_stack, 0
	.set _ZN7rocprim17ROCPRIM_400000_NS6detail17trampoline_kernelINS0_14default_configENS1_25transform_config_selectorIjLb0EEEZNS1_14transform_implILb0ES3_S5_NS0_18transform_iteratorINS0_17counting_iteratorImlEEZNS1_24adjacent_difference_implIS3_Lb1ELb0EPjN6thrust23THRUST_200600_302600_NS16discard_iteratorINSD_11use_defaultEEENSD_5minusIjEEEE10hipError_tPvRmT2_T3_mT4_P12ihipStream_tbEUlmE_jEESB_NS0_8identityIvEEEESJ_SM_SN_mSO_SQ_bEUlT_E_NS1_11comp_targetILNS1_3genE0ELNS1_11target_archE4294967295ELNS1_3gpuE0ELNS1_3repE0EEENS1_30default_config_static_selectorELNS0_4arch9wavefront6targetE1EEEvT1_.has_recursion, 0
	.set _ZN7rocprim17ROCPRIM_400000_NS6detail17trampoline_kernelINS0_14default_configENS1_25transform_config_selectorIjLb0EEEZNS1_14transform_implILb0ES3_S5_NS0_18transform_iteratorINS0_17counting_iteratorImlEEZNS1_24adjacent_difference_implIS3_Lb1ELb0EPjN6thrust23THRUST_200600_302600_NS16discard_iteratorINSD_11use_defaultEEENSD_5minusIjEEEE10hipError_tPvRmT2_T3_mT4_P12ihipStream_tbEUlmE_jEESB_NS0_8identityIvEEEESJ_SM_SN_mSO_SQ_bEUlT_E_NS1_11comp_targetILNS1_3genE0ELNS1_11target_archE4294967295ELNS1_3gpuE0ELNS1_3repE0EEENS1_30default_config_static_selectorELNS0_4arch9wavefront6targetE1EEEvT1_.has_indirect_call, 0
	.section	.AMDGPU.csdata,"",@progbits
; Kernel info:
; codeLenInByte = 0
; TotalNumSgprs: 4
; NumVgprs: 0
; ScratchSize: 0
; MemoryBound: 0
; FloatMode: 240
; IeeeMode: 1
; LDSByteSize: 0 bytes/workgroup (compile time only)
; SGPRBlocks: 0
; VGPRBlocks: 0
; NumSGPRsForWavesPerEU: 4
; NumVGPRsForWavesPerEU: 1
; Occupancy: 10
; WaveLimiterHint : 0
; COMPUTE_PGM_RSRC2:SCRATCH_EN: 0
; COMPUTE_PGM_RSRC2:USER_SGPR: 6
; COMPUTE_PGM_RSRC2:TRAP_HANDLER: 0
; COMPUTE_PGM_RSRC2:TGID_X_EN: 1
; COMPUTE_PGM_RSRC2:TGID_Y_EN: 0
; COMPUTE_PGM_RSRC2:TGID_Z_EN: 0
; COMPUTE_PGM_RSRC2:TIDIG_COMP_CNT: 0
	.section	.text._ZN7rocprim17ROCPRIM_400000_NS6detail17trampoline_kernelINS0_14default_configENS1_25transform_config_selectorIjLb0EEEZNS1_14transform_implILb0ES3_S5_NS0_18transform_iteratorINS0_17counting_iteratorImlEEZNS1_24adjacent_difference_implIS3_Lb1ELb0EPjN6thrust23THRUST_200600_302600_NS16discard_iteratorINSD_11use_defaultEEENSD_5minusIjEEEE10hipError_tPvRmT2_T3_mT4_P12ihipStream_tbEUlmE_jEESB_NS0_8identityIvEEEESJ_SM_SN_mSO_SQ_bEUlT_E_NS1_11comp_targetILNS1_3genE5ELNS1_11target_archE942ELNS1_3gpuE9ELNS1_3repE0EEENS1_30default_config_static_selectorELNS0_4arch9wavefront6targetE1EEEvT1_,"axG",@progbits,_ZN7rocprim17ROCPRIM_400000_NS6detail17trampoline_kernelINS0_14default_configENS1_25transform_config_selectorIjLb0EEEZNS1_14transform_implILb0ES3_S5_NS0_18transform_iteratorINS0_17counting_iteratorImlEEZNS1_24adjacent_difference_implIS3_Lb1ELb0EPjN6thrust23THRUST_200600_302600_NS16discard_iteratorINSD_11use_defaultEEENSD_5minusIjEEEE10hipError_tPvRmT2_T3_mT4_P12ihipStream_tbEUlmE_jEESB_NS0_8identityIvEEEESJ_SM_SN_mSO_SQ_bEUlT_E_NS1_11comp_targetILNS1_3genE5ELNS1_11target_archE942ELNS1_3gpuE9ELNS1_3repE0EEENS1_30default_config_static_selectorELNS0_4arch9wavefront6targetE1EEEvT1_,comdat
	.protected	_ZN7rocprim17ROCPRIM_400000_NS6detail17trampoline_kernelINS0_14default_configENS1_25transform_config_selectorIjLb0EEEZNS1_14transform_implILb0ES3_S5_NS0_18transform_iteratorINS0_17counting_iteratorImlEEZNS1_24adjacent_difference_implIS3_Lb1ELb0EPjN6thrust23THRUST_200600_302600_NS16discard_iteratorINSD_11use_defaultEEENSD_5minusIjEEEE10hipError_tPvRmT2_T3_mT4_P12ihipStream_tbEUlmE_jEESB_NS0_8identityIvEEEESJ_SM_SN_mSO_SQ_bEUlT_E_NS1_11comp_targetILNS1_3genE5ELNS1_11target_archE942ELNS1_3gpuE9ELNS1_3repE0EEENS1_30default_config_static_selectorELNS0_4arch9wavefront6targetE1EEEvT1_ ; -- Begin function _ZN7rocprim17ROCPRIM_400000_NS6detail17trampoline_kernelINS0_14default_configENS1_25transform_config_selectorIjLb0EEEZNS1_14transform_implILb0ES3_S5_NS0_18transform_iteratorINS0_17counting_iteratorImlEEZNS1_24adjacent_difference_implIS3_Lb1ELb0EPjN6thrust23THRUST_200600_302600_NS16discard_iteratorINSD_11use_defaultEEENSD_5minusIjEEEE10hipError_tPvRmT2_T3_mT4_P12ihipStream_tbEUlmE_jEESB_NS0_8identityIvEEEESJ_SM_SN_mSO_SQ_bEUlT_E_NS1_11comp_targetILNS1_3genE5ELNS1_11target_archE942ELNS1_3gpuE9ELNS1_3repE0EEENS1_30default_config_static_selectorELNS0_4arch9wavefront6targetE1EEEvT1_
	.globl	_ZN7rocprim17ROCPRIM_400000_NS6detail17trampoline_kernelINS0_14default_configENS1_25transform_config_selectorIjLb0EEEZNS1_14transform_implILb0ES3_S5_NS0_18transform_iteratorINS0_17counting_iteratorImlEEZNS1_24adjacent_difference_implIS3_Lb1ELb0EPjN6thrust23THRUST_200600_302600_NS16discard_iteratorINSD_11use_defaultEEENSD_5minusIjEEEE10hipError_tPvRmT2_T3_mT4_P12ihipStream_tbEUlmE_jEESB_NS0_8identityIvEEEESJ_SM_SN_mSO_SQ_bEUlT_E_NS1_11comp_targetILNS1_3genE5ELNS1_11target_archE942ELNS1_3gpuE9ELNS1_3repE0EEENS1_30default_config_static_selectorELNS0_4arch9wavefront6targetE1EEEvT1_
	.p2align	8
	.type	_ZN7rocprim17ROCPRIM_400000_NS6detail17trampoline_kernelINS0_14default_configENS1_25transform_config_selectorIjLb0EEEZNS1_14transform_implILb0ES3_S5_NS0_18transform_iteratorINS0_17counting_iteratorImlEEZNS1_24adjacent_difference_implIS3_Lb1ELb0EPjN6thrust23THRUST_200600_302600_NS16discard_iteratorINSD_11use_defaultEEENSD_5minusIjEEEE10hipError_tPvRmT2_T3_mT4_P12ihipStream_tbEUlmE_jEESB_NS0_8identityIvEEEESJ_SM_SN_mSO_SQ_bEUlT_E_NS1_11comp_targetILNS1_3genE5ELNS1_11target_archE942ELNS1_3gpuE9ELNS1_3repE0EEENS1_30default_config_static_selectorELNS0_4arch9wavefront6targetE1EEEvT1_,@function
_ZN7rocprim17ROCPRIM_400000_NS6detail17trampoline_kernelINS0_14default_configENS1_25transform_config_selectorIjLb0EEEZNS1_14transform_implILb0ES3_S5_NS0_18transform_iteratorINS0_17counting_iteratorImlEEZNS1_24adjacent_difference_implIS3_Lb1ELb0EPjN6thrust23THRUST_200600_302600_NS16discard_iteratorINSD_11use_defaultEEENSD_5minusIjEEEE10hipError_tPvRmT2_T3_mT4_P12ihipStream_tbEUlmE_jEESB_NS0_8identityIvEEEESJ_SM_SN_mSO_SQ_bEUlT_E_NS1_11comp_targetILNS1_3genE5ELNS1_11target_archE942ELNS1_3gpuE9ELNS1_3repE0EEENS1_30default_config_static_selectorELNS0_4arch9wavefront6targetE1EEEvT1_: ; @_ZN7rocprim17ROCPRIM_400000_NS6detail17trampoline_kernelINS0_14default_configENS1_25transform_config_selectorIjLb0EEEZNS1_14transform_implILb0ES3_S5_NS0_18transform_iteratorINS0_17counting_iteratorImlEEZNS1_24adjacent_difference_implIS3_Lb1ELb0EPjN6thrust23THRUST_200600_302600_NS16discard_iteratorINSD_11use_defaultEEENSD_5minusIjEEEE10hipError_tPvRmT2_T3_mT4_P12ihipStream_tbEUlmE_jEESB_NS0_8identityIvEEEESJ_SM_SN_mSO_SQ_bEUlT_E_NS1_11comp_targetILNS1_3genE5ELNS1_11target_archE942ELNS1_3gpuE9ELNS1_3repE0EEENS1_30default_config_static_selectorELNS0_4arch9wavefront6targetE1EEEvT1_
; %bb.0:
	.section	.rodata,"a",@progbits
	.p2align	6, 0x0
	.amdhsa_kernel _ZN7rocprim17ROCPRIM_400000_NS6detail17trampoline_kernelINS0_14default_configENS1_25transform_config_selectorIjLb0EEEZNS1_14transform_implILb0ES3_S5_NS0_18transform_iteratorINS0_17counting_iteratorImlEEZNS1_24adjacent_difference_implIS3_Lb1ELb0EPjN6thrust23THRUST_200600_302600_NS16discard_iteratorINSD_11use_defaultEEENSD_5minusIjEEEE10hipError_tPvRmT2_T3_mT4_P12ihipStream_tbEUlmE_jEESB_NS0_8identityIvEEEESJ_SM_SN_mSO_SQ_bEUlT_E_NS1_11comp_targetILNS1_3genE5ELNS1_11target_archE942ELNS1_3gpuE9ELNS1_3repE0EEENS1_30default_config_static_selectorELNS0_4arch9wavefront6targetE1EEEvT1_
		.amdhsa_group_segment_fixed_size 0
		.amdhsa_private_segment_fixed_size 0
		.amdhsa_kernarg_size 56
		.amdhsa_user_sgpr_count 6
		.amdhsa_user_sgpr_private_segment_buffer 1
		.amdhsa_user_sgpr_dispatch_ptr 0
		.amdhsa_user_sgpr_queue_ptr 0
		.amdhsa_user_sgpr_kernarg_segment_ptr 1
		.amdhsa_user_sgpr_dispatch_id 0
		.amdhsa_user_sgpr_flat_scratch_init 0
		.amdhsa_user_sgpr_private_segment_size 0
		.amdhsa_uses_dynamic_stack 0
		.amdhsa_system_sgpr_private_segment_wavefront_offset 0
		.amdhsa_system_sgpr_workgroup_id_x 1
		.amdhsa_system_sgpr_workgroup_id_y 0
		.amdhsa_system_sgpr_workgroup_id_z 0
		.amdhsa_system_sgpr_workgroup_info 0
		.amdhsa_system_vgpr_workitem_id 0
		.amdhsa_next_free_vgpr 1
		.amdhsa_next_free_sgpr 0
		.amdhsa_reserve_vcc 0
		.amdhsa_reserve_flat_scratch 0
		.amdhsa_float_round_mode_32 0
		.amdhsa_float_round_mode_16_64 0
		.amdhsa_float_denorm_mode_32 3
		.amdhsa_float_denorm_mode_16_64 3
		.amdhsa_dx10_clamp 1
		.amdhsa_ieee_mode 1
		.amdhsa_fp16_overflow 0
		.amdhsa_exception_fp_ieee_invalid_op 0
		.amdhsa_exception_fp_denorm_src 0
		.amdhsa_exception_fp_ieee_div_zero 0
		.amdhsa_exception_fp_ieee_overflow 0
		.amdhsa_exception_fp_ieee_underflow 0
		.amdhsa_exception_fp_ieee_inexact 0
		.amdhsa_exception_int_div_zero 0
	.end_amdhsa_kernel
	.section	.text._ZN7rocprim17ROCPRIM_400000_NS6detail17trampoline_kernelINS0_14default_configENS1_25transform_config_selectorIjLb0EEEZNS1_14transform_implILb0ES3_S5_NS0_18transform_iteratorINS0_17counting_iteratorImlEEZNS1_24adjacent_difference_implIS3_Lb1ELb0EPjN6thrust23THRUST_200600_302600_NS16discard_iteratorINSD_11use_defaultEEENSD_5minusIjEEEE10hipError_tPvRmT2_T3_mT4_P12ihipStream_tbEUlmE_jEESB_NS0_8identityIvEEEESJ_SM_SN_mSO_SQ_bEUlT_E_NS1_11comp_targetILNS1_3genE5ELNS1_11target_archE942ELNS1_3gpuE9ELNS1_3repE0EEENS1_30default_config_static_selectorELNS0_4arch9wavefront6targetE1EEEvT1_,"axG",@progbits,_ZN7rocprim17ROCPRIM_400000_NS6detail17trampoline_kernelINS0_14default_configENS1_25transform_config_selectorIjLb0EEEZNS1_14transform_implILb0ES3_S5_NS0_18transform_iteratorINS0_17counting_iteratorImlEEZNS1_24adjacent_difference_implIS3_Lb1ELb0EPjN6thrust23THRUST_200600_302600_NS16discard_iteratorINSD_11use_defaultEEENSD_5minusIjEEEE10hipError_tPvRmT2_T3_mT4_P12ihipStream_tbEUlmE_jEESB_NS0_8identityIvEEEESJ_SM_SN_mSO_SQ_bEUlT_E_NS1_11comp_targetILNS1_3genE5ELNS1_11target_archE942ELNS1_3gpuE9ELNS1_3repE0EEENS1_30default_config_static_selectorELNS0_4arch9wavefront6targetE1EEEvT1_,comdat
.Lfunc_end825:
	.size	_ZN7rocprim17ROCPRIM_400000_NS6detail17trampoline_kernelINS0_14default_configENS1_25transform_config_selectorIjLb0EEEZNS1_14transform_implILb0ES3_S5_NS0_18transform_iteratorINS0_17counting_iteratorImlEEZNS1_24adjacent_difference_implIS3_Lb1ELb0EPjN6thrust23THRUST_200600_302600_NS16discard_iteratorINSD_11use_defaultEEENSD_5minusIjEEEE10hipError_tPvRmT2_T3_mT4_P12ihipStream_tbEUlmE_jEESB_NS0_8identityIvEEEESJ_SM_SN_mSO_SQ_bEUlT_E_NS1_11comp_targetILNS1_3genE5ELNS1_11target_archE942ELNS1_3gpuE9ELNS1_3repE0EEENS1_30default_config_static_selectorELNS0_4arch9wavefront6targetE1EEEvT1_, .Lfunc_end825-_ZN7rocprim17ROCPRIM_400000_NS6detail17trampoline_kernelINS0_14default_configENS1_25transform_config_selectorIjLb0EEEZNS1_14transform_implILb0ES3_S5_NS0_18transform_iteratorINS0_17counting_iteratorImlEEZNS1_24adjacent_difference_implIS3_Lb1ELb0EPjN6thrust23THRUST_200600_302600_NS16discard_iteratorINSD_11use_defaultEEENSD_5minusIjEEEE10hipError_tPvRmT2_T3_mT4_P12ihipStream_tbEUlmE_jEESB_NS0_8identityIvEEEESJ_SM_SN_mSO_SQ_bEUlT_E_NS1_11comp_targetILNS1_3genE5ELNS1_11target_archE942ELNS1_3gpuE9ELNS1_3repE0EEENS1_30default_config_static_selectorELNS0_4arch9wavefront6targetE1EEEvT1_
                                        ; -- End function
	.set _ZN7rocprim17ROCPRIM_400000_NS6detail17trampoline_kernelINS0_14default_configENS1_25transform_config_selectorIjLb0EEEZNS1_14transform_implILb0ES3_S5_NS0_18transform_iteratorINS0_17counting_iteratorImlEEZNS1_24adjacent_difference_implIS3_Lb1ELb0EPjN6thrust23THRUST_200600_302600_NS16discard_iteratorINSD_11use_defaultEEENSD_5minusIjEEEE10hipError_tPvRmT2_T3_mT4_P12ihipStream_tbEUlmE_jEESB_NS0_8identityIvEEEESJ_SM_SN_mSO_SQ_bEUlT_E_NS1_11comp_targetILNS1_3genE5ELNS1_11target_archE942ELNS1_3gpuE9ELNS1_3repE0EEENS1_30default_config_static_selectorELNS0_4arch9wavefront6targetE1EEEvT1_.num_vgpr, 0
	.set _ZN7rocprim17ROCPRIM_400000_NS6detail17trampoline_kernelINS0_14default_configENS1_25transform_config_selectorIjLb0EEEZNS1_14transform_implILb0ES3_S5_NS0_18transform_iteratorINS0_17counting_iteratorImlEEZNS1_24adjacent_difference_implIS3_Lb1ELb0EPjN6thrust23THRUST_200600_302600_NS16discard_iteratorINSD_11use_defaultEEENSD_5minusIjEEEE10hipError_tPvRmT2_T3_mT4_P12ihipStream_tbEUlmE_jEESB_NS0_8identityIvEEEESJ_SM_SN_mSO_SQ_bEUlT_E_NS1_11comp_targetILNS1_3genE5ELNS1_11target_archE942ELNS1_3gpuE9ELNS1_3repE0EEENS1_30default_config_static_selectorELNS0_4arch9wavefront6targetE1EEEvT1_.num_agpr, 0
	.set _ZN7rocprim17ROCPRIM_400000_NS6detail17trampoline_kernelINS0_14default_configENS1_25transform_config_selectorIjLb0EEEZNS1_14transform_implILb0ES3_S5_NS0_18transform_iteratorINS0_17counting_iteratorImlEEZNS1_24adjacent_difference_implIS3_Lb1ELb0EPjN6thrust23THRUST_200600_302600_NS16discard_iteratorINSD_11use_defaultEEENSD_5minusIjEEEE10hipError_tPvRmT2_T3_mT4_P12ihipStream_tbEUlmE_jEESB_NS0_8identityIvEEEESJ_SM_SN_mSO_SQ_bEUlT_E_NS1_11comp_targetILNS1_3genE5ELNS1_11target_archE942ELNS1_3gpuE9ELNS1_3repE0EEENS1_30default_config_static_selectorELNS0_4arch9wavefront6targetE1EEEvT1_.numbered_sgpr, 0
	.set _ZN7rocprim17ROCPRIM_400000_NS6detail17trampoline_kernelINS0_14default_configENS1_25transform_config_selectorIjLb0EEEZNS1_14transform_implILb0ES3_S5_NS0_18transform_iteratorINS0_17counting_iteratorImlEEZNS1_24adjacent_difference_implIS3_Lb1ELb0EPjN6thrust23THRUST_200600_302600_NS16discard_iteratorINSD_11use_defaultEEENSD_5minusIjEEEE10hipError_tPvRmT2_T3_mT4_P12ihipStream_tbEUlmE_jEESB_NS0_8identityIvEEEESJ_SM_SN_mSO_SQ_bEUlT_E_NS1_11comp_targetILNS1_3genE5ELNS1_11target_archE942ELNS1_3gpuE9ELNS1_3repE0EEENS1_30default_config_static_selectorELNS0_4arch9wavefront6targetE1EEEvT1_.num_named_barrier, 0
	.set _ZN7rocprim17ROCPRIM_400000_NS6detail17trampoline_kernelINS0_14default_configENS1_25transform_config_selectorIjLb0EEEZNS1_14transform_implILb0ES3_S5_NS0_18transform_iteratorINS0_17counting_iteratorImlEEZNS1_24adjacent_difference_implIS3_Lb1ELb0EPjN6thrust23THRUST_200600_302600_NS16discard_iteratorINSD_11use_defaultEEENSD_5minusIjEEEE10hipError_tPvRmT2_T3_mT4_P12ihipStream_tbEUlmE_jEESB_NS0_8identityIvEEEESJ_SM_SN_mSO_SQ_bEUlT_E_NS1_11comp_targetILNS1_3genE5ELNS1_11target_archE942ELNS1_3gpuE9ELNS1_3repE0EEENS1_30default_config_static_selectorELNS0_4arch9wavefront6targetE1EEEvT1_.private_seg_size, 0
	.set _ZN7rocprim17ROCPRIM_400000_NS6detail17trampoline_kernelINS0_14default_configENS1_25transform_config_selectorIjLb0EEEZNS1_14transform_implILb0ES3_S5_NS0_18transform_iteratorINS0_17counting_iteratorImlEEZNS1_24adjacent_difference_implIS3_Lb1ELb0EPjN6thrust23THRUST_200600_302600_NS16discard_iteratorINSD_11use_defaultEEENSD_5minusIjEEEE10hipError_tPvRmT2_T3_mT4_P12ihipStream_tbEUlmE_jEESB_NS0_8identityIvEEEESJ_SM_SN_mSO_SQ_bEUlT_E_NS1_11comp_targetILNS1_3genE5ELNS1_11target_archE942ELNS1_3gpuE9ELNS1_3repE0EEENS1_30default_config_static_selectorELNS0_4arch9wavefront6targetE1EEEvT1_.uses_vcc, 0
	.set _ZN7rocprim17ROCPRIM_400000_NS6detail17trampoline_kernelINS0_14default_configENS1_25transform_config_selectorIjLb0EEEZNS1_14transform_implILb0ES3_S5_NS0_18transform_iteratorINS0_17counting_iteratorImlEEZNS1_24adjacent_difference_implIS3_Lb1ELb0EPjN6thrust23THRUST_200600_302600_NS16discard_iteratorINSD_11use_defaultEEENSD_5minusIjEEEE10hipError_tPvRmT2_T3_mT4_P12ihipStream_tbEUlmE_jEESB_NS0_8identityIvEEEESJ_SM_SN_mSO_SQ_bEUlT_E_NS1_11comp_targetILNS1_3genE5ELNS1_11target_archE942ELNS1_3gpuE9ELNS1_3repE0EEENS1_30default_config_static_selectorELNS0_4arch9wavefront6targetE1EEEvT1_.uses_flat_scratch, 0
	.set _ZN7rocprim17ROCPRIM_400000_NS6detail17trampoline_kernelINS0_14default_configENS1_25transform_config_selectorIjLb0EEEZNS1_14transform_implILb0ES3_S5_NS0_18transform_iteratorINS0_17counting_iteratorImlEEZNS1_24adjacent_difference_implIS3_Lb1ELb0EPjN6thrust23THRUST_200600_302600_NS16discard_iteratorINSD_11use_defaultEEENSD_5minusIjEEEE10hipError_tPvRmT2_T3_mT4_P12ihipStream_tbEUlmE_jEESB_NS0_8identityIvEEEESJ_SM_SN_mSO_SQ_bEUlT_E_NS1_11comp_targetILNS1_3genE5ELNS1_11target_archE942ELNS1_3gpuE9ELNS1_3repE0EEENS1_30default_config_static_selectorELNS0_4arch9wavefront6targetE1EEEvT1_.has_dyn_sized_stack, 0
	.set _ZN7rocprim17ROCPRIM_400000_NS6detail17trampoline_kernelINS0_14default_configENS1_25transform_config_selectorIjLb0EEEZNS1_14transform_implILb0ES3_S5_NS0_18transform_iteratorINS0_17counting_iteratorImlEEZNS1_24adjacent_difference_implIS3_Lb1ELb0EPjN6thrust23THRUST_200600_302600_NS16discard_iteratorINSD_11use_defaultEEENSD_5minusIjEEEE10hipError_tPvRmT2_T3_mT4_P12ihipStream_tbEUlmE_jEESB_NS0_8identityIvEEEESJ_SM_SN_mSO_SQ_bEUlT_E_NS1_11comp_targetILNS1_3genE5ELNS1_11target_archE942ELNS1_3gpuE9ELNS1_3repE0EEENS1_30default_config_static_selectorELNS0_4arch9wavefront6targetE1EEEvT1_.has_recursion, 0
	.set _ZN7rocprim17ROCPRIM_400000_NS6detail17trampoline_kernelINS0_14default_configENS1_25transform_config_selectorIjLb0EEEZNS1_14transform_implILb0ES3_S5_NS0_18transform_iteratorINS0_17counting_iteratorImlEEZNS1_24adjacent_difference_implIS3_Lb1ELb0EPjN6thrust23THRUST_200600_302600_NS16discard_iteratorINSD_11use_defaultEEENSD_5minusIjEEEE10hipError_tPvRmT2_T3_mT4_P12ihipStream_tbEUlmE_jEESB_NS0_8identityIvEEEESJ_SM_SN_mSO_SQ_bEUlT_E_NS1_11comp_targetILNS1_3genE5ELNS1_11target_archE942ELNS1_3gpuE9ELNS1_3repE0EEENS1_30default_config_static_selectorELNS0_4arch9wavefront6targetE1EEEvT1_.has_indirect_call, 0
	.section	.AMDGPU.csdata,"",@progbits
; Kernel info:
; codeLenInByte = 0
; TotalNumSgprs: 4
; NumVgprs: 0
; ScratchSize: 0
; MemoryBound: 0
; FloatMode: 240
; IeeeMode: 1
; LDSByteSize: 0 bytes/workgroup (compile time only)
; SGPRBlocks: 0
; VGPRBlocks: 0
; NumSGPRsForWavesPerEU: 4
; NumVGPRsForWavesPerEU: 1
; Occupancy: 10
; WaveLimiterHint : 0
; COMPUTE_PGM_RSRC2:SCRATCH_EN: 0
; COMPUTE_PGM_RSRC2:USER_SGPR: 6
; COMPUTE_PGM_RSRC2:TRAP_HANDLER: 0
; COMPUTE_PGM_RSRC2:TGID_X_EN: 1
; COMPUTE_PGM_RSRC2:TGID_Y_EN: 0
; COMPUTE_PGM_RSRC2:TGID_Z_EN: 0
; COMPUTE_PGM_RSRC2:TIDIG_COMP_CNT: 0
	.section	.text._ZN7rocprim17ROCPRIM_400000_NS6detail17trampoline_kernelINS0_14default_configENS1_25transform_config_selectorIjLb0EEEZNS1_14transform_implILb0ES3_S5_NS0_18transform_iteratorINS0_17counting_iteratorImlEEZNS1_24adjacent_difference_implIS3_Lb1ELb0EPjN6thrust23THRUST_200600_302600_NS16discard_iteratorINSD_11use_defaultEEENSD_5minusIjEEEE10hipError_tPvRmT2_T3_mT4_P12ihipStream_tbEUlmE_jEESB_NS0_8identityIvEEEESJ_SM_SN_mSO_SQ_bEUlT_E_NS1_11comp_targetILNS1_3genE4ELNS1_11target_archE910ELNS1_3gpuE8ELNS1_3repE0EEENS1_30default_config_static_selectorELNS0_4arch9wavefront6targetE1EEEvT1_,"axG",@progbits,_ZN7rocprim17ROCPRIM_400000_NS6detail17trampoline_kernelINS0_14default_configENS1_25transform_config_selectorIjLb0EEEZNS1_14transform_implILb0ES3_S5_NS0_18transform_iteratorINS0_17counting_iteratorImlEEZNS1_24adjacent_difference_implIS3_Lb1ELb0EPjN6thrust23THRUST_200600_302600_NS16discard_iteratorINSD_11use_defaultEEENSD_5minusIjEEEE10hipError_tPvRmT2_T3_mT4_P12ihipStream_tbEUlmE_jEESB_NS0_8identityIvEEEESJ_SM_SN_mSO_SQ_bEUlT_E_NS1_11comp_targetILNS1_3genE4ELNS1_11target_archE910ELNS1_3gpuE8ELNS1_3repE0EEENS1_30default_config_static_selectorELNS0_4arch9wavefront6targetE1EEEvT1_,comdat
	.protected	_ZN7rocprim17ROCPRIM_400000_NS6detail17trampoline_kernelINS0_14default_configENS1_25transform_config_selectorIjLb0EEEZNS1_14transform_implILb0ES3_S5_NS0_18transform_iteratorINS0_17counting_iteratorImlEEZNS1_24adjacent_difference_implIS3_Lb1ELb0EPjN6thrust23THRUST_200600_302600_NS16discard_iteratorINSD_11use_defaultEEENSD_5minusIjEEEE10hipError_tPvRmT2_T3_mT4_P12ihipStream_tbEUlmE_jEESB_NS0_8identityIvEEEESJ_SM_SN_mSO_SQ_bEUlT_E_NS1_11comp_targetILNS1_3genE4ELNS1_11target_archE910ELNS1_3gpuE8ELNS1_3repE0EEENS1_30default_config_static_selectorELNS0_4arch9wavefront6targetE1EEEvT1_ ; -- Begin function _ZN7rocprim17ROCPRIM_400000_NS6detail17trampoline_kernelINS0_14default_configENS1_25transform_config_selectorIjLb0EEEZNS1_14transform_implILb0ES3_S5_NS0_18transform_iteratorINS0_17counting_iteratorImlEEZNS1_24adjacent_difference_implIS3_Lb1ELb0EPjN6thrust23THRUST_200600_302600_NS16discard_iteratorINSD_11use_defaultEEENSD_5minusIjEEEE10hipError_tPvRmT2_T3_mT4_P12ihipStream_tbEUlmE_jEESB_NS0_8identityIvEEEESJ_SM_SN_mSO_SQ_bEUlT_E_NS1_11comp_targetILNS1_3genE4ELNS1_11target_archE910ELNS1_3gpuE8ELNS1_3repE0EEENS1_30default_config_static_selectorELNS0_4arch9wavefront6targetE1EEEvT1_
	.globl	_ZN7rocprim17ROCPRIM_400000_NS6detail17trampoline_kernelINS0_14default_configENS1_25transform_config_selectorIjLb0EEEZNS1_14transform_implILb0ES3_S5_NS0_18transform_iteratorINS0_17counting_iteratorImlEEZNS1_24adjacent_difference_implIS3_Lb1ELb0EPjN6thrust23THRUST_200600_302600_NS16discard_iteratorINSD_11use_defaultEEENSD_5minusIjEEEE10hipError_tPvRmT2_T3_mT4_P12ihipStream_tbEUlmE_jEESB_NS0_8identityIvEEEESJ_SM_SN_mSO_SQ_bEUlT_E_NS1_11comp_targetILNS1_3genE4ELNS1_11target_archE910ELNS1_3gpuE8ELNS1_3repE0EEENS1_30default_config_static_selectorELNS0_4arch9wavefront6targetE1EEEvT1_
	.p2align	8
	.type	_ZN7rocprim17ROCPRIM_400000_NS6detail17trampoline_kernelINS0_14default_configENS1_25transform_config_selectorIjLb0EEEZNS1_14transform_implILb0ES3_S5_NS0_18transform_iteratorINS0_17counting_iteratorImlEEZNS1_24adjacent_difference_implIS3_Lb1ELb0EPjN6thrust23THRUST_200600_302600_NS16discard_iteratorINSD_11use_defaultEEENSD_5minusIjEEEE10hipError_tPvRmT2_T3_mT4_P12ihipStream_tbEUlmE_jEESB_NS0_8identityIvEEEESJ_SM_SN_mSO_SQ_bEUlT_E_NS1_11comp_targetILNS1_3genE4ELNS1_11target_archE910ELNS1_3gpuE8ELNS1_3repE0EEENS1_30default_config_static_selectorELNS0_4arch9wavefront6targetE1EEEvT1_,@function
_ZN7rocprim17ROCPRIM_400000_NS6detail17trampoline_kernelINS0_14default_configENS1_25transform_config_selectorIjLb0EEEZNS1_14transform_implILb0ES3_S5_NS0_18transform_iteratorINS0_17counting_iteratorImlEEZNS1_24adjacent_difference_implIS3_Lb1ELb0EPjN6thrust23THRUST_200600_302600_NS16discard_iteratorINSD_11use_defaultEEENSD_5minusIjEEEE10hipError_tPvRmT2_T3_mT4_P12ihipStream_tbEUlmE_jEESB_NS0_8identityIvEEEESJ_SM_SN_mSO_SQ_bEUlT_E_NS1_11comp_targetILNS1_3genE4ELNS1_11target_archE910ELNS1_3gpuE8ELNS1_3repE0EEENS1_30default_config_static_selectorELNS0_4arch9wavefront6targetE1EEEvT1_: ; @_ZN7rocprim17ROCPRIM_400000_NS6detail17trampoline_kernelINS0_14default_configENS1_25transform_config_selectorIjLb0EEEZNS1_14transform_implILb0ES3_S5_NS0_18transform_iteratorINS0_17counting_iteratorImlEEZNS1_24adjacent_difference_implIS3_Lb1ELb0EPjN6thrust23THRUST_200600_302600_NS16discard_iteratorINSD_11use_defaultEEENSD_5minusIjEEEE10hipError_tPvRmT2_T3_mT4_P12ihipStream_tbEUlmE_jEESB_NS0_8identityIvEEEESJ_SM_SN_mSO_SQ_bEUlT_E_NS1_11comp_targetILNS1_3genE4ELNS1_11target_archE910ELNS1_3gpuE8ELNS1_3repE0EEENS1_30default_config_static_selectorELNS0_4arch9wavefront6targetE1EEEvT1_
; %bb.0:
	.section	.rodata,"a",@progbits
	.p2align	6, 0x0
	.amdhsa_kernel _ZN7rocprim17ROCPRIM_400000_NS6detail17trampoline_kernelINS0_14default_configENS1_25transform_config_selectorIjLb0EEEZNS1_14transform_implILb0ES3_S5_NS0_18transform_iteratorINS0_17counting_iteratorImlEEZNS1_24adjacent_difference_implIS3_Lb1ELb0EPjN6thrust23THRUST_200600_302600_NS16discard_iteratorINSD_11use_defaultEEENSD_5minusIjEEEE10hipError_tPvRmT2_T3_mT4_P12ihipStream_tbEUlmE_jEESB_NS0_8identityIvEEEESJ_SM_SN_mSO_SQ_bEUlT_E_NS1_11comp_targetILNS1_3genE4ELNS1_11target_archE910ELNS1_3gpuE8ELNS1_3repE0EEENS1_30default_config_static_selectorELNS0_4arch9wavefront6targetE1EEEvT1_
		.amdhsa_group_segment_fixed_size 0
		.amdhsa_private_segment_fixed_size 0
		.amdhsa_kernarg_size 56
		.amdhsa_user_sgpr_count 6
		.amdhsa_user_sgpr_private_segment_buffer 1
		.amdhsa_user_sgpr_dispatch_ptr 0
		.amdhsa_user_sgpr_queue_ptr 0
		.amdhsa_user_sgpr_kernarg_segment_ptr 1
		.amdhsa_user_sgpr_dispatch_id 0
		.amdhsa_user_sgpr_flat_scratch_init 0
		.amdhsa_user_sgpr_private_segment_size 0
		.amdhsa_uses_dynamic_stack 0
		.amdhsa_system_sgpr_private_segment_wavefront_offset 0
		.amdhsa_system_sgpr_workgroup_id_x 1
		.amdhsa_system_sgpr_workgroup_id_y 0
		.amdhsa_system_sgpr_workgroup_id_z 0
		.amdhsa_system_sgpr_workgroup_info 0
		.amdhsa_system_vgpr_workitem_id 0
		.amdhsa_next_free_vgpr 1
		.amdhsa_next_free_sgpr 0
		.amdhsa_reserve_vcc 0
		.amdhsa_reserve_flat_scratch 0
		.amdhsa_float_round_mode_32 0
		.amdhsa_float_round_mode_16_64 0
		.amdhsa_float_denorm_mode_32 3
		.amdhsa_float_denorm_mode_16_64 3
		.amdhsa_dx10_clamp 1
		.amdhsa_ieee_mode 1
		.amdhsa_fp16_overflow 0
		.amdhsa_exception_fp_ieee_invalid_op 0
		.amdhsa_exception_fp_denorm_src 0
		.amdhsa_exception_fp_ieee_div_zero 0
		.amdhsa_exception_fp_ieee_overflow 0
		.amdhsa_exception_fp_ieee_underflow 0
		.amdhsa_exception_fp_ieee_inexact 0
		.amdhsa_exception_int_div_zero 0
	.end_amdhsa_kernel
	.section	.text._ZN7rocprim17ROCPRIM_400000_NS6detail17trampoline_kernelINS0_14default_configENS1_25transform_config_selectorIjLb0EEEZNS1_14transform_implILb0ES3_S5_NS0_18transform_iteratorINS0_17counting_iteratorImlEEZNS1_24adjacent_difference_implIS3_Lb1ELb0EPjN6thrust23THRUST_200600_302600_NS16discard_iteratorINSD_11use_defaultEEENSD_5minusIjEEEE10hipError_tPvRmT2_T3_mT4_P12ihipStream_tbEUlmE_jEESB_NS0_8identityIvEEEESJ_SM_SN_mSO_SQ_bEUlT_E_NS1_11comp_targetILNS1_3genE4ELNS1_11target_archE910ELNS1_3gpuE8ELNS1_3repE0EEENS1_30default_config_static_selectorELNS0_4arch9wavefront6targetE1EEEvT1_,"axG",@progbits,_ZN7rocprim17ROCPRIM_400000_NS6detail17trampoline_kernelINS0_14default_configENS1_25transform_config_selectorIjLb0EEEZNS1_14transform_implILb0ES3_S5_NS0_18transform_iteratorINS0_17counting_iteratorImlEEZNS1_24adjacent_difference_implIS3_Lb1ELb0EPjN6thrust23THRUST_200600_302600_NS16discard_iteratorINSD_11use_defaultEEENSD_5minusIjEEEE10hipError_tPvRmT2_T3_mT4_P12ihipStream_tbEUlmE_jEESB_NS0_8identityIvEEEESJ_SM_SN_mSO_SQ_bEUlT_E_NS1_11comp_targetILNS1_3genE4ELNS1_11target_archE910ELNS1_3gpuE8ELNS1_3repE0EEENS1_30default_config_static_selectorELNS0_4arch9wavefront6targetE1EEEvT1_,comdat
.Lfunc_end826:
	.size	_ZN7rocprim17ROCPRIM_400000_NS6detail17trampoline_kernelINS0_14default_configENS1_25transform_config_selectorIjLb0EEEZNS1_14transform_implILb0ES3_S5_NS0_18transform_iteratorINS0_17counting_iteratorImlEEZNS1_24adjacent_difference_implIS3_Lb1ELb0EPjN6thrust23THRUST_200600_302600_NS16discard_iteratorINSD_11use_defaultEEENSD_5minusIjEEEE10hipError_tPvRmT2_T3_mT4_P12ihipStream_tbEUlmE_jEESB_NS0_8identityIvEEEESJ_SM_SN_mSO_SQ_bEUlT_E_NS1_11comp_targetILNS1_3genE4ELNS1_11target_archE910ELNS1_3gpuE8ELNS1_3repE0EEENS1_30default_config_static_selectorELNS0_4arch9wavefront6targetE1EEEvT1_, .Lfunc_end826-_ZN7rocprim17ROCPRIM_400000_NS6detail17trampoline_kernelINS0_14default_configENS1_25transform_config_selectorIjLb0EEEZNS1_14transform_implILb0ES3_S5_NS0_18transform_iteratorINS0_17counting_iteratorImlEEZNS1_24adjacent_difference_implIS3_Lb1ELb0EPjN6thrust23THRUST_200600_302600_NS16discard_iteratorINSD_11use_defaultEEENSD_5minusIjEEEE10hipError_tPvRmT2_T3_mT4_P12ihipStream_tbEUlmE_jEESB_NS0_8identityIvEEEESJ_SM_SN_mSO_SQ_bEUlT_E_NS1_11comp_targetILNS1_3genE4ELNS1_11target_archE910ELNS1_3gpuE8ELNS1_3repE0EEENS1_30default_config_static_selectorELNS0_4arch9wavefront6targetE1EEEvT1_
                                        ; -- End function
	.set _ZN7rocprim17ROCPRIM_400000_NS6detail17trampoline_kernelINS0_14default_configENS1_25transform_config_selectorIjLb0EEEZNS1_14transform_implILb0ES3_S5_NS0_18transform_iteratorINS0_17counting_iteratorImlEEZNS1_24adjacent_difference_implIS3_Lb1ELb0EPjN6thrust23THRUST_200600_302600_NS16discard_iteratorINSD_11use_defaultEEENSD_5minusIjEEEE10hipError_tPvRmT2_T3_mT4_P12ihipStream_tbEUlmE_jEESB_NS0_8identityIvEEEESJ_SM_SN_mSO_SQ_bEUlT_E_NS1_11comp_targetILNS1_3genE4ELNS1_11target_archE910ELNS1_3gpuE8ELNS1_3repE0EEENS1_30default_config_static_selectorELNS0_4arch9wavefront6targetE1EEEvT1_.num_vgpr, 0
	.set _ZN7rocprim17ROCPRIM_400000_NS6detail17trampoline_kernelINS0_14default_configENS1_25transform_config_selectorIjLb0EEEZNS1_14transform_implILb0ES3_S5_NS0_18transform_iteratorINS0_17counting_iteratorImlEEZNS1_24adjacent_difference_implIS3_Lb1ELb0EPjN6thrust23THRUST_200600_302600_NS16discard_iteratorINSD_11use_defaultEEENSD_5minusIjEEEE10hipError_tPvRmT2_T3_mT4_P12ihipStream_tbEUlmE_jEESB_NS0_8identityIvEEEESJ_SM_SN_mSO_SQ_bEUlT_E_NS1_11comp_targetILNS1_3genE4ELNS1_11target_archE910ELNS1_3gpuE8ELNS1_3repE0EEENS1_30default_config_static_selectorELNS0_4arch9wavefront6targetE1EEEvT1_.num_agpr, 0
	.set _ZN7rocprim17ROCPRIM_400000_NS6detail17trampoline_kernelINS0_14default_configENS1_25transform_config_selectorIjLb0EEEZNS1_14transform_implILb0ES3_S5_NS0_18transform_iteratorINS0_17counting_iteratorImlEEZNS1_24adjacent_difference_implIS3_Lb1ELb0EPjN6thrust23THRUST_200600_302600_NS16discard_iteratorINSD_11use_defaultEEENSD_5minusIjEEEE10hipError_tPvRmT2_T3_mT4_P12ihipStream_tbEUlmE_jEESB_NS0_8identityIvEEEESJ_SM_SN_mSO_SQ_bEUlT_E_NS1_11comp_targetILNS1_3genE4ELNS1_11target_archE910ELNS1_3gpuE8ELNS1_3repE0EEENS1_30default_config_static_selectorELNS0_4arch9wavefront6targetE1EEEvT1_.numbered_sgpr, 0
	.set _ZN7rocprim17ROCPRIM_400000_NS6detail17trampoline_kernelINS0_14default_configENS1_25transform_config_selectorIjLb0EEEZNS1_14transform_implILb0ES3_S5_NS0_18transform_iteratorINS0_17counting_iteratorImlEEZNS1_24adjacent_difference_implIS3_Lb1ELb0EPjN6thrust23THRUST_200600_302600_NS16discard_iteratorINSD_11use_defaultEEENSD_5minusIjEEEE10hipError_tPvRmT2_T3_mT4_P12ihipStream_tbEUlmE_jEESB_NS0_8identityIvEEEESJ_SM_SN_mSO_SQ_bEUlT_E_NS1_11comp_targetILNS1_3genE4ELNS1_11target_archE910ELNS1_3gpuE8ELNS1_3repE0EEENS1_30default_config_static_selectorELNS0_4arch9wavefront6targetE1EEEvT1_.num_named_barrier, 0
	.set _ZN7rocprim17ROCPRIM_400000_NS6detail17trampoline_kernelINS0_14default_configENS1_25transform_config_selectorIjLb0EEEZNS1_14transform_implILb0ES3_S5_NS0_18transform_iteratorINS0_17counting_iteratorImlEEZNS1_24adjacent_difference_implIS3_Lb1ELb0EPjN6thrust23THRUST_200600_302600_NS16discard_iteratorINSD_11use_defaultEEENSD_5minusIjEEEE10hipError_tPvRmT2_T3_mT4_P12ihipStream_tbEUlmE_jEESB_NS0_8identityIvEEEESJ_SM_SN_mSO_SQ_bEUlT_E_NS1_11comp_targetILNS1_3genE4ELNS1_11target_archE910ELNS1_3gpuE8ELNS1_3repE0EEENS1_30default_config_static_selectorELNS0_4arch9wavefront6targetE1EEEvT1_.private_seg_size, 0
	.set _ZN7rocprim17ROCPRIM_400000_NS6detail17trampoline_kernelINS0_14default_configENS1_25transform_config_selectorIjLb0EEEZNS1_14transform_implILb0ES3_S5_NS0_18transform_iteratorINS0_17counting_iteratorImlEEZNS1_24adjacent_difference_implIS3_Lb1ELb0EPjN6thrust23THRUST_200600_302600_NS16discard_iteratorINSD_11use_defaultEEENSD_5minusIjEEEE10hipError_tPvRmT2_T3_mT4_P12ihipStream_tbEUlmE_jEESB_NS0_8identityIvEEEESJ_SM_SN_mSO_SQ_bEUlT_E_NS1_11comp_targetILNS1_3genE4ELNS1_11target_archE910ELNS1_3gpuE8ELNS1_3repE0EEENS1_30default_config_static_selectorELNS0_4arch9wavefront6targetE1EEEvT1_.uses_vcc, 0
	.set _ZN7rocprim17ROCPRIM_400000_NS6detail17trampoline_kernelINS0_14default_configENS1_25transform_config_selectorIjLb0EEEZNS1_14transform_implILb0ES3_S5_NS0_18transform_iteratorINS0_17counting_iteratorImlEEZNS1_24adjacent_difference_implIS3_Lb1ELb0EPjN6thrust23THRUST_200600_302600_NS16discard_iteratorINSD_11use_defaultEEENSD_5minusIjEEEE10hipError_tPvRmT2_T3_mT4_P12ihipStream_tbEUlmE_jEESB_NS0_8identityIvEEEESJ_SM_SN_mSO_SQ_bEUlT_E_NS1_11comp_targetILNS1_3genE4ELNS1_11target_archE910ELNS1_3gpuE8ELNS1_3repE0EEENS1_30default_config_static_selectorELNS0_4arch9wavefront6targetE1EEEvT1_.uses_flat_scratch, 0
	.set _ZN7rocprim17ROCPRIM_400000_NS6detail17trampoline_kernelINS0_14default_configENS1_25transform_config_selectorIjLb0EEEZNS1_14transform_implILb0ES3_S5_NS0_18transform_iteratorINS0_17counting_iteratorImlEEZNS1_24adjacent_difference_implIS3_Lb1ELb0EPjN6thrust23THRUST_200600_302600_NS16discard_iteratorINSD_11use_defaultEEENSD_5minusIjEEEE10hipError_tPvRmT2_T3_mT4_P12ihipStream_tbEUlmE_jEESB_NS0_8identityIvEEEESJ_SM_SN_mSO_SQ_bEUlT_E_NS1_11comp_targetILNS1_3genE4ELNS1_11target_archE910ELNS1_3gpuE8ELNS1_3repE0EEENS1_30default_config_static_selectorELNS0_4arch9wavefront6targetE1EEEvT1_.has_dyn_sized_stack, 0
	.set _ZN7rocprim17ROCPRIM_400000_NS6detail17trampoline_kernelINS0_14default_configENS1_25transform_config_selectorIjLb0EEEZNS1_14transform_implILb0ES3_S5_NS0_18transform_iteratorINS0_17counting_iteratorImlEEZNS1_24adjacent_difference_implIS3_Lb1ELb0EPjN6thrust23THRUST_200600_302600_NS16discard_iteratorINSD_11use_defaultEEENSD_5minusIjEEEE10hipError_tPvRmT2_T3_mT4_P12ihipStream_tbEUlmE_jEESB_NS0_8identityIvEEEESJ_SM_SN_mSO_SQ_bEUlT_E_NS1_11comp_targetILNS1_3genE4ELNS1_11target_archE910ELNS1_3gpuE8ELNS1_3repE0EEENS1_30default_config_static_selectorELNS0_4arch9wavefront6targetE1EEEvT1_.has_recursion, 0
	.set _ZN7rocprim17ROCPRIM_400000_NS6detail17trampoline_kernelINS0_14default_configENS1_25transform_config_selectorIjLb0EEEZNS1_14transform_implILb0ES3_S5_NS0_18transform_iteratorINS0_17counting_iteratorImlEEZNS1_24adjacent_difference_implIS3_Lb1ELb0EPjN6thrust23THRUST_200600_302600_NS16discard_iteratorINSD_11use_defaultEEENSD_5minusIjEEEE10hipError_tPvRmT2_T3_mT4_P12ihipStream_tbEUlmE_jEESB_NS0_8identityIvEEEESJ_SM_SN_mSO_SQ_bEUlT_E_NS1_11comp_targetILNS1_3genE4ELNS1_11target_archE910ELNS1_3gpuE8ELNS1_3repE0EEENS1_30default_config_static_selectorELNS0_4arch9wavefront6targetE1EEEvT1_.has_indirect_call, 0
	.section	.AMDGPU.csdata,"",@progbits
; Kernel info:
; codeLenInByte = 0
; TotalNumSgprs: 4
; NumVgprs: 0
; ScratchSize: 0
; MemoryBound: 0
; FloatMode: 240
; IeeeMode: 1
; LDSByteSize: 0 bytes/workgroup (compile time only)
; SGPRBlocks: 0
; VGPRBlocks: 0
; NumSGPRsForWavesPerEU: 4
; NumVGPRsForWavesPerEU: 1
; Occupancy: 10
; WaveLimiterHint : 0
; COMPUTE_PGM_RSRC2:SCRATCH_EN: 0
; COMPUTE_PGM_RSRC2:USER_SGPR: 6
; COMPUTE_PGM_RSRC2:TRAP_HANDLER: 0
; COMPUTE_PGM_RSRC2:TGID_X_EN: 1
; COMPUTE_PGM_RSRC2:TGID_Y_EN: 0
; COMPUTE_PGM_RSRC2:TGID_Z_EN: 0
; COMPUTE_PGM_RSRC2:TIDIG_COMP_CNT: 0
	.section	.text._ZN7rocprim17ROCPRIM_400000_NS6detail17trampoline_kernelINS0_14default_configENS1_25transform_config_selectorIjLb0EEEZNS1_14transform_implILb0ES3_S5_NS0_18transform_iteratorINS0_17counting_iteratorImlEEZNS1_24adjacent_difference_implIS3_Lb1ELb0EPjN6thrust23THRUST_200600_302600_NS16discard_iteratorINSD_11use_defaultEEENSD_5minusIjEEEE10hipError_tPvRmT2_T3_mT4_P12ihipStream_tbEUlmE_jEESB_NS0_8identityIvEEEESJ_SM_SN_mSO_SQ_bEUlT_E_NS1_11comp_targetILNS1_3genE3ELNS1_11target_archE908ELNS1_3gpuE7ELNS1_3repE0EEENS1_30default_config_static_selectorELNS0_4arch9wavefront6targetE1EEEvT1_,"axG",@progbits,_ZN7rocprim17ROCPRIM_400000_NS6detail17trampoline_kernelINS0_14default_configENS1_25transform_config_selectorIjLb0EEEZNS1_14transform_implILb0ES3_S5_NS0_18transform_iteratorINS0_17counting_iteratorImlEEZNS1_24adjacent_difference_implIS3_Lb1ELb0EPjN6thrust23THRUST_200600_302600_NS16discard_iteratorINSD_11use_defaultEEENSD_5minusIjEEEE10hipError_tPvRmT2_T3_mT4_P12ihipStream_tbEUlmE_jEESB_NS0_8identityIvEEEESJ_SM_SN_mSO_SQ_bEUlT_E_NS1_11comp_targetILNS1_3genE3ELNS1_11target_archE908ELNS1_3gpuE7ELNS1_3repE0EEENS1_30default_config_static_selectorELNS0_4arch9wavefront6targetE1EEEvT1_,comdat
	.protected	_ZN7rocprim17ROCPRIM_400000_NS6detail17trampoline_kernelINS0_14default_configENS1_25transform_config_selectorIjLb0EEEZNS1_14transform_implILb0ES3_S5_NS0_18transform_iteratorINS0_17counting_iteratorImlEEZNS1_24adjacent_difference_implIS3_Lb1ELb0EPjN6thrust23THRUST_200600_302600_NS16discard_iteratorINSD_11use_defaultEEENSD_5minusIjEEEE10hipError_tPvRmT2_T3_mT4_P12ihipStream_tbEUlmE_jEESB_NS0_8identityIvEEEESJ_SM_SN_mSO_SQ_bEUlT_E_NS1_11comp_targetILNS1_3genE3ELNS1_11target_archE908ELNS1_3gpuE7ELNS1_3repE0EEENS1_30default_config_static_selectorELNS0_4arch9wavefront6targetE1EEEvT1_ ; -- Begin function _ZN7rocprim17ROCPRIM_400000_NS6detail17trampoline_kernelINS0_14default_configENS1_25transform_config_selectorIjLb0EEEZNS1_14transform_implILb0ES3_S5_NS0_18transform_iteratorINS0_17counting_iteratorImlEEZNS1_24adjacent_difference_implIS3_Lb1ELb0EPjN6thrust23THRUST_200600_302600_NS16discard_iteratorINSD_11use_defaultEEENSD_5minusIjEEEE10hipError_tPvRmT2_T3_mT4_P12ihipStream_tbEUlmE_jEESB_NS0_8identityIvEEEESJ_SM_SN_mSO_SQ_bEUlT_E_NS1_11comp_targetILNS1_3genE3ELNS1_11target_archE908ELNS1_3gpuE7ELNS1_3repE0EEENS1_30default_config_static_selectorELNS0_4arch9wavefront6targetE1EEEvT1_
	.globl	_ZN7rocprim17ROCPRIM_400000_NS6detail17trampoline_kernelINS0_14default_configENS1_25transform_config_selectorIjLb0EEEZNS1_14transform_implILb0ES3_S5_NS0_18transform_iteratorINS0_17counting_iteratorImlEEZNS1_24adjacent_difference_implIS3_Lb1ELb0EPjN6thrust23THRUST_200600_302600_NS16discard_iteratorINSD_11use_defaultEEENSD_5minusIjEEEE10hipError_tPvRmT2_T3_mT4_P12ihipStream_tbEUlmE_jEESB_NS0_8identityIvEEEESJ_SM_SN_mSO_SQ_bEUlT_E_NS1_11comp_targetILNS1_3genE3ELNS1_11target_archE908ELNS1_3gpuE7ELNS1_3repE0EEENS1_30default_config_static_selectorELNS0_4arch9wavefront6targetE1EEEvT1_
	.p2align	8
	.type	_ZN7rocprim17ROCPRIM_400000_NS6detail17trampoline_kernelINS0_14default_configENS1_25transform_config_selectorIjLb0EEEZNS1_14transform_implILb0ES3_S5_NS0_18transform_iteratorINS0_17counting_iteratorImlEEZNS1_24adjacent_difference_implIS3_Lb1ELb0EPjN6thrust23THRUST_200600_302600_NS16discard_iteratorINSD_11use_defaultEEENSD_5minusIjEEEE10hipError_tPvRmT2_T3_mT4_P12ihipStream_tbEUlmE_jEESB_NS0_8identityIvEEEESJ_SM_SN_mSO_SQ_bEUlT_E_NS1_11comp_targetILNS1_3genE3ELNS1_11target_archE908ELNS1_3gpuE7ELNS1_3repE0EEENS1_30default_config_static_selectorELNS0_4arch9wavefront6targetE1EEEvT1_,@function
_ZN7rocprim17ROCPRIM_400000_NS6detail17trampoline_kernelINS0_14default_configENS1_25transform_config_selectorIjLb0EEEZNS1_14transform_implILb0ES3_S5_NS0_18transform_iteratorINS0_17counting_iteratorImlEEZNS1_24adjacent_difference_implIS3_Lb1ELb0EPjN6thrust23THRUST_200600_302600_NS16discard_iteratorINSD_11use_defaultEEENSD_5minusIjEEEE10hipError_tPvRmT2_T3_mT4_P12ihipStream_tbEUlmE_jEESB_NS0_8identityIvEEEESJ_SM_SN_mSO_SQ_bEUlT_E_NS1_11comp_targetILNS1_3genE3ELNS1_11target_archE908ELNS1_3gpuE7ELNS1_3repE0EEENS1_30default_config_static_selectorELNS0_4arch9wavefront6targetE1EEEvT1_: ; @_ZN7rocprim17ROCPRIM_400000_NS6detail17trampoline_kernelINS0_14default_configENS1_25transform_config_selectorIjLb0EEEZNS1_14transform_implILb0ES3_S5_NS0_18transform_iteratorINS0_17counting_iteratorImlEEZNS1_24adjacent_difference_implIS3_Lb1ELb0EPjN6thrust23THRUST_200600_302600_NS16discard_iteratorINSD_11use_defaultEEENSD_5minusIjEEEE10hipError_tPvRmT2_T3_mT4_P12ihipStream_tbEUlmE_jEESB_NS0_8identityIvEEEESJ_SM_SN_mSO_SQ_bEUlT_E_NS1_11comp_targetILNS1_3genE3ELNS1_11target_archE908ELNS1_3gpuE7ELNS1_3repE0EEENS1_30default_config_static_selectorELNS0_4arch9wavefront6targetE1EEEvT1_
; %bb.0:
	.section	.rodata,"a",@progbits
	.p2align	6, 0x0
	.amdhsa_kernel _ZN7rocprim17ROCPRIM_400000_NS6detail17trampoline_kernelINS0_14default_configENS1_25transform_config_selectorIjLb0EEEZNS1_14transform_implILb0ES3_S5_NS0_18transform_iteratorINS0_17counting_iteratorImlEEZNS1_24adjacent_difference_implIS3_Lb1ELb0EPjN6thrust23THRUST_200600_302600_NS16discard_iteratorINSD_11use_defaultEEENSD_5minusIjEEEE10hipError_tPvRmT2_T3_mT4_P12ihipStream_tbEUlmE_jEESB_NS0_8identityIvEEEESJ_SM_SN_mSO_SQ_bEUlT_E_NS1_11comp_targetILNS1_3genE3ELNS1_11target_archE908ELNS1_3gpuE7ELNS1_3repE0EEENS1_30default_config_static_selectorELNS0_4arch9wavefront6targetE1EEEvT1_
		.amdhsa_group_segment_fixed_size 0
		.amdhsa_private_segment_fixed_size 0
		.amdhsa_kernarg_size 56
		.amdhsa_user_sgpr_count 6
		.amdhsa_user_sgpr_private_segment_buffer 1
		.amdhsa_user_sgpr_dispatch_ptr 0
		.amdhsa_user_sgpr_queue_ptr 0
		.amdhsa_user_sgpr_kernarg_segment_ptr 1
		.amdhsa_user_sgpr_dispatch_id 0
		.amdhsa_user_sgpr_flat_scratch_init 0
		.amdhsa_user_sgpr_private_segment_size 0
		.amdhsa_uses_dynamic_stack 0
		.amdhsa_system_sgpr_private_segment_wavefront_offset 0
		.amdhsa_system_sgpr_workgroup_id_x 1
		.amdhsa_system_sgpr_workgroup_id_y 0
		.amdhsa_system_sgpr_workgroup_id_z 0
		.amdhsa_system_sgpr_workgroup_info 0
		.amdhsa_system_vgpr_workitem_id 0
		.amdhsa_next_free_vgpr 1
		.amdhsa_next_free_sgpr 0
		.amdhsa_reserve_vcc 0
		.amdhsa_reserve_flat_scratch 0
		.amdhsa_float_round_mode_32 0
		.amdhsa_float_round_mode_16_64 0
		.amdhsa_float_denorm_mode_32 3
		.amdhsa_float_denorm_mode_16_64 3
		.amdhsa_dx10_clamp 1
		.amdhsa_ieee_mode 1
		.amdhsa_fp16_overflow 0
		.amdhsa_exception_fp_ieee_invalid_op 0
		.amdhsa_exception_fp_denorm_src 0
		.amdhsa_exception_fp_ieee_div_zero 0
		.amdhsa_exception_fp_ieee_overflow 0
		.amdhsa_exception_fp_ieee_underflow 0
		.amdhsa_exception_fp_ieee_inexact 0
		.amdhsa_exception_int_div_zero 0
	.end_amdhsa_kernel
	.section	.text._ZN7rocprim17ROCPRIM_400000_NS6detail17trampoline_kernelINS0_14default_configENS1_25transform_config_selectorIjLb0EEEZNS1_14transform_implILb0ES3_S5_NS0_18transform_iteratorINS0_17counting_iteratorImlEEZNS1_24adjacent_difference_implIS3_Lb1ELb0EPjN6thrust23THRUST_200600_302600_NS16discard_iteratorINSD_11use_defaultEEENSD_5minusIjEEEE10hipError_tPvRmT2_T3_mT4_P12ihipStream_tbEUlmE_jEESB_NS0_8identityIvEEEESJ_SM_SN_mSO_SQ_bEUlT_E_NS1_11comp_targetILNS1_3genE3ELNS1_11target_archE908ELNS1_3gpuE7ELNS1_3repE0EEENS1_30default_config_static_selectorELNS0_4arch9wavefront6targetE1EEEvT1_,"axG",@progbits,_ZN7rocprim17ROCPRIM_400000_NS6detail17trampoline_kernelINS0_14default_configENS1_25transform_config_selectorIjLb0EEEZNS1_14transform_implILb0ES3_S5_NS0_18transform_iteratorINS0_17counting_iteratorImlEEZNS1_24adjacent_difference_implIS3_Lb1ELb0EPjN6thrust23THRUST_200600_302600_NS16discard_iteratorINSD_11use_defaultEEENSD_5minusIjEEEE10hipError_tPvRmT2_T3_mT4_P12ihipStream_tbEUlmE_jEESB_NS0_8identityIvEEEESJ_SM_SN_mSO_SQ_bEUlT_E_NS1_11comp_targetILNS1_3genE3ELNS1_11target_archE908ELNS1_3gpuE7ELNS1_3repE0EEENS1_30default_config_static_selectorELNS0_4arch9wavefront6targetE1EEEvT1_,comdat
.Lfunc_end827:
	.size	_ZN7rocprim17ROCPRIM_400000_NS6detail17trampoline_kernelINS0_14default_configENS1_25transform_config_selectorIjLb0EEEZNS1_14transform_implILb0ES3_S5_NS0_18transform_iteratorINS0_17counting_iteratorImlEEZNS1_24adjacent_difference_implIS3_Lb1ELb0EPjN6thrust23THRUST_200600_302600_NS16discard_iteratorINSD_11use_defaultEEENSD_5minusIjEEEE10hipError_tPvRmT2_T3_mT4_P12ihipStream_tbEUlmE_jEESB_NS0_8identityIvEEEESJ_SM_SN_mSO_SQ_bEUlT_E_NS1_11comp_targetILNS1_3genE3ELNS1_11target_archE908ELNS1_3gpuE7ELNS1_3repE0EEENS1_30default_config_static_selectorELNS0_4arch9wavefront6targetE1EEEvT1_, .Lfunc_end827-_ZN7rocprim17ROCPRIM_400000_NS6detail17trampoline_kernelINS0_14default_configENS1_25transform_config_selectorIjLb0EEEZNS1_14transform_implILb0ES3_S5_NS0_18transform_iteratorINS0_17counting_iteratorImlEEZNS1_24adjacent_difference_implIS3_Lb1ELb0EPjN6thrust23THRUST_200600_302600_NS16discard_iteratorINSD_11use_defaultEEENSD_5minusIjEEEE10hipError_tPvRmT2_T3_mT4_P12ihipStream_tbEUlmE_jEESB_NS0_8identityIvEEEESJ_SM_SN_mSO_SQ_bEUlT_E_NS1_11comp_targetILNS1_3genE3ELNS1_11target_archE908ELNS1_3gpuE7ELNS1_3repE0EEENS1_30default_config_static_selectorELNS0_4arch9wavefront6targetE1EEEvT1_
                                        ; -- End function
	.set _ZN7rocprim17ROCPRIM_400000_NS6detail17trampoline_kernelINS0_14default_configENS1_25transform_config_selectorIjLb0EEEZNS1_14transform_implILb0ES3_S5_NS0_18transform_iteratorINS0_17counting_iteratorImlEEZNS1_24adjacent_difference_implIS3_Lb1ELb0EPjN6thrust23THRUST_200600_302600_NS16discard_iteratorINSD_11use_defaultEEENSD_5minusIjEEEE10hipError_tPvRmT2_T3_mT4_P12ihipStream_tbEUlmE_jEESB_NS0_8identityIvEEEESJ_SM_SN_mSO_SQ_bEUlT_E_NS1_11comp_targetILNS1_3genE3ELNS1_11target_archE908ELNS1_3gpuE7ELNS1_3repE0EEENS1_30default_config_static_selectorELNS0_4arch9wavefront6targetE1EEEvT1_.num_vgpr, 0
	.set _ZN7rocprim17ROCPRIM_400000_NS6detail17trampoline_kernelINS0_14default_configENS1_25transform_config_selectorIjLb0EEEZNS1_14transform_implILb0ES3_S5_NS0_18transform_iteratorINS0_17counting_iteratorImlEEZNS1_24adjacent_difference_implIS3_Lb1ELb0EPjN6thrust23THRUST_200600_302600_NS16discard_iteratorINSD_11use_defaultEEENSD_5minusIjEEEE10hipError_tPvRmT2_T3_mT4_P12ihipStream_tbEUlmE_jEESB_NS0_8identityIvEEEESJ_SM_SN_mSO_SQ_bEUlT_E_NS1_11comp_targetILNS1_3genE3ELNS1_11target_archE908ELNS1_3gpuE7ELNS1_3repE0EEENS1_30default_config_static_selectorELNS0_4arch9wavefront6targetE1EEEvT1_.num_agpr, 0
	.set _ZN7rocprim17ROCPRIM_400000_NS6detail17trampoline_kernelINS0_14default_configENS1_25transform_config_selectorIjLb0EEEZNS1_14transform_implILb0ES3_S5_NS0_18transform_iteratorINS0_17counting_iteratorImlEEZNS1_24adjacent_difference_implIS3_Lb1ELb0EPjN6thrust23THRUST_200600_302600_NS16discard_iteratorINSD_11use_defaultEEENSD_5minusIjEEEE10hipError_tPvRmT2_T3_mT4_P12ihipStream_tbEUlmE_jEESB_NS0_8identityIvEEEESJ_SM_SN_mSO_SQ_bEUlT_E_NS1_11comp_targetILNS1_3genE3ELNS1_11target_archE908ELNS1_3gpuE7ELNS1_3repE0EEENS1_30default_config_static_selectorELNS0_4arch9wavefront6targetE1EEEvT1_.numbered_sgpr, 0
	.set _ZN7rocprim17ROCPRIM_400000_NS6detail17trampoline_kernelINS0_14default_configENS1_25transform_config_selectorIjLb0EEEZNS1_14transform_implILb0ES3_S5_NS0_18transform_iteratorINS0_17counting_iteratorImlEEZNS1_24adjacent_difference_implIS3_Lb1ELb0EPjN6thrust23THRUST_200600_302600_NS16discard_iteratorINSD_11use_defaultEEENSD_5minusIjEEEE10hipError_tPvRmT2_T3_mT4_P12ihipStream_tbEUlmE_jEESB_NS0_8identityIvEEEESJ_SM_SN_mSO_SQ_bEUlT_E_NS1_11comp_targetILNS1_3genE3ELNS1_11target_archE908ELNS1_3gpuE7ELNS1_3repE0EEENS1_30default_config_static_selectorELNS0_4arch9wavefront6targetE1EEEvT1_.num_named_barrier, 0
	.set _ZN7rocprim17ROCPRIM_400000_NS6detail17trampoline_kernelINS0_14default_configENS1_25transform_config_selectorIjLb0EEEZNS1_14transform_implILb0ES3_S5_NS0_18transform_iteratorINS0_17counting_iteratorImlEEZNS1_24adjacent_difference_implIS3_Lb1ELb0EPjN6thrust23THRUST_200600_302600_NS16discard_iteratorINSD_11use_defaultEEENSD_5minusIjEEEE10hipError_tPvRmT2_T3_mT4_P12ihipStream_tbEUlmE_jEESB_NS0_8identityIvEEEESJ_SM_SN_mSO_SQ_bEUlT_E_NS1_11comp_targetILNS1_3genE3ELNS1_11target_archE908ELNS1_3gpuE7ELNS1_3repE0EEENS1_30default_config_static_selectorELNS0_4arch9wavefront6targetE1EEEvT1_.private_seg_size, 0
	.set _ZN7rocprim17ROCPRIM_400000_NS6detail17trampoline_kernelINS0_14default_configENS1_25transform_config_selectorIjLb0EEEZNS1_14transform_implILb0ES3_S5_NS0_18transform_iteratorINS0_17counting_iteratorImlEEZNS1_24adjacent_difference_implIS3_Lb1ELb0EPjN6thrust23THRUST_200600_302600_NS16discard_iteratorINSD_11use_defaultEEENSD_5minusIjEEEE10hipError_tPvRmT2_T3_mT4_P12ihipStream_tbEUlmE_jEESB_NS0_8identityIvEEEESJ_SM_SN_mSO_SQ_bEUlT_E_NS1_11comp_targetILNS1_3genE3ELNS1_11target_archE908ELNS1_3gpuE7ELNS1_3repE0EEENS1_30default_config_static_selectorELNS0_4arch9wavefront6targetE1EEEvT1_.uses_vcc, 0
	.set _ZN7rocprim17ROCPRIM_400000_NS6detail17trampoline_kernelINS0_14default_configENS1_25transform_config_selectorIjLb0EEEZNS1_14transform_implILb0ES3_S5_NS0_18transform_iteratorINS0_17counting_iteratorImlEEZNS1_24adjacent_difference_implIS3_Lb1ELb0EPjN6thrust23THRUST_200600_302600_NS16discard_iteratorINSD_11use_defaultEEENSD_5minusIjEEEE10hipError_tPvRmT2_T3_mT4_P12ihipStream_tbEUlmE_jEESB_NS0_8identityIvEEEESJ_SM_SN_mSO_SQ_bEUlT_E_NS1_11comp_targetILNS1_3genE3ELNS1_11target_archE908ELNS1_3gpuE7ELNS1_3repE0EEENS1_30default_config_static_selectorELNS0_4arch9wavefront6targetE1EEEvT1_.uses_flat_scratch, 0
	.set _ZN7rocprim17ROCPRIM_400000_NS6detail17trampoline_kernelINS0_14default_configENS1_25transform_config_selectorIjLb0EEEZNS1_14transform_implILb0ES3_S5_NS0_18transform_iteratorINS0_17counting_iteratorImlEEZNS1_24adjacent_difference_implIS3_Lb1ELb0EPjN6thrust23THRUST_200600_302600_NS16discard_iteratorINSD_11use_defaultEEENSD_5minusIjEEEE10hipError_tPvRmT2_T3_mT4_P12ihipStream_tbEUlmE_jEESB_NS0_8identityIvEEEESJ_SM_SN_mSO_SQ_bEUlT_E_NS1_11comp_targetILNS1_3genE3ELNS1_11target_archE908ELNS1_3gpuE7ELNS1_3repE0EEENS1_30default_config_static_selectorELNS0_4arch9wavefront6targetE1EEEvT1_.has_dyn_sized_stack, 0
	.set _ZN7rocprim17ROCPRIM_400000_NS6detail17trampoline_kernelINS0_14default_configENS1_25transform_config_selectorIjLb0EEEZNS1_14transform_implILb0ES3_S5_NS0_18transform_iteratorINS0_17counting_iteratorImlEEZNS1_24adjacent_difference_implIS3_Lb1ELb0EPjN6thrust23THRUST_200600_302600_NS16discard_iteratorINSD_11use_defaultEEENSD_5minusIjEEEE10hipError_tPvRmT2_T3_mT4_P12ihipStream_tbEUlmE_jEESB_NS0_8identityIvEEEESJ_SM_SN_mSO_SQ_bEUlT_E_NS1_11comp_targetILNS1_3genE3ELNS1_11target_archE908ELNS1_3gpuE7ELNS1_3repE0EEENS1_30default_config_static_selectorELNS0_4arch9wavefront6targetE1EEEvT1_.has_recursion, 0
	.set _ZN7rocprim17ROCPRIM_400000_NS6detail17trampoline_kernelINS0_14default_configENS1_25transform_config_selectorIjLb0EEEZNS1_14transform_implILb0ES3_S5_NS0_18transform_iteratorINS0_17counting_iteratorImlEEZNS1_24adjacent_difference_implIS3_Lb1ELb0EPjN6thrust23THRUST_200600_302600_NS16discard_iteratorINSD_11use_defaultEEENSD_5minusIjEEEE10hipError_tPvRmT2_T3_mT4_P12ihipStream_tbEUlmE_jEESB_NS0_8identityIvEEEESJ_SM_SN_mSO_SQ_bEUlT_E_NS1_11comp_targetILNS1_3genE3ELNS1_11target_archE908ELNS1_3gpuE7ELNS1_3repE0EEENS1_30default_config_static_selectorELNS0_4arch9wavefront6targetE1EEEvT1_.has_indirect_call, 0
	.section	.AMDGPU.csdata,"",@progbits
; Kernel info:
; codeLenInByte = 0
; TotalNumSgprs: 4
; NumVgprs: 0
; ScratchSize: 0
; MemoryBound: 0
; FloatMode: 240
; IeeeMode: 1
; LDSByteSize: 0 bytes/workgroup (compile time only)
; SGPRBlocks: 0
; VGPRBlocks: 0
; NumSGPRsForWavesPerEU: 4
; NumVGPRsForWavesPerEU: 1
; Occupancy: 10
; WaveLimiterHint : 0
; COMPUTE_PGM_RSRC2:SCRATCH_EN: 0
; COMPUTE_PGM_RSRC2:USER_SGPR: 6
; COMPUTE_PGM_RSRC2:TRAP_HANDLER: 0
; COMPUTE_PGM_RSRC2:TGID_X_EN: 1
; COMPUTE_PGM_RSRC2:TGID_Y_EN: 0
; COMPUTE_PGM_RSRC2:TGID_Z_EN: 0
; COMPUTE_PGM_RSRC2:TIDIG_COMP_CNT: 0
	.section	.text._ZN7rocprim17ROCPRIM_400000_NS6detail17trampoline_kernelINS0_14default_configENS1_25transform_config_selectorIjLb0EEEZNS1_14transform_implILb0ES3_S5_NS0_18transform_iteratorINS0_17counting_iteratorImlEEZNS1_24adjacent_difference_implIS3_Lb1ELb0EPjN6thrust23THRUST_200600_302600_NS16discard_iteratorINSD_11use_defaultEEENSD_5minusIjEEEE10hipError_tPvRmT2_T3_mT4_P12ihipStream_tbEUlmE_jEESB_NS0_8identityIvEEEESJ_SM_SN_mSO_SQ_bEUlT_E_NS1_11comp_targetILNS1_3genE2ELNS1_11target_archE906ELNS1_3gpuE6ELNS1_3repE0EEENS1_30default_config_static_selectorELNS0_4arch9wavefront6targetE1EEEvT1_,"axG",@progbits,_ZN7rocprim17ROCPRIM_400000_NS6detail17trampoline_kernelINS0_14default_configENS1_25transform_config_selectorIjLb0EEEZNS1_14transform_implILb0ES3_S5_NS0_18transform_iteratorINS0_17counting_iteratorImlEEZNS1_24adjacent_difference_implIS3_Lb1ELb0EPjN6thrust23THRUST_200600_302600_NS16discard_iteratorINSD_11use_defaultEEENSD_5minusIjEEEE10hipError_tPvRmT2_T3_mT4_P12ihipStream_tbEUlmE_jEESB_NS0_8identityIvEEEESJ_SM_SN_mSO_SQ_bEUlT_E_NS1_11comp_targetILNS1_3genE2ELNS1_11target_archE906ELNS1_3gpuE6ELNS1_3repE0EEENS1_30default_config_static_selectorELNS0_4arch9wavefront6targetE1EEEvT1_,comdat
	.protected	_ZN7rocprim17ROCPRIM_400000_NS6detail17trampoline_kernelINS0_14default_configENS1_25transform_config_selectorIjLb0EEEZNS1_14transform_implILb0ES3_S5_NS0_18transform_iteratorINS0_17counting_iteratorImlEEZNS1_24adjacent_difference_implIS3_Lb1ELb0EPjN6thrust23THRUST_200600_302600_NS16discard_iteratorINSD_11use_defaultEEENSD_5minusIjEEEE10hipError_tPvRmT2_T3_mT4_P12ihipStream_tbEUlmE_jEESB_NS0_8identityIvEEEESJ_SM_SN_mSO_SQ_bEUlT_E_NS1_11comp_targetILNS1_3genE2ELNS1_11target_archE906ELNS1_3gpuE6ELNS1_3repE0EEENS1_30default_config_static_selectorELNS0_4arch9wavefront6targetE1EEEvT1_ ; -- Begin function _ZN7rocprim17ROCPRIM_400000_NS6detail17trampoline_kernelINS0_14default_configENS1_25transform_config_selectorIjLb0EEEZNS1_14transform_implILb0ES3_S5_NS0_18transform_iteratorINS0_17counting_iteratorImlEEZNS1_24adjacent_difference_implIS3_Lb1ELb0EPjN6thrust23THRUST_200600_302600_NS16discard_iteratorINSD_11use_defaultEEENSD_5minusIjEEEE10hipError_tPvRmT2_T3_mT4_P12ihipStream_tbEUlmE_jEESB_NS0_8identityIvEEEESJ_SM_SN_mSO_SQ_bEUlT_E_NS1_11comp_targetILNS1_3genE2ELNS1_11target_archE906ELNS1_3gpuE6ELNS1_3repE0EEENS1_30default_config_static_selectorELNS0_4arch9wavefront6targetE1EEEvT1_
	.globl	_ZN7rocprim17ROCPRIM_400000_NS6detail17trampoline_kernelINS0_14default_configENS1_25transform_config_selectorIjLb0EEEZNS1_14transform_implILb0ES3_S5_NS0_18transform_iteratorINS0_17counting_iteratorImlEEZNS1_24adjacent_difference_implIS3_Lb1ELb0EPjN6thrust23THRUST_200600_302600_NS16discard_iteratorINSD_11use_defaultEEENSD_5minusIjEEEE10hipError_tPvRmT2_T3_mT4_P12ihipStream_tbEUlmE_jEESB_NS0_8identityIvEEEESJ_SM_SN_mSO_SQ_bEUlT_E_NS1_11comp_targetILNS1_3genE2ELNS1_11target_archE906ELNS1_3gpuE6ELNS1_3repE0EEENS1_30default_config_static_selectorELNS0_4arch9wavefront6targetE1EEEvT1_
	.p2align	8
	.type	_ZN7rocprim17ROCPRIM_400000_NS6detail17trampoline_kernelINS0_14default_configENS1_25transform_config_selectorIjLb0EEEZNS1_14transform_implILb0ES3_S5_NS0_18transform_iteratorINS0_17counting_iteratorImlEEZNS1_24adjacent_difference_implIS3_Lb1ELb0EPjN6thrust23THRUST_200600_302600_NS16discard_iteratorINSD_11use_defaultEEENSD_5minusIjEEEE10hipError_tPvRmT2_T3_mT4_P12ihipStream_tbEUlmE_jEESB_NS0_8identityIvEEEESJ_SM_SN_mSO_SQ_bEUlT_E_NS1_11comp_targetILNS1_3genE2ELNS1_11target_archE906ELNS1_3gpuE6ELNS1_3repE0EEENS1_30default_config_static_selectorELNS0_4arch9wavefront6targetE1EEEvT1_,@function
_ZN7rocprim17ROCPRIM_400000_NS6detail17trampoline_kernelINS0_14default_configENS1_25transform_config_selectorIjLb0EEEZNS1_14transform_implILb0ES3_S5_NS0_18transform_iteratorINS0_17counting_iteratorImlEEZNS1_24adjacent_difference_implIS3_Lb1ELb0EPjN6thrust23THRUST_200600_302600_NS16discard_iteratorINSD_11use_defaultEEENSD_5minusIjEEEE10hipError_tPvRmT2_T3_mT4_P12ihipStream_tbEUlmE_jEESB_NS0_8identityIvEEEESJ_SM_SN_mSO_SQ_bEUlT_E_NS1_11comp_targetILNS1_3genE2ELNS1_11target_archE906ELNS1_3gpuE6ELNS1_3repE0EEENS1_30default_config_static_selectorELNS0_4arch9wavefront6targetE1EEEvT1_: ; @_ZN7rocprim17ROCPRIM_400000_NS6detail17trampoline_kernelINS0_14default_configENS1_25transform_config_selectorIjLb0EEEZNS1_14transform_implILb0ES3_S5_NS0_18transform_iteratorINS0_17counting_iteratorImlEEZNS1_24adjacent_difference_implIS3_Lb1ELb0EPjN6thrust23THRUST_200600_302600_NS16discard_iteratorINSD_11use_defaultEEENSD_5minusIjEEEE10hipError_tPvRmT2_T3_mT4_P12ihipStream_tbEUlmE_jEESB_NS0_8identityIvEEEESJ_SM_SN_mSO_SQ_bEUlT_E_NS1_11comp_targetILNS1_3genE2ELNS1_11target_archE906ELNS1_3gpuE6ELNS1_3repE0EEENS1_30default_config_static_selectorELNS0_4arch9wavefront6targetE1EEEvT1_
; %bb.0:
	s_load_dwordx4 s[0:3], s[4:5], 0x18
	s_load_dwordx2 s[14:15], s[4:5], 0x28
	s_load_dwordx4 s[8:11], s[4:5], 0x0
	s_load_dword s12, s[4:5], 0x10
	s_waitcnt lgkmcnt(0)
	s_load_dword s3, s[4:5], 0x38
                                        ; kill: killed $sgpr4_sgpr5
	s_lshl_b64 s[4:5], s[0:1], 2
	s_add_u32 s14, s14, s4
	s_addc_u32 s15, s15, s5
	s_lshl_b32 s4, s6, 11
	s_waitcnt lgkmcnt(0)
	s_add_i32 s3, s3, -1
	s_add_u32 s7, s8, s4
	s_addc_u32 s8, s9, 0
	s_add_u32 s16, s7, s0
	s_addc_u32 s17, s8, s1
	s_mov_b32 s5, 0
	s_cmp_lg_u32 s6, s3
	v_lshlrev_b32_e32 v5, 2, v0
	s_cbranch_scc0 .LBB828_2
; %bb.1:
	v_mov_b32_e32 v1, s17
	v_add_co_u32_e32 v2, vcc, s16, v0
	v_addc_co_u32_e32 v3, vcc, 0, v1, vcc
	v_mad_u64_u32 v[1:2], s[0:1], v2, s12, 0
	s_mov_b32 s13, s5
	s_lshl_b64 s[6:7], s[4:5], 2
	v_mad_u64_u32 v[2:3], s[0:1], v3, s12, v[2:3]
	v_mov_b32_e32 v3, s11
	s_lshl_b64 s[0:1], s[12:13], 12
	v_lshlrev_b64 v[1:2], 2, v[1:2]
	s_add_u32 s6, s14, s6
	v_add_co_u32_e32 v1, vcc, s10, v1
	v_addc_co_u32_e32 v2, vcc, v3, v2, vcc
	global_load_dword v6, v[1:2], off
	v_mov_b32_e32 v3, s1
	v_add_co_u32_e32 v1, vcc, s0, v1
	v_addc_co_u32_e32 v2, vcc, v2, v3, vcc
	global_load_dword v1, v[1:2], off
	s_addc_u32 s7, s15, s7
	v_mov_b32_e32 v2, s7
	v_add_co_u32_e32 v3, vcc, s6, v5
	v_addc_co_u32_e32 v4, vcc, 0, v2, vcc
	s_waitcnt vmcnt(1)
	global_store_dword v5, v6, s[6:7]
	s_mov_b64 s[6:7], -1
	s_cbranch_execz .LBB828_3
	s_branch .LBB828_12
.LBB828_2:
	s_mov_b64 s[6:7], 0
                                        ; implicit-def: $vgpr1
                                        ; implicit-def: $vgpr3_vgpr4
.LBB828_3:
	s_sub_i32 s8, s2, s4
	s_waitcnt vmcnt(1)
	v_mov_b32_e32 v1, 0
	v_cmp_gt_u32_e32 vcc, s8, v0
	v_mov_b32_e32 v2, v1
	s_and_saveexec_b64 s[2:3], vcc
	s_cbranch_execz .LBB828_5
; %bb.4:
	v_mov_b32_e32 v2, s17
	v_add_co_u32_e64 v3, s[0:1], s16, v0
	v_addc_co_u32_e64 v4, s[0:1], 0, v2, s[0:1]
	v_mad_u64_u32 v[2:3], s[0:1], v3, s12, 0
	v_mad_u64_u32 v[3:4], s[0:1], v4, s12, v[3:4]
	v_mov_b32_e32 v4, s11
	v_lshlrev_b64 v[2:3], 2, v[2:3]
	v_add_co_u32_e64 v2, s[0:1], s10, v2
	v_addc_co_u32_e64 v3, s[0:1], v4, v3, s[0:1]
	global_load_dword v2, v[2:3], off
	v_mov_b32_e32 v3, v1
	s_waitcnt vmcnt(0)
	v_mov_b32_e32 v1, v2
	v_mov_b32_e32 v2, v3
.LBB828_5:
	s_or_b64 exec, exec, s[2:3]
	v_or_b32_e32 v0, 0x400, v0
	v_cmp_gt_u32_e64 s[0:1], s8, v0
	s_and_saveexec_b64 s[8:9], s[0:1]
	s_cbranch_execz .LBB828_7
; %bb.6:
	v_mov_b32_e32 v2, s17
	v_add_co_u32_e64 v0, s[2:3], s16, v0
	v_addc_co_u32_e64 v4, s[2:3], 0, v2, s[2:3]
	v_mad_u64_u32 v[2:3], s[2:3], v0, s12, 0
	v_mov_b32_e32 v0, v3
	v_mad_u64_u32 v[3:4], s[2:3], v4, s12, v[0:1]
	v_mov_b32_e32 v0, s11
	v_lshlrev_b64 v[2:3], 2, v[2:3]
	v_add_co_u32_e64 v2, s[2:3], s10, v2
	v_addc_co_u32_e64 v3, s[2:3], v0, v3, s[2:3]
	global_load_dword v2, v[2:3], off
.LBB828_7:
	s_or_b64 exec, exec, s[8:9]
	s_lshl_b64 s[2:3], s[4:5], 2
	s_add_u32 s2, s14, s2
	s_addc_u32 s3, s15, s3
	v_cndmask_b32_e32 v0, 0, v1, vcc
	v_mov_b32_e32 v1, s3
	v_add_co_u32_e64 v3, s[2:3], s2, v5
	v_addc_co_u32_e64 v4, s[2:3], 0, v1, s[2:3]
	s_and_saveexec_b64 s[2:3], vcc
	s_cbranch_execz .LBB828_9
; %bb.8:
	global_store_dword v[3:4], v0, off
.LBB828_9:
	s_or_b64 exec, exec, s[2:3]
                                        ; implicit-def: $vgpr1
	s_and_saveexec_b64 s[2:3], s[0:1]
	s_cbranch_execz .LBB828_11
; %bb.10:
	s_waitcnt vmcnt(0)
	v_cndmask_b32_e64 v1, 0, v2, s[0:1]
	s_or_b64 s[6:7], s[6:7], exec
.LBB828_11:
	s_or_b64 exec, exec, s[2:3]
.LBB828_12:
	s_and_saveexec_b64 s[0:1], s[6:7]
	s_cbranch_execnz .LBB828_14
; %bb.13:
	s_endpgm
.LBB828_14:
	s_waitcnt vmcnt(0)
	v_add_co_u32_e32 v2, vcc, 0x1000, v3
	v_addc_co_u32_e32 v3, vcc, 0, v4, vcc
	global_store_dword v[2:3], v1, off
	s_endpgm
	.section	.rodata,"a",@progbits
	.p2align	6, 0x0
	.amdhsa_kernel _ZN7rocprim17ROCPRIM_400000_NS6detail17trampoline_kernelINS0_14default_configENS1_25transform_config_selectorIjLb0EEEZNS1_14transform_implILb0ES3_S5_NS0_18transform_iteratorINS0_17counting_iteratorImlEEZNS1_24adjacent_difference_implIS3_Lb1ELb0EPjN6thrust23THRUST_200600_302600_NS16discard_iteratorINSD_11use_defaultEEENSD_5minusIjEEEE10hipError_tPvRmT2_T3_mT4_P12ihipStream_tbEUlmE_jEESB_NS0_8identityIvEEEESJ_SM_SN_mSO_SQ_bEUlT_E_NS1_11comp_targetILNS1_3genE2ELNS1_11target_archE906ELNS1_3gpuE6ELNS1_3repE0EEENS1_30default_config_static_selectorELNS0_4arch9wavefront6targetE1EEEvT1_
		.amdhsa_group_segment_fixed_size 0
		.amdhsa_private_segment_fixed_size 0
		.amdhsa_kernarg_size 312
		.amdhsa_user_sgpr_count 6
		.amdhsa_user_sgpr_private_segment_buffer 1
		.amdhsa_user_sgpr_dispatch_ptr 0
		.amdhsa_user_sgpr_queue_ptr 0
		.amdhsa_user_sgpr_kernarg_segment_ptr 1
		.amdhsa_user_sgpr_dispatch_id 0
		.amdhsa_user_sgpr_flat_scratch_init 0
		.amdhsa_user_sgpr_private_segment_size 0
		.amdhsa_uses_dynamic_stack 0
		.amdhsa_system_sgpr_private_segment_wavefront_offset 0
		.amdhsa_system_sgpr_workgroup_id_x 1
		.amdhsa_system_sgpr_workgroup_id_y 0
		.amdhsa_system_sgpr_workgroup_id_z 0
		.amdhsa_system_sgpr_workgroup_info 0
		.amdhsa_system_vgpr_workitem_id 0
		.amdhsa_next_free_vgpr 7
		.amdhsa_next_free_sgpr 18
		.amdhsa_reserve_vcc 1
		.amdhsa_reserve_flat_scratch 0
		.amdhsa_float_round_mode_32 0
		.amdhsa_float_round_mode_16_64 0
		.amdhsa_float_denorm_mode_32 3
		.amdhsa_float_denorm_mode_16_64 3
		.amdhsa_dx10_clamp 1
		.amdhsa_ieee_mode 1
		.amdhsa_fp16_overflow 0
		.amdhsa_exception_fp_ieee_invalid_op 0
		.amdhsa_exception_fp_denorm_src 0
		.amdhsa_exception_fp_ieee_div_zero 0
		.amdhsa_exception_fp_ieee_overflow 0
		.amdhsa_exception_fp_ieee_underflow 0
		.amdhsa_exception_fp_ieee_inexact 0
		.amdhsa_exception_int_div_zero 0
	.end_amdhsa_kernel
	.section	.text._ZN7rocprim17ROCPRIM_400000_NS6detail17trampoline_kernelINS0_14default_configENS1_25transform_config_selectorIjLb0EEEZNS1_14transform_implILb0ES3_S5_NS0_18transform_iteratorINS0_17counting_iteratorImlEEZNS1_24adjacent_difference_implIS3_Lb1ELb0EPjN6thrust23THRUST_200600_302600_NS16discard_iteratorINSD_11use_defaultEEENSD_5minusIjEEEE10hipError_tPvRmT2_T3_mT4_P12ihipStream_tbEUlmE_jEESB_NS0_8identityIvEEEESJ_SM_SN_mSO_SQ_bEUlT_E_NS1_11comp_targetILNS1_3genE2ELNS1_11target_archE906ELNS1_3gpuE6ELNS1_3repE0EEENS1_30default_config_static_selectorELNS0_4arch9wavefront6targetE1EEEvT1_,"axG",@progbits,_ZN7rocprim17ROCPRIM_400000_NS6detail17trampoline_kernelINS0_14default_configENS1_25transform_config_selectorIjLb0EEEZNS1_14transform_implILb0ES3_S5_NS0_18transform_iteratorINS0_17counting_iteratorImlEEZNS1_24adjacent_difference_implIS3_Lb1ELb0EPjN6thrust23THRUST_200600_302600_NS16discard_iteratorINSD_11use_defaultEEENSD_5minusIjEEEE10hipError_tPvRmT2_T3_mT4_P12ihipStream_tbEUlmE_jEESB_NS0_8identityIvEEEESJ_SM_SN_mSO_SQ_bEUlT_E_NS1_11comp_targetILNS1_3genE2ELNS1_11target_archE906ELNS1_3gpuE6ELNS1_3repE0EEENS1_30default_config_static_selectorELNS0_4arch9wavefront6targetE1EEEvT1_,comdat
.Lfunc_end828:
	.size	_ZN7rocprim17ROCPRIM_400000_NS6detail17trampoline_kernelINS0_14default_configENS1_25transform_config_selectorIjLb0EEEZNS1_14transform_implILb0ES3_S5_NS0_18transform_iteratorINS0_17counting_iteratorImlEEZNS1_24adjacent_difference_implIS3_Lb1ELb0EPjN6thrust23THRUST_200600_302600_NS16discard_iteratorINSD_11use_defaultEEENSD_5minusIjEEEE10hipError_tPvRmT2_T3_mT4_P12ihipStream_tbEUlmE_jEESB_NS0_8identityIvEEEESJ_SM_SN_mSO_SQ_bEUlT_E_NS1_11comp_targetILNS1_3genE2ELNS1_11target_archE906ELNS1_3gpuE6ELNS1_3repE0EEENS1_30default_config_static_selectorELNS0_4arch9wavefront6targetE1EEEvT1_, .Lfunc_end828-_ZN7rocprim17ROCPRIM_400000_NS6detail17trampoline_kernelINS0_14default_configENS1_25transform_config_selectorIjLb0EEEZNS1_14transform_implILb0ES3_S5_NS0_18transform_iteratorINS0_17counting_iteratorImlEEZNS1_24adjacent_difference_implIS3_Lb1ELb0EPjN6thrust23THRUST_200600_302600_NS16discard_iteratorINSD_11use_defaultEEENSD_5minusIjEEEE10hipError_tPvRmT2_T3_mT4_P12ihipStream_tbEUlmE_jEESB_NS0_8identityIvEEEESJ_SM_SN_mSO_SQ_bEUlT_E_NS1_11comp_targetILNS1_3genE2ELNS1_11target_archE906ELNS1_3gpuE6ELNS1_3repE0EEENS1_30default_config_static_selectorELNS0_4arch9wavefront6targetE1EEEvT1_
                                        ; -- End function
	.set _ZN7rocprim17ROCPRIM_400000_NS6detail17trampoline_kernelINS0_14default_configENS1_25transform_config_selectorIjLb0EEEZNS1_14transform_implILb0ES3_S5_NS0_18transform_iteratorINS0_17counting_iteratorImlEEZNS1_24adjacent_difference_implIS3_Lb1ELb0EPjN6thrust23THRUST_200600_302600_NS16discard_iteratorINSD_11use_defaultEEENSD_5minusIjEEEE10hipError_tPvRmT2_T3_mT4_P12ihipStream_tbEUlmE_jEESB_NS0_8identityIvEEEESJ_SM_SN_mSO_SQ_bEUlT_E_NS1_11comp_targetILNS1_3genE2ELNS1_11target_archE906ELNS1_3gpuE6ELNS1_3repE0EEENS1_30default_config_static_selectorELNS0_4arch9wavefront6targetE1EEEvT1_.num_vgpr, 7
	.set _ZN7rocprim17ROCPRIM_400000_NS6detail17trampoline_kernelINS0_14default_configENS1_25transform_config_selectorIjLb0EEEZNS1_14transform_implILb0ES3_S5_NS0_18transform_iteratorINS0_17counting_iteratorImlEEZNS1_24adjacent_difference_implIS3_Lb1ELb0EPjN6thrust23THRUST_200600_302600_NS16discard_iteratorINSD_11use_defaultEEENSD_5minusIjEEEE10hipError_tPvRmT2_T3_mT4_P12ihipStream_tbEUlmE_jEESB_NS0_8identityIvEEEESJ_SM_SN_mSO_SQ_bEUlT_E_NS1_11comp_targetILNS1_3genE2ELNS1_11target_archE906ELNS1_3gpuE6ELNS1_3repE0EEENS1_30default_config_static_selectorELNS0_4arch9wavefront6targetE1EEEvT1_.num_agpr, 0
	.set _ZN7rocprim17ROCPRIM_400000_NS6detail17trampoline_kernelINS0_14default_configENS1_25transform_config_selectorIjLb0EEEZNS1_14transform_implILb0ES3_S5_NS0_18transform_iteratorINS0_17counting_iteratorImlEEZNS1_24adjacent_difference_implIS3_Lb1ELb0EPjN6thrust23THRUST_200600_302600_NS16discard_iteratorINSD_11use_defaultEEENSD_5minusIjEEEE10hipError_tPvRmT2_T3_mT4_P12ihipStream_tbEUlmE_jEESB_NS0_8identityIvEEEESJ_SM_SN_mSO_SQ_bEUlT_E_NS1_11comp_targetILNS1_3genE2ELNS1_11target_archE906ELNS1_3gpuE6ELNS1_3repE0EEENS1_30default_config_static_selectorELNS0_4arch9wavefront6targetE1EEEvT1_.numbered_sgpr, 18
	.set _ZN7rocprim17ROCPRIM_400000_NS6detail17trampoline_kernelINS0_14default_configENS1_25transform_config_selectorIjLb0EEEZNS1_14transform_implILb0ES3_S5_NS0_18transform_iteratorINS0_17counting_iteratorImlEEZNS1_24adjacent_difference_implIS3_Lb1ELb0EPjN6thrust23THRUST_200600_302600_NS16discard_iteratorINSD_11use_defaultEEENSD_5minusIjEEEE10hipError_tPvRmT2_T3_mT4_P12ihipStream_tbEUlmE_jEESB_NS0_8identityIvEEEESJ_SM_SN_mSO_SQ_bEUlT_E_NS1_11comp_targetILNS1_3genE2ELNS1_11target_archE906ELNS1_3gpuE6ELNS1_3repE0EEENS1_30default_config_static_selectorELNS0_4arch9wavefront6targetE1EEEvT1_.num_named_barrier, 0
	.set _ZN7rocprim17ROCPRIM_400000_NS6detail17trampoline_kernelINS0_14default_configENS1_25transform_config_selectorIjLb0EEEZNS1_14transform_implILb0ES3_S5_NS0_18transform_iteratorINS0_17counting_iteratorImlEEZNS1_24adjacent_difference_implIS3_Lb1ELb0EPjN6thrust23THRUST_200600_302600_NS16discard_iteratorINSD_11use_defaultEEENSD_5minusIjEEEE10hipError_tPvRmT2_T3_mT4_P12ihipStream_tbEUlmE_jEESB_NS0_8identityIvEEEESJ_SM_SN_mSO_SQ_bEUlT_E_NS1_11comp_targetILNS1_3genE2ELNS1_11target_archE906ELNS1_3gpuE6ELNS1_3repE0EEENS1_30default_config_static_selectorELNS0_4arch9wavefront6targetE1EEEvT1_.private_seg_size, 0
	.set _ZN7rocprim17ROCPRIM_400000_NS6detail17trampoline_kernelINS0_14default_configENS1_25transform_config_selectorIjLb0EEEZNS1_14transform_implILb0ES3_S5_NS0_18transform_iteratorINS0_17counting_iteratorImlEEZNS1_24adjacent_difference_implIS3_Lb1ELb0EPjN6thrust23THRUST_200600_302600_NS16discard_iteratorINSD_11use_defaultEEENSD_5minusIjEEEE10hipError_tPvRmT2_T3_mT4_P12ihipStream_tbEUlmE_jEESB_NS0_8identityIvEEEESJ_SM_SN_mSO_SQ_bEUlT_E_NS1_11comp_targetILNS1_3genE2ELNS1_11target_archE906ELNS1_3gpuE6ELNS1_3repE0EEENS1_30default_config_static_selectorELNS0_4arch9wavefront6targetE1EEEvT1_.uses_vcc, 1
	.set _ZN7rocprim17ROCPRIM_400000_NS6detail17trampoline_kernelINS0_14default_configENS1_25transform_config_selectorIjLb0EEEZNS1_14transform_implILb0ES3_S5_NS0_18transform_iteratorINS0_17counting_iteratorImlEEZNS1_24adjacent_difference_implIS3_Lb1ELb0EPjN6thrust23THRUST_200600_302600_NS16discard_iteratorINSD_11use_defaultEEENSD_5minusIjEEEE10hipError_tPvRmT2_T3_mT4_P12ihipStream_tbEUlmE_jEESB_NS0_8identityIvEEEESJ_SM_SN_mSO_SQ_bEUlT_E_NS1_11comp_targetILNS1_3genE2ELNS1_11target_archE906ELNS1_3gpuE6ELNS1_3repE0EEENS1_30default_config_static_selectorELNS0_4arch9wavefront6targetE1EEEvT1_.uses_flat_scratch, 0
	.set _ZN7rocprim17ROCPRIM_400000_NS6detail17trampoline_kernelINS0_14default_configENS1_25transform_config_selectorIjLb0EEEZNS1_14transform_implILb0ES3_S5_NS0_18transform_iteratorINS0_17counting_iteratorImlEEZNS1_24adjacent_difference_implIS3_Lb1ELb0EPjN6thrust23THRUST_200600_302600_NS16discard_iteratorINSD_11use_defaultEEENSD_5minusIjEEEE10hipError_tPvRmT2_T3_mT4_P12ihipStream_tbEUlmE_jEESB_NS0_8identityIvEEEESJ_SM_SN_mSO_SQ_bEUlT_E_NS1_11comp_targetILNS1_3genE2ELNS1_11target_archE906ELNS1_3gpuE6ELNS1_3repE0EEENS1_30default_config_static_selectorELNS0_4arch9wavefront6targetE1EEEvT1_.has_dyn_sized_stack, 0
	.set _ZN7rocprim17ROCPRIM_400000_NS6detail17trampoline_kernelINS0_14default_configENS1_25transform_config_selectorIjLb0EEEZNS1_14transform_implILb0ES3_S5_NS0_18transform_iteratorINS0_17counting_iteratorImlEEZNS1_24adjacent_difference_implIS3_Lb1ELb0EPjN6thrust23THRUST_200600_302600_NS16discard_iteratorINSD_11use_defaultEEENSD_5minusIjEEEE10hipError_tPvRmT2_T3_mT4_P12ihipStream_tbEUlmE_jEESB_NS0_8identityIvEEEESJ_SM_SN_mSO_SQ_bEUlT_E_NS1_11comp_targetILNS1_3genE2ELNS1_11target_archE906ELNS1_3gpuE6ELNS1_3repE0EEENS1_30default_config_static_selectorELNS0_4arch9wavefront6targetE1EEEvT1_.has_recursion, 0
	.set _ZN7rocprim17ROCPRIM_400000_NS6detail17trampoline_kernelINS0_14default_configENS1_25transform_config_selectorIjLb0EEEZNS1_14transform_implILb0ES3_S5_NS0_18transform_iteratorINS0_17counting_iteratorImlEEZNS1_24adjacent_difference_implIS3_Lb1ELb0EPjN6thrust23THRUST_200600_302600_NS16discard_iteratorINSD_11use_defaultEEENSD_5minusIjEEEE10hipError_tPvRmT2_T3_mT4_P12ihipStream_tbEUlmE_jEESB_NS0_8identityIvEEEESJ_SM_SN_mSO_SQ_bEUlT_E_NS1_11comp_targetILNS1_3genE2ELNS1_11target_archE906ELNS1_3gpuE6ELNS1_3repE0EEENS1_30default_config_static_selectorELNS0_4arch9wavefront6targetE1EEEvT1_.has_indirect_call, 0
	.section	.AMDGPU.csdata,"",@progbits
; Kernel info:
; codeLenInByte = 584
; TotalNumSgprs: 22
; NumVgprs: 7
; ScratchSize: 0
; MemoryBound: 0
; FloatMode: 240
; IeeeMode: 1
; LDSByteSize: 0 bytes/workgroup (compile time only)
; SGPRBlocks: 2
; VGPRBlocks: 1
; NumSGPRsForWavesPerEU: 22
; NumVGPRsForWavesPerEU: 7
; Occupancy: 10
; WaveLimiterHint : 0
; COMPUTE_PGM_RSRC2:SCRATCH_EN: 0
; COMPUTE_PGM_RSRC2:USER_SGPR: 6
; COMPUTE_PGM_RSRC2:TRAP_HANDLER: 0
; COMPUTE_PGM_RSRC2:TGID_X_EN: 1
; COMPUTE_PGM_RSRC2:TGID_Y_EN: 0
; COMPUTE_PGM_RSRC2:TGID_Z_EN: 0
; COMPUTE_PGM_RSRC2:TIDIG_COMP_CNT: 0
	.section	.text._ZN7rocprim17ROCPRIM_400000_NS6detail17trampoline_kernelINS0_14default_configENS1_25transform_config_selectorIjLb0EEEZNS1_14transform_implILb0ES3_S5_NS0_18transform_iteratorINS0_17counting_iteratorImlEEZNS1_24adjacent_difference_implIS3_Lb1ELb0EPjN6thrust23THRUST_200600_302600_NS16discard_iteratorINSD_11use_defaultEEENSD_5minusIjEEEE10hipError_tPvRmT2_T3_mT4_P12ihipStream_tbEUlmE_jEESB_NS0_8identityIvEEEESJ_SM_SN_mSO_SQ_bEUlT_E_NS1_11comp_targetILNS1_3genE10ELNS1_11target_archE1201ELNS1_3gpuE5ELNS1_3repE0EEENS1_30default_config_static_selectorELNS0_4arch9wavefront6targetE1EEEvT1_,"axG",@progbits,_ZN7rocprim17ROCPRIM_400000_NS6detail17trampoline_kernelINS0_14default_configENS1_25transform_config_selectorIjLb0EEEZNS1_14transform_implILb0ES3_S5_NS0_18transform_iteratorINS0_17counting_iteratorImlEEZNS1_24adjacent_difference_implIS3_Lb1ELb0EPjN6thrust23THRUST_200600_302600_NS16discard_iteratorINSD_11use_defaultEEENSD_5minusIjEEEE10hipError_tPvRmT2_T3_mT4_P12ihipStream_tbEUlmE_jEESB_NS0_8identityIvEEEESJ_SM_SN_mSO_SQ_bEUlT_E_NS1_11comp_targetILNS1_3genE10ELNS1_11target_archE1201ELNS1_3gpuE5ELNS1_3repE0EEENS1_30default_config_static_selectorELNS0_4arch9wavefront6targetE1EEEvT1_,comdat
	.protected	_ZN7rocprim17ROCPRIM_400000_NS6detail17trampoline_kernelINS0_14default_configENS1_25transform_config_selectorIjLb0EEEZNS1_14transform_implILb0ES3_S5_NS0_18transform_iteratorINS0_17counting_iteratorImlEEZNS1_24adjacent_difference_implIS3_Lb1ELb0EPjN6thrust23THRUST_200600_302600_NS16discard_iteratorINSD_11use_defaultEEENSD_5minusIjEEEE10hipError_tPvRmT2_T3_mT4_P12ihipStream_tbEUlmE_jEESB_NS0_8identityIvEEEESJ_SM_SN_mSO_SQ_bEUlT_E_NS1_11comp_targetILNS1_3genE10ELNS1_11target_archE1201ELNS1_3gpuE5ELNS1_3repE0EEENS1_30default_config_static_selectorELNS0_4arch9wavefront6targetE1EEEvT1_ ; -- Begin function _ZN7rocprim17ROCPRIM_400000_NS6detail17trampoline_kernelINS0_14default_configENS1_25transform_config_selectorIjLb0EEEZNS1_14transform_implILb0ES3_S5_NS0_18transform_iteratorINS0_17counting_iteratorImlEEZNS1_24adjacent_difference_implIS3_Lb1ELb0EPjN6thrust23THRUST_200600_302600_NS16discard_iteratorINSD_11use_defaultEEENSD_5minusIjEEEE10hipError_tPvRmT2_T3_mT4_P12ihipStream_tbEUlmE_jEESB_NS0_8identityIvEEEESJ_SM_SN_mSO_SQ_bEUlT_E_NS1_11comp_targetILNS1_3genE10ELNS1_11target_archE1201ELNS1_3gpuE5ELNS1_3repE0EEENS1_30default_config_static_selectorELNS0_4arch9wavefront6targetE1EEEvT1_
	.globl	_ZN7rocprim17ROCPRIM_400000_NS6detail17trampoline_kernelINS0_14default_configENS1_25transform_config_selectorIjLb0EEEZNS1_14transform_implILb0ES3_S5_NS0_18transform_iteratorINS0_17counting_iteratorImlEEZNS1_24adjacent_difference_implIS3_Lb1ELb0EPjN6thrust23THRUST_200600_302600_NS16discard_iteratorINSD_11use_defaultEEENSD_5minusIjEEEE10hipError_tPvRmT2_T3_mT4_P12ihipStream_tbEUlmE_jEESB_NS0_8identityIvEEEESJ_SM_SN_mSO_SQ_bEUlT_E_NS1_11comp_targetILNS1_3genE10ELNS1_11target_archE1201ELNS1_3gpuE5ELNS1_3repE0EEENS1_30default_config_static_selectorELNS0_4arch9wavefront6targetE1EEEvT1_
	.p2align	8
	.type	_ZN7rocprim17ROCPRIM_400000_NS6detail17trampoline_kernelINS0_14default_configENS1_25transform_config_selectorIjLb0EEEZNS1_14transform_implILb0ES3_S5_NS0_18transform_iteratorINS0_17counting_iteratorImlEEZNS1_24adjacent_difference_implIS3_Lb1ELb0EPjN6thrust23THRUST_200600_302600_NS16discard_iteratorINSD_11use_defaultEEENSD_5minusIjEEEE10hipError_tPvRmT2_T3_mT4_P12ihipStream_tbEUlmE_jEESB_NS0_8identityIvEEEESJ_SM_SN_mSO_SQ_bEUlT_E_NS1_11comp_targetILNS1_3genE10ELNS1_11target_archE1201ELNS1_3gpuE5ELNS1_3repE0EEENS1_30default_config_static_selectorELNS0_4arch9wavefront6targetE1EEEvT1_,@function
_ZN7rocprim17ROCPRIM_400000_NS6detail17trampoline_kernelINS0_14default_configENS1_25transform_config_selectorIjLb0EEEZNS1_14transform_implILb0ES3_S5_NS0_18transform_iteratorINS0_17counting_iteratorImlEEZNS1_24adjacent_difference_implIS3_Lb1ELb0EPjN6thrust23THRUST_200600_302600_NS16discard_iteratorINSD_11use_defaultEEENSD_5minusIjEEEE10hipError_tPvRmT2_T3_mT4_P12ihipStream_tbEUlmE_jEESB_NS0_8identityIvEEEESJ_SM_SN_mSO_SQ_bEUlT_E_NS1_11comp_targetILNS1_3genE10ELNS1_11target_archE1201ELNS1_3gpuE5ELNS1_3repE0EEENS1_30default_config_static_selectorELNS0_4arch9wavefront6targetE1EEEvT1_: ; @_ZN7rocprim17ROCPRIM_400000_NS6detail17trampoline_kernelINS0_14default_configENS1_25transform_config_selectorIjLb0EEEZNS1_14transform_implILb0ES3_S5_NS0_18transform_iteratorINS0_17counting_iteratorImlEEZNS1_24adjacent_difference_implIS3_Lb1ELb0EPjN6thrust23THRUST_200600_302600_NS16discard_iteratorINSD_11use_defaultEEENSD_5minusIjEEEE10hipError_tPvRmT2_T3_mT4_P12ihipStream_tbEUlmE_jEESB_NS0_8identityIvEEEESJ_SM_SN_mSO_SQ_bEUlT_E_NS1_11comp_targetILNS1_3genE10ELNS1_11target_archE1201ELNS1_3gpuE5ELNS1_3repE0EEENS1_30default_config_static_selectorELNS0_4arch9wavefront6targetE1EEEvT1_
; %bb.0:
	.section	.rodata,"a",@progbits
	.p2align	6, 0x0
	.amdhsa_kernel _ZN7rocprim17ROCPRIM_400000_NS6detail17trampoline_kernelINS0_14default_configENS1_25transform_config_selectorIjLb0EEEZNS1_14transform_implILb0ES3_S5_NS0_18transform_iteratorINS0_17counting_iteratorImlEEZNS1_24adjacent_difference_implIS3_Lb1ELb0EPjN6thrust23THRUST_200600_302600_NS16discard_iteratorINSD_11use_defaultEEENSD_5minusIjEEEE10hipError_tPvRmT2_T3_mT4_P12ihipStream_tbEUlmE_jEESB_NS0_8identityIvEEEESJ_SM_SN_mSO_SQ_bEUlT_E_NS1_11comp_targetILNS1_3genE10ELNS1_11target_archE1201ELNS1_3gpuE5ELNS1_3repE0EEENS1_30default_config_static_selectorELNS0_4arch9wavefront6targetE1EEEvT1_
		.amdhsa_group_segment_fixed_size 0
		.amdhsa_private_segment_fixed_size 0
		.amdhsa_kernarg_size 56
		.amdhsa_user_sgpr_count 6
		.amdhsa_user_sgpr_private_segment_buffer 1
		.amdhsa_user_sgpr_dispatch_ptr 0
		.amdhsa_user_sgpr_queue_ptr 0
		.amdhsa_user_sgpr_kernarg_segment_ptr 1
		.amdhsa_user_sgpr_dispatch_id 0
		.amdhsa_user_sgpr_flat_scratch_init 0
		.amdhsa_user_sgpr_private_segment_size 0
		.amdhsa_uses_dynamic_stack 0
		.amdhsa_system_sgpr_private_segment_wavefront_offset 0
		.amdhsa_system_sgpr_workgroup_id_x 1
		.amdhsa_system_sgpr_workgroup_id_y 0
		.amdhsa_system_sgpr_workgroup_id_z 0
		.amdhsa_system_sgpr_workgroup_info 0
		.amdhsa_system_vgpr_workitem_id 0
		.amdhsa_next_free_vgpr 1
		.amdhsa_next_free_sgpr 0
		.amdhsa_reserve_vcc 0
		.amdhsa_reserve_flat_scratch 0
		.amdhsa_float_round_mode_32 0
		.amdhsa_float_round_mode_16_64 0
		.amdhsa_float_denorm_mode_32 3
		.amdhsa_float_denorm_mode_16_64 3
		.amdhsa_dx10_clamp 1
		.amdhsa_ieee_mode 1
		.amdhsa_fp16_overflow 0
		.amdhsa_exception_fp_ieee_invalid_op 0
		.amdhsa_exception_fp_denorm_src 0
		.amdhsa_exception_fp_ieee_div_zero 0
		.amdhsa_exception_fp_ieee_overflow 0
		.amdhsa_exception_fp_ieee_underflow 0
		.amdhsa_exception_fp_ieee_inexact 0
		.amdhsa_exception_int_div_zero 0
	.end_amdhsa_kernel
	.section	.text._ZN7rocprim17ROCPRIM_400000_NS6detail17trampoline_kernelINS0_14default_configENS1_25transform_config_selectorIjLb0EEEZNS1_14transform_implILb0ES3_S5_NS0_18transform_iteratorINS0_17counting_iteratorImlEEZNS1_24adjacent_difference_implIS3_Lb1ELb0EPjN6thrust23THRUST_200600_302600_NS16discard_iteratorINSD_11use_defaultEEENSD_5minusIjEEEE10hipError_tPvRmT2_T3_mT4_P12ihipStream_tbEUlmE_jEESB_NS0_8identityIvEEEESJ_SM_SN_mSO_SQ_bEUlT_E_NS1_11comp_targetILNS1_3genE10ELNS1_11target_archE1201ELNS1_3gpuE5ELNS1_3repE0EEENS1_30default_config_static_selectorELNS0_4arch9wavefront6targetE1EEEvT1_,"axG",@progbits,_ZN7rocprim17ROCPRIM_400000_NS6detail17trampoline_kernelINS0_14default_configENS1_25transform_config_selectorIjLb0EEEZNS1_14transform_implILb0ES3_S5_NS0_18transform_iteratorINS0_17counting_iteratorImlEEZNS1_24adjacent_difference_implIS3_Lb1ELb0EPjN6thrust23THRUST_200600_302600_NS16discard_iteratorINSD_11use_defaultEEENSD_5minusIjEEEE10hipError_tPvRmT2_T3_mT4_P12ihipStream_tbEUlmE_jEESB_NS0_8identityIvEEEESJ_SM_SN_mSO_SQ_bEUlT_E_NS1_11comp_targetILNS1_3genE10ELNS1_11target_archE1201ELNS1_3gpuE5ELNS1_3repE0EEENS1_30default_config_static_selectorELNS0_4arch9wavefront6targetE1EEEvT1_,comdat
.Lfunc_end829:
	.size	_ZN7rocprim17ROCPRIM_400000_NS6detail17trampoline_kernelINS0_14default_configENS1_25transform_config_selectorIjLb0EEEZNS1_14transform_implILb0ES3_S5_NS0_18transform_iteratorINS0_17counting_iteratorImlEEZNS1_24adjacent_difference_implIS3_Lb1ELb0EPjN6thrust23THRUST_200600_302600_NS16discard_iteratorINSD_11use_defaultEEENSD_5minusIjEEEE10hipError_tPvRmT2_T3_mT4_P12ihipStream_tbEUlmE_jEESB_NS0_8identityIvEEEESJ_SM_SN_mSO_SQ_bEUlT_E_NS1_11comp_targetILNS1_3genE10ELNS1_11target_archE1201ELNS1_3gpuE5ELNS1_3repE0EEENS1_30default_config_static_selectorELNS0_4arch9wavefront6targetE1EEEvT1_, .Lfunc_end829-_ZN7rocprim17ROCPRIM_400000_NS6detail17trampoline_kernelINS0_14default_configENS1_25transform_config_selectorIjLb0EEEZNS1_14transform_implILb0ES3_S5_NS0_18transform_iteratorINS0_17counting_iteratorImlEEZNS1_24adjacent_difference_implIS3_Lb1ELb0EPjN6thrust23THRUST_200600_302600_NS16discard_iteratorINSD_11use_defaultEEENSD_5minusIjEEEE10hipError_tPvRmT2_T3_mT4_P12ihipStream_tbEUlmE_jEESB_NS0_8identityIvEEEESJ_SM_SN_mSO_SQ_bEUlT_E_NS1_11comp_targetILNS1_3genE10ELNS1_11target_archE1201ELNS1_3gpuE5ELNS1_3repE0EEENS1_30default_config_static_selectorELNS0_4arch9wavefront6targetE1EEEvT1_
                                        ; -- End function
	.set _ZN7rocprim17ROCPRIM_400000_NS6detail17trampoline_kernelINS0_14default_configENS1_25transform_config_selectorIjLb0EEEZNS1_14transform_implILb0ES3_S5_NS0_18transform_iteratorINS0_17counting_iteratorImlEEZNS1_24adjacent_difference_implIS3_Lb1ELb0EPjN6thrust23THRUST_200600_302600_NS16discard_iteratorINSD_11use_defaultEEENSD_5minusIjEEEE10hipError_tPvRmT2_T3_mT4_P12ihipStream_tbEUlmE_jEESB_NS0_8identityIvEEEESJ_SM_SN_mSO_SQ_bEUlT_E_NS1_11comp_targetILNS1_3genE10ELNS1_11target_archE1201ELNS1_3gpuE5ELNS1_3repE0EEENS1_30default_config_static_selectorELNS0_4arch9wavefront6targetE1EEEvT1_.num_vgpr, 0
	.set _ZN7rocprim17ROCPRIM_400000_NS6detail17trampoline_kernelINS0_14default_configENS1_25transform_config_selectorIjLb0EEEZNS1_14transform_implILb0ES3_S5_NS0_18transform_iteratorINS0_17counting_iteratorImlEEZNS1_24adjacent_difference_implIS3_Lb1ELb0EPjN6thrust23THRUST_200600_302600_NS16discard_iteratorINSD_11use_defaultEEENSD_5minusIjEEEE10hipError_tPvRmT2_T3_mT4_P12ihipStream_tbEUlmE_jEESB_NS0_8identityIvEEEESJ_SM_SN_mSO_SQ_bEUlT_E_NS1_11comp_targetILNS1_3genE10ELNS1_11target_archE1201ELNS1_3gpuE5ELNS1_3repE0EEENS1_30default_config_static_selectorELNS0_4arch9wavefront6targetE1EEEvT1_.num_agpr, 0
	.set _ZN7rocprim17ROCPRIM_400000_NS6detail17trampoline_kernelINS0_14default_configENS1_25transform_config_selectorIjLb0EEEZNS1_14transform_implILb0ES3_S5_NS0_18transform_iteratorINS0_17counting_iteratorImlEEZNS1_24adjacent_difference_implIS3_Lb1ELb0EPjN6thrust23THRUST_200600_302600_NS16discard_iteratorINSD_11use_defaultEEENSD_5minusIjEEEE10hipError_tPvRmT2_T3_mT4_P12ihipStream_tbEUlmE_jEESB_NS0_8identityIvEEEESJ_SM_SN_mSO_SQ_bEUlT_E_NS1_11comp_targetILNS1_3genE10ELNS1_11target_archE1201ELNS1_3gpuE5ELNS1_3repE0EEENS1_30default_config_static_selectorELNS0_4arch9wavefront6targetE1EEEvT1_.numbered_sgpr, 0
	.set _ZN7rocprim17ROCPRIM_400000_NS6detail17trampoline_kernelINS0_14default_configENS1_25transform_config_selectorIjLb0EEEZNS1_14transform_implILb0ES3_S5_NS0_18transform_iteratorINS0_17counting_iteratorImlEEZNS1_24adjacent_difference_implIS3_Lb1ELb0EPjN6thrust23THRUST_200600_302600_NS16discard_iteratorINSD_11use_defaultEEENSD_5minusIjEEEE10hipError_tPvRmT2_T3_mT4_P12ihipStream_tbEUlmE_jEESB_NS0_8identityIvEEEESJ_SM_SN_mSO_SQ_bEUlT_E_NS1_11comp_targetILNS1_3genE10ELNS1_11target_archE1201ELNS1_3gpuE5ELNS1_3repE0EEENS1_30default_config_static_selectorELNS0_4arch9wavefront6targetE1EEEvT1_.num_named_barrier, 0
	.set _ZN7rocprim17ROCPRIM_400000_NS6detail17trampoline_kernelINS0_14default_configENS1_25transform_config_selectorIjLb0EEEZNS1_14transform_implILb0ES3_S5_NS0_18transform_iteratorINS0_17counting_iteratorImlEEZNS1_24adjacent_difference_implIS3_Lb1ELb0EPjN6thrust23THRUST_200600_302600_NS16discard_iteratorINSD_11use_defaultEEENSD_5minusIjEEEE10hipError_tPvRmT2_T3_mT4_P12ihipStream_tbEUlmE_jEESB_NS0_8identityIvEEEESJ_SM_SN_mSO_SQ_bEUlT_E_NS1_11comp_targetILNS1_3genE10ELNS1_11target_archE1201ELNS1_3gpuE5ELNS1_3repE0EEENS1_30default_config_static_selectorELNS0_4arch9wavefront6targetE1EEEvT1_.private_seg_size, 0
	.set _ZN7rocprim17ROCPRIM_400000_NS6detail17trampoline_kernelINS0_14default_configENS1_25transform_config_selectorIjLb0EEEZNS1_14transform_implILb0ES3_S5_NS0_18transform_iteratorINS0_17counting_iteratorImlEEZNS1_24adjacent_difference_implIS3_Lb1ELb0EPjN6thrust23THRUST_200600_302600_NS16discard_iteratorINSD_11use_defaultEEENSD_5minusIjEEEE10hipError_tPvRmT2_T3_mT4_P12ihipStream_tbEUlmE_jEESB_NS0_8identityIvEEEESJ_SM_SN_mSO_SQ_bEUlT_E_NS1_11comp_targetILNS1_3genE10ELNS1_11target_archE1201ELNS1_3gpuE5ELNS1_3repE0EEENS1_30default_config_static_selectorELNS0_4arch9wavefront6targetE1EEEvT1_.uses_vcc, 0
	.set _ZN7rocprim17ROCPRIM_400000_NS6detail17trampoline_kernelINS0_14default_configENS1_25transform_config_selectorIjLb0EEEZNS1_14transform_implILb0ES3_S5_NS0_18transform_iteratorINS0_17counting_iteratorImlEEZNS1_24adjacent_difference_implIS3_Lb1ELb0EPjN6thrust23THRUST_200600_302600_NS16discard_iteratorINSD_11use_defaultEEENSD_5minusIjEEEE10hipError_tPvRmT2_T3_mT4_P12ihipStream_tbEUlmE_jEESB_NS0_8identityIvEEEESJ_SM_SN_mSO_SQ_bEUlT_E_NS1_11comp_targetILNS1_3genE10ELNS1_11target_archE1201ELNS1_3gpuE5ELNS1_3repE0EEENS1_30default_config_static_selectorELNS0_4arch9wavefront6targetE1EEEvT1_.uses_flat_scratch, 0
	.set _ZN7rocprim17ROCPRIM_400000_NS6detail17trampoline_kernelINS0_14default_configENS1_25transform_config_selectorIjLb0EEEZNS1_14transform_implILb0ES3_S5_NS0_18transform_iteratorINS0_17counting_iteratorImlEEZNS1_24adjacent_difference_implIS3_Lb1ELb0EPjN6thrust23THRUST_200600_302600_NS16discard_iteratorINSD_11use_defaultEEENSD_5minusIjEEEE10hipError_tPvRmT2_T3_mT4_P12ihipStream_tbEUlmE_jEESB_NS0_8identityIvEEEESJ_SM_SN_mSO_SQ_bEUlT_E_NS1_11comp_targetILNS1_3genE10ELNS1_11target_archE1201ELNS1_3gpuE5ELNS1_3repE0EEENS1_30default_config_static_selectorELNS0_4arch9wavefront6targetE1EEEvT1_.has_dyn_sized_stack, 0
	.set _ZN7rocprim17ROCPRIM_400000_NS6detail17trampoline_kernelINS0_14default_configENS1_25transform_config_selectorIjLb0EEEZNS1_14transform_implILb0ES3_S5_NS0_18transform_iteratorINS0_17counting_iteratorImlEEZNS1_24adjacent_difference_implIS3_Lb1ELb0EPjN6thrust23THRUST_200600_302600_NS16discard_iteratorINSD_11use_defaultEEENSD_5minusIjEEEE10hipError_tPvRmT2_T3_mT4_P12ihipStream_tbEUlmE_jEESB_NS0_8identityIvEEEESJ_SM_SN_mSO_SQ_bEUlT_E_NS1_11comp_targetILNS1_3genE10ELNS1_11target_archE1201ELNS1_3gpuE5ELNS1_3repE0EEENS1_30default_config_static_selectorELNS0_4arch9wavefront6targetE1EEEvT1_.has_recursion, 0
	.set _ZN7rocprim17ROCPRIM_400000_NS6detail17trampoline_kernelINS0_14default_configENS1_25transform_config_selectorIjLb0EEEZNS1_14transform_implILb0ES3_S5_NS0_18transform_iteratorINS0_17counting_iteratorImlEEZNS1_24adjacent_difference_implIS3_Lb1ELb0EPjN6thrust23THRUST_200600_302600_NS16discard_iteratorINSD_11use_defaultEEENSD_5minusIjEEEE10hipError_tPvRmT2_T3_mT4_P12ihipStream_tbEUlmE_jEESB_NS0_8identityIvEEEESJ_SM_SN_mSO_SQ_bEUlT_E_NS1_11comp_targetILNS1_3genE10ELNS1_11target_archE1201ELNS1_3gpuE5ELNS1_3repE0EEENS1_30default_config_static_selectorELNS0_4arch9wavefront6targetE1EEEvT1_.has_indirect_call, 0
	.section	.AMDGPU.csdata,"",@progbits
; Kernel info:
; codeLenInByte = 0
; TotalNumSgprs: 4
; NumVgprs: 0
; ScratchSize: 0
; MemoryBound: 0
; FloatMode: 240
; IeeeMode: 1
; LDSByteSize: 0 bytes/workgroup (compile time only)
; SGPRBlocks: 0
; VGPRBlocks: 0
; NumSGPRsForWavesPerEU: 4
; NumVGPRsForWavesPerEU: 1
; Occupancy: 10
; WaveLimiterHint : 0
; COMPUTE_PGM_RSRC2:SCRATCH_EN: 0
; COMPUTE_PGM_RSRC2:USER_SGPR: 6
; COMPUTE_PGM_RSRC2:TRAP_HANDLER: 0
; COMPUTE_PGM_RSRC2:TGID_X_EN: 1
; COMPUTE_PGM_RSRC2:TGID_Y_EN: 0
; COMPUTE_PGM_RSRC2:TGID_Z_EN: 0
; COMPUTE_PGM_RSRC2:TIDIG_COMP_CNT: 0
	.section	.text._ZN7rocprim17ROCPRIM_400000_NS6detail17trampoline_kernelINS0_14default_configENS1_25transform_config_selectorIjLb0EEEZNS1_14transform_implILb0ES3_S5_NS0_18transform_iteratorINS0_17counting_iteratorImlEEZNS1_24adjacent_difference_implIS3_Lb1ELb0EPjN6thrust23THRUST_200600_302600_NS16discard_iteratorINSD_11use_defaultEEENSD_5minusIjEEEE10hipError_tPvRmT2_T3_mT4_P12ihipStream_tbEUlmE_jEESB_NS0_8identityIvEEEESJ_SM_SN_mSO_SQ_bEUlT_E_NS1_11comp_targetILNS1_3genE10ELNS1_11target_archE1200ELNS1_3gpuE4ELNS1_3repE0EEENS1_30default_config_static_selectorELNS0_4arch9wavefront6targetE1EEEvT1_,"axG",@progbits,_ZN7rocprim17ROCPRIM_400000_NS6detail17trampoline_kernelINS0_14default_configENS1_25transform_config_selectorIjLb0EEEZNS1_14transform_implILb0ES3_S5_NS0_18transform_iteratorINS0_17counting_iteratorImlEEZNS1_24adjacent_difference_implIS3_Lb1ELb0EPjN6thrust23THRUST_200600_302600_NS16discard_iteratorINSD_11use_defaultEEENSD_5minusIjEEEE10hipError_tPvRmT2_T3_mT4_P12ihipStream_tbEUlmE_jEESB_NS0_8identityIvEEEESJ_SM_SN_mSO_SQ_bEUlT_E_NS1_11comp_targetILNS1_3genE10ELNS1_11target_archE1200ELNS1_3gpuE4ELNS1_3repE0EEENS1_30default_config_static_selectorELNS0_4arch9wavefront6targetE1EEEvT1_,comdat
	.protected	_ZN7rocprim17ROCPRIM_400000_NS6detail17trampoline_kernelINS0_14default_configENS1_25transform_config_selectorIjLb0EEEZNS1_14transform_implILb0ES3_S5_NS0_18transform_iteratorINS0_17counting_iteratorImlEEZNS1_24adjacent_difference_implIS3_Lb1ELb0EPjN6thrust23THRUST_200600_302600_NS16discard_iteratorINSD_11use_defaultEEENSD_5minusIjEEEE10hipError_tPvRmT2_T3_mT4_P12ihipStream_tbEUlmE_jEESB_NS0_8identityIvEEEESJ_SM_SN_mSO_SQ_bEUlT_E_NS1_11comp_targetILNS1_3genE10ELNS1_11target_archE1200ELNS1_3gpuE4ELNS1_3repE0EEENS1_30default_config_static_selectorELNS0_4arch9wavefront6targetE1EEEvT1_ ; -- Begin function _ZN7rocprim17ROCPRIM_400000_NS6detail17trampoline_kernelINS0_14default_configENS1_25transform_config_selectorIjLb0EEEZNS1_14transform_implILb0ES3_S5_NS0_18transform_iteratorINS0_17counting_iteratorImlEEZNS1_24adjacent_difference_implIS3_Lb1ELb0EPjN6thrust23THRUST_200600_302600_NS16discard_iteratorINSD_11use_defaultEEENSD_5minusIjEEEE10hipError_tPvRmT2_T3_mT4_P12ihipStream_tbEUlmE_jEESB_NS0_8identityIvEEEESJ_SM_SN_mSO_SQ_bEUlT_E_NS1_11comp_targetILNS1_3genE10ELNS1_11target_archE1200ELNS1_3gpuE4ELNS1_3repE0EEENS1_30default_config_static_selectorELNS0_4arch9wavefront6targetE1EEEvT1_
	.globl	_ZN7rocprim17ROCPRIM_400000_NS6detail17trampoline_kernelINS0_14default_configENS1_25transform_config_selectorIjLb0EEEZNS1_14transform_implILb0ES3_S5_NS0_18transform_iteratorINS0_17counting_iteratorImlEEZNS1_24adjacent_difference_implIS3_Lb1ELb0EPjN6thrust23THRUST_200600_302600_NS16discard_iteratorINSD_11use_defaultEEENSD_5minusIjEEEE10hipError_tPvRmT2_T3_mT4_P12ihipStream_tbEUlmE_jEESB_NS0_8identityIvEEEESJ_SM_SN_mSO_SQ_bEUlT_E_NS1_11comp_targetILNS1_3genE10ELNS1_11target_archE1200ELNS1_3gpuE4ELNS1_3repE0EEENS1_30default_config_static_selectorELNS0_4arch9wavefront6targetE1EEEvT1_
	.p2align	8
	.type	_ZN7rocprim17ROCPRIM_400000_NS6detail17trampoline_kernelINS0_14default_configENS1_25transform_config_selectorIjLb0EEEZNS1_14transform_implILb0ES3_S5_NS0_18transform_iteratorINS0_17counting_iteratorImlEEZNS1_24adjacent_difference_implIS3_Lb1ELb0EPjN6thrust23THRUST_200600_302600_NS16discard_iteratorINSD_11use_defaultEEENSD_5minusIjEEEE10hipError_tPvRmT2_T3_mT4_P12ihipStream_tbEUlmE_jEESB_NS0_8identityIvEEEESJ_SM_SN_mSO_SQ_bEUlT_E_NS1_11comp_targetILNS1_3genE10ELNS1_11target_archE1200ELNS1_3gpuE4ELNS1_3repE0EEENS1_30default_config_static_selectorELNS0_4arch9wavefront6targetE1EEEvT1_,@function
_ZN7rocprim17ROCPRIM_400000_NS6detail17trampoline_kernelINS0_14default_configENS1_25transform_config_selectorIjLb0EEEZNS1_14transform_implILb0ES3_S5_NS0_18transform_iteratorINS0_17counting_iteratorImlEEZNS1_24adjacent_difference_implIS3_Lb1ELb0EPjN6thrust23THRUST_200600_302600_NS16discard_iteratorINSD_11use_defaultEEENSD_5minusIjEEEE10hipError_tPvRmT2_T3_mT4_P12ihipStream_tbEUlmE_jEESB_NS0_8identityIvEEEESJ_SM_SN_mSO_SQ_bEUlT_E_NS1_11comp_targetILNS1_3genE10ELNS1_11target_archE1200ELNS1_3gpuE4ELNS1_3repE0EEENS1_30default_config_static_selectorELNS0_4arch9wavefront6targetE1EEEvT1_: ; @_ZN7rocprim17ROCPRIM_400000_NS6detail17trampoline_kernelINS0_14default_configENS1_25transform_config_selectorIjLb0EEEZNS1_14transform_implILb0ES3_S5_NS0_18transform_iteratorINS0_17counting_iteratorImlEEZNS1_24adjacent_difference_implIS3_Lb1ELb0EPjN6thrust23THRUST_200600_302600_NS16discard_iteratorINSD_11use_defaultEEENSD_5minusIjEEEE10hipError_tPvRmT2_T3_mT4_P12ihipStream_tbEUlmE_jEESB_NS0_8identityIvEEEESJ_SM_SN_mSO_SQ_bEUlT_E_NS1_11comp_targetILNS1_3genE10ELNS1_11target_archE1200ELNS1_3gpuE4ELNS1_3repE0EEENS1_30default_config_static_selectorELNS0_4arch9wavefront6targetE1EEEvT1_
; %bb.0:
	.section	.rodata,"a",@progbits
	.p2align	6, 0x0
	.amdhsa_kernel _ZN7rocprim17ROCPRIM_400000_NS6detail17trampoline_kernelINS0_14default_configENS1_25transform_config_selectorIjLb0EEEZNS1_14transform_implILb0ES3_S5_NS0_18transform_iteratorINS0_17counting_iteratorImlEEZNS1_24adjacent_difference_implIS3_Lb1ELb0EPjN6thrust23THRUST_200600_302600_NS16discard_iteratorINSD_11use_defaultEEENSD_5minusIjEEEE10hipError_tPvRmT2_T3_mT4_P12ihipStream_tbEUlmE_jEESB_NS0_8identityIvEEEESJ_SM_SN_mSO_SQ_bEUlT_E_NS1_11comp_targetILNS1_3genE10ELNS1_11target_archE1200ELNS1_3gpuE4ELNS1_3repE0EEENS1_30default_config_static_selectorELNS0_4arch9wavefront6targetE1EEEvT1_
		.amdhsa_group_segment_fixed_size 0
		.amdhsa_private_segment_fixed_size 0
		.amdhsa_kernarg_size 56
		.amdhsa_user_sgpr_count 6
		.amdhsa_user_sgpr_private_segment_buffer 1
		.amdhsa_user_sgpr_dispatch_ptr 0
		.amdhsa_user_sgpr_queue_ptr 0
		.amdhsa_user_sgpr_kernarg_segment_ptr 1
		.amdhsa_user_sgpr_dispatch_id 0
		.amdhsa_user_sgpr_flat_scratch_init 0
		.amdhsa_user_sgpr_private_segment_size 0
		.amdhsa_uses_dynamic_stack 0
		.amdhsa_system_sgpr_private_segment_wavefront_offset 0
		.amdhsa_system_sgpr_workgroup_id_x 1
		.amdhsa_system_sgpr_workgroup_id_y 0
		.amdhsa_system_sgpr_workgroup_id_z 0
		.amdhsa_system_sgpr_workgroup_info 0
		.amdhsa_system_vgpr_workitem_id 0
		.amdhsa_next_free_vgpr 1
		.amdhsa_next_free_sgpr 0
		.amdhsa_reserve_vcc 0
		.amdhsa_reserve_flat_scratch 0
		.amdhsa_float_round_mode_32 0
		.amdhsa_float_round_mode_16_64 0
		.amdhsa_float_denorm_mode_32 3
		.amdhsa_float_denorm_mode_16_64 3
		.amdhsa_dx10_clamp 1
		.amdhsa_ieee_mode 1
		.amdhsa_fp16_overflow 0
		.amdhsa_exception_fp_ieee_invalid_op 0
		.amdhsa_exception_fp_denorm_src 0
		.amdhsa_exception_fp_ieee_div_zero 0
		.amdhsa_exception_fp_ieee_overflow 0
		.amdhsa_exception_fp_ieee_underflow 0
		.amdhsa_exception_fp_ieee_inexact 0
		.amdhsa_exception_int_div_zero 0
	.end_amdhsa_kernel
	.section	.text._ZN7rocprim17ROCPRIM_400000_NS6detail17trampoline_kernelINS0_14default_configENS1_25transform_config_selectorIjLb0EEEZNS1_14transform_implILb0ES3_S5_NS0_18transform_iteratorINS0_17counting_iteratorImlEEZNS1_24adjacent_difference_implIS3_Lb1ELb0EPjN6thrust23THRUST_200600_302600_NS16discard_iteratorINSD_11use_defaultEEENSD_5minusIjEEEE10hipError_tPvRmT2_T3_mT4_P12ihipStream_tbEUlmE_jEESB_NS0_8identityIvEEEESJ_SM_SN_mSO_SQ_bEUlT_E_NS1_11comp_targetILNS1_3genE10ELNS1_11target_archE1200ELNS1_3gpuE4ELNS1_3repE0EEENS1_30default_config_static_selectorELNS0_4arch9wavefront6targetE1EEEvT1_,"axG",@progbits,_ZN7rocprim17ROCPRIM_400000_NS6detail17trampoline_kernelINS0_14default_configENS1_25transform_config_selectorIjLb0EEEZNS1_14transform_implILb0ES3_S5_NS0_18transform_iteratorINS0_17counting_iteratorImlEEZNS1_24adjacent_difference_implIS3_Lb1ELb0EPjN6thrust23THRUST_200600_302600_NS16discard_iteratorINSD_11use_defaultEEENSD_5minusIjEEEE10hipError_tPvRmT2_T3_mT4_P12ihipStream_tbEUlmE_jEESB_NS0_8identityIvEEEESJ_SM_SN_mSO_SQ_bEUlT_E_NS1_11comp_targetILNS1_3genE10ELNS1_11target_archE1200ELNS1_3gpuE4ELNS1_3repE0EEENS1_30default_config_static_selectorELNS0_4arch9wavefront6targetE1EEEvT1_,comdat
.Lfunc_end830:
	.size	_ZN7rocprim17ROCPRIM_400000_NS6detail17trampoline_kernelINS0_14default_configENS1_25transform_config_selectorIjLb0EEEZNS1_14transform_implILb0ES3_S5_NS0_18transform_iteratorINS0_17counting_iteratorImlEEZNS1_24adjacent_difference_implIS3_Lb1ELb0EPjN6thrust23THRUST_200600_302600_NS16discard_iteratorINSD_11use_defaultEEENSD_5minusIjEEEE10hipError_tPvRmT2_T3_mT4_P12ihipStream_tbEUlmE_jEESB_NS0_8identityIvEEEESJ_SM_SN_mSO_SQ_bEUlT_E_NS1_11comp_targetILNS1_3genE10ELNS1_11target_archE1200ELNS1_3gpuE4ELNS1_3repE0EEENS1_30default_config_static_selectorELNS0_4arch9wavefront6targetE1EEEvT1_, .Lfunc_end830-_ZN7rocprim17ROCPRIM_400000_NS6detail17trampoline_kernelINS0_14default_configENS1_25transform_config_selectorIjLb0EEEZNS1_14transform_implILb0ES3_S5_NS0_18transform_iteratorINS0_17counting_iteratorImlEEZNS1_24adjacent_difference_implIS3_Lb1ELb0EPjN6thrust23THRUST_200600_302600_NS16discard_iteratorINSD_11use_defaultEEENSD_5minusIjEEEE10hipError_tPvRmT2_T3_mT4_P12ihipStream_tbEUlmE_jEESB_NS0_8identityIvEEEESJ_SM_SN_mSO_SQ_bEUlT_E_NS1_11comp_targetILNS1_3genE10ELNS1_11target_archE1200ELNS1_3gpuE4ELNS1_3repE0EEENS1_30default_config_static_selectorELNS0_4arch9wavefront6targetE1EEEvT1_
                                        ; -- End function
	.set _ZN7rocprim17ROCPRIM_400000_NS6detail17trampoline_kernelINS0_14default_configENS1_25transform_config_selectorIjLb0EEEZNS1_14transform_implILb0ES3_S5_NS0_18transform_iteratorINS0_17counting_iteratorImlEEZNS1_24adjacent_difference_implIS3_Lb1ELb0EPjN6thrust23THRUST_200600_302600_NS16discard_iteratorINSD_11use_defaultEEENSD_5minusIjEEEE10hipError_tPvRmT2_T3_mT4_P12ihipStream_tbEUlmE_jEESB_NS0_8identityIvEEEESJ_SM_SN_mSO_SQ_bEUlT_E_NS1_11comp_targetILNS1_3genE10ELNS1_11target_archE1200ELNS1_3gpuE4ELNS1_3repE0EEENS1_30default_config_static_selectorELNS0_4arch9wavefront6targetE1EEEvT1_.num_vgpr, 0
	.set _ZN7rocprim17ROCPRIM_400000_NS6detail17trampoline_kernelINS0_14default_configENS1_25transform_config_selectorIjLb0EEEZNS1_14transform_implILb0ES3_S5_NS0_18transform_iteratorINS0_17counting_iteratorImlEEZNS1_24adjacent_difference_implIS3_Lb1ELb0EPjN6thrust23THRUST_200600_302600_NS16discard_iteratorINSD_11use_defaultEEENSD_5minusIjEEEE10hipError_tPvRmT2_T3_mT4_P12ihipStream_tbEUlmE_jEESB_NS0_8identityIvEEEESJ_SM_SN_mSO_SQ_bEUlT_E_NS1_11comp_targetILNS1_3genE10ELNS1_11target_archE1200ELNS1_3gpuE4ELNS1_3repE0EEENS1_30default_config_static_selectorELNS0_4arch9wavefront6targetE1EEEvT1_.num_agpr, 0
	.set _ZN7rocprim17ROCPRIM_400000_NS6detail17trampoline_kernelINS0_14default_configENS1_25transform_config_selectorIjLb0EEEZNS1_14transform_implILb0ES3_S5_NS0_18transform_iteratorINS0_17counting_iteratorImlEEZNS1_24adjacent_difference_implIS3_Lb1ELb0EPjN6thrust23THRUST_200600_302600_NS16discard_iteratorINSD_11use_defaultEEENSD_5minusIjEEEE10hipError_tPvRmT2_T3_mT4_P12ihipStream_tbEUlmE_jEESB_NS0_8identityIvEEEESJ_SM_SN_mSO_SQ_bEUlT_E_NS1_11comp_targetILNS1_3genE10ELNS1_11target_archE1200ELNS1_3gpuE4ELNS1_3repE0EEENS1_30default_config_static_selectorELNS0_4arch9wavefront6targetE1EEEvT1_.numbered_sgpr, 0
	.set _ZN7rocprim17ROCPRIM_400000_NS6detail17trampoline_kernelINS0_14default_configENS1_25transform_config_selectorIjLb0EEEZNS1_14transform_implILb0ES3_S5_NS0_18transform_iteratorINS0_17counting_iteratorImlEEZNS1_24adjacent_difference_implIS3_Lb1ELb0EPjN6thrust23THRUST_200600_302600_NS16discard_iteratorINSD_11use_defaultEEENSD_5minusIjEEEE10hipError_tPvRmT2_T3_mT4_P12ihipStream_tbEUlmE_jEESB_NS0_8identityIvEEEESJ_SM_SN_mSO_SQ_bEUlT_E_NS1_11comp_targetILNS1_3genE10ELNS1_11target_archE1200ELNS1_3gpuE4ELNS1_3repE0EEENS1_30default_config_static_selectorELNS0_4arch9wavefront6targetE1EEEvT1_.num_named_barrier, 0
	.set _ZN7rocprim17ROCPRIM_400000_NS6detail17trampoline_kernelINS0_14default_configENS1_25transform_config_selectorIjLb0EEEZNS1_14transform_implILb0ES3_S5_NS0_18transform_iteratorINS0_17counting_iteratorImlEEZNS1_24adjacent_difference_implIS3_Lb1ELb0EPjN6thrust23THRUST_200600_302600_NS16discard_iteratorINSD_11use_defaultEEENSD_5minusIjEEEE10hipError_tPvRmT2_T3_mT4_P12ihipStream_tbEUlmE_jEESB_NS0_8identityIvEEEESJ_SM_SN_mSO_SQ_bEUlT_E_NS1_11comp_targetILNS1_3genE10ELNS1_11target_archE1200ELNS1_3gpuE4ELNS1_3repE0EEENS1_30default_config_static_selectorELNS0_4arch9wavefront6targetE1EEEvT1_.private_seg_size, 0
	.set _ZN7rocprim17ROCPRIM_400000_NS6detail17trampoline_kernelINS0_14default_configENS1_25transform_config_selectorIjLb0EEEZNS1_14transform_implILb0ES3_S5_NS0_18transform_iteratorINS0_17counting_iteratorImlEEZNS1_24adjacent_difference_implIS3_Lb1ELb0EPjN6thrust23THRUST_200600_302600_NS16discard_iteratorINSD_11use_defaultEEENSD_5minusIjEEEE10hipError_tPvRmT2_T3_mT4_P12ihipStream_tbEUlmE_jEESB_NS0_8identityIvEEEESJ_SM_SN_mSO_SQ_bEUlT_E_NS1_11comp_targetILNS1_3genE10ELNS1_11target_archE1200ELNS1_3gpuE4ELNS1_3repE0EEENS1_30default_config_static_selectorELNS0_4arch9wavefront6targetE1EEEvT1_.uses_vcc, 0
	.set _ZN7rocprim17ROCPRIM_400000_NS6detail17trampoline_kernelINS0_14default_configENS1_25transform_config_selectorIjLb0EEEZNS1_14transform_implILb0ES3_S5_NS0_18transform_iteratorINS0_17counting_iteratorImlEEZNS1_24adjacent_difference_implIS3_Lb1ELb0EPjN6thrust23THRUST_200600_302600_NS16discard_iteratorINSD_11use_defaultEEENSD_5minusIjEEEE10hipError_tPvRmT2_T3_mT4_P12ihipStream_tbEUlmE_jEESB_NS0_8identityIvEEEESJ_SM_SN_mSO_SQ_bEUlT_E_NS1_11comp_targetILNS1_3genE10ELNS1_11target_archE1200ELNS1_3gpuE4ELNS1_3repE0EEENS1_30default_config_static_selectorELNS0_4arch9wavefront6targetE1EEEvT1_.uses_flat_scratch, 0
	.set _ZN7rocprim17ROCPRIM_400000_NS6detail17trampoline_kernelINS0_14default_configENS1_25transform_config_selectorIjLb0EEEZNS1_14transform_implILb0ES3_S5_NS0_18transform_iteratorINS0_17counting_iteratorImlEEZNS1_24adjacent_difference_implIS3_Lb1ELb0EPjN6thrust23THRUST_200600_302600_NS16discard_iteratorINSD_11use_defaultEEENSD_5minusIjEEEE10hipError_tPvRmT2_T3_mT4_P12ihipStream_tbEUlmE_jEESB_NS0_8identityIvEEEESJ_SM_SN_mSO_SQ_bEUlT_E_NS1_11comp_targetILNS1_3genE10ELNS1_11target_archE1200ELNS1_3gpuE4ELNS1_3repE0EEENS1_30default_config_static_selectorELNS0_4arch9wavefront6targetE1EEEvT1_.has_dyn_sized_stack, 0
	.set _ZN7rocprim17ROCPRIM_400000_NS6detail17trampoline_kernelINS0_14default_configENS1_25transform_config_selectorIjLb0EEEZNS1_14transform_implILb0ES3_S5_NS0_18transform_iteratorINS0_17counting_iteratorImlEEZNS1_24adjacent_difference_implIS3_Lb1ELb0EPjN6thrust23THRUST_200600_302600_NS16discard_iteratorINSD_11use_defaultEEENSD_5minusIjEEEE10hipError_tPvRmT2_T3_mT4_P12ihipStream_tbEUlmE_jEESB_NS0_8identityIvEEEESJ_SM_SN_mSO_SQ_bEUlT_E_NS1_11comp_targetILNS1_3genE10ELNS1_11target_archE1200ELNS1_3gpuE4ELNS1_3repE0EEENS1_30default_config_static_selectorELNS0_4arch9wavefront6targetE1EEEvT1_.has_recursion, 0
	.set _ZN7rocprim17ROCPRIM_400000_NS6detail17trampoline_kernelINS0_14default_configENS1_25transform_config_selectorIjLb0EEEZNS1_14transform_implILb0ES3_S5_NS0_18transform_iteratorINS0_17counting_iteratorImlEEZNS1_24adjacent_difference_implIS3_Lb1ELb0EPjN6thrust23THRUST_200600_302600_NS16discard_iteratorINSD_11use_defaultEEENSD_5minusIjEEEE10hipError_tPvRmT2_T3_mT4_P12ihipStream_tbEUlmE_jEESB_NS0_8identityIvEEEESJ_SM_SN_mSO_SQ_bEUlT_E_NS1_11comp_targetILNS1_3genE10ELNS1_11target_archE1200ELNS1_3gpuE4ELNS1_3repE0EEENS1_30default_config_static_selectorELNS0_4arch9wavefront6targetE1EEEvT1_.has_indirect_call, 0
	.section	.AMDGPU.csdata,"",@progbits
; Kernel info:
; codeLenInByte = 0
; TotalNumSgprs: 4
; NumVgprs: 0
; ScratchSize: 0
; MemoryBound: 0
; FloatMode: 240
; IeeeMode: 1
; LDSByteSize: 0 bytes/workgroup (compile time only)
; SGPRBlocks: 0
; VGPRBlocks: 0
; NumSGPRsForWavesPerEU: 4
; NumVGPRsForWavesPerEU: 1
; Occupancy: 10
; WaveLimiterHint : 0
; COMPUTE_PGM_RSRC2:SCRATCH_EN: 0
; COMPUTE_PGM_RSRC2:USER_SGPR: 6
; COMPUTE_PGM_RSRC2:TRAP_HANDLER: 0
; COMPUTE_PGM_RSRC2:TGID_X_EN: 1
; COMPUTE_PGM_RSRC2:TGID_Y_EN: 0
; COMPUTE_PGM_RSRC2:TGID_Z_EN: 0
; COMPUTE_PGM_RSRC2:TIDIG_COMP_CNT: 0
	.section	.text._ZN7rocprim17ROCPRIM_400000_NS6detail17trampoline_kernelINS0_14default_configENS1_25transform_config_selectorIjLb0EEEZNS1_14transform_implILb0ES3_S5_NS0_18transform_iteratorINS0_17counting_iteratorImlEEZNS1_24adjacent_difference_implIS3_Lb1ELb0EPjN6thrust23THRUST_200600_302600_NS16discard_iteratorINSD_11use_defaultEEENSD_5minusIjEEEE10hipError_tPvRmT2_T3_mT4_P12ihipStream_tbEUlmE_jEESB_NS0_8identityIvEEEESJ_SM_SN_mSO_SQ_bEUlT_E_NS1_11comp_targetILNS1_3genE9ELNS1_11target_archE1100ELNS1_3gpuE3ELNS1_3repE0EEENS1_30default_config_static_selectorELNS0_4arch9wavefront6targetE1EEEvT1_,"axG",@progbits,_ZN7rocprim17ROCPRIM_400000_NS6detail17trampoline_kernelINS0_14default_configENS1_25transform_config_selectorIjLb0EEEZNS1_14transform_implILb0ES3_S5_NS0_18transform_iteratorINS0_17counting_iteratorImlEEZNS1_24adjacent_difference_implIS3_Lb1ELb0EPjN6thrust23THRUST_200600_302600_NS16discard_iteratorINSD_11use_defaultEEENSD_5minusIjEEEE10hipError_tPvRmT2_T3_mT4_P12ihipStream_tbEUlmE_jEESB_NS0_8identityIvEEEESJ_SM_SN_mSO_SQ_bEUlT_E_NS1_11comp_targetILNS1_3genE9ELNS1_11target_archE1100ELNS1_3gpuE3ELNS1_3repE0EEENS1_30default_config_static_selectorELNS0_4arch9wavefront6targetE1EEEvT1_,comdat
	.protected	_ZN7rocprim17ROCPRIM_400000_NS6detail17trampoline_kernelINS0_14default_configENS1_25transform_config_selectorIjLb0EEEZNS1_14transform_implILb0ES3_S5_NS0_18transform_iteratorINS0_17counting_iteratorImlEEZNS1_24adjacent_difference_implIS3_Lb1ELb0EPjN6thrust23THRUST_200600_302600_NS16discard_iteratorINSD_11use_defaultEEENSD_5minusIjEEEE10hipError_tPvRmT2_T3_mT4_P12ihipStream_tbEUlmE_jEESB_NS0_8identityIvEEEESJ_SM_SN_mSO_SQ_bEUlT_E_NS1_11comp_targetILNS1_3genE9ELNS1_11target_archE1100ELNS1_3gpuE3ELNS1_3repE0EEENS1_30default_config_static_selectorELNS0_4arch9wavefront6targetE1EEEvT1_ ; -- Begin function _ZN7rocprim17ROCPRIM_400000_NS6detail17trampoline_kernelINS0_14default_configENS1_25transform_config_selectorIjLb0EEEZNS1_14transform_implILb0ES3_S5_NS0_18transform_iteratorINS0_17counting_iteratorImlEEZNS1_24adjacent_difference_implIS3_Lb1ELb0EPjN6thrust23THRUST_200600_302600_NS16discard_iteratorINSD_11use_defaultEEENSD_5minusIjEEEE10hipError_tPvRmT2_T3_mT4_P12ihipStream_tbEUlmE_jEESB_NS0_8identityIvEEEESJ_SM_SN_mSO_SQ_bEUlT_E_NS1_11comp_targetILNS1_3genE9ELNS1_11target_archE1100ELNS1_3gpuE3ELNS1_3repE0EEENS1_30default_config_static_selectorELNS0_4arch9wavefront6targetE1EEEvT1_
	.globl	_ZN7rocprim17ROCPRIM_400000_NS6detail17trampoline_kernelINS0_14default_configENS1_25transform_config_selectorIjLb0EEEZNS1_14transform_implILb0ES3_S5_NS0_18transform_iteratorINS0_17counting_iteratorImlEEZNS1_24adjacent_difference_implIS3_Lb1ELb0EPjN6thrust23THRUST_200600_302600_NS16discard_iteratorINSD_11use_defaultEEENSD_5minusIjEEEE10hipError_tPvRmT2_T3_mT4_P12ihipStream_tbEUlmE_jEESB_NS0_8identityIvEEEESJ_SM_SN_mSO_SQ_bEUlT_E_NS1_11comp_targetILNS1_3genE9ELNS1_11target_archE1100ELNS1_3gpuE3ELNS1_3repE0EEENS1_30default_config_static_selectorELNS0_4arch9wavefront6targetE1EEEvT1_
	.p2align	8
	.type	_ZN7rocprim17ROCPRIM_400000_NS6detail17trampoline_kernelINS0_14default_configENS1_25transform_config_selectorIjLb0EEEZNS1_14transform_implILb0ES3_S5_NS0_18transform_iteratorINS0_17counting_iteratorImlEEZNS1_24adjacent_difference_implIS3_Lb1ELb0EPjN6thrust23THRUST_200600_302600_NS16discard_iteratorINSD_11use_defaultEEENSD_5minusIjEEEE10hipError_tPvRmT2_T3_mT4_P12ihipStream_tbEUlmE_jEESB_NS0_8identityIvEEEESJ_SM_SN_mSO_SQ_bEUlT_E_NS1_11comp_targetILNS1_3genE9ELNS1_11target_archE1100ELNS1_3gpuE3ELNS1_3repE0EEENS1_30default_config_static_selectorELNS0_4arch9wavefront6targetE1EEEvT1_,@function
_ZN7rocprim17ROCPRIM_400000_NS6detail17trampoline_kernelINS0_14default_configENS1_25transform_config_selectorIjLb0EEEZNS1_14transform_implILb0ES3_S5_NS0_18transform_iteratorINS0_17counting_iteratorImlEEZNS1_24adjacent_difference_implIS3_Lb1ELb0EPjN6thrust23THRUST_200600_302600_NS16discard_iteratorINSD_11use_defaultEEENSD_5minusIjEEEE10hipError_tPvRmT2_T3_mT4_P12ihipStream_tbEUlmE_jEESB_NS0_8identityIvEEEESJ_SM_SN_mSO_SQ_bEUlT_E_NS1_11comp_targetILNS1_3genE9ELNS1_11target_archE1100ELNS1_3gpuE3ELNS1_3repE0EEENS1_30default_config_static_selectorELNS0_4arch9wavefront6targetE1EEEvT1_: ; @_ZN7rocprim17ROCPRIM_400000_NS6detail17trampoline_kernelINS0_14default_configENS1_25transform_config_selectorIjLb0EEEZNS1_14transform_implILb0ES3_S5_NS0_18transform_iteratorINS0_17counting_iteratorImlEEZNS1_24adjacent_difference_implIS3_Lb1ELb0EPjN6thrust23THRUST_200600_302600_NS16discard_iteratorINSD_11use_defaultEEENSD_5minusIjEEEE10hipError_tPvRmT2_T3_mT4_P12ihipStream_tbEUlmE_jEESB_NS0_8identityIvEEEESJ_SM_SN_mSO_SQ_bEUlT_E_NS1_11comp_targetILNS1_3genE9ELNS1_11target_archE1100ELNS1_3gpuE3ELNS1_3repE0EEENS1_30default_config_static_selectorELNS0_4arch9wavefront6targetE1EEEvT1_
; %bb.0:
	.section	.rodata,"a",@progbits
	.p2align	6, 0x0
	.amdhsa_kernel _ZN7rocprim17ROCPRIM_400000_NS6detail17trampoline_kernelINS0_14default_configENS1_25transform_config_selectorIjLb0EEEZNS1_14transform_implILb0ES3_S5_NS0_18transform_iteratorINS0_17counting_iteratorImlEEZNS1_24adjacent_difference_implIS3_Lb1ELb0EPjN6thrust23THRUST_200600_302600_NS16discard_iteratorINSD_11use_defaultEEENSD_5minusIjEEEE10hipError_tPvRmT2_T3_mT4_P12ihipStream_tbEUlmE_jEESB_NS0_8identityIvEEEESJ_SM_SN_mSO_SQ_bEUlT_E_NS1_11comp_targetILNS1_3genE9ELNS1_11target_archE1100ELNS1_3gpuE3ELNS1_3repE0EEENS1_30default_config_static_selectorELNS0_4arch9wavefront6targetE1EEEvT1_
		.amdhsa_group_segment_fixed_size 0
		.amdhsa_private_segment_fixed_size 0
		.amdhsa_kernarg_size 56
		.amdhsa_user_sgpr_count 6
		.amdhsa_user_sgpr_private_segment_buffer 1
		.amdhsa_user_sgpr_dispatch_ptr 0
		.amdhsa_user_sgpr_queue_ptr 0
		.amdhsa_user_sgpr_kernarg_segment_ptr 1
		.amdhsa_user_sgpr_dispatch_id 0
		.amdhsa_user_sgpr_flat_scratch_init 0
		.amdhsa_user_sgpr_private_segment_size 0
		.amdhsa_uses_dynamic_stack 0
		.amdhsa_system_sgpr_private_segment_wavefront_offset 0
		.amdhsa_system_sgpr_workgroup_id_x 1
		.amdhsa_system_sgpr_workgroup_id_y 0
		.amdhsa_system_sgpr_workgroup_id_z 0
		.amdhsa_system_sgpr_workgroup_info 0
		.amdhsa_system_vgpr_workitem_id 0
		.amdhsa_next_free_vgpr 1
		.amdhsa_next_free_sgpr 0
		.amdhsa_reserve_vcc 0
		.amdhsa_reserve_flat_scratch 0
		.amdhsa_float_round_mode_32 0
		.amdhsa_float_round_mode_16_64 0
		.amdhsa_float_denorm_mode_32 3
		.amdhsa_float_denorm_mode_16_64 3
		.amdhsa_dx10_clamp 1
		.amdhsa_ieee_mode 1
		.amdhsa_fp16_overflow 0
		.amdhsa_exception_fp_ieee_invalid_op 0
		.amdhsa_exception_fp_denorm_src 0
		.amdhsa_exception_fp_ieee_div_zero 0
		.amdhsa_exception_fp_ieee_overflow 0
		.amdhsa_exception_fp_ieee_underflow 0
		.amdhsa_exception_fp_ieee_inexact 0
		.amdhsa_exception_int_div_zero 0
	.end_amdhsa_kernel
	.section	.text._ZN7rocprim17ROCPRIM_400000_NS6detail17trampoline_kernelINS0_14default_configENS1_25transform_config_selectorIjLb0EEEZNS1_14transform_implILb0ES3_S5_NS0_18transform_iteratorINS0_17counting_iteratorImlEEZNS1_24adjacent_difference_implIS3_Lb1ELb0EPjN6thrust23THRUST_200600_302600_NS16discard_iteratorINSD_11use_defaultEEENSD_5minusIjEEEE10hipError_tPvRmT2_T3_mT4_P12ihipStream_tbEUlmE_jEESB_NS0_8identityIvEEEESJ_SM_SN_mSO_SQ_bEUlT_E_NS1_11comp_targetILNS1_3genE9ELNS1_11target_archE1100ELNS1_3gpuE3ELNS1_3repE0EEENS1_30default_config_static_selectorELNS0_4arch9wavefront6targetE1EEEvT1_,"axG",@progbits,_ZN7rocprim17ROCPRIM_400000_NS6detail17trampoline_kernelINS0_14default_configENS1_25transform_config_selectorIjLb0EEEZNS1_14transform_implILb0ES3_S5_NS0_18transform_iteratorINS0_17counting_iteratorImlEEZNS1_24adjacent_difference_implIS3_Lb1ELb0EPjN6thrust23THRUST_200600_302600_NS16discard_iteratorINSD_11use_defaultEEENSD_5minusIjEEEE10hipError_tPvRmT2_T3_mT4_P12ihipStream_tbEUlmE_jEESB_NS0_8identityIvEEEESJ_SM_SN_mSO_SQ_bEUlT_E_NS1_11comp_targetILNS1_3genE9ELNS1_11target_archE1100ELNS1_3gpuE3ELNS1_3repE0EEENS1_30default_config_static_selectorELNS0_4arch9wavefront6targetE1EEEvT1_,comdat
.Lfunc_end831:
	.size	_ZN7rocprim17ROCPRIM_400000_NS6detail17trampoline_kernelINS0_14default_configENS1_25transform_config_selectorIjLb0EEEZNS1_14transform_implILb0ES3_S5_NS0_18transform_iteratorINS0_17counting_iteratorImlEEZNS1_24adjacent_difference_implIS3_Lb1ELb0EPjN6thrust23THRUST_200600_302600_NS16discard_iteratorINSD_11use_defaultEEENSD_5minusIjEEEE10hipError_tPvRmT2_T3_mT4_P12ihipStream_tbEUlmE_jEESB_NS0_8identityIvEEEESJ_SM_SN_mSO_SQ_bEUlT_E_NS1_11comp_targetILNS1_3genE9ELNS1_11target_archE1100ELNS1_3gpuE3ELNS1_3repE0EEENS1_30default_config_static_selectorELNS0_4arch9wavefront6targetE1EEEvT1_, .Lfunc_end831-_ZN7rocprim17ROCPRIM_400000_NS6detail17trampoline_kernelINS0_14default_configENS1_25transform_config_selectorIjLb0EEEZNS1_14transform_implILb0ES3_S5_NS0_18transform_iteratorINS0_17counting_iteratorImlEEZNS1_24adjacent_difference_implIS3_Lb1ELb0EPjN6thrust23THRUST_200600_302600_NS16discard_iteratorINSD_11use_defaultEEENSD_5minusIjEEEE10hipError_tPvRmT2_T3_mT4_P12ihipStream_tbEUlmE_jEESB_NS0_8identityIvEEEESJ_SM_SN_mSO_SQ_bEUlT_E_NS1_11comp_targetILNS1_3genE9ELNS1_11target_archE1100ELNS1_3gpuE3ELNS1_3repE0EEENS1_30default_config_static_selectorELNS0_4arch9wavefront6targetE1EEEvT1_
                                        ; -- End function
	.set _ZN7rocprim17ROCPRIM_400000_NS6detail17trampoline_kernelINS0_14default_configENS1_25transform_config_selectorIjLb0EEEZNS1_14transform_implILb0ES3_S5_NS0_18transform_iteratorINS0_17counting_iteratorImlEEZNS1_24adjacent_difference_implIS3_Lb1ELb0EPjN6thrust23THRUST_200600_302600_NS16discard_iteratorINSD_11use_defaultEEENSD_5minusIjEEEE10hipError_tPvRmT2_T3_mT4_P12ihipStream_tbEUlmE_jEESB_NS0_8identityIvEEEESJ_SM_SN_mSO_SQ_bEUlT_E_NS1_11comp_targetILNS1_3genE9ELNS1_11target_archE1100ELNS1_3gpuE3ELNS1_3repE0EEENS1_30default_config_static_selectorELNS0_4arch9wavefront6targetE1EEEvT1_.num_vgpr, 0
	.set _ZN7rocprim17ROCPRIM_400000_NS6detail17trampoline_kernelINS0_14default_configENS1_25transform_config_selectorIjLb0EEEZNS1_14transform_implILb0ES3_S5_NS0_18transform_iteratorINS0_17counting_iteratorImlEEZNS1_24adjacent_difference_implIS3_Lb1ELb0EPjN6thrust23THRUST_200600_302600_NS16discard_iteratorINSD_11use_defaultEEENSD_5minusIjEEEE10hipError_tPvRmT2_T3_mT4_P12ihipStream_tbEUlmE_jEESB_NS0_8identityIvEEEESJ_SM_SN_mSO_SQ_bEUlT_E_NS1_11comp_targetILNS1_3genE9ELNS1_11target_archE1100ELNS1_3gpuE3ELNS1_3repE0EEENS1_30default_config_static_selectorELNS0_4arch9wavefront6targetE1EEEvT1_.num_agpr, 0
	.set _ZN7rocprim17ROCPRIM_400000_NS6detail17trampoline_kernelINS0_14default_configENS1_25transform_config_selectorIjLb0EEEZNS1_14transform_implILb0ES3_S5_NS0_18transform_iteratorINS0_17counting_iteratorImlEEZNS1_24adjacent_difference_implIS3_Lb1ELb0EPjN6thrust23THRUST_200600_302600_NS16discard_iteratorINSD_11use_defaultEEENSD_5minusIjEEEE10hipError_tPvRmT2_T3_mT4_P12ihipStream_tbEUlmE_jEESB_NS0_8identityIvEEEESJ_SM_SN_mSO_SQ_bEUlT_E_NS1_11comp_targetILNS1_3genE9ELNS1_11target_archE1100ELNS1_3gpuE3ELNS1_3repE0EEENS1_30default_config_static_selectorELNS0_4arch9wavefront6targetE1EEEvT1_.numbered_sgpr, 0
	.set _ZN7rocprim17ROCPRIM_400000_NS6detail17trampoline_kernelINS0_14default_configENS1_25transform_config_selectorIjLb0EEEZNS1_14transform_implILb0ES3_S5_NS0_18transform_iteratorINS0_17counting_iteratorImlEEZNS1_24adjacent_difference_implIS3_Lb1ELb0EPjN6thrust23THRUST_200600_302600_NS16discard_iteratorINSD_11use_defaultEEENSD_5minusIjEEEE10hipError_tPvRmT2_T3_mT4_P12ihipStream_tbEUlmE_jEESB_NS0_8identityIvEEEESJ_SM_SN_mSO_SQ_bEUlT_E_NS1_11comp_targetILNS1_3genE9ELNS1_11target_archE1100ELNS1_3gpuE3ELNS1_3repE0EEENS1_30default_config_static_selectorELNS0_4arch9wavefront6targetE1EEEvT1_.num_named_barrier, 0
	.set _ZN7rocprim17ROCPRIM_400000_NS6detail17trampoline_kernelINS0_14default_configENS1_25transform_config_selectorIjLb0EEEZNS1_14transform_implILb0ES3_S5_NS0_18transform_iteratorINS0_17counting_iteratorImlEEZNS1_24adjacent_difference_implIS3_Lb1ELb0EPjN6thrust23THRUST_200600_302600_NS16discard_iteratorINSD_11use_defaultEEENSD_5minusIjEEEE10hipError_tPvRmT2_T3_mT4_P12ihipStream_tbEUlmE_jEESB_NS0_8identityIvEEEESJ_SM_SN_mSO_SQ_bEUlT_E_NS1_11comp_targetILNS1_3genE9ELNS1_11target_archE1100ELNS1_3gpuE3ELNS1_3repE0EEENS1_30default_config_static_selectorELNS0_4arch9wavefront6targetE1EEEvT1_.private_seg_size, 0
	.set _ZN7rocprim17ROCPRIM_400000_NS6detail17trampoline_kernelINS0_14default_configENS1_25transform_config_selectorIjLb0EEEZNS1_14transform_implILb0ES3_S5_NS0_18transform_iteratorINS0_17counting_iteratorImlEEZNS1_24adjacent_difference_implIS3_Lb1ELb0EPjN6thrust23THRUST_200600_302600_NS16discard_iteratorINSD_11use_defaultEEENSD_5minusIjEEEE10hipError_tPvRmT2_T3_mT4_P12ihipStream_tbEUlmE_jEESB_NS0_8identityIvEEEESJ_SM_SN_mSO_SQ_bEUlT_E_NS1_11comp_targetILNS1_3genE9ELNS1_11target_archE1100ELNS1_3gpuE3ELNS1_3repE0EEENS1_30default_config_static_selectorELNS0_4arch9wavefront6targetE1EEEvT1_.uses_vcc, 0
	.set _ZN7rocprim17ROCPRIM_400000_NS6detail17trampoline_kernelINS0_14default_configENS1_25transform_config_selectorIjLb0EEEZNS1_14transform_implILb0ES3_S5_NS0_18transform_iteratorINS0_17counting_iteratorImlEEZNS1_24adjacent_difference_implIS3_Lb1ELb0EPjN6thrust23THRUST_200600_302600_NS16discard_iteratorINSD_11use_defaultEEENSD_5minusIjEEEE10hipError_tPvRmT2_T3_mT4_P12ihipStream_tbEUlmE_jEESB_NS0_8identityIvEEEESJ_SM_SN_mSO_SQ_bEUlT_E_NS1_11comp_targetILNS1_3genE9ELNS1_11target_archE1100ELNS1_3gpuE3ELNS1_3repE0EEENS1_30default_config_static_selectorELNS0_4arch9wavefront6targetE1EEEvT1_.uses_flat_scratch, 0
	.set _ZN7rocprim17ROCPRIM_400000_NS6detail17trampoline_kernelINS0_14default_configENS1_25transform_config_selectorIjLb0EEEZNS1_14transform_implILb0ES3_S5_NS0_18transform_iteratorINS0_17counting_iteratorImlEEZNS1_24adjacent_difference_implIS3_Lb1ELb0EPjN6thrust23THRUST_200600_302600_NS16discard_iteratorINSD_11use_defaultEEENSD_5minusIjEEEE10hipError_tPvRmT2_T3_mT4_P12ihipStream_tbEUlmE_jEESB_NS0_8identityIvEEEESJ_SM_SN_mSO_SQ_bEUlT_E_NS1_11comp_targetILNS1_3genE9ELNS1_11target_archE1100ELNS1_3gpuE3ELNS1_3repE0EEENS1_30default_config_static_selectorELNS0_4arch9wavefront6targetE1EEEvT1_.has_dyn_sized_stack, 0
	.set _ZN7rocprim17ROCPRIM_400000_NS6detail17trampoline_kernelINS0_14default_configENS1_25transform_config_selectorIjLb0EEEZNS1_14transform_implILb0ES3_S5_NS0_18transform_iteratorINS0_17counting_iteratorImlEEZNS1_24adjacent_difference_implIS3_Lb1ELb0EPjN6thrust23THRUST_200600_302600_NS16discard_iteratorINSD_11use_defaultEEENSD_5minusIjEEEE10hipError_tPvRmT2_T3_mT4_P12ihipStream_tbEUlmE_jEESB_NS0_8identityIvEEEESJ_SM_SN_mSO_SQ_bEUlT_E_NS1_11comp_targetILNS1_3genE9ELNS1_11target_archE1100ELNS1_3gpuE3ELNS1_3repE0EEENS1_30default_config_static_selectorELNS0_4arch9wavefront6targetE1EEEvT1_.has_recursion, 0
	.set _ZN7rocprim17ROCPRIM_400000_NS6detail17trampoline_kernelINS0_14default_configENS1_25transform_config_selectorIjLb0EEEZNS1_14transform_implILb0ES3_S5_NS0_18transform_iteratorINS0_17counting_iteratorImlEEZNS1_24adjacent_difference_implIS3_Lb1ELb0EPjN6thrust23THRUST_200600_302600_NS16discard_iteratorINSD_11use_defaultEEENSD_5minusIjEEEE10hipError_tPvRmT2_T3_mT4_P12ihipStream_tbEUlmE_jEESB_NS0_8identityIvEEEESJ_SM_SN_mSO_SQ_bEUlT_E_NS1_11comp_targetILNS1_3genE9ELNS1_11target_archE1100ELNS1_3gpuE3ELNS1_3repE0EEENS1_30default_config_static_selectorELNS0_4arch9wavefront6targetE1EEEvT1_.has_indirect_call, 0
	.section	.AMDGPU.csdata,"",@progbits
; Kernel info:
; codeLenInByte = 0
; TotalNumSgprs: 4
; NumVgprs: 0
; ScratchSize: 0
; MemoryBound: 0
; FloatMode: 240
; IeeeMode: 1
; LDSByteSize: 0 bytes/workgroup (compile time only)
; SGPRBlocks: 0
; VGPRBlocks: 0
; NumSGPRsForWavesPerEU: 4
; NumVGPRsForWavesPerEU: 1
; Occupancy: 10
; WaveLimiterHint : 0
; COMPUTE_PGM_RSRC2:SCRATCH_EN: 0
; COMPUTE_PGM_RSRC2:USER_SGPR: 6
; COMPUTE_PGM_RSRC2:TRAP_HANDLER: 0
; COMPUTE_PGM_RSRC2:TGID_X_EN: 1
; COMPUTE_PGM_RSRC2:TGID_Y_EN: 0
; COMPUTE_PGM_RSRC2:TGID_Z_EN: 0
; COMPUTE_PGM_RSRC2:TIDIG_COMP_CNT: 0
	.section	.text._ZN7rocprim17ROCPRIM_400000_NS6detail17trampoline_kernelINS0_14default_configENS1_25transform_config_selectorIjLb0EEEZNS1_14transform_implILb0ES3_S5_NS0_18transform_iteratorINS0_17counting_iteratorImlEEZNS1_24adjacent_difference_implIS3_Lb1ELb0EPjN6thrust23THRUST_200600_302600_NS16discard_iteratorINSD_11use_defaultEEENSD_5minusIjEEEE10hipError_tPvRmT2_T3_mT4_P12ihipStream_tbEUlmE_jEESB_NS0_8identityIvEEEESJ_SM_SN_mSO_SQ_bEUlT_E_NS1_11comp_targetILNS1_3genE8ELNS1_11target_archE1030ELNS1_3gpuE2ELNS1_3repE0EEENS1_30default_config_static_selectorELNS0_4arch9wavefront6targetE1EEEvT1_,"axG",@progbits,_ZN7rocprim17ROCPRIM_400000_NS6detail17trampoline_kernelINS0_14default_configENS1_25transform_config_selectorIjLb0EEEZNS1_14transform_implILb0ES3_S5_NS0_18transform_iteratorINS0_17counting_iteratorImlEEZNS1_24adjacent_difference_implIS3_Lb1ELb0EPjN6thrust23THRUST_200600_302600_NS16discard_iteratorINSD_11use_defaultEEENSD_5minusIjEEEE10hipError_tPvRmT2_T3_mT4_P12ihipStream_tbEUlmE_jEESB_NS0_8identityIvEEEESJ_SM_SN_mSO_SQ_bEUlT_E_NS1_11comp_targetILNS1_3genE8ELNS1_11target_archE1030ELNS1_3gpuE2ELNS1_3repE0EEENS1_30default_config_static_selectorELNS0_4arch9wavefront6targetE1EEEvT1_,comdat
	.protected	_ZN7rocprim17ROCPRIM_400000_NS6detail17trampoline_kernelINS0_14default_configENS1_25transform_config_selectorIjLb0EEEZNS1_14transform_implILb0ES3_S5_NS0_18transform_iteratorINS0_17counting_iteratorImlEEZNS1_24adjacent_difference_implIS3_Lb1ELb0EPjN6thrust23THRUST_200600_302600_NS16discard_iteratorINSD_11use_defaultEEENSD_5minusIjEEEE10hipError_tPvRmT2_T3_mT4_P12ihipStream_tbEUlmE_jEESB_NS0_8identityIvEEEESJ_SM_SN_mSO_SQ_bEUlT_E_NS1_11comp_targetILNS1_3genE8ELNS1_11target_archE1030ELNS1_3gpuE2ELNS1_3repE0EEENS1_30default_config_static_selectorELNS0_4arch9wavefront6targetE1EEEvT1_ ; -- Begin function _ZN7rocprim17ROCPRIM_400000_NS6detail17trampoline_kernelINS0_14default_configENS1_25transform_config_selectorIjLb0EEEZNS1_14transform_implILb0ES3_S5_NS0_18transform_iteratorINS0_17counting_iteratorImlEEZNS1_24adjacent_difference_implIS3_Lb1ELb0EPjN6thrust23THRUST_200600_302600_NS16discard_iteratorINSD_11use_defaultEEENSD_5minusIjEEEE10hipError_tPvRmT2_T3_mT4_P12ihipStream_tbEUlmE_jEESB_NS0_8identityIvEEEESJ_SM_SN_mSO_SQ_bEUlT_E_NS1_11comp_targetILNS1_3genE8ELNS1_11target_archE1030ELNS1_3gpuE2ELNS1_3repE0EEENS1_30default_config_static_selectorELNS0_4arch9wavefront6targetE1EEEvT1_
	.globl	_ZN7rocprim17ROCPRIM_400000_NS6detail17trampoline_kernelINS0_14default_configENS1_25transform_config_selectorIjLb0EEEZNS1_14transform_implILb0ES3_S5_NS0_18transform_iteratorINS0_17counting_iteratorImlEEZNS1_24adjacent_difference_implIS3_Lb1ELb0EPjN6thrust23THRUST_200600_302600_NS16discard_iteratorINSD_11use_defaultEEENSD_5minusIjEEEE10hipError_tPvRmT2_T3_mT4_P12ihipStream_tbEUlmE_jEESB_NS0_8identityIvEEEESJ_SM_SN_mSO_SQ_bEUlT_E_NS1_11comp_targetILNS1_3genE8ELNS1_11target_archE1030ELNS1_3gpuE2ELNS1_3repE0EEENS1_30default_config_static_selectorELNS0_4arch9wavefront6targetE1EEEvT1_
	.p2align	8
	.type	_ZN7rocprim17ROCPRIM_400000_NS6detail17trampoline_kernelINS0_14default_configENS1_25transform_config_selectorIjLb0EEEZNS1_14transform_implILb0ES3_S5_NS0_18transform_iteratorINS0_17counting_iteratorImlEEZNS1_24adjacent_difference_implIS3_Lb1ELb0EPjN6thrust23THRUST_200600_302600_NS16discard_iteratorINSD_11use_defaultEEENSD_5minusIjEEEE10hipError_tPvRmT2_T3_mT4_P12ihipStream_tbEUlmE_jEESB_NS0_8identityIvEEEESJ_SM_SN_mSO_SQ_bEUlT_E_NS1_11comp_targetILNS1_3genE8ELNS1_11target_archE1030ELNS1_3gpuE2ELNS1_3repE0EEENS1_30default_config_static_selectorELNS0_4arch9wavefront6targetE1EEEvT1_,@function
_ZN7rocprim17ROCPRIM_400000_NS6detail17trampoline_kernelINS0_14default_configENS1_25transform_config_selectorIjLb0EEEZNS1_14transform_implILb0ES3_S5_NS0_18transform_iteratorINS0_17counting_iteratorImlEEZNS1_24adjacent_difference_implIS3_Lb1ELb0EPjN6thrust23THRUST_200600_302600_NS16discard_iteratorINSD_11use_defaultEEENSD_5minusIjEEEE10hipError_tPvRmT2_T3_mT4_P12ihipStream_tbEUlmE_jEESB_NS0_8identityIvEEEESJ_SM_SN_mSO_SQ_bEUlT_E_NS1_11comp_targetILNS1_3genE8ELNS1_11target_archE1030ELNS1_3gpuE2ELNS1_3repE0EEENS1_30default_config_static_selectorELNS0_4arch9wavefront6targetE1EEEvT1_: ; @_ZN7rocprim17ROCPRIM_400000_NS6detail17trampoline_kernelINS0_14default_configENS1_25transform_config_selectorIjLb0EEEZNS1_14transform_implILb0ES3_S5_NS0_18transform_iteratorINS0_17counting_iteratorImlEEZNS1_24adjacent_difference_implIS3_Lb1ELb0EPjN6thrust23THRUST_200600_302600_NS16discard_iteratorINSD_11use_defaultEEENSD_5minusIjEEEE10hipError_tPvRmT2_T3_mT4_P12ihipStream_tbEUlmE_jEESB_NS0_8identityIvEEEESJ_SM_SN_mSO_SQ_bEUlT_E_NS1_11comp_targetILNS1_3genE8ELNS1_11target_archE1030ELNS1_3gpuE2ELNS1_3repE0EEENS1_30default_config_static_selectorELNS0_4arch9wavefront6targetE1EEEvT1_
; %bb.0:
	.section	.rodata,"a",@progbits
	.p2align	6, 0x0
	.amdhsa_kernel _ZN7rocprim17ROCPRIM_400000_NS6detail17trampoline_kernelINS0_14default_configENS1_25transform_config_selectorIjLb0EEEZNS1_14transform_implILb0ES3_S5_NS0_18transform_iteratorINS0_17counting_iteratorImlEEZNS1_24adjacent_difference_implIS3_Lb1ELb0EPjN6thrust23THRUST_200600_302600_NS16discard_iteratorINSD_11use_defaultEEENSD_5minusIjEEEE10hipError_tPvRmT2_T3_mT4_P12ihipStream_tbEUlmE_jEESB_NS0_8identityIvEEEESJ_SM_SN_mSO_SQ_bEUlT_E_NS1_11comp_targetILNS1_3genE8ELNS1_11target_archE1030ELNS1_3gpuE2ELNS1_3repE0EEENS1_30default_config_static_selectorELNS0_4arch9wavefront6targetE1EEEvT1_
		.amdhsa_group_segment_fixed_size 0
		.amdhsa_private_segment_fixed_size 0
		.amdhsa_kernarg_size 56
		.amdhsa_user_sgpr_count 6
		.amdhsa_user_sgpr_private_segment_buffer 1
		.amdhsa_user_sgpr_dispatch_ptr 0
		.amdhsa_user_sgpr_queue_ptr 0
		.amdhsa_user_sgpr_kernarg_segment_ptr 1
		.amdhsa_user_sgpr_dispatch_id 0
		.amdhsa_user_sgpr_flat_scratch_init 0
		.amdhsa_user_sgpr_private_segment_size 0
		.amdhsa_uses_dynamic_stack 0
		.amdhsa_system_sgpr_private_segment_wavefront_offset 0
		.amdhsa_system_sgpr_workgroup_id_x 1
		.amdhsa_system_sgpr_workgroup_id_y 0
		.amdhsa_system_sgpr_workgroup_id_z 0
		.amdhsa_system_sgpr_workgroup_info 0
		.amdhsa_system_vgpr_workitem_id 0
		.amdhsa_next_free_vgpr 1
		.amdhsa_next_free_sgpr 0
		.amdhsa_reserve_vcc 0
		.amdhsa_reserve_flat_scratch 0
		.amdhsa_float_round_mode_32 0
		.amdhsa_float_round_mode_16_64 0
		.amdhsa_float_denorm_mode_32 3
		.amdhsa_float_denorm_mode_16_64 3
		.amdhsa_dx10_clamp 1
		.amdhsa_ieee_mode 1
		.amdhsa_fp16_overflow 0
		.amdhsa_exception_fp_ieee_invalid_op 0
		.amdhsa_exception_fp_denorm_src 0
		.amdhsa_exception_fp_ieee_div_zero 0
		.amdhsa_exception_fp_ieee_overflow 0
		.amdhsa_exception_fp_ieee_underflow 0
		.amdhsa_exception_fp_ieee_inexact 0
		.amdhsa_exception_int_div_zero 0
	.end_amdhsa_kernel
	.section	.text._ZN7rocprim17ROCPRIM_400000_NS6detail17trampoline_kernelINS0_14default_configENS1_25transform_config_selectorIjLb0EEEZNS1_14transform_implILb0ES3_S5_NS0_18transform_iteratorINS0_17counting_iteratorImlEEZNS1_24adjacent_difference_implIS3_Lb1ELb0EPjN6thrust23THRUST_200600_302600_NS16discard_iteratorINSD_11use_defaultEEENSD_5minusIjEEEE10hipError_tPvRmT2_T3_mT4_P12ihipStream_tbEUlmE_jEESB_NS0_8identityIvEEEESJ_SM_SN_mSO_SQ_bEUlT_E_NS1_11comp_targetILNS1_3genE8ELNS1_11target_archE1030ELNS1_3gpuE2ELNS1_3repE0EEENS1_30default_config_static_selectorELNS0_4arch9wavefront6targetE1EEEvT1_,"axG",@progbits,_ZN7rocprim17ROCPRIM_400000_NS6detail17trampoline_kernelINS0_14default_configENS1_25transform_config_selectorIjLb0EEEZNS1_14transform_implILb0ES3_S5_NS0_18transform_iteratorINS0_17counting_iteratorImlEEZNS1_24adjacent_difference_implIS3_Lb1ELb0EPjN6thrust23THRUST_200600_302600_NS16discard_iteratorINSD_11use_defaultEEENSD_5minusIjEEEE10hipError_tPvRmT2_T3_mT4_P12ihipStream_tbEUlmE_jEESB_NS0_8identityIvEEEESJ_SM_SN_mSO_SQ_bEUlT_E_NS1_11comp_targetILNS1_3genE8ELNS1_11target_archE1030ELNS1_3gpuE2ELNS1_3repE0EEENS1_30default_config_static_selectorELNS0_4arch9wavefront6targetE1EEEvT1_,comdat
.Lfunc_end832:
	.size	_ZN7rocprim17ROCPRIM_400000_NS6detail17trampoline_kernelINS0_14default_configENS1_25transform_config_selectorIjLb0EEEZNS1_14transform_implILb0ES3_S5_NS0_18transform_iteratorINS0_17counting_iteratorImlEEZNS1_24adjacent_difference_implIS3_Lb1ELb0EPjN6thrust23THRUST_200600_302600_NS16discard_iteratorINSD_11use_defaultEEENSD_5minusIjEEEE10hipError_tPvRmT2_T3_mT4_P12ihipStream_tbEUlmE_jEESB_NS0_8identityIvEEEESJ_SM_SN_mSO_SQ_bEUlT_E_NS1_11comp_targetILNS1_3genE8ELNS1_11target_archE1030ELNS1_3gpuE2ELNS1_3repE0EEENS1_30default_config_static_selectorELNS0_4arch9wavefront6targetE1EEEvT1_, .Lfunc_end832-_ZN7rocprim17ROCPRIM_400000_NS6detail17trampoline_kernelINS0_14default_configENS1_25transform_config_selectorIjLb0EEEZNS1_14transform_implILb0ES3_S5_NS0_18transform_iteratorINS0_17counting_iteratorImlEEZNS1_24adjacent_difference_implIS3_Lb1ELb0EPjN6thrust23THRUST_200600_302600_NS16discard_iteratorINSD_11use_defaultEEENSD_5minusIjEEEE10hipError_tPvRmT2_T3_mT4_P12ihipStream_tbEUlmE_jEESB_NS0_8identityIvEEEESJ_SM_SN_mSO_SQ_bEUlT_E_NS1_11comp_targetILNS1_3genE8ELNS1_11target_archE1030ELNS1_3gpuE2ELNS1_3repE0EEENS1_30default_config_static_selectorELNS0_4arch9wavefront6targetE1EEEvT1_
                                        ; -- End function
	.set _ZN7rocprim17ROCPRIM_400000_NS6detail17trampoline_kernelINS0_14default_configENS1_25transform_config_selectorIjLb0EEEZNS1_14transform_implILb0ES3_S5_NS0_18transform_iteratorINS0_17counting_iteratorImlEEZNS1_24adjacent_difference_implIS3_Lb1ELb0EPjN6thrust23THRUST_200600_302600_NS16discard_iteratorINSD_11use_defaultEEENSD_5minusIjEEEE10hipError_tPvRmT2_T3_mT4_P12ihipStream_tbEUlmE_jEESB_NS0_8identityIvEEEESJ_SM_SN_mSO_SQ_bEUlT_E_NS1_11comp_targetILNS1_3genE8ELNS1_11target_archE1030ELNS1_3gpuE2ELNS1_3repE0EEENS1_30default_config_static_selectorELNS0_4arch9wavefront6targetE1EEEvT1_.num_vgpr, 0
	.set _ZN7rocprim17ROCPRIM_400000_NS6detail17trampoline_kernelINS0_14default_configENS1_25transform_config_selectorIjLb0EEEZNS1_14transform_implILb0ES3_S5_NS0_18transform_iteratorINS0_17counting_iteratorImlEEZNS1_24adjacent_difference_implIS3_Lb1ELb0EPjN6thrust23THRUST_200600_302600_NS16discard_iteratorINSD_11use_defaultEEENSD_5minusIjEEEE10hipError_tPvRmT2_T3_mT4_P12ihipStream_tbEUlmE_jEESB_NS0_8identityIvEEEESJ_SM_SN_mSO_SQ_bEUlT_E_NS1_11comp_targetILNS1_3genE8ELNS1_11target_archE1030ELNS1_3gpuE2ELNS1_3repE0EEENS1_30default_config_static_selectorELNS0_4arch9wavefront6targetE1EEEvT1_.num_agpr, 0
	.set _ZN7rocprim17ROCPRIM_400000_NS6detail17trampoline_kernelINS0_14default_configENS1_25transform_config_selectorIjLb0EEEZNS1_14transform_implILb0ES3_S5_NS0_18transform_iteratorINS0_17counting_iteratorImlEEZNS1_24adjacent_difference_implIS3_Lb1ELb0EPjN6thrust23THRUST_200600_302600_NS16discard_iteratorINSD_11use_defaultEEENSD_5minusIjEEEE10hipError_tPvRmT2_T3_mT4_P12ihipStream_tbEUlmE_jEESB_NS0_8identityIvEEEESJ_SM_SN_mSO_SQ_bEUlT_E_NS1_11comp_targetILNS1_3genE8ELNS1_11target_archE1030ELNS1_3gpuE2ELNS1_3repE0EEENS1_30default_config_static_selectorELNS0_4arch9wavefront6targetE1EEEvT1_.numbered_sgpr, 0
	.set _ZN7rocprim17ROCPRIM_400000_NS6detail17trampoline_kernelINS0_14default_configENS1_25transform_config_selectorIjLb0EEEZNS1_14transform_implILb0ES3_S5_NS0_18transform_iteratorINS0_17counting_iteratorImlEEZNS1_24adjacent_difference_implIS3_Lb1ELb0EPjN6thrust23THRUST_200600_302600_NS16discard_iteratorINSD_11use_defaultEEENSD_5minusIjEEEE10hipError_tPvRmT2_T3_mT4_P12ihipStream_tbEUlmE_jEESB_NS0_8identityIvEEEESJ_SM_SN_mSO_SQ_bEUlT_E_NS1_11comp_targetILNS1_3genE8ELNS1_11target_archE1030ELNS1_3gpuE2ELNS1_3repE0EEENS1_30default_config_static_selectorELNS0_4arch9wavefront6targetE1EEEvT1_.num_named_barrier, 0
	.set _ZN7rocprim17ROCPRIM_400000_NS6detail17trampoline_kernelINS0_14default_configENS1_25transform_config_selectorIjLb0EEEZNS1_14transform_implILb0ES3_S5_NS0_18transform_iteratorINS0_17counting_iteratorImlEEZNS1_24adjacent_difference_implIS3_Lb1ELb0EPjN6thrust23THRUST_200600_302600_NS16discard_iteratorINSD_11use_defaultEEENSD_5minusIjEEEE10hipError_tPvRmT2_T3_mT4_P12ihipStream_tbEUlmE_jEESB_NS0_8identityIvEEEESJ_SM_SN_mSO_SQ_bEUlT_E_NS1_11comp_targetILNS1_3genE8ELNS1_11target_archE1030ELNS1_3gpuE2ELNS1_3repE0EEENS1_30default_config_static_selectorELNS0_4arch9wavefront6targetE1EEEvT1_.private_seg_size, 0
	.set _ZN7rocprim17ROCPRIM_400000_NS6detail17trampoline_kernelINS0_14default_configENS1_25transform_config_selectorIjLb0EEEZNS1_14transform_implILb0ES3_S5_NS0_18transform_iteratorINS0_17counting_iteratorImlEEZNS1_24adjacent_difference_implIS3_Lb1ELb0EPjN6thrust23THRUST_200600_302600_NS16discard_iteratorINSD_11use_defaultEEENSD_5minusIjEEEE10hipError_tPvRmT2_T3_mT4_P12ihipStream_tbEUlmE_jEESB_NS0_8identityIvEEEESJ_SM_SN_mSO_SQ_bEUlT_E_NS1_11comp_targetILNS1_3genE8ELNS1_11target_archE1030ELNS1_3gpuE2ELNS1_3repE0EEENS1_30default_config_static_selectorELNS0_4arch9wavefront6targetE1EEEvT1_.uses_vcc, 0
	.set _ZN7rocprim17ROCPRIM_400000_NS6detail17trampoline_kernelINS0_14default_configENS1_25transform_config_selectorIjLb0EEEZNS1_14transform_implILb0ES3_S5_NS0_18transform_iteratorINS0_17counting_iteratorImlEEZNS1_24adjacent_difference_implIS3_Lb1ELb0EPjN6thrust23THRUST_200600_302600_NS16discard_iteratorINSD_11use_defaultEEENSD_5minusIjEEEE10hipError_tPvRmT2_T3_mT4_P12ihipStream_tbEUlmE_jEESB_NS0_8identityIvEEEESJ_SM_SN_mSO_SQ_bEUlT_E_NS1_11comp_targetILNS1_3genE8ELNS1_11target_archE1030ELNS1_3gpuE2ELNS1_3repE0EEENS1_30default_config_static_selectorELNS0_4arch9wavefront6targetE1EEEvT1_.uses_flat_scratch, 0
	.set _ZN7rocprim17ROCPRIM_400000_NS6detail17trampoline_kernelINS0_14default_configENS1_25transform_config_selectorIjLb0EEEZNS1_14transform_implILb0ES3_S5_NS0_18transform_iteratorINS0_17counting_iteratorImlEEZNS1_24adjacent_difference_implIS3_Lb1ELb0EPjN6thrust23THRUST_200600_302600_NS16discard_iteratorINSD_11use_defaultEEENSD_5minusIjEEEE10hipError_tPvRmT2_T3_mT4_P12ihipStream_tbEUlmE_jEESB_NS0_8identityIvEEEESJ_SM_SN_mSO_SQ_bEUlT_E_NS1_11comp_targetILNS1_3genE8ELNS1_11target_archE1030ELNS1_3gpuE2ELNS1_3repE0EEENS1_30default_config_static_selectorELNS0_4arch9wavefront6targetE1EEEvT1_.has_dyn_sized_stack, 0
	.set _ZN7rocprim17ROCPRIM_400000_NS6detail17trampoline_kernelINS0_14default_configENS1_25transform_config_selectorIjLb0EEEZNS1_14transform_implILb0ES3_S5_NS0_18transform_iteratorINS0_17counting_iteratorImlEEZNS1_24adjacent_difference_implIS3_Lb1ELb0EPjN6thrust23THRUST_200600_302600_NS16discard_iteratorINSD_11use_defaultEEENSD_5minusIjEEEE10hipError_tPvRmT2_T3_mT4_P12ihipStream_tbEUlmE_jEESB_NS0_8identityIvEEEESJ_SM_SN_mSO_SQ_bEUlT_E_NS1_11comp_targetILNS1_3genE8ELNS1_11target_archE1030ELNS1_3gpuE2ELNS1_3repE0EEENS1_30default_config_static_selectorELNS0_4arch9wavefront6targetE1EEEvT1_.has_recursion, 0
	.set _ZN7rocprim17ROCPRIM_400000_NS6detail17trampoline_kernelINS0_14default_configENS1_25transform_config_selectorIjLb0EEEZNS1_14transform_implILb0ES3_S5_NS0_18transform_iteratorINS0_17counting_iteratorImlEEZNS1_24adjacent_difference_implIS3_Lb1ELb0EPjN6thrust23THRUST_200600_302600_NS16discard_iteratorINSD_11use_defaultEEENSD_5minusIjEEEE10hipError_tPvRmT2_T3_mT4_P12ihipStream_tbEUlmE_jEESB_NS0_8identityIvEEEESJ_SM_SN_mSO_SQ_bEUlT_E_NS1_11comp_targetILNS1_3genE8ELNS1_11target_archE1030ELNS1_3gpuE2ELNS1_3repE0EEENS1_30default_config_static_selectorELNS0_4arch9wavefront6targetE1EEEvT1_.has_indirect_call, 0
	.section	.AMDGPU.csdata,"",@progbits
; Kernel info:
; codeLenInByte = 0
; TotalNumSgprs: 4
; NumVgprs: 0
; ScratchSize: 0
; MemoryBound: 0
; FloatMode: 240
; IeeeMode: 1
; LDSByteSize: 0 bytes/workgroup (compile time only)
; SGPRBlocks: 0
; VGPRBlocks: 0
; NumSGPRsForWavesPerEU: 4
; NumVGPRsForWavesPerEU: 1
; Occupancy: 10
; WaveLimiterHint : 0
; COMPUTE_PGM_RSRC2:SCRATCH_EN: 0
; COMPUTE_PGM_RSRC2:USER_SGPR: 6
; COMPUTE_PGM_RSRC2:TRAP_HANDLER: 0
; COMPUTE_PGM_RSRC2:TGID_X_EN: 1
; COMPUTE_PGM_RSRC2:TGID_Y_EN: 0
; COMPUTE_PGM_RSRC2:TGID_Z_EN: 0
; COMPUTE_PGM_RSRC2:TIDIG_COMP_CNT: 0
	.section	.text._ZN7rocprim17ROCPRIM_400000_NS6detail17trampoline_kernelINS0_14default_configENS1_35adjacent_difference_config_selectorILb1EjEEZNS1_24adjacent_difference_implIS3_Lb1ELb0EPjN6thrust23THRUST_200600_302600_NS16discard_iteratorINS9_11use_defaultEEENS9_5minusIjEEEE10hipError_tPvRmT2_T3_mT4_P12ihipStream_tbEUlT_E_NS1_11comp_targetILNS1_3genE0ELNS1_11target_archE4294967295ELNS1_3gpuE0ELNS1_3repE0EEENS1_30default_config_static_selectorELNS0_4arch9wavefront6targetE1EEEvT1_,"axG",@progbits,_ZN7rocprim17ROCPRIM_400000_NS6detail17trampoline_kernelINS0_14default_configENS1_35adjacent_difference_config_selectorILb1EjEEZNS1_24adjacent_difference_implIS3_Lb1ELb0EPjN6thrust23THRUST_200600_302600_NS16discard_iteratorINS9_11use_defaultEEENS9_5minusIjEEEE10hipError_tPvRmT2_T3_mT4_P12ihipStream_tbEUlT_E_NS1_11comp_targetILNS1_3genE0ELNS1_11target_archE4294967295ELNS1_3gpuE0ELNS1_3repE0EEENS1_30default_config_static_selectorELNS0_4arch9wavefront6targetE1EEEvT1_,comdat
	.protected	_ZN7rocprim17ROCPRIM_400000_NS6detail17trampoline_kernelINS0_14default_configENS1_35adjacent_difference_config_selectorILb1EjEEZNS1_24adjacent_difference_implIS3_Lb1ELb0EPjN6thrust23THRUST_200600_302600_NS16discard_iteratorINS9_11use_defaultEEENS9_5minusIjEEEE10hipError_tPvRmT2_T3_mT4_P12ihipStream_tbEUlT_E_NS1_11comp_targetILNS1_3genE0ELNS1_11target_archE4294967295ELNS1_3gpuE0ELNS1_3repE0EEENS1_30default_config_static_selectorELNS0_4arch9wavefront6targetE1EEEvT1_ ; -- Begin function _ZN7rocprim17ROCPRIM_400000_NS6detail17trampoline_kernelINS0_14default_configENS1_35adjacent_difference_config_selectorILb1EjEEZNS1_24adjacent_difference_implIS3_Lb1ELb0EPjN6thrust23THRUST_200600_302600_NS16discard_iteratorINS9_11use_defaultEEENS9_5minusIjEEEE10hipError_tPvRmT2_T3_mT4_P12ihipStream_tbEUlT_E_NS1_11comp_targetILNS1_3genE0ELNS1_11target_archE4294967295ELNS1_3gpuE0ELNS1_3repE0EEENS1_30default_config_static_selectorELNS0_4arch9wavefront6targetE1EEEvT1_
	.globl	_ZN7rocprim17ROCPRIM_400000_NS6detail17trampoline_kernelINS0_14default_configENS1_35adjacent_difference_config_selectorILb1EjEEZNS1_24adjacent_difference_implIS3_Lb1ELb0EPjN6thrust23THRUST_200600_302600_NS16discard_iteratorINS9_11use_defaultEEENS9_5minusIjEEEE10hipError_tPvRmT2_T3_mT4_P12ihipStream_tbEUlT_E_NS1_11comp_targetILNS1_3genE0ELNS1_11target_archE4294967295ELNS1_3gpuE0ELNS1_3repE0EEENS1_30default_config_static_selectorELNS0_4arch9wavefront6targetE1EEEvT1_
	.p2align	8
	.type	_ZN7rocprim17ROCPRIM_400000_NS6detail17trampoline_kernelINS0_14default_configENS1_35adjacent_difference_config_selectorILb1EjEEZNS1_24adjacent_difference_implIS3_Lb1ELb0EPjN6thrust23THRUST_200600_302600_NS16discard_iteratorINS9_11use_defaultEEENS9_5minusIjEEEE10hipError_tPvRmT2_T3_mT4_P12ihipStream_tbEUlT_E_NS1_11comp_targetILNS1_3genE0ELNS1_11target_archE4294967295ELNS1_3gpuE0ELNS1_3repE0EEENS1_30default_config_static_selectorELNS0_4arch9wavefront6targetE1EEEvT1_,@function
_ZN7rocprim17ROCPRIM_400000_NS6detail17trampoline_kernelINS0_14default_configENS1_35adjacent_difference_config_selectorILb1EjEEZNS1_24adjacent_difference_implIS3_Lb1ELb0EPjN6thrust23THRUST_200600_302600_NS16discard_iteratorINS9_11use_defaultEEENS9_5minusIjEEEE10hipError_tPvRmT2_T3_mT4_P12ihipStream_tbEUlT_E_NS1_11comp_targetILNS1_3genE0ELNS1_11target_archE4294967295ELNS1_3gpuE0ELNS1_3repE0EEENS1_30default_config_static_selectorELNS0_4arch9wavefront6targetE1EEEvT1_: ; @_ZN7rocprim17ROCPRIM_400000_NS6detail17trampoline_kernelINS0_14default_configENS1_35adjacent_difference_config_selectorILb1EjEEZNS1_24adjacent_difference_implIS3_Lb1ELb0EPjN6thrust23THRUST_200600_302600_NS16discard_iteratorINS9_11use_defaultEEENS9_5minusIjEEEE10hipError_tPvRmT2_T3_mT4_P12ihipStream_tbEUlT_E_NS1_11comp_targetILNS1_3genE0ELNS1_11target_archE4294967295ELNS1_3gpuE0ELNS1_3repE0EEENS1_30default_config_static_selectorELNS0_4arch9wavefront6targetE1EEEvT1_
; %bb.0:
	.section	.rodata,"a",@progbits
	.p2align	6, 0x0
	.amdhsa_kernel _ZN7rocprim17ROCPRIM_400000_NS6detail17trampoline_kernelINS0_14default_configENS1_35adjacent_difference_config_selectorILb1EjEEZNS1_24adjacent_difference_implIS3_Lb1ELb0EPjN6thrust23THRUST_200600_302600_NS16discard_iteratorINS9_11use_defaultEEENS9_5minusIjEEEE10hipError_tPvRmT2_T3_mT4_P12ihipStream_tbEUlT_E_NS1_11comp_targetILNS1_3genE0ELNS1_11target_archE4294967295ELNS1_3gpuE0ELNS1_3repE0EEENS1_30default_config_static_selectorELNS0_4arch9wavefront6targetE1EEEvT1_
		.amdhsa_group_segment_fixed_size 0
		.amdhsa_private_segment_fixed_size 0
		.amdhsa_kernarg_size 64
		.amdhsa_user_sgpr_count 6
		.amdhsa_user_sgpr_private_segment_buffer 1
		.amdhsa_user_sgpr_dispatch_ptr 0
		.amdhsa_user_sgpr_queue_ptr 0
		.amdhsa_user_sgpr_kernarg_segment_ptr 1
		.amdhsa_user_sgpr_dispatch_id 0
		.amdhsa_user_sgpr_flat_scratch_init 0
		.amdhsa_user_sgpr_private_segment_size 0
		.amdhsa_uses_dynamic_stack 0
		.amdhsa_system_sgpr_private_segment_wavefront_offset 0
		.amdhsa_system_sgpr_workgroup_id_x 1
		.amdhsa_system_sgpr_workgroup_id_y 0
		.amdhsa_system_sgpr_workgroup_id_z 0
		.amdhsa_system_sgpr_workgroup_info 0
		.amdhsa_system_vgpr_workitem_id 0
		.amdhsa_next_free_vgpr 1
		.amdhsa_next_free_sgpr 0
		.amdhsa_reserve_vcc 0
		.amdhsa_reserve_flat_scratch 0
		.amdhsa_float_round_mode_32 0
		.amdhsa_float_round_mode_16_64 0
		.amdhsa_float_denorm_mode_32 3
		.amdhsa_float_denorm_mode_16_64 3
		.amdhsa_dx10_clamp 1
		.amdhsa_ieee_mode 1
		.amdhsa_fp16_overflow 0
		.amdhsa_exception_fp_ieee_invalid_op 0
		.amdhsa_exception_fp_denorm_src 0
		.amdhsa_exception_fp_ieee_div_zero 0
		.amdhsa_exception_fp_ieee_overflow 0
		.amdhsa_exception_fp_ieee_underflow 0
		.amdhsa_exception_fp_ieee_inexact 0
		.amdhsa_exception_int_div_zero 0
	.end_amdhsa_kernel
	.section	.text._ZN7rocprim17ROCPRIM_400000_NS6detail17trampoline_kernelINS0_14default_configENS1_35adjacent_difference_config_selectorILb1EjEEZNS1_24adjacent_difference_implIS3_Lb1ELb0EPjN6thrust23THRUST_200600_302600_NS16discard_iteratorINS9_11use_defaultEEENS9_5minusIjEEEE10hipError_tPvRmT2_T3_mT4_P12ihipStream_tbEUlT_E_NS1_11comp_targetILNS1_3genE0ELNS1_11target_archE4294967295ELNS1_3gpuE0ELNS1_3repE0EEENS1_30default_config_static_selectorELNS0_4arch9wavefront6targetE1EEEvT1_,"axG",@progbits,_ZN7rocprim17ROCPRIM_400000_NS6detail17trampoline_kernelINS0_14default_configENS1_35adjacent_difference_config_selectorILb1EjEEZNS1_24adjacent_difference_implIS3_Lb1ELb0EPjN6thrust23THRUST_200600_302600_NS16discard_iteratorINS9_11use_defaultEEENS9_5minusIjEEEE10hipError_tPvRmT2_T3_mT4_P12ihipStream_tbEUlT_E_NS1_11comp_targetILNS1_3genE0ELNS1_11target_archE4294967295ELNS1_3gpuE0ELNS1_3repE0EEENS1_30default_config_static_selectorELNS0_4arch9wavefront6targetE1EEEvT1_,comdat
.Lfunc_end833:
	.size	_ZN7rocprim17ROCPRIM_400000_NS6detail17trampoline_kernelINS0_14default_configENS1_35adjacent_difference_config_selectorILb1EjEEZNS1_24adjacent_difference_implIS3_Lb1ELb0EPjN6thrust23THRUST_200600_302600_NS16discard_iteratorINS9_11use_defaultEEENS9_5minusIjEEEE10hipError_tPvRmT2_T3_mT4_P12ihipStream_tbEUlT_E_NS1_11comp_targetILNS1_3genE0ELNS1_11target_archE4294967295ELNS1_3gpuE0ELNS1_3repE0EEENS1_30default_config_static_selectorELNS0_4arch9wavefront6targetE1EEEvT1_, .Lfunc_end833-_ZN7rocprim17ROCPRIM_400000_NS6detail17trampoline_kernelINS0_14default_configENS1_35adjacent_difference_config_selectorILb1EjEEZNS1_24adjacent_difference_implIS3_Lb1ELb0EPjN6thrust23THRUST_200600_302600_NS16discard_iteratorINS9_11use_defaultEEENS9_5minusIjEEEE10hipError_tPvRmT2_T3_mT4_P12ihipStream_tbEUlT_E_NS1_11comp_targetILNS1_3genE0ELNS1_11target_archE4294967295ELNS1_3gpuE0ELNS1_3repE0EEENS1_30default_config_static_selectorELNS0_4arch9wavefront6targetE1EEEvT1_
                                        ; -- End function
	.set _ZN7rocprim17ROCPRIM_400000_NS6detail17trampoline_kernelINS0_14default_configENS1_35adjacent_difference_config_selectorILb1EjEEZNS1_24adjacent_difference_implIS3_Lb1ELb0EPjN6thrust23THRUST_200600_302600_NS16discard_iteratorINS9_11use_defaultEEENS9_5minusIjEEEE10hipError_tPvRmT2_T3_mT4_P12ihipStream_tbEUlT_E_NS1_11comp_targetILNS1_3genE0ELNS1_11target_archE4294967295ELNS1_3gpuE0ELNS1_3repE0EEENS1_30default_config_static_selectorELNS0_4arch9wavefront6targetE1EEEvT1_.num_vgpr, 0
	.set _ZN7rocprim17ROCPRIM_400000_NS6detail17trampoline_kernelINS0_14default_configENS1_35adjacent_difference_config_selectorILb1EjEEZNS1_24adjacent_difference_implIS3_Lb1ELb0EPjN6thrust23THRUST_200600_302600_NS16discard_iteratorINS9_11use_defaultEEENS9_5minusIjEEEE10hipError_tPvRmT2_T3_mT4_P12ihipStream_tbEUlT_E_NS1_11comp_targetILNS1_3genE0ELNS1_11target_archE4294967295ELNS1_3gpuE0ELNS1_3repE0EEENS1_30default_config_static_selectorELNS0_4arch9wavefront6targetE1EEEvT1_.num_agpr, 0
	.set _ZN7rocprim17ROCPRIM_400000_NS6detail17trampoline_kernelINS0_14default_configENS1_35adjacent_difference_config_selectorILb1EjEEZNS1_24adjacent_difference_implIS3_Lb1ELb0EPjN6thrust23THRUST_200600_302600_NS16discard_iteratorINS9_11use_defaultEEENS9_5minusIjEEEE10hipError_tPvRmT2_T3_mT4_P12ihipStream_tbEUlT_E_NS1_11comp_targetILNS1_3genE0ELNS1_11target_archE4294967295ELNS1_3gpuE0ELNS1_3repE0EEENS1_30default_config_static_selectorELNS0_4arch9wavefront6targetE1EEEvT1_.numbered_sgpr, 0
	.set _ZN7rocprim17ROCPRIM_400000_NS6detail17trampoline_kernelINS0_14default_configENS1_35adjacent_difference_config_selectorILb1EjEEZNS1_24adjacent_difference_implIS3_Lb1ELb0EPjN6thrust23THRUST_200600_302600_NS16discard_iteratorINS9_11use_defaultEEENS9_5minusIjEEEE10hipError_tPvRmT2_T3_mT4_P12ihipStream_tbEUlT_E_NS1_11comp_targetILNS1_3genE0ELNS1_11target_archE4294967295ELNS1_3gpuE0ELNS1_3repE0EEENS1_30default_config_static_selectorELNS0_4arch9wavefront6targetE1EEEvT1_.num_named_barrier, 0
	.set _ZN7rocprim17ROCPRIM_400000_NS6detail17trampoline_kernelINS0_14default_configENS1_35adjacent_difference_config_selectorILb1EjEEZNS1_24adjacent_difference_implIS3_Lb1ELb0EPjN6thrust23THRUST_200600_302600_NS16discard_iteratorINS9_11use_defaultEEENS9_5minusIjEEEE10hipError_tPvRmT2_T3_mT4_P12ihipStream_tbEUlT_E_NS1_11comp_targetILNS1_3genE0ELNS1_11target_archE4294967295ELNS1_3gpuE0ELNS1_3repE0EEENS1_30default_config_static_selectorELNS0_4arch9wavefront6targetE1EEEvT1_.private_seg_size, 0
	.set _ZN7rocprim17ROCPRIM_400000_NS6detail17trampoline_kernelINS0_14default_configENS1_35adjacent_difference_config_selectorILb1EjEEZNS1_24adjacent_difference_implIS3_Lb1ELb0EPjN6thrust23THRUST_200600_302600_NS16discard_iteratorINS9_11use_defaultEEENS9_5minusIjEEEE10hipError_tPvRmT2_T3_mT4_P12ihipStream_tbEUlT_E_NS1_11comp_targetILNS1_3genE0ELNS1_11target_archE4294967295ELNS1_3gpuE0ELNS1_3repE0EEENS1_30default_config_static_selectorELNS0_4arch9wavefront6targetE1EEEvT1_.uses_vcc, 0
	.set _ZN7rocprim17ROCPRIM_400000_NS6detail17trampoline_kernelINS0_14default_configENS1_35adjacent_difference_config_selectorILb1EjEEZNS1_24adjacent_difference_implIS3_Lb1ELb0EPjN6thrust23THRUST_200600_302600_NS16discard_iteratorINS9_11use_defaultEEENS9_5minusIjEEEE10hipError_tPvRmT2_T3_mT4_P12ihipStream_tbEUlT_E_NS1_11comp_targetILNS1_3genE0ELNS1_11target_archE4294967295ELNS1_3gpuE0ELNS1_3repE0EEENS1_30default_config_static_selectorELNS0_4arch9wavefront6targetE1EEEvT1_.uses_flat_scratch, 0
	.set _ZN7rocprim17ROCPRIM_400000_NS6detail17trampoline_kernelINS0_14default_configENS1_35adjacent_difference_config_selectorILb1EjEEZNS1_24adjacent_difference_implIS3_Lb1ELb0EPjN6thrust23THRUST_200600_302600_NS16discard_iteratorINS9_11use_defaultEEENS9_5minusIjEEEE10hipError_tPvRmT2_T3_mT4_P12ihipStream_tbEUlT_E_NS1_11comp_targetILNS1_3genE0ELNS1_11target_archE4294967295ELNS1_3gpuE0ELNS1_3repE0EEENS1_30default_config_static_selectorELNS0_4arch9wavefront6targetE1EEEvT1_.has_dyn_sized_stack, 0
	.set _ZN7rocprim17ROCPRIM_400000_NS6detail17trampoline_kernelINS0_14default_configENS1_35adjacent_difference_config_selectorILb1EjEEZNS1_24adjacent_difference_implIS3_Lb1ELb0EPjN6thrust23THRUST_200600_302600_NS16discard_iteratorINS9_11use_defaultEEENS9_5minusIjEEEE10hipError_tPvRmT2_T3_mT4_P12ihipStream_tbEUlT_E_NS1_11comp_targetILNS1_3genE0ELNS1_11target_archE4294967295ELNS1_3gpuE0ELNS1_3repE0EEENS1_30default_config_static_selectorELNS0_4arch9wavefront6targetE1EEEvT1_.has_recursion, 0
	.set _ZN7rocprim17ROCPRIM_400000_NS6detail17trampoline_kernelINS0_14default_configENS1_35adjacent_difference_config_selectorILb1EjEEZNS1_24adjacent_difference_implIS3_Lb1ELb0EPjN6thrust23THRUST_200600_302600_NS16discard_iteratorINS9_11use_defaultEEENS9_5minusIjEEEE10hipError_tPvRmT2_T3_mT4_P12ihipStream_tbEUlT_E_NS1_11comp_targetILNS1_3genE0ELNS1_11target_archE4294967295ELNS1_3gpuE0ELNS1_3repE0EEENS1_30default_config_static_selectorELNS0_4arch9wavefront6targetE1EEEvT1_.has_indirect_call, 0
	.section	.AMDGPU.csdata,"",@progbits
; Kernel info:
; codeLenInByte = 0
; TotalNumSgprs: 4
; NumVgprs: 0
; ScratchSize: 0
; MemoryBound: 0
; FloatMode: 240
; IeeeMode: 1
; LDSByteSize: 0 bytes/workgroup (compile time only)
; SGPRBlocks: 0
; VGPRBlocks: 0
; NumSGPRsForWavesPerEU: 4
; NumVGPRsForWavesPerEU: 1
; Occupancy: 10
; WaveLimiterHint : 0
; COMPUTE_PGM_RSRC2:SCRATCH_EN: 0
; COMPUTE_PGM_RSRC2:USER_SGPR: 6
; COMPUTE_PGM_RSRC2:TRAP_HANDLER: 0
; COMPUTE_PGM_RSRC2:TGID_X_EN: 1
; COMPUTE_PGM_RSRC2:TGID_Y_EN: 0
; COMPUTE_PGM_RSRC2:TGID_Z_EN: 0
; COMPUTE_PGM_RSRC2:TIDIG_COMP_CNT: 0
	.section	.text._ZN7rocprim17ROCPRIM_400000_NS6detail17trampoline_kernelINS0_14default_configENS1_35adjacent_difference_config_selectorILb1EjEEZNS1_24adjacent_difference_implIS3_Lb1ELb0EPjN6thrust23THRUST_200600_302600_NS16discard_iteratorINS9_11use_defaultEEENS9_5minusIjEEEE10hipError_tPvRmT2_T3_mT4_P12ihipStream_tbEUlT_E_NS1_11comp_targetILNS1_3genE10ELNS1_11target_archE1201ELNS1_3gpuE5ELNS1_3repE0EEENS1_30default_config_static_selectorELNS0_4arch9wavefront6targetE1EEEvT1_,"axG",@progbits,_ZN7rocprim17ROCPRIM_400000_NS6detail17trampoline_kernelINS0_14default_configENS1_35adjacent_difference_config_selectorILb1EjEEZNS1_24adjacent_difference_implIS3_Lb1ELb0EPjN6thrust23THRUST_200600_302600_NS16discard_iteratorINS9_11use_defaultEEENS9_5minusIjEEEE10hipError_tPvRmT2_T3_mT4_P12ihipStream_tbEUlT_E_NS1_11comp_targetILNS1_3genE10ELNS1_11target_archE1201ELNS1_3gpuE5ELNS1_3repE0EEENS1_30default_config_static_selectorELNS0_4arch9wavefront6targetE1EEEvT1_,comdat
	.protected	_ZN7rocprim17ROCPRIM_400000_NS6detail17trampoline_kernelINS0_14default_configENS1_35adjacent_difference_config_selectorILb1EjEEZNS1_24adjacent_difference_implIS3_Lb1ELb0EPjN6thrust23THRUST_200600_302600_NS16discard_iteratorINS9_11use_defaultEEENS9_5minusIjEEEE10hipError_tPvRmT2_T3_mT4_P12ihipStream_tbEUlT_E_NS1_11comp_targetILNS1_3genE10ELNS1_11target_archE1201ELNS1_3gpuE5ELNS1_3repE0EEENS1_30default_config_static_selectorELNS0_4arch9wavefront6targetE1EEEvT1_ ; -- Begin function _ZN7rocprim17ROCPRIM_400000_NS6detail17trampoline_kernelINS0_14default_configENS1_35adjacent_difference_config_selectorILb1EjEEZNS1_24adjacent_difference_implIS3_Lb1ELb0EPjN6thrust23THRUST_200600_302600_NS16discard_iteratorINS9_11use_defaultEEENS9_5minusIjEEEE10hipError_tPvRmT2_T3_mT4_P12ihipStream_tbEUlT_E_NS1_11comp_targetILNS1_3genE10ELNS1_11target_archE1201ELNS1_3gpuE5ELNS1_3repE0EEENS1_30default_config_static_selectorELNS0_4arch9wavefront6targetE1EEEvT1_
	.globl	_ZN7rocprim17ROCPRIM_400000_NS6detail17trampoline_kernelINS0_14default_configENS1_35adjacent_difference_config_selectorILb1EjEEZNS1_24adjacent_difference_implIS3_Lb1ELb0EPjN6thrust23THRUST_200600_302600_NS16discard_iteratorINS9_11use_defaultEEENS9_5minusIjEEEE10hipError_tPvRmT2_T3_mT4_P12ihipStream_tbEUlT_E_NS1_11comp_targetILNS1_3genE10ELNS1_11target_archE1201ELNS1_3gpuE5ELNS1_3repE0EEENS1_30default_config_static_selectorELNS0_4arch9wavefront6targetE1EEEvT1_
	.p2align	8
	.type	_ZN7rocprim17ROCPRIM_400000_NS6detail17trampoline_kernelINS0_14default_configENS1_35adjacent_difference_config_selectorILb1EjEEZNS1_24adjacent_difference_implIS3_Lb1ELb0EPjN6thrust23THRUST_200600_302600_NS16discard_iteratorINS9_11use_defaultEEENS9_5minusIjEEEE10hipError_tPvRmT2_T3_mT4_P12ihipStream_tbEUlT_E_NS1_11comp_targetILNS1_3genE10ELNS1_11target_archE1201ELNS1_3gpuE5ELNS1_3repE0EEENS1_30default_config_static_selectorELNS0_4arch9wavefront6targetE1EEEvT1_,@function
_ZN7rocprim17ROCPRIM_400000_NS6detail17trampoline_kernelINS0_14default_configENS1_35adjacent_difference_config_selectorILb1EjEEZNS1_24adjacent_difference_implIS3_Lb1ELb0EPjN6thrust23THRUST_200600_302600_NS16discard_iteratorINS9_11use_defaultEEENS9_5minusIjEEEE10hipError_tPvRmT2_T3_mT4_P12ihipStream_tbEUlT_E_NS1_11comp_targetILNS1_3genE10ELNS1_11target_archE1201ELNS1_3gpuE5ELNS1_3repE0EEENS1_30default_config_static_selectorELNS0_4arch9wavefront6targetE1EEEvT1_: ; @_ZN7rocprim17ROCPRIM_400000_NS6detail17trampoline_kernelINS0_14default_configENS1_35adjacent_difference_config_selectorILb1EjEEZNS1_24adjacent_difference_implIS3_Lb1ELb0EPjN6thrust23THRUST_200600_302600_NS16discard_iteratorINS9_11use_defaultEEENS9_5minusIjEEEE10hipError_tPvRmT2_T3_mT4_P12ihipStream_tbEUlT_E_NS1_11comp_targetILNS1_3genE10ELNS1_11target_archE1201ELNS1_3gpuE5ELNS1_3repE0EEENS1_30default_config_static_selectorELNS0_4arch9wavefront6targetE1EEEvT1_
; %bb.0:
	.section	.rodata,"a",@progbits
	.p2align	6, 0x0
	.amdhsa_kernel _ZN7rocprim17ROCPRIM_400000_NS6detail17trampoline_kernelINS0_14default_configENS1_35adjacent_difference_config_selectorILb1EjEEZNS1_24adjacent_difference_implIS3_Lb1ELb0EPjN6thrust23THRUST_200600_302600_NS16discard_iteratorINS9_11use_defaultEEENS9_5minusIjEEEE10hipError_tPvRmT2_T3_mT4_P12ihipStream_tbEUlT_E_NS1_11comp_targetILNS1_3genE10ELNS1_11target_archE1201ELNS1_3gpuE5ELNS1_3repE0EEENS1_30default_config_static_selectorELNS0_4arch9wavefront6targetE1EEEvT1_
		.amdhsa_group_segment_fixed_size 0
		.amdhsa_private_segment_fixed_size 0
		.amdhsa_kernarg_size 64
		.amdhsa_user_sgpr_count 6
		.amdhsa_user_sgpr_private_segment_buffer 1
		.amdhsa_user_sgpr_dispatch_ptr 0
		.amdhsa_user_sgpr_queue_ptr 0
		.amdhsa_user_sgpr_kernarg_segment_ptr 1
		.amdhsa_user_sgpr_dispatch_id 0
		.amdhsa_user_sgpr_flat_scratch_init 0
		.amdhsa_user_sgpr_private_segment_size 0
		.amdhsa_uses_dynamic_stack 0
		.amdhsa_system_sgpr_private_segment_wavefront_offset 0
		.amdhsa_system_sgpr_workgroup_id_x 1
		.amdhsa_system_sgpr_workgroup_id_y 0
		.amdhsa_system_sgpr_workgroup_id_z 0
		.amdhsa_system_sgpr_workgroup_info 0
		.amdhsa_system_vgpr_workitem_id 0
		.amdhsa_next_free_vgpr 1
		.amdhsa_next_free_sgpr 0
		.amdhsa_reserve_vcc 0
		.amdhsa_reserve_flat_scratch 0
		.amdhsa_float_round_mode_32 0
		.amdhsa_float_round_mode_16_64 0
		.amdhsa_float_denorm_mode_32 3
		.amdhsa_float_denorm_mode_16_64 3
		.amdhsa_dx10_clamp 1
		.amdhsa_ieee_mode 1
		.amdhsa_fp16_overflow 0
		.amdhsa_exception_fp_ieee_invalid_op 0
		.amdhsa_exception_fp_denorm_src 0
		.amdhsa_exception_fp_ieee_div_zero 0
		.amdhsa_exception_fp_ieee_overflow 0
		.amdhsa_exception_fp_ieee_underflow 0
		.amdhsa_exception_fp_ieee_inexact 0
		.amdhsa_exception_int_div_zero 0
	.end_amdhsa_kernel
	.section	.text._ZN7rocprim17ROCPRIM_400000_NS6detail17trampoline_kernelINS0_14default_configENS1_35adjacent_difference_config_selectorILb1EjEEZNS1_24adjacent_difference_implIS3_Lb1ELb0EPjN6thrust23THRUST_200600_302600_NS16discard_iteratorINS9_11use_defaultEEENS9_5minusIjEEEE10hipError_tPvRmT2_T3_mT4_P12ihipStream_tbEUlT_E_NS1_11comp_targetILNS1_3genE10ELNS1_11target_archE1201ELNS1_3gpuE5ELNS1_3repE0EEENS1_30default_config_static_selectorELNS0_4arch9wavefront6targetE1EEEvT1_,"axG",@progbits,_ZN7rocprim17ROCPRIM_400000_NS6detail17trampoline_kernelINS0_14default_configENS1_35adjacent_difference_config_selectorILb1EjEEZNS1_24adjacent_difference_implIS3_Lb1ELb0EPjN6thrust23THRUST_200600_302600_NS16discard_iteratorINS9_11use_defaultEEENS9_5minusIjEEEE10hipError_tPvRmT2_T3_mT4_P12ihipStream_tbEUlT_E_NS1_11comp_targetILNS1_3genE10ELNS1_11target_archE1201ELNS1_3gpuE5ELNS1_3repE0EEENS1_30default_config_static_selectorELNS0_4arch9wavefront6targetE1EEEvT1_,comdat
.Lfunc_end834:
	.size	_ZN7rocprim17ROCPRIM_400000_NS6detail17trampoline_kernelINS0_14default_configENS1_35adjacent_difference_config_selectorILb1EjEEZNS1_24adjacent_difference_implIS3_Lb1ELb0EPjN6thrust23THRUST_200600_302600_NS16discard_iteratorINS9_11use_defaultEEENS9_5minusIjEEEE10hipError_tPvRmT2_T3_mT4_P12ihipStream_tbEUlT_E_NS1_11comp_targetILNS1_3genE10ELNS1_11target_archE1201ELNS1_3gpuE5ELNS1_3repE0EEENS1_30default_config_static_selectorELNS0_4arch9wavefront6targetE1EEEvT1_, .Lfunc_end834-_ZN7rocprim17ROCPRIM_400000_NS6detail17trampoline_kernelINS0_14default_configENS1_35adjacent_difference_config_selectorILb1EjEEZNS1_24adjacent_difference_implIS3_Lb1ELb0EPjN6thrust23THRUST_200600_302600_NS16discard_iteratorINS9_11use_defaultEEENS9_5minusIjEEEE10hipError_tPvRmT2_T3_mT4_P12ihipStream_tbEUlT_E_NS1_11comp_targetILNS1_3genE10ELNS1_11target_archE1201ELNS1_3gpuE5ELNS1_3repE0EEENS1_30default_config_static_selectorELNS0_4arch9wavefront6targetE1EEEvT1_
                                        ; -- End function
	.set _ZN7rocprim17ROCPRIM_400000_NS6detail17trampoline_kernelINS0_14default_configENS1_35adjacent_difference_config_selectorILb1EjEEZNS1_24adjacent_difference_implIS3_Lb1ELb0EPjN6thrust23THRUST_200600_302600_NS16discard_iteratorINS9_11use_defaultEEENS9_5minusIjEEEE10hipError_tPvRmT2_T3_mT4_P12ihipStream_tbEUlT_E_NS1_11comp_targetILNS1_3genE10ELNS1_11target_archE1201ELNS1_3gpuE5ELNS1_3repE0EEENS1_30default_config_static_selectorELNS0_4arch9wavefront6targetE1EEEvT1_.num_vgpr, 0
	.set _ZN7rocprim17ROCPRIM_400000_NS6detail17trampoline_kernelINS0_14default_configENS1_35adjacent_difference_config_selectorILb1EjEEZNS1_24adjacent_difference_implIS3_Lb1ELb0EPjN6thrust23THRUST_200600_302600_NS16discard_iteratorINS9_11use_defaultEEENS9_5minusIjEEEE10hipError_tPvRmT2_T3_mT4_P12ihipStream_tbEUlT_E_NS1_11comp_targetILNS1_3genE10ELNS1_11target_archE1201ELNS1_3gpuE5ELNS1_3repE0EEENS1_30default_config_static_selectorELNS0_4arch9wavefront6targetE1EEEvT1_.num_agpr, 0
	.set _ZN7rocprim17ROCPRIM_400000_NS6detail17trampoline_kernelINS0_14default_configENS1_35adjacent_difference_config_selectorILb1EjEEZNS1_24adjacent_difference_implIS3_Lb1ELb0EPjN6thrust23THRUST_200600_302600_NS16discard_iteratorINS9_11use_defaultEEENS9_5minusIjEEEE10hipError_tPvRmT2_T3_mT4_P12ihipStream_tbEUlT_E_NS1_11comp_targetILNS1_3genE10ELNS1_11target_archE1201ELNS1_3gpuE5ELNS1_3repE0EEENS1_30default_config_static_selectorELNS0_4arch9wavefront6targetE1EEEvT1_.numbered_sgpr, 0
	.set _ZN7rocprim17ROCPRIM_400000_NS6detail17trampoline_kernelINS0_14default_configENS1_35adjacent_difference_config_selectorILb1EjEEZNS1_24adjacent_difference_implIS3_Lb1ELb0EPjN6thrust23THRUST_200600_302600_NS16discard_iteratorINS9_11use_defaultEEENS9_5minusIjEEEE10hipError_tPvRmT2_T3_mT4_P12ihipStream_tbEUlT_E_NS1_11comp_targetILNS1_3genE10ELNS1_11target_archE1201ELNS1_3gpuE5ELNS1_3repE0EEENS1_30default_config_static_selectorELNS0_4arch9wavefront6targetE1EEEvT1_.num_named_barrier, 0
	.set _ZN7rocprim17ROCPRIM_400000_NS6detail17trampoline_kernelINS0_14default_configENS1_35adjacent_difference_config_selectorILb1EjEEZNS1_24adjacent_difference_implIS3_Lb1ELb0EPjN6thrust23THRUST_200600_302600_NS16discard_iteratorINS9_11use_defaultEEENS9_5minusIjEEEE10hipError_tPvRmT2_T3_mT4_P12ihipStream_tbEUlT_E_NS1_11comp_targetILNS1_3genE10ELNS1_11target_archE1201ELNS1_3gpuE5ELNS1_3repE0EEENS1_30default_config_static_selectorELNS0_4arch9wavefront6targetE1EEEvT1_.private_seg_size, 0
	.set _ZN7rocprim17ROCPRIM_400000_NS6detail17trampoline_kernelINS0_14default_configENS1_35adjacent_difference_config_selectorILb1EjEEZNS1_24adjacent_difference_implIS3_Lb1ELb0EPjN6thrust23THRUST_200600_302600_NS16discard_iteratorINS9_11use_defaultEEENS9_5minusIjEEEE10hipError_tPvRmT2_T3_mT4_P12ihipStream_tbEUlT_E_NS1_11comp_targetILNS1_3genE10ELNS1_11target_archE1201ELNS1_3gpuE5ELNS1_3repE0EEENS1_30default_config_static_selectorELNS0_4arch9wavefront6targetE1EEEvT1_.uses_vcc, 0
	.set _ZN7rocprim17ROCPRIM_400000_NS6detail17trampoline_kernelINS0_14default_configENS1_35adjacent_difference_config_selectorILb1EjEEZNS1_24adjacent_difference_implIS3_Lb1ELb0EPjN6thrust23THRUST_200600_302600_NS16discard_iteratorINS9_11use_defaultEEENS9_5minusIjEEEE10hipError_tPvRmT2_T3_mT4_P12ihipStream_tbEUlT_E_NS1_11comp_targetILNS1_3genE10ELNS1_11target_archE1201ELNS1_3gpuE5ELNS1_3repE0EEENS1_30default_config_static_selectorELNS0_4arch9wavefront6targetE1EEEvT1_.uses_flat_scratch, 0
	.set _ZN7rocprim17ROCPRIM_400000_NS6detail17trampoline_kernelINS0_14default_configENS1_35adjacent_difference_config_selectorILb1EjEEZNS1_24adjacent_difference_implIS3_Lb1ELb0EPjN6thrust23THRUST_200600_302600_NS16discard_iteratorINS9_11use_defaultEEENS9_5minusIjEEEE10hipError_tPvRmT2_T3_mT4_P12ihipStream_tbEUlT_E_NS1_11comp_targetILNS1_3genE10ELNS1_11target_archE1201ELNS1_3gpuE5ELNS1_3repE0EEENS1_30default_config_static_selectorELNS0_4arch9wavefront6targetE1EEEvT1_.has_dyn_sized_stack, 0
	.set _ZN7rocprim17ROCPRIM_400000_NS6detail17trampoline_kernelINS0_14default_configENS1_35adjacent_difference_config_selectorILb1EjEEZNS1_24adjacent_difference_implIS3_Lb1ELb0EPjN6thrust23THRUST_200600_302600_NS16discard_iteratorINS9_11use_defaultEEENS9_5minusIjEEEE10hipError_tPvRmT2_T3_mT4_P12ihipStream_tbEUlT_E_NS1_11comp_targetILNS1_3genE10ELNS1_11target_archE1201ELNS1_3gpuE5ELNS1_3repE0EEENS1_30default_config_static_selectorELNS0_4arch9wavefront6targetE1EEEvT1_.has_recursion, 0
	.set _ZN7rocprim17ROCPRIM_400000_NS6detail17trampoline_kernelINS0_14default_configENS1_35adjacent_difference_config_selectorILb1EjEEZNS1_24adjacent_difference_implIS3_Lb1ELb0EPjN6thrust23THRUST_200600_302600_NS16discard_iteratorINS9_11use_defaultEEENS9_5minusIjEEEE10hipError_tPvRmT2_T3_mT4_P12ihipStream_tbEUlT_E_NS1_11comp_targetILNS1_3genE10ELNS1_11target_archE1201ELNS1_3gpuE5ELNS1_3repE0EEENS1_30default_config_static_selectorELNS0_4arch9wavefront6targetE1EEEvT1_.has_indirect_call, 0
	.section	.AMDGPU.csdata,"",@progbits
; Kernel info:
; codeLenInByte = 0
; TotalNumSgprs: 4
; NumVgprs: 0
; ScratchSize: 0
; MemoryBound: 0
; FloatMode: 240
; IeeeMode: 1
; LDSByteSize: 0 bytes/workgroup (compile time only)
; SGPRBlocks: 0
; VGPRBlocks: 0
; NumSGPRsForWavesPerEU: 4
; NumVGPRsForWavesPerEU: 1
; Occupancy: 10
; WaveLimiterHint : 0
; COMPUTE_PGM_RSRC2:SCRATCH_EN: 0
; COMPUTE_PGM_RSRC2:USER_SGPR: 6
; COMPUTE_PGM_RSRC2:TRAP_HANDLER: 0
; COMPUTE_PGM_RSRC2:TGID_X_EN: 1
; COMPUTE_PGM_RSRC2:TGID_Y_EN: 0
; COMPUTE_PGM_RSRC2:TGID_Z_EN: 0
; COMPUTE_PGM_RSRC2:TIDIG_COMP_CNT: 0
	.section	.text._ZN7rocprim17ROCPRIM_400000_NS6detail17trampoline_kernelINS0_14default_configENS1_35adjacent_difference_config_selectorILb1EjEEZNS1_24adjacent_difference_implIS3_Lb1ELb0EPjN6thrust23THRUST_200600_302600_NS16discard_iteratorINS9_11use_defaultEEENS9_5minusIjEEEE10hipError_tPvRmT2_T3_mT4_P12ihipStream_tbEUlT_E_NS1_11comp_targetILNS1_3genE5ELNS1_11target_archE942ELNS1_3gpuE9ELNS1_3repE0EEENS1_30default_config_static_selectorELNS0_4arch9wavefront6targetE1EEEvT1_,"axG",@progbits,_ZN7rocprim17ROCPRIM_400000_NS6detail17trampoline_kernelINS0_14default_configENS1_35adjacent_difference_config_selectorILb1EjEEZNS1_24adjacent_difference_implIS3_Lb1ELb0EPjN6thrust23THRUST_200600_302600_NS16discard_iteratorINS9_11use_defaultEEENS9_5minusIjEEEE10hipError_tPvRmT2_T3_mT4_P12ihipStream_tbEUlT_E_NS1_11comp_targetILNS1_3genE5ELNS1_11target_archE942ELNS1_3gpuE9ELNS1_3repE0EEENS1_30default_config_static_selectorELNS0_4arch9wavefront6targetE1EEEvT1_,comdat
	.protected	_ZN7rocprim17ROCPRIM_400000_NS6detail17trampoline_kernelINS0_14default_configENS1_35adjacent_difference_config_selectorILb1EjEEZNS1_24adjacent_difference_implIS3_Lb1ELb0EPjN6thrust23THRUST_200600_302600_NS16discard_iteratorINS9_11use_defaultEEENS9_5minusIjEEEE10hipError_tPvRmT2_T3_mT4_P12ihipStream_tbEUlT_E_NS1_11comp_targetILNS1_3genE5ELNS1_11target_archE942ELNS1_3gpuE9ELNS1_3repE0EEENS1_30default_config_static_selectorELNS0_4arch9wavefront6targetE1EEEvT1_ ; -- Begin function _ZN7rocprim17ROCPRIM_400000_NS6detail17trampoline_kernelINS0_14default_configENS1_35adjacent_difference_config_selectorILb1EjEEZNS1_24adjacent_difference_implIS3_Lb1ELb0EPjN6thrust23THRUST_200600_302600_NS16discard_iteratorINS9_11use_defaultEEENS9_5minusIjEEEE10hipError_tPvRmT2_T3_mT4_P12ihipStream_tbEUlT_E_NS1_11comp_targetILNS1_3genE5ELNS1_11target_archE942ELNS1_3gpuE9ELNS1_3repE0EEENS1_30default_config_static_selectorELNS0_4arch9wavefront6targetE1EEEvT1_
	.globl	_ZN7rocprim17ROCPRIM_400000_NS6detail17trampoline_kernelINS0_14default_configENS1_35adjacent_difference_config_selectorILb1EjEEZNS1_24adjacent_difference_implIS3_Lb1ELb0EPjN6thrust23THRUST_200600_302600_NS16discard_iteratorINS9_11use_defaultEEENS9_5minusIjEEEE10hipError_tPvRmT2_T3_mT4_P12ihipStream_tbEUlT_E_NS1_11comp_targetILNS1_3genE5ELNS1_11target_archE942ELNS1_3gpuE9ELNS1_3repE0EEENS1_30default_config_static_selectorELNS0_4arch9wavefront6targetE1EEEvT1_
	.p2align	8
	.type	_ZN7rocprim17ROCPRIM_400000_NS6detail17trampoline_kernelINS0_14default_configENS1_35adjacent_difference_config_selectorILb1EjEEZNS1_24adjacent_difference_implIS3_Lb1ELb0EPjN6thrust23THRUST_200600_302600_NS16discard_iteratorINS9_11use_defaultEEENS9_5minusIjEEEE10hipError_tPvRmT2_T3_mT4_P12ihipStream_tbEUlT_E_NS1_11comp_targetILNS1_3genE5ELNS1_11target_archE942ELNS1_3gpuE9ELNS1_3repE0EEENS1_30default_config_static_selectorELNS0_4arch9wavefront6targetE1EEEvT1_,@function
_ZN7rocprim17ROCPRIM_400000_NS6detail17trampoline_kernelINS0_14default_configENS1_35adjacent_difference_config_selectorILb1EjEEZNS1_24adjacent_difference_implIS3_Lb1ELb0EPjN6thrust23THRUST_200600_302600_NS16discard_iteratorINS9_11use_defaultEEENS9_5minusIjEEEE10hipError_tPvRmT2_T3_mT4_P12ihipStream_tbEUlT_E_NS1_11comp_targetILNS1_3genE5ELNS1_11target_archE942ELNS1_3gpuE9ELNS1_3repE0EEENS1_30default_config_static_selectorELNS0_4arch9wavefront6targetE1EEEvT1_: ; @_ZN7rocprim17ROCPRIM_400000_NS6detail17trampoline_kernelINS0_14default_configENS1_35adjacent_difference_config_selectorILb1EjEEZNS1_24adjacent_difference_implIS3_Lb1ELb0EPjN6thrust23THRUST_200600_302600_NS16discard_iteratorINS9_11use_defaultEEENS9_5minusIjEEEE10hipError_tPvRmT2_T3_mT4_P12ihipStream_tbEUlT_E_NS1_11comp_targetILNS1_3genE5ELNS1_11target_archE942ELNS1_3gpuE9ELNS1_3repE0EEENS1_30default_config_static_selectorELNS0_4arch9wavefront6targetE1EEEvT1_
; %bb.0:
	.section	.rodata,"a",@progbits
	.p2align	6, 0x0
	.amdhsa_kernel _ZN7rocprim17ROCPRIM_400000_NS6detail17trampoline_kernelINS0_14default_configENS1_35adjacent_difference_config_selectorILb1EjEEZNS1_24adjacent_difference_implIS3_Lb1ELb0EPjN6thrust23THRUST_200600_302600_NS16discard_iteratorINS9_11use_defaultEEENS9_5minusIjEEEE10hipError_tPvRmT2_T3_mT4_P12ihipStream_tbEUlT_E_NS1_11comp_targetILNS1_3genE5ELNS1_11target_archE942ELNS1_3gpuE9ELNS1_3repE0EEENS1_30default_config_static_selectorELNS0_4arch9wavefront6targetE1EEEvT1_
		.amdhsa_group_segment_fixed_size 0
		.amdhsa_private_segment_fixed_size 0
		.amdhsa_kernarg_size 64
		.amdhsa_user_sgpr_count 6
		.amdhsa_user_sgpr_private_segment_buffer 1
		.amdhsa_user_sgpr_dispatch_ptr 0
		.amdhsa_user_sgpr_queue_ptr 0
		.amdhsa_user_sgpr_kernarg_segment_ptr 1
		.amdhsa_user_sgpr_dispatch_id 0
		.amdhsa_user_sgpr_flat_scratch_init 0
		.amdhsa_user_sgpr_private_segment_size 0
		.amdhsa_uses_dynamic_stack 0
		.amdhsa_system_sgpr_private_segment_wavefront_offset 0
		.amdhsa_system_sgpr_workgroup_id_x 1
		.amdhsa_system_sgpr_workgroup_id_y 0
		.amdhsa_system_sgpr_workgroup_id_z 0
		.amdhsa_system_sgpr_workgroup_info 0
		.amdhsa_system_vgpr_workitem_id 0
		.amdhsa_next_free_vgpr 1
		.amdhsa_next_free_sgpr 0
		.amdhsa_reserve_vcc 0
		.amdhsa_reserve_flat_scratch 0
		.amdhsa_float_round_mode_32 0
		.amdhsa_float_round_mode_16_64 0
		.amdhsa_float_denorm_mode_32 3
		.amdhsa_float_denorm_mode_16_64 3
		.amdhsa_dx10_clamp 1
		.amdhsa_ieee_mode 1
		.amdhsa_fp16_overflow 0
		.amdhsa_exception_fp_ieee_invalid_op 0
		.amdhsa_exception_fp_denorm_src 0
		.amdhsa_exception_fp_ieee_div_zero 0
		.amdhsa_exception_fp_ieee_overflow 0
		.amdhsa_exception_fp_ieee_underflow 0
		.amdhsa_exception_fp_ieee_inexact 0
		.amdhsa_exception_int_div_zero 0
	.end_amdhsa_kernel
	.section	.text._ZN7rocprim17ROCPRIM_400000_NS6detail17trampoline_kernelINS0_14default_configENS1_35adjacent_difference_config_selectorILb1EjEEZNS1_24adjacent_difference_implIS3_Lb1ELb0EPjN6thrust23THRUST_200600_302600_NS16discard_iteratorINS9_11use_defaultEEENS9_5minusIjEEEE10hipError_tPvRmT2_T3_mT4_P12ihipStream_tbEUlT_E_NS1_11comp_targetILNS1_3genE5ELNS1_11target_archE942ELNS1_3gpuE9ELNS1_3repE0EEENS1_30default_config_static_selectorELNS0_4arch9wavefront6targetE1EEEvT1_,"axG",@progbits,_ZN7rocprim17ROCPRIM_400000_NS6detail17trampoline_kernelINS0_14default_configENS1_35adjacent_difference_config_selectorILb1EjEEZNS1_24adjacent_difference_implIS3_Lb1ELb0EPjN6thrust23THRUST_200600_302600_NS16discard_iteratorINS9_11use_defaultEEENS9_5minusIjEEEE10hipError_tPvRmT2_T3_mT4_P12ihipStream_tbEUlT_E_NS1_11comp_targetILNS1_3genE5ELNS1_11target_archE942ELNS1_3gpuE9ELNS1_3repE0EEENS1_30default_config_static_selectorELNS0_4arch9wavefront6targetE1EEEvT1_,comdat
.Lfunc_end835:
	.size	_ZN7rocprim17ROCPRIM_400000_NS6detail17trampoline_kernelINS0_14default_configENS1_35adjacent_difference_config_selectorILb1EjEEZNS1_24adjacent_difference_implIS3_Lb1ELb0EPjN6thrust23THRUST_200600_302600_NS16discard_iteratorINS9_11use_defaultEEENS9_5minusIjEEEE10hipError_tPvRmT2_T3_mT4_P12ihipStream_tbEUlT_E_NS1_11comp_targetILNS1_3genE5ELNS1_11target_archE942ELNS1_3gpuE9ELNS1_3repE0EEENS1_30default_config_static_selectorELNS0_4arch9wavefront6targetE1EEEvT1_, .Lfunc_end835-_ZN7rocprim17ROCPRIM_400000_NS6detail17trampoline_kernelINS0_14default_configENS1_35adjacent_difference_config_selectorILb1EjEEZNS1_24adjacent_difference_implIS3_Lb1ELb0EPjN6thrust23THRUST_200600_302600_NS16discard_iteratorINS9_11use_defaultEEENS9_5minusIjEEEE10hipError_tPvRmT2_T3_mT4_P12ihipStream_tbEUlT_E_NS1_11comp_targetILNS1_3genE5ELNS1_11target_archE942ELNS1_3gpuE9ELNS1_3repE0EEENS1_30default_config_static_selectorELNS0_4arch9wavefront6targetE1EEEvT1_
                                        ; -- End function
	.set _ZN7rocprim17ROCPRIM_400000_NS6detail17trampoline_kernelINS0_14default_configENS1_35adjacent_difference_config_selectorILb1EjEEZNS1_24adjacent_difference_implIS3_Lb1ELb0EPjN6thrust23THRUST_200600_302600_NS16discard_iteratorINS9_11use_defaultEEENS9_5minusIjEEEE10hipError_tPvRmT2_T3_mT4_P12ihipStream_tbEUlT_E_NS1_11comp_targetILNS1_3genE5ELNS1_11target_archE942ELNS1_3gpuE9ELNS1_3repE0EEENS1_30default_config_static_selectorELNS0_4arch9wavefront6targetE1EEEvT1_.num_vgpr, 0
	.set _ZN7rocprim17ROCPRIM_400000_NS6detail17trampoline_kernelINS0_14default_configENS1_35adjacent_difference_config_selectorILb1EjEEZNS1_24adjacent_difference_implIS3_Lb1ELb0EPjN6thrust23THRUST_200600_302600_NS16discard_iteratorINS9_11use_defaultEEENS9_5minusIjEEEE10hipError_tPvRmT2_T3_mT4_P12ihipStream_tbEUlT_E_NS1_11comp_targetILNS1_3genE5ELNS1_11target_archE942ELNS1_3gpuE9ELNS1_3repE0EEENS1_30default_config_static_selectorELNS0_4arch9wavefront6targetE1EEEvT1_.num_agpr, 0
	.set _ZN7rocprim17ROCPRIM_400000_NS6detail17trampoline_kernelINS0_14default_configENS1_35adjacent_difference_config_selectorILb1EjEEZNS1_24adjacent_difference_implIS3_Lb1ELb0EPjN6thrust23THRUST_200600_302600_NS16discard_iteratorINS9_11use_defaultEEENS9_5minusIjEEEE10hipError_tPvRmT2_T3_mT4_P12ihipStream_tbEUlT_E_NS1_11comp_targetILNS1_3genE5ELNS1_11target_archE942ELNS1_3gpuE9ELNS1_3repE0EEENS1_30default_config_static_selectorELNS0_4arch9wavefront6targetE1EEEvT1_.numbered_sgpr, 0
	.set _ZN7rocprim17ROCPRIM_400000_NS6detail17trampoline_kernelINS0_14default_configENS1_35adjacent_difference_config_selectorILb1EjEEZNS1_24adjacent_difference_implIS3_Lb1ELb0EPjN6thrust23THRUST_200600_302600_NS16discard_iteratorINS9_11use_defaultEEENS9_5minusIjEEEE10hipError_tPvRmT2_T3_mT4_P12ihipStream_tbEUlT_E_NS1_11comp_targetILNS1_3genE5ELNS1_11target_archE942ELNS1_3gpuE9ELNS1_3repE0EEENS1_30default_config_static_selectorELNS0_4arch9wavefront6targetE1EEEvT1_.num_named_barrier, 0
	.set _ZN7rocprim17ROCPRIM_400000_NS6detail17trampoline_kernelINS0_14default_configENS1_35adjacent_difference_config_selectorILb1EjEEZNS1_24adjacent_difference_implIS3_Lb1ELb0EPjN6thrust23THRUST_200600_302600_NS16discard_iteratorINS9_11use_defaultEEENS9_5minusIjEEEE10hipError_tPvRmT2_T3_mT4_P12ihipStream_tbEUlT_E_NS1_11comp_targetILNS1_3genE5ELNS1_11target_archE942ELNS1_3gpuE9ELNS1_3repE0EEENS1_30default_config_static_selectorELNS0_4arch9wavefront6targetE1EEEvT1_.private_seg_size, 0
	.set _ZN7rocprim17ROCPRIM_400000_NS6detail17trampoline_kernelINS0_14default_configENS1_35adjacent_difference_config_selectorILb1EjEEZNS1_24adjacent_difference_implIS3_Lb1ELb0EPjN6thrust23THRUST_200600_302600_NS16discard_iteratorINS9_11use_defaultEEENS9_5minusIjEEEE10hipError_tPvRmT2_T3_mT4_P12ihipStream_tbEUlT_E_NS1_11comp_targetILNS1_3genE5ELNS1_11target_archE942ELNS1_3gpuE9ELNS1_3repE0EEENS1_30default_config_static_selectorELNS0_4arch9wavefront6targetE1EEEvT1_.uses_vcc, 0
	.set _ZN7rocprim17ROCPRIM_400000_NS6detail17trampoline_kernelINS0_14default_configENS1_35adjacent_difference_config_selectorILb1EjEEZNS1_24adjacent_difference_implIS3_Lb1ELb0EPjN6thrust23THRUST_200600_302600_NS16discard_iteratorINS9_11use_defaultEEENS9_5minusIjEEEE10hipError_tPvRmT2_T3_mT4_P12ihipStream_tbEUlT_E_NS1_11comp_targetILNS1_3genE5ELNS1_11target_archE942ELNS1_3gpuE9ELNS1_3repE0EEENS1_30default_config_static_selectorELNS0_4arch9wavefront6targetE1EEEvT1_.uses_flat_scratch, 0
	.set _ZN7rocprim17ROCPRIM_400000_NS6detail17trampoline_kernelINS0_14default_configENS1_35adjacent_difference_config_selectorILb1EjEEZNS1_24adjacent_difference_implIS3_Lb1ELb0EPjN6thrust23THRUST_200600_302600_NS16discard_iteratorINS9_11use_defaultEEENS9_5minusIjEEEE10hipError_tPvRmT2_T3_mT4_P12ihipStream_tbEUlT_E_NS1_11comp_targetILNS1_3genE5ELNS1_11target_archE942ELNS1_3gpuE9ELNS1_3repE0EEENS1_30default_config_static_selectorELNS0_4arch9wavefront6targetE1EEEvT1_.has_dyn_sized_stack, 0
	.set _ZN7rocprim17ROCPRIM_400000_NS6detail17trampoline_kernelINS0_14default_configENS1_35adjacent_difference_config_selectorILb1EjEEZNS1_24adjacent_difference_implIS3_Lb1ELb0EPjN6thrust23THRUST_200600_302600_NS16discard_iteratorINS9_11use_defaultEEENS9_5minusIjEEEE10hipError_tPvRmT2_T3_mT4_P12ihipStream_tbEUlT_E_NS1_11comp_targetILNS1_3genE5ELNS1_11target_archE942ELNS1_3gpuE9ELNS1_3repE0EEENS1_30default_config_static_selectorELNS0_4arch9wavefront6targetE1EEEvT1_.has_recursion, 0
	.set _ZN7rocprim17ROCPRIM_400000_NS6detail17trampoline_kernelINS0_14default_configENS1_35adjacent_difference_config_selectorILb1EjEEZNS1_24adjacent_difference_implIS3_Lb1ELb0EPjN6thrust23THRUST_200600_302600_NS16discard_iteratorINS9_11use_defaultEEENS9_5minusIjEEEE10hipError_tPvRmT2_T3_mT4_P12ihipStream_tbEUlT_E_NS1_11comp_targetILNS1_3genE5ELNS1_11target_archE942ELNS1_3gpuE9ELNS1_3repE0EEENS1_30default_config_static_selectorELNS0_4arch9wavefront6targetE1EEEvT1_.has_indirect_call, 0
	.section	.AMDGPU.csdata,"",@progbits
; Kernel info:
; codeLenInByte = 0
; TotalNumSgprs: 4
; NumVgprs: 0
; ScratchSize: 0
; MemoryBound: 0
; FloatMode: 240
; IeeeMode: 1
; LDSByteSize: 0 bytes/workgroup (compile time only)
; SGPRBlocks: 0
; VGPRBlocks: 0
; NumSGPRsForWavesPerEU: 4
; NumVGPRsForWavesPerEU: 1
; Occupancy: 10
; WaveLimiterHint : 0
; COMPUTE_PGM_RSRC2:SCRATCH_EN: 0
; COMPUTE_PGM_RSRC2:USER_SGPR: 6
; COMPUTE_PGM_RSRC2:TRAP_HANDLER: 0
; COMPUTE_PGM_RSRC2:TGID_X_EN: 1
; COMPUTE_PGM_RSRC2:TGID_Y_EN: 0
; COMPUTE_PGM_RSRC2:TGID_Z_EN: 0
; COMPUTE_PGM_RSRC2:TIDIG_COMP_CNT: 0
	.section	.text._ZN7rocprim17ROCPRIM_400000_NS6detail17trampoline_kernelINS0_14default_configENS1_35adjacent_difference_config_selectorILb1EjEEZNS1_24adjacent_difference_implIS3_Lb1ELb0EPjN6thrust23THRUST_200600_302600_NS16discard_iteratorINS9_11use_defaultEEENS9_5minusIjEEEE10hipError_tPvRmT2_T3_mT4_P12ihipStream_tbEUlT_E_NS1_11comp_targetILNS1_3genE4ELNS1_11target_archE910ELNS1_3gpuE8ELNS1_3repE0EEENS1_30default_config_static_selectorELNS0_4arch9wavefront6targetE1EEEvT1_,"axG",@progbits,_ZN7rocprim17ROCPRIM_400000_NS6detail17trampoline_kernelINS0_14default_configENS1_35adjacent_difference_config_selectorILb1EjEEZNS1_24adjacent_difference_implIS3_Lb1ELb0EPjN6thrust23THRUST_200600_302600_NS16discard_iteratorINS9_11use_defaultEEENS9_5minusIjEEEE10hipError_tPvRmT2_T3_mT4_P12ihipStream_tbEUlT_E_NS1_11comp_targetILNS1_3genE4ELNS1_11target_archE910ELNS1_3gpuE8ELNS1_3repE0EEENS1_30default_config_static_selectorELNS0_4arch9wavefront6targetE1EEEvT1_,comdat
	.protected	_ZN7rocprim17ROCPRIM_400000_NS6detail17trampoline_kernelINS0_14default_configENS1_35adjacent_difference_config_selectorILb1EjEEZNS1_24adjacent_difference_implIS3_Lb1ELb0EPjN6thrust23THRUST_200600_302600_NS16discard_iteratorINS9_11use_defaultEEENS9_5minusIjEEEE10hipError_tPvRmT2_T3_mT4_P12ihipStream_tbEUlT_E_NS1_11comp_targetILNS1_3genE4ELNS1_11target_archE910ELNS1_3gpuE8ELNS1_3repE0EEENS1_30default_config_static_selectorELNS0_4arch9wavefront6targetE1EEEvT1_ ; -- Begin function _ZN7rocprim17ROCPRIM_400000_NS6detail17trampoline_kernelINS0_14default_configENS1_35adjacent_difference_config_selectorILb1EjEEZNS1_24adjacent_difference_implIS3_Lb1ELb0EPjN6thrust23THRUST_200600_302600_NS16discard_iteratorINS9_11use_defaultEEENS9_5minusIjEEEE10hipError_tPvRmT2_T3_mT4_P12ihipStream_tbEUlT_E_NS1_11comp_targetILNS1_3genE4ELNS1_11target_archE910ELNS1_3gpuE8ELNS1_3repE0EEENS1_30default_config_static_selectorELNS0_4arch9wavefront6targetE1EEEvT1_
	.globl	_ZN7rocprim17ROCPRIM_400000_NS6detail17trampoline_kernelINS0_14default_configENS1_35adjacent_difference_config_selectorILb1EjEEZNS1_24adjacent_difference_implIS3_Lb1ELb0EPjN6thrust23THRUST_200600_302600_NS16discard_iteratorINS9_11use_defaultEEENS9_5minusIjEEEE10hipError_tPvRmT2_T3_mT4_P12ihipStream_tbEUlT_E_NS1_11comp_targetILNS1_3genE4ELNS1_11target_archE910ELNS1_3gpuE8ELNS1_3repE0EEENS1_30default_config_static_selectorELNS0_4arch9wavefront6targetE1EEEvT1_
	.p2align	8
	.type	_ZN7rocprim17ROCPRIM_400000_NS6detail17trampoline_kernelINS0_14default_configENS1_35adjacent_difference_config_selectorILb1EjEEZNS1_24adjacent_difference_implIS3_Lb1ELb0EPjN6thrust23THRUST_200600_302600_NS16discard_iteratorINS9_11use_defaultEEENS9_5minusIjEEEE10hipError_tPvRmT2_T3_mT4_P12ihipStream_tbEUlT_E_NS1_11comp_targetILNS1_3genE4ELNS1_11target_archE910ELNS1_3gpuE8ELNS1_3repE0EEENS1_30default_config_static_selectorELNS0_4arch9wavefront6targetE1EEEvT1_,@function
_ZN7rocprim17ROCPRIM_400000_NS6detail17trampoline_kernelINS0_14default_configENS1_35adjacent_difference_config_selectorILb1EjEEZNS1_24adjacent_difference_implIS3_Lb1ELb0EPjN6thrust23THRUST_200600_302600_NS16discard_iteratorINS9_11use_defaultEEENS9_5minusIjEEEE10hipError_tPvRmT2_T3_mT4_P12ihipStream_tbEUlT_E_NS1_11comp_targetILNS1_3genE4ELNS1_11target_archE910ELNS1_3gpuE8ELNS1_3repE0EEENS1_30default_config_static_selectorELNS0_4arch9wavefront6targetE1EEEvT1_: ; @_ZN7rocprim17ROCPRIM_400000_NS6detail17trampoline_kernelINS0_14default_configENS1_35adjacent_difference_config_selectorILb1EjEEZNS1_24adjacent_difference_implIS3_Lb1ELb0EPjN6thrust23THRUST_200600_302600_NS16discard_iteratorINS9_11use_defaultEEENS9_5minusIjEEEE10hipError_tPvRmT2_T3_mT4_P12ihipStream_tbEUlT_E_NS1_11comp_targetILNS1_3genE4ELNS1_11target_archE910ELNS1_3gpuE8ELNS1_3repE0EEENS1_30default_config_static_selectorELNS0_4arch9wavefront6targetE1EEEvT1_
; %bb.0:
	.section	.rodata,"a",@progbits
	.p2align	6, 0x0
	.amdhsa_kernel _ZN7rocprim17ROCPRIM_400000_NS6detail17trampoline_kernelINS0_14default_configENS1_35adjacent_difference_config_selectorILb1EjEEZNS1_24adjacent_difference_implIS3_Lb1ELb0EPjN6thrust23THRUST_200600_302600_NS16discard_iteratorINS9_11use_defaultEEENS9_5minusIjEEEE10hipError_tPvRmT2_T3_mT4_P12ihipStream_tbEUlT_E_NS1_11comp_targetILNS1_3genE4ELNS1_11target_archE910ELNS1_3gpuE8ELNS1_3repE0EEENS1_30default_config_static_selectorELNS0_4arch9wavefront6targetE1EEEvT1_
		.amdhsa_group_segment_fixed_size 0
		.amdhsa_private_segment_fixed_size 0
		.amdhsa_kernarg_size 64
		.amdhsa_user_sgpr_count 6
		.amdhsa_user_sgpr_private_segment_buffer 1
		.amdhsa_user_sgpr_dispatch_ptr 0
		.amdhsa_user_sgpr_queue_ptr 0
		.amdhsa_user_sgpr_kernarg_segment_ptr 1
		.amdhsa_user_sgpr_dispatch_id 0
		.amdhsa_user_sgpr_flat_scratch_init 0
		.amdhsa_user_sgpr_private_segment_size 0
		.amdhsa_uses_dynamic_stack 0
		.amdhsa_system_sgpr_private_segment_wavefront_offset 0
		.amdhsa_system_sgpr_workgroup_id_x 1
		.amdhsa_system_sgpr_workgroup_id_y 0
		.amdhsa_system_sgpr_workgroup_id_z 0
		.amdhsa_system_sgpr_workgroup_info 0
		.amdhsa_system_vgpr_workitem_id 0
		.amdhsa_next_free_vgpr 1
		.amdhsa_next_free_sgpr 0
		.amdhsa_reserve_vcc 0
		.amdhsa_reserve_flat_scratch 0
		.amdhsa_float_round_mode_32 0
		.amdhsa_float_round_mode_16_64 0
		.amdhsa_float_denorm_mode_32 3
		.amdhsa_float_denorm_mode_16_64 3
		.amdhsa_dx10_clamp 1
		.amdhsa_ieee_mode 1
		.amdhsa_fp16_overflow 0
		.amdhsa_exception_fp_ieee_invalid_op 0
		.amdhsa_exception_fp_denorm_src 0
		.amdhsa_exception_fp_ieee_div_zero 0
		.amdhsa_exception_fp_ieee_overflow 0
		.amdhsa_exception_fp_ieee_underflow 0
		.amdhsa_exception_fp_ieee_inexact 0
		.amdhsa_exception_int_div_zero 0
	.end_amdhsa_kernel
	.section	.text._ZN7rocprim17ROCPRIM_400000_NS6detail17trampoline_kernelINS0_14default_configENS1_35adjacent_difference_config_selectorILb1EjEEZNS1_24adjacent_difference_implIS3_Lb1ELb0EPjN6thrust23THRUST_200600_302600_NS16discard_iteratorINS9_11use_defaultEEENS9_5minusIjEEEE10hipError_tPvRmT2_T3_mT4_P12ihipStream_tbEUlT_E_NS1_11comp_targetILNS1_3genE4ELNS1_11target_archE910ELNS1_3gpuE8ELNS1_3repE0EEENS1_30default_config_static_selectorELNS0_4arch9wavefront6targetE1EEEvT1_,"axG",@progbits,_ZN7rocprim17ROCPRIM_400000_NS6detail17trampoline_kernelINS0_14default_configENS1_35adjacent_difference_config_selectorILb1EjEEZNS1_24adjacent_difference_implIS3_Lb1ELb0EPjN6thrust23THRUST_200600_302600_NS16discard_iteratorINS9_11use_defaultEEENS9_5minusIjEEEE10hipError_tPvRmT2_T3_mT4_P12ihipStream_tbEUlT_E_NS1_11comp_targetILNS1_3genE4ELNS1_11target_archE910ELNS1_3gpuE8ELNS1_3repE0EEENS1_30default_config_static_selectorELNS0_4arch9wavefront6targetE1EEEvT1_,comdat
.Lfunc_end836:
	.size	_ZN7rocprim17ROCPRIM_400000_NS6detail17trampoline_kernelINS0_14default_configENS1_35adjacent_difference_config_selectorILb1EjEEZNS1_24adjacent_difference_implIS3_Lb1ELb0EPjN6thrust23THRUST_200600_302600_NS16discard_iteratorINS9_11use_defaultEEENS9_5minusIjEEEE10hipError_tPvRmT2_T3_mT4_P12ihipStream_tbEUlT_E_NS1_11comp_targetILNS1_3genE4ELNS1_11target_archE910ELNS1_3gpuE8ELNS1_3repE0EEENS1_30default_config_static_selectorELNS0_4arch9wavefront6targetE1EEEvT1_, .Lfunc_end836-_ZN7rocprim17ROCPRIM_400000_NS6detail17trampoline_kernelINS0_14default_configENS1_35adjacent_difference_config_selectorILb1EjEEZNS1_24adjacent_difference_implIS3_Lb1ELb0EPjN6thrust23THRUST_200600_302600_NS16discard_iteratorINS9_11use_defaultEEENS9_5minusIjEEEE10hipError_tPvRmT2_T3_mT4_P12ihipStream_tbEUlT_E_NS1_11comp_targetILNS1_3genE4ELNS1_11target_archE910ELNS1_3gpuE8ELNS1_3repE0EEENS1_30default_config_static_selectorELNS0_4arch9wavefront6targetE1EEEvT1_
                                        ; -- End function
	.set _ZN7rocprim17ROCPRIM_400000_NS6detail17trampoline_kernelINS0_14default_configENS1_35adjacent_difference_config_selectorILb1EjEEZNS1_24adjacent_difference_implIS3_Lb1ELb0EPjN6thrust23THRUST_200600_302600_NS16discard_iteratorINS9_11use_defaultEEENS9_5minusIjEEEE10hipError_tPvRmT2_T3_mT4_P12ihipStream_tbEUlT_E_NS1_11comp_targetILNS1_3genE4ELNS1_11target_archE910ELNS1_3gpuE8ELNS1_3repE0EEENS1_30default_config_static_selectorELNS0_4arch9wavefront6targetE1EEEvT1_.num_vgpr, 0
	.set _ZN7rocprim17ROCPRIM_400000_NS6detail17trampoline_kernelINS0_14default_configENS1_35adjacent_difference_config_selectorILb1EjEEZNS1_24adjacent_difference_implIS3_Lb1ELb0EPjN6thrust23THRUST_200600_302600_NS16discard_iteratorINS9_11use_defaultEEENS9_5minusIjEEEE10hipError_tPvRmT2_T3_mT4_P12ihipStream_tbEUlT_E_NS1_11comp_targetILNS1_3genE4ELNS1_11target_archE910ELNS1_3gpuE8ELNS1_3repE0EEENS1_30default_config_static_selectorELNS0_4arch9wavefront6targetE1EEEvT1_.num_agpr, 0
	.set _ZN7rocprim17ROCPRIM_400000_NS6detail17trampoline_kernelINS0_14default_configENS1_35adjacent_difference_config_selectorILb1EjEEZNS1_24adjacent_difference_implIS3_Lb1ELb0EPjN6thrust23THRUST_200600_302600_NS16discard_iteratorINS9_11use_defaultEEENS9_5minusIjEEEE10hipError_tPvRmT2_T3_mT4_P12ihipStream_tbEUlT_E_NS1_11comp_targetILNS1_3genE4ELNS1_11target_archE910ELNS1_3gpuE8ELNS1_3repE0EEENS1_30default_config_static_selectorELNS0_4arch9wavefront6targetE1EEEvT1_.numbered_sgpr, 0
	.set _ZN7rocprim17ROCPRIM_400000_NS6detail17trampoline_kernelINS0_14default_configENS1_35adjacent_difference_config_selectorILb1EjEEZNS1_24adjacent_difference_implIS3_Lb1ELb0EPjN6thrust23THRUST_200600_302600_NS16discard_iteratorINS9_11use_defaultEEENS9_5minusIjEEEE10hipError_tPvRmT2_T3_mT4_P12ihipStream_tbEUlT_E_NS1_11comp_targetILNS1_3genE4ELNS1_11target_archE910ELNS1_3gpuE8ELNS1_3repE0EEENS1_30default_config_static_selectorELNS0_4arch9wavefront6targetE1EEEvT1_.num_named_barrier, 0
	.set _ZN7rocprim17ROCPRIM_400000_NS6detail17trampoline_kernelINS0_14default_configENS1_35adjacent_difference_config_selectorILb1EjEEZNS1_24adjacent_difference_implIS3_Lb1ELb0EPjN6thrust23THRUST_200600_302600_NS16discard_iteratorINS9_11use_defaultEEENS9_5minusIjEEEE10hipError_tPvRmT2_T3_mT4_P12ihipStream_tbEUlT_E_NS1_11comp_targetILNS1_3genE4ELNS1_11target_archE910ELNS1_3gpuE8ELNS1_3repE0EEENS1_30default_config_static_selectorELNS0_4arch9wavefront6targetE1EEEvT1_.private_seg_size, 0
	.set _ZN7rocprim17ROCPRIM_400000_NS6detail17trampoline_kernelINS0_14default_configENS1_35adjacent_difference_config_selectorILb1EjEEZNS1_24adjacent_difference_implIS3_Lb1ELb0EPjN6thrust23THRUST_200600_302600_NS16discard_iteratorINS9_11use_defaultEEENS9_5minusIjEEEE10hipError_tPvRmT2_T3_mT4_P12ihipStream_tbEUlT_E_NS1_11comp_targetILNS1_3genE4ELNS1_11target_archE910ELNS1_3gpuE8ELNS1_3repE0EEENS1_30default_config_static_selectorELNS0_4arch9wavefront6targetE1EEEvT1_.uses_vcc, 0
	.set _ZN7rocprim17ROCPRIM_400000_NS6detail17trampoline_kernelINS0_14default_configENS1_35adjacent_difference_config_selectorILb1EjEEZNS1_24adjacent_difference_implIS3_Lb1ELb0EPjN6thrust23THRUST_200600_302600_NS16discard_iteratorINS9_11use_defaultEEENS9_5minusIjEEEE10hipError_tPvRmT2_T3_mT4_P12ihipStream_tbEUlT_E_NS1_11comp_targetILNS1_3genE4ELNS1_11target_archE910ELNS1_3gpuE8ELNS1_3repE0EEENS1_30default_config_static_selectorELNS0_4arch9wavefront6targetE1EEEvT1_.uses_flat_scratch, 0
	.set _ZN7rocprim17ROCPRIM_400000_NS6detail17trampoline_kernelINS0_14default_configENS1_35adjacent_difference_config_selectorILb1EjEEZNS1_24adjacent_difference_implIS3_Lb1ELb0EPjN6thrust23THRUST_200600_302600_NS16discard_iteratorINS9_11use_defaultEEENS9_5minusIjEEEE10hipError_tPvRmT2_T3_mT4_P12ihipStream_tbEUlT_E_NS1_11comp_targetILNS1_3genE4ELNS1_11target_archE910ELNS1_3gpuE8ELNS1_3repE0EEENS1_30default_config_static_selectorELNS0_4arch9wavefront6targetE1EEEvT1_.has_dyn_sized_stack, 0
	.set _ZN7rocprim17ROCPRIM_400000_NS6detail17trampoline_kernelINS0_14default_configENS1_35adjacent_difference_config_selectorILb1EjEEZNS1_24adjacent_difference_implIS3_Lb1ELb0EPjN6thrust23THRUST_200600_302600_NS16discard_iteratorINS9_11use_defaultEEENS9_5minusIjEEEE10hipError_tPvRmT2_T3_mT4_P12ihipStream_tbEUlT_E_NS1_11comp_targetILNS1_3genE4ELNS1_11target_archE910ELNS1_3gpuE8ELNS1_3repE0EEENS1_30default_config_static_selectorELNS0_4arch9wavefront6targetE1EEEvT1_.has_recursion, 0
	.set _ZN7rocprim17ROCPRIM_400000_NS6detail17trampoline_kernelINS0_14default_configENS1_35adjacent_difference_config_selectorILb1EjEEZNS1_24adjacent_difference_implIS3_Lb1ELb0EPjN6thrust23THRUST_200600_302600_NS16discard_iteratorINS9_11use_defaultEEENS9_5minusIjEEEE10hipError_tPvRmT2_T3_mT4_P12ihipStream_tbEUlT_E_NS1_11comp_targetILNS1_3genE4ELNS1_11target_archE910ELNS1_3gpuE8ELNS1_3repE0EEENS1_30default_config_static_selectorELNS0_4arch9wavefront6targetE1EEEvT1_.has_indirect_call, 0
	.section	.AMDGPU.csdata,"",@progbits
; Kernel info:
; codeLenInByte = 0
; TotalNumSgprs: 4
; NumVgprs: 0
; ScratchSize: 0
; MemoryBound: 0
; FloatMode: 240
; IeeeMode: 1
; LDSByteSize: 0 bytes/workgroup (compile time only)
; SGPRBlocks: 0
; VGPRBlocks: 0
; NumSGPRsForWavesPerEU: 4
; NumVGPRsForWavesPerEU: 1
; Occupancy: 10
; WaveLimiterHint : 0
; COMPUTE_PGM_RSRC2:SCRATCH_EN: 0
; COMPUTE_PGM_RSRC2:USER_SGPR: 6
; COMPUTE_PGM_RSRC2:TRAP_HANDLER: 0
; COMPUTE_PGM_RSRC2:TGID_X_EN: 1
; COMPUTE_PGM_RSRC2:TGID_Y_EN: 0
; COMPUTE_PGM_RSRC2:TGID_Z_EN: 0
; COMPUTE_PGM_RSRC2:TIDIG_COMP_CNT: 0
	.section	.text._ZN7rocprim17ROCPRIM_400000_NS6detail17trampoline_kernelINS0_14default_configENS1_35adjacent_difference_config_selectorILb1EjEEZNS1_24adjacent_difference_implIS3_Lb1ELb0EPjN6thrust23THRUST_200600_302600_NS16discard_iteratorINS9_11use_defaultEEENS9_5minusIjEEEE10hipError_tPvRmT2_T3_mT4_P12ihipStream_tbEUlT_E_NS1_11comp_targetILNS1_3genE3ELNS1_11target_archE908ELNS1_3gpuE7ELNS1_3repE0EEENS1_30default_config_static_selectorELNS0_4arch9wavefront6targetE1EEEvT1_,"axG",@progbits,_ZN7rocprim17ROCPRIM_400000_NS6detail17trampoline_kernelINS0_14default_configENS1_35adjacent_difference_config_selectorILb1EjEEZNS1_24adjacent_difference_implIS3_Lb1ELb0EPjN6thrust23THRUST_200600_302600_NS16discard_iteratorINS9_11use_defaultEEENS9_5minusIjEEEE10hipError_tPvRmT2_T3_mT4_P12ihipStream_tbEUlT_E_NS1_11comp_targetILNS1_3genE3ELNS1_11target_archE908ELNS1_3gpuE7ELNS1_3repE0EEENS1_30default_config_static_selectorELNS0_4arch9wavefront6targetE1EEEvT1_,comdat
	.protected	_ZN7rocprim17ROCPRIM_400000_NS6detail17trampoline_kernelINS0_14default_configENS1_35adjacent_difference_config_selectorILb1EjEEZNS1_24adjacent_difference_implIS3_Lb1ELb0EPjN6thrust23THRUST_200600_302600_NS16discard_iteratorINS9_11use_defaultEEENS9_5minusIjEEEE10hipError_tPvRmT2_T3_mT4_P12ihipStream_tbEUlT_E_NS1_11comp_targetILNS1_3genE3ELNS1_11target_archE908ELNS1_3gpuE7ELNS1_3repE0EEENS1_30default_config_static_selectorELNS0_4arch9wavefront6targetE1EEEvT1_ ; -- Begin function _ZN7rocprim17ROCPRIM_400000_NS6detail17trampoline_kernelINS0_14default_configENS1_35adjacent_difference_config_selectorILb1EjEEZNS1_24adjacent_difference_implIS3_Lb1ELb0EPjN6thrust23THRUST_200600_302600_NS16discard_iteratorINS9_11use_defaultEEENS9_5minusIjEEEE10hipError_tPvRmT2_T3_mT4_P12ihipStream_tbEUlT_E_NS1_11comp_targetILNS1_3genE3ELNS1_11target_archE908ELNS1_3gpuE7ELNS1_3repE0EEENS1_30default_config_static_selectorELNS0_4arch9wavefront6targetE1EEEvT1_
	.globl	_ZN7rocprim17ROCPRIM_400000_NS6detail17trampoline_kernelINS0_14default_configENS1_35adjacent_difference_config_selectorILb1EjEEZNS1_24adjacent_difference_implIS3_Lb1ELb0EPjN6thrust23THRUST_200600_302600_NS16discard_iteratorINS9_11use_defaultEEENS9_5minusIjEEEE10hipError_tPvRmT2_T3_mT4_P12ihipStream_tbEUlT_E_NS1_11comp_targetILNS1_3genE3ELNS1_11target_archE908ELNS1_3gpuE7ELNS1_3repE0EEENS1_30default_config_static_selectorELNS0_4arch9wavefront6targetE1EEEvT1_
	.p2align	8
	.type	_ZN7rocprim17ROCPRIM_400000_NS6detail17trampoline_kernelINS0_14default_configENS1_35adjacent_difference_config_selectorILb1EjEEZNS1_24adjacent_difference_implIS3_Lb1ELb0EPjN6thrust23THRUST_200600_302600_NS16discard_iteratorINS9_11use_defaultEEENS9_5minusIjEEEE10hipError_tPvRmT2_T3_mT4_P12ihipStream_tbEUlT_E_NS1_11comp_targetILNS1_3genE3ELNS1_11target_archE908ELNS1_3gpuE7ELNS1_3repE0EEENS1_30default_config_static_selectorELNS0_4arch9wavefront6targetE1EEEvT1_,@function
_ZN7rocprim17ROCPRIM_400000_NS6detail17trampoline_kernelINS0_14default_configENS1_35adjacent_difference_config_selectorILb1EjEEZNS1_24adjacent_difference_implIS3_Lb1ELb0EPjN6thrust23THRUST_200600_302600_NS16discard_iteratorINS9_11use_defaultEEENS9_5minusIjEEEE10hipError_tPvRmT2_T3_mT4_P12ihipStream_tbEUlT_E_NS1_11comp_targetILNS1_3genE3ELNS1_11target_archE908ELNS1_3gpuE7ELNS1_3repE0EEENS1_30default_config_static_selectorELNS0_4arch9wavefront6targetE1EEEvT1_: ; @_ZN7rocprim17ROCPRIM_400000_NS6detail17trampoline_kernelINS0_14default_configENS1_35adjacent_difference_config_selectorILb1EjEEZNS1_24adjacent_difference_implIS3_Lb1ELb0EPjN6thrust23THRUST_200600_302600_NS16discard_iteratorINS9_11use_defaultEEENS9_5minusIjEEEE10hipError_tPvRmT2_T3_mT4_P12ihipStream_tbEUlT_E_NS1_11comp_targetILNS1_3genE3ELNS1_11target_archE908ELNS1_3gpuE7ELNS1_3repE0EEENS1_30default_config_static_selectorELNS0_4arch9wavefront6targetE1EEEvT1_
; %bb.0:
	.section	.rodata,"a",@progbits
	.p2align	6, 0x0
	.amdhsa_kernel _ZN7rocprim17ROCPRIM_400000_NS6detail17trampoline_kernelINS0_14default_configENS1_35adjacent_difference_config_selectorILb1EjEEZNS1_24adjacent_difference_implIS3_Lb1ELb0EPjN6thrust23THRUST_200600_302600_NS16discard_iteratorINS9_11use_defaultEEENS9_5minusIjEEEE10hipError_tPvRmT2_T3_mT4_P12ihipStream_tbEUlT_E_NS1_11comp_targetILNS1_3genE3ELNS1_11target_archE908ELNS1_3gpuE7ELNS1_3repE0EEENS1_30default_config_static_selectorELNS0_4arch9wavefront6targetE1EEEvT1_
		.amdhsa_group_segment_fixed_size 0
		.amdhsa_private_segment_fixed_size 0
		.amdhsa_kernarg_size 64
		.amdhsa_user_sgpr_count 6
		.amdhsa_user_sgpr_private_segment_buffer 1
		.amdhsa_user_sgpr_dispatch_ptr 0
		.amdhsa_user_sgpr_queue_ptr 0
		.amdhsa_user_sgpr_kernarg_segment_ptr 1
		.amdhsa_user_sgpr_dispatch_id 0
		.amdhsa_user_sgpr_flat_scratch_init 0
		.amdhsa_user_sgpr_private_segment_size 0
		.amdhsa_uses_dynamic_stack 0
		.amdhsa_system_sgpr_private_segment_wavefront_offset 0
		.amdhsa_system_sgpr_workgroup_id_x 1
		.amdhsa_system_sgpr_workgroup_id_y 0
		.amdhsa_system_sgpr_workgroup_id_z 0
		.amdhsa_system_sgpr_workgroup_info 0
		.amdhsa_system_vgpr_workitem_id 0
		.amdhsa_next_free_vgpr 1
		.amdhsa_next_free_sgpr 0
		.amdhsa_reserve_vcc 0
		.amdhsa_reserve_flat_scratch 0
		.amdhsa_float_round_mode_32 0
		.amdhsa_float_round_mode_16_64 0
		.amdhsa_float_denorm_mode_32 3
		.amdhsa_float_denorm_mode_16_64 3
		.amdhsa_dx10_clamp 1
		.amdhsa_ieee_mode 1
		.amdhsa_fp16_overflow 0
		.amdhsa_exception_fp_ieee_invalid_op 0
		.amdhsa_exception_fp_denorm_src 0
		.amdhsa_exception_fp_ieee_div_zero 0
		.amdhsa_exception_fp_ieee_overflow 0
		.amdhsa_exception_fp_ieee_underflow 0
		.amdhsa_exception_fp_ieee_inexact 0
		.amdhsa_exception_int_div_zero 0
	.end_amdhsa_kernel
	.section	.text._ZN7rocprim17ROCPRIM_400000_NS6detail17trampoline_kernelINS0_14default_configENS1_35adjacent_difference_config_selectorILb1EjEEZNS1_24adjacent_difference_implIS3_Lb1ELb0EPjN6thrust23THRUST_200600_302600_NS16discard_iteratorINS9_11use_defaultEEENS9_5minusIjEEEE10hipError_tPvRmT2_T3_mT4_P12ihipStream_tbEUlT_E_NS1_11comp_targetILNS1_3genE3ELNS1_11target_archE908ELNS1_3gpuE7ELNS1_3repE0EEENS1_30default_config_static_selectorELNS0_4arch9wavefront6targetE1EEEvT1_,"axG",@progbits,_ZN7rocprim17ROCPRIM_400000_NS6detail17trampoline_kernelINS0_14default_configENS1_35adjacent_difference_config_selectorILb1EjEEZNS1_24adjacent_difference_implIS3_Lb1ELb0EPjN6thrust23THRUST_200600_302600_NS16discard_iteratorINS9_11use_defaultEEENS9_5minusIjEEEE10hipError_tPvRmT2_T3_mT4_P12ihipStream_tbEUlT_E_NS1_11comp_targetILNS1_3genE3ELNS1_11target_archE908ELNS1_3gpuE7ELNS1_3repE0EEENS1_30default_config_static_selectorELNS0_4arch9wavefront6targetE1EEEvT1_,comdat
.Lfunc_end837:
	.size	_ZN7rocprim17ROCPRIM_400000_NS6detail17trampoline_kernelINS0_14default_configENS1_35adjacent_difference_config_selectorILb1EjEEZNS1_24adjacent_difference_implIS3_Lb1ELb0EPjN6thrust23THRUST_200600_302600_NS16discard_iteratorINS9_11use_defaultEEENS9_5minusIjEEEE10hipError_tPvRmT2_T3_mT4_P12ihipStream_tbEUlT_E_NS1_11comp_targetILNS1_3genE3ELNS1_11target_archE908ELNS1_3gpuE7ELNS1_3repE0EEENS1_30default_config_static_selectorELNS0_4arch9wavefront6targetE1EEEvT1_, .Lfunc_end837-_ZN7rocprim17ROCPRIM_400000_NS6detail17trampoline_kernelINS0_14default_configENS1_35adjacent_difference_config_selectorILb1EjEEZNS1_24adjacent_difference_implIS3_Lb1ELb0EPjN6thrust23THRUST_200600_302600_NS16discard_iteratorINS9_11use_defaultEEENS9_5minusIjEEEE10hipError_tPvRmT2_T3_mT4_P12ihipStream_tbEUlT_E_NS1_11comp_targetILNS1_3genE3ELNS1_11target_archE908ELNS1_3gpuE7ELNS1_3repE0EEENS1_30default_config_static_selectorELNS0_4arch9wavefront6targetE1EEEvT1_
                                        ; -- End function
	.set _ZN7rocprim17ROCPRIM_400000_NS6detail17trampoline_kernelINS0_14default_configENS1_35adjacent_difference_config_selectorILb1EjEEZNS1_24adjacent_difference_implIS3_Lb1ELb0EPjN6thrust23THRUST_200600_302600_NS16discard_iteratorINS9_11use_defaultEEENS9_5minusIjEEEE10hipError_tPvRmT2_T3_mT4_P12ihipStream_tbEUlT_E_NS1_11comp_targetILNS1_3genE3ELNS1_11target_archE908ELNS1_3gpuE7ELNS1_3repE0EEENS1_30default_config_static_selectorELNS0_4arch9wavefront6targetE1EEEvT1_.num_vgpr, 0
	.set _ZN7rocprim17ROCPRIM_400000_NS6detail17trampoline_kernelINS0_14default_configENS1_35adjacent_difference_config_selectorILb1EjEEZNS1_24adjacent_difference_implIS3_Lb1ELb0EPjN6thrust23THRUST_200600_302600_NS16discard_iteratorINS9_11use_defaultEEENS9_5minusIjEEEE10hipError_tPvRmT2_T3_mT4_P12ihipStream_tbEUlT_E_NS1_11comp_targetILNS1_3genE3ELNS1_11target_archE908ELNS1_3gpuE7ELNS1_3repE0EEENS1_30default_config_static_selectorELNS0_4arch9wavefront6targetE1EEEvT1_.num_agpr, 0
	.set _ZN7rocprim17ROCPRIM_400000_NS6detail17trampoline_kernelINS0_14default_configENS1_35adjacent_difference_config_selectorILb1EjEEZNS1_24adjacent_difference_implIS3_Lb1ELb0EPjN6thrust23THRUST_200600_302600_NS16discard_iteratorINS9_11use_defaultEEENS9_5minusIjEEEE10hipError_tPvRmT2_T3_mT4_P12ihipStream_tbEUlT_E_NS1_11comp_targetILNS1_3genE3ELNS1_11target_archE908ELNS1_3gpuE7ELNS1_3repE0EEENS1_30default_config_static_selectorELNS0_4arch9wavefront6targetE1EEEvT1_.numbered_sgpr, 0
	.set _ZN7rocprim17ROCPRIM_400000_NS6detail17trampoline_kernelINS0_14default_configENS1_35adjacent_difference_config_selectorILb1EjEEZNS1_24adjacent_difference_implIS3_Lb1ELb0EPjN6thrust23THRUST_200600_302600_NS16discard_iteratorINS9_11use_defaultEEENS9_5minusIjEEEE10hipError_tPvRmT2_T3_mT4_P12ihipStream_tbEUlT_E_NS1_11comp_targetILNS1_3genE3ELNS1_11target_archE908ELNS1_3gpuE7ELNS1_3repE0EEENS1_30default_config_static_selectorELNS0_4arch9wavefront6targetE1EEEvT1_.num_named_barrier, 0
	.set _ZN7rocprim17ROCPRIM_400000_NS6detail17trampoline_kernelINS0_14default_configENS1_35adjacent_difference_config_selectorILb1EjEEZNS1_24adjacent_difference_implIS3_Lb1ELb0EPjN6thrust23THRUST_200600_302600_NS16discard_iteratorINS9_11use_defaultEEENS9_5minusIjEEEE10hipError_tPvRmT2_T3_mT4_P12ihipStream_tbEUlT_E_NS1_11comp_targetILNS1_3genE3ELNS1_11target_archE908ELNS1_3gpuE7ELNS1_3repE0EEENS1_30default_config_static_selectorELNS0_4arch9wavefront6targetE1EEEvT1_.private_seg_size, 0
	.set _ZN7rocprim17ROCPRIM_400000_NS6detail17trampoline_kernelINS0_14default_configENS1_35adjacent_difference_config_selectorILb1EjEEZNS1_24adjacent_difference_implIS3_Lb1ELb0EPjN6thrust23THRUST_200600_302600_NS16discard_iteratorINS9_11use_defaultEEENS9_5minusIjEEEE10hipError_tPvRmT2_T3_mT4_P12ihipStream_tbEUlT_E_NS1_11comp_targetILNS1_3genE3ELNS1_11target_archE908ELNS1_3gpuE7ELNS1_3repE0EEENS1_30default_config_static_selectorELNS0_4arch9wavefront6targetE1EEEvT1_.uses_vcc, 0
	.set _ZN7rocprim17ROCPRIM_400000_NS6detail17trampoline_kernelINS0_14default_configENS1_35adjacent_difference_config_selectorILb1EjEEZNS1_24adjacent_difference_implIS3_Lb1ELb0EPjN6thrust23THRUST_200600_302600_NS16discard_iteratorINS9_11use_defaultEEENS9_5minusIjEEEE10hipError_tPvRmT2_T3_mT4_P12ihipStream_tbEUlT_E_NS1_11comp_targetILNS1_3genE3ELNS1_11target_archE908ELNS1_3gpuE7ELNS1_3repE0EEENS1_30default_config_static_selectorELNS0_4arch9wavefront6targetE1EEEvT1_.uses_flat_scratch, 0
	.set _ZN7rocprim17ROCPRIM_400000_NS6detail17trampoline_kernelINS0_14default_configENS1_35adjacent_difference_config_selectorILb1EjEEZNS1_24adjacent_difference_implIS3_Lb1ELb0EPjN6thrust23THRUST_200600_302600_NS16discard_iteratorINS9_11use_defaultEEENS9_5minusIjEEEE10hipError_tPvRmT2_T3_mT4_P12ihipStream_tbEUlT_E_NS1_11comp_targetILNS1_3genE3ELNS1_11target_archE908ELNS1_3gpuE7ELNS1_3repE0EEENS1_30default_config_static_selectorELNS0_4arch9wavefront6targetE1EEEvT1_.has_dyn_sized_stack, 0
	.set _ZN7rocprim17ROCPRIM_400000_NS6detail17trampoline_kernelINS0_14default_configENS1_35adjacent_difference_config_selectorILb1EjEEZNS1_24adjacent_difference_implIS3_Lb1ELb0EPjN6thrust23THRUST_200600_302600_NS16discard_iteratorINS9_11use_defaultEEENS9_5minusIjEEEE10hipError_tPvRmT2_T3_mT4_P12ihipStream_tbEUlT_E_NS1_11comp_targetILNS1_3genE3ELNS1_11target_archE908ELNS1_3gpuE7ELNS1_3repE0EEENS1_30default_config_static_selectorELNS0_4arch9wavefront6targetE1EEEvT1_.has_recursion, 0
	.set _ZN7rocprim17ROCPRIM_400000_NS6detail17trampoline_kernelINS0_14default_configENS1_35adjacent_difference_config_selectorILb1EjEEZNS1_24adjacent_difference_implIS3_Lb1ELb0EPjN6thrust23THRUST_200600_302600_NS16discard_iteratorINS9_11use_defaultEEENS9_5minusIjEEEE10hipError_tPvRmT2_T3_mT4_P12ihipStream_tbEUlT_E_NS1_11comp_targetILNS1_3genE3ELNS1_11target_archE908ELNS1_3gpuE7ELNS1_3repE0EEENS1_30default_config_static_selectorELNS0_4arch9wavefront6targetE1EEEvT1_.has_indirect_call, 0
	.section	.AMDGPU.csdata,"",@progbits
; Kernel info:
; codeLenInByte = 0
; TotalNumSgprs: 4
; NumVgprs: 0
; ScratchSize: 0
; MemoryBound: 0
; FloatMode: 240
; IeeeMode: 1
; LDSByteSize: 0 bytes/workgroup (compile time only)
; SGPRBlocks: 0
; VGPRBlocks: 0
; NumSGPRsForWavesPerEU: 4
; NumVGPRsForWavesPerEU: 1
; Occupancy: 10
; WaveLimiterHint : 0
; COMPUTE_PGM_RSRC2:SCRATCH_EN: 0
; COMPUTE_PGM_RSRC2:USER_SGPR: 6
; COMPUTE_PGM_RSRC2:TRAP_HANDLER: 0
; COMPUTE_PGM_RSRC2:TGID_X_EN: 1
; COMPUTE_PGM_RSRC2:TGID_Y_EN: 0
; COMPUTE_PGM_RSRC2:TGID_Z_EN: 0
; COMPUTE_PGM_RSRC2:TIDIG_COMP_CNT: 0
	.section	.text._ZN7rocprim17ROCPRIM_400000_NS6detail17trampoline_kernelINS0_14default_configENS1_35adjacent_difference_config_selectorILb1EjEEZNS1_24adjacent_difference_implIS3_Lb1ELb0EPjN6thrust23THRUST_200600_302600_NS16discard_iteratorINS9_11use_defaultEEENS9_5minusIjEEEE10hipError_tPvRmT2_T3_mT4_P12ihipStream_tbEUlT_E_NS1_11comp_targetILNS1_3genE2ELNS1_11target_archE906ELNS1_3gpuE6ELNS1_3repE0EEENS1_30default_config_static_selectorELNS0_4arch9wavefront6targetE1EEEvT1_,"axG",@progbits,_ZN7rocprim17ROCPRIM_400000_NS6detail17trampoline_kernelINS0_14default_configENS1_35adjacent_difference_config_selectorILb1EjEEZNS1_24adjacent_difference_implIS3_Lb1ELb0EPjN6thrust23THRUST_200600_302600_NS16discard_iteratorINS9_11use_defaultEEENS9_5minusIjEEEE10hipError_tPvRmT2_T3_mT4_P12ihipStream_tbEUlT_E_NS1_11comp_targetILNS1_3genE2ELNS1_11target_archE906ELNS1_3gpuE6ELNS1_3repE0EEENS1_30default_config_static_selectorELNS0_4arch9wavefront6targetE1EEEvT1_,comdat
	.protected	_ZN7rocprim17ROCPRIM_400000_NS6detail17trampoline_kernelINS0_14default_configENS1_35adjacent_difference_config_selectorILb1EjEEZNS1_24adjacent_difference_implIS3_Lb1ELb0EPjN6thrust23THRUST_200600_302600_NS16discard_iteratorINS9_11use_defaultEEENS9_5minusIjEEEE10hipError_tPvRmT2_T3_mT4_P12ihipStream_tbEUlT_E_NS1_11comp_targetILNS1_3genE2ELNS1_11target_archE906ELNS1_3gpuE6ELNS1_3repE0EEENS1_30default_config_static_selectorELNS0_4arch9wavefront6targetE1EEEvT1_ ; -- Begin function _ZN7rocprim17ROCPRIM_400000_NS6detail17trampoline_kernelINS0_14default_configENS1_35adjacent_difference_config_selectorILb1EjEEZNS1_24adjacent_difference_implIS3_Lb1ELb0EPjN6thrust23THRUST_200600_302600_NS16discard_iteratorINS9_11use_defaultEEENS9_5minusIjEEEE10hipError_tPvRmT2_T3_mT4_P12ihipStream_tbEUlT_E_NS1_11comp_targetILNS1_3genE2ELNS1_11target_archE906ELNS1_3gpuE6ELNS1_3repE0EEENS1_30default_config_static_selectorELNS0_4arch9wavefront6targetE1EEEvT1_
	.globl	_ZN7rocprim17ROCPRIM_400000_NS6detail17trampoline_kernelINS0_14default_configENS1_35adjacent_difference_config_selectorILb1EjEEZNS1_24adjacent_difference_implIS3_Lb1ELb0EPjN6thrust23THRUST_200600_302600_NS16discard_iteratorINS9_11use_defaultEEENS9_5minusIjEEEE10hipError_tPvRmT2_T3_mT4_P12ihipStream_tbEUlT_E_NS1_11comp_targetILNS1_3genE2ELNS1_11target_archE906ELNS1_3gpuE6ELNS1_3repE0EEENS1_30default_config_static_selectorELNS0_4arch9wavefront6targetE1EEEvT1_
	.p2align	8
	.type	_ZN7rocprim17ROCPRIM_400000_NS6detail17trampoline_kernelINS0_14default_configENS1_35adjacent_difference_config_selectorILb1EjEEZNS1_24adjacent_difference_implIS3_Lb1ELb0EPjN6thrust23THRUST_200600_302600_NS16discard_iteratorINS9_11use_defaultEEENS9_5minusIjEEEE10hipError_tPvRmT2_T3_mT4_P12ihipStream_tbEUlT_E_NS1_11comp_targetILNS1_3genE2ELNS1_11target_archE906ELNS1_3gpuE6ELNS1_3repE0EEENS1_30default_config_static_selectorELNS0_4arch9wavefront6targetE1EEEvT1_,@function
_ZN7rocprim17ROCPRIM_400000_NS6detail17trampoline_kernelINS0_14default_configENS1_35adjacent_difference_config_selectorILb1EjEEZNS1_24adjacent_difference_implIS3_Lb1ELb0EPjN6thrust23THRUST_200600_302600_NS16discard_iteratorINS9_11use_defaultEEENS9_5minusIjEEEE10hipError_tPvRmT2_T3_mT4_P12ihipStream_tbEUlT_E_NS1_11comp_targetILNS1_3genE2ELNS1_11target_archE906ELNS1_3gpuE6ELNS1_3repE0EEENS1_30default_config_static_selectorELNS0_4arch9wavefront6targetE1EEEvT1_: ; @_ZN7rocprim17ROCPRIM_400000_NS6detail17trampoline_kernelINS0_14default_configENS1_35adjacent_difference_config_selectorILb1EjEEZNS1_24adjacent_difference_implIS3_Lb1ELb0EPjN6thrust23THRUST_200600_302600_NS16discard_iteratorINS9_11use_defaultEEENS9_5minusIjEEEE10hipError_tPvRmT2_T3_mT4_P12ihipStream_tbEUlT_E_NS1_11comp_targetILNS1_3genE2ELNS1_11target_archE906ELNS1_3gpuE6ELNS1_3repE0EEENS1_30default_config_static_selectorELNS0_4arch9wavefront6targetE1EEEvT1_
; %bb.0:
	s_load_dwordx4 s[0:3], s[4:5], 0x0
	s_load_dwordx2 s[22:23], s[4:5], 0x20
	s_load_dwordx4 s[8:11], s[4:5], 0x30
	s_mul_i32 s14, s6, 0xb00
	s_mov_b32 s7, 0
	s_waitcnt lgkmcnt(0)
	s_lshl_b64 s[2:3], s[2:3], 2
	s_add_u32 s20, s0, s2
	s_addc_u32 s21, s1, s3
	s_mul_i32 s3, s23, 0xba2e8ba3
	s_mul_hi_u32 s4, s22, 0xba2e8ba3
	s_mul_hi_u32 s2, s23, 0xba2e8ba3
	s_add_u32 s3, s3, s4
	s_mul_i32 s1, s22, 0x2e8ba2e8
	s_addc_u32 s2, s2, 0
	s_mul_hi_u32 s0, s22, 0x2e8ba2e8
	s_add_u32 s1, s1, s3
	s_addc_u32 s0, s0, 0
	s_add_u32 s0, s2, s0
	s_addc_u32 s1, 0, 0
	s_mul_i32 s3, s23, 0x2e8ba2e8
	s_mul_hi_u32 s2, s23, 0x2e8ba2e8
	s_add_u32 s0, s3, s0
	s_addc_u32 s1, s2, s1
	s_lshr_b64 s[2:3], s[0:1], 9
	s_lshr_b32 s0, s1, 9
	s_mulk_i32 s0, 0xb00
	s_mul_hi_u32 s1, s2, 0xb00
	s_add_i32 s1, s1, s0
	s_mul_i32 s0, s2, 0xb00
	s_sub_u32 s0, s22, s0
	s_subb_u32 s1, s23, s1
	s_cmp_lg_u64 s[0:1], 0
	s_cselect_b64 s[0:1], -1, 0
	v_cndmask_b32_e64 v1, 0, 1, s[0:1]
	v_readfirstlane_b32 s0, v1
	s_add_u32 s2, s2, s0
	s_addc_u32 s3, s3, 0
	s_add_u32 s4, s10, s6
	s_addc_u32 s5, s11, 0
	s_add_u32 s12, s2, -1
	s_addc_u32 s13, s3, -1
	v_mov_b32_e32 v1, s12
	v_mov_b32_e32 v2, s13
	v_cmp_ge_u64_e64 s[0:1], s[4:5], v[1:2]
	s_mov_b64 s[16:17], -1
	s_and_b64 vcc, exec, s[0:1]
	s_cbranch_vccz .LBB838_24
; %bb.1:
	s_mul_i32 s23, s12, 0xfffff500
	s_mov_b32 s15, s7
	s_add_i32 s23, s23, s22
	s_lshl_b64 s[16:17], s[14:15], 2
	s_add_u32 s16, s20, s16
	v_mov_b32_e32 v1, 0
	s_addc_u32 s17, s21, s17
	v_cmp_gt_u32_e32 vcc, s23, v0
	v_mov_b32_e32 v2, v1
	v_mov_b32_e32 v3, v1
	;; [unrolled: 1-line block ×10, first 2 shown]
	s_and_saveexec_b64 s[18:19], vcc
	s_cbranch_execz .LBB838_3
; %bb.2:
	v_lshlrev_b32_e32 v2, 2, v0
	global_load_dword v2, v2, s[16:17]
	v_mov_b32_e32 v3, v1
	v_mov_b32_e32 v4, v1
	v_mov_b32_e32 v5, v1
	v_mov_b32_e32 v6, v1
	v_mov_b32_e32 v7, v1
	v_mov_b32_e32 v8, v1
	v_mov_b32_e32 v9, v1
	v_mov_b32_e32 v10, v1
	v_mov_b32_e32 v11, v1
	v_mov_b32_e32 v12, v1
	s_waitcnt vmcnt(0)
	v_mov_b32_e32 v1, v2
	v_mov_b32_e32 v2, v3
	;; [unrolled: 1-line block ×11, first 2 shown]
.LBB838_3:
	s_or_b64 exec, exec, s[18:19]
	v_or_b32_e32 v12, 0x100, v0
	v_cmp_gt_u32_e32 vcc, s23, v12
	s_and_saveexec_b64 s[18:19], vcc
	s_cbranch_execz .LBB838_5
; %bb.4:
	v_lshlrev_b32_e32 v2, 2, v0
	global_load_dword v2, v2, s[16:17] offset:1024
.LBB838_5:
	s_or_b64 exec, exec, s[18:19]
	v_or_b32_e32 v12, 0x200, v0
	v_cmp_gt_u32_e32 vcc, s23, v12
	s_and_saveexec_b64 s[18:19], vcc
	s_cbranch_execz .LBB838_7
; %bb.6:
	v_lshlrev_b32_e32 v3, 2, v0
	global_load_dword v3, v3, s[16:17] offset:2048
.LBB838_7:
	;; [unrolled: 9-line block ×3, first 2 shown]
	s_or_b64 exec, exec, s[18:19]
	v_or_b32_e32 v12, 0x400, v0
	v_cmp_gt_u32_e32 vcc, s23, v12
	s_and_saveexec_b64 s[18:19], vcc
	s_cbranch_execz .LBB838_11
; %bb.10:
	v_lshlrev_b32_e32 v5, 2, v12
	global_load_dword v5, v5, s[16:17]
.LBB838_11:
	s_or_b64 exec, exec, s[18:19]
	v_or_b32_e32 v12, 0x500, v0
	v_cmp_gt_u32_e32 vcc, s23, v12
	s_and_saveexec_b64 s[18:19], vcc
	s_cbranch_execz .LBB838_13
; %bb.12:
	v_lshlrev_b32_e32 v6, 2, v12
	global_load_dword v6, v6, s[16:17]
.LBB838_13:
	;; [unrolled: 9-line block ×7, first 2 shown]
	s_or_b64 exec, exec, s[18:19]
	v_lshlrev_b32_e32 v12, 2, v0
	s_mov_b64 s[16:17], 0
	s_waitcnt vmcnt(0)
	ds_write2st64_b32 v12, v1, v2 offset1:4
	ds_write2st64_b32 v12, v3, v4 offset0:8 offset1:12
	ds_write2st64_b32 v12, v5, v6 offset0:16 offset1:20
	;; [unrolled: 1-line block ×4, first 2 shown]
	ds_write_b32 v12, v11 offset:10240
	s_waitcnt lgkmcnt(0)
	s_barrier
.LBB838_24:
	s_and_b64 vcc, exec, s[16:17]
	v_lshlrev_b32_e32 v12, 2, v0
	s_cbranch_vccz .LBB838_26
; %bb.25:
	s_mov_b32 s15, 0
	s_lshl_b64 s[14:15], s[14:15], 2
	s_add_u32 s14, s20, s14
	s_addc_u32 s15, s21, s15
	v_mov_b32_e32 v1, s15
	v_add_co_u32_e32 v3, vcc, s14, v12
	v_addc_co_u32_e32 v4, vcc, 0, v1, vcc
	v_add_co_u32_e32 v1, vcc, 0x1000, v3
	v_addc_co_u32_e32 v2, vcc, 0, v4, vcc
	v_add_co_u32_e32 v3, vcc, 0x2000, v3
	global_load_dword v5, v12, s[14:15] offset:1024
	global_load_dword v6, v12, s[14:15] offset:2048
	;; [unrolled: 1-line block ×3, first 2 shown]
	v_addc_co_u32_e32 v4, vcc, 0, v4, vcc
	global_load_dword v8, v12, s[14:15]
	global_load_dword v9, v[1:2], off
	global_load_dword v10, v[1:2], off offset:1024
	global_load_dword v11, v[1:2], off offset:2048
	;; [unrolled: 1-line block ×3, first 2 shown]
	global_load_dword v14, v[3:4], off
	global_load_dword v15, v[3:4], off offset:1024
	global_load_dword v16, v[3:4], off offset:2048
	s_waitcnt vmcnt(7)
	ds_write2st64_b32 v12, v8, v5 offset1:4
	ds_write2st64_b32 v12, v6, v7 offset0:8 offset1:12
	s_waitcnt vmcnt(5)
	ds_write2st64_b32 v12, v9, v10 offset0:16 offset1:20
	s_waitcnt vmcnt(3)
	;; [unrolled: 2-line block ×4, first 2 shown]
	ds_write_b32 v12, v16 offset:10240
	s_waitcnt lgkmcnt(0)
	s_barrier
.LBB838_26:
	v_mul_u32_u24_e32 v11, 44, v0
	ds_read2_b32 v[1:2], v11 offset1:1
	ds_read2_b32 v[3:4], v11 offset0:2 offset1:3
	ds_read2_b32 v[5:6], v11 offset0:4 offset1:5
	;; [unrolled: 1-line block ×4, first 2 shown]
	ds_read_b32 v11, v11 offset:40
	s_cmp_eq_u64 s[4:5], 0
	s_waitcnt lgkmcnt(0)
	s_barrier
	s_cbranch_scc1 .LBB838_31
; %bb.27:
	s_lshl_b64 s[10:11], s[10:11], 2
	s_add_u32 s8, s8, s10
	s_addc_u32 s9, s9, s11
	s_lshl_b64 s[6:7], s[6:7], 2
	s_add_u32 s6, s8, s6
	s_addc_u32 s7, s9, s7
	s_add_u32 s6, s6, -4
	s_addc_u32 s7, s7, -1
	s_load_dword s8, s[6:7], 0x0
	s_cmp_eq_u64 s[4:5], s[12:13]
	s_cbranch_scc1 .LBB838_32
; %bb.28:
	v_cmp_ne_u32_e32 vcc, 0, v0
	s_waitcnt lgkmcnt(0)
	v_mov_b32_e32 v13, s8
	ds_write_b32 v12, v11
	s_waitcnt lgkmcnt(0)
	s_barrier
	s_and_saveexec_b64 s[6:7], vcc
; %bb.29:
	v_add_u32_e32 v13, -4, v12
	ds_read_b32 v13, v13
; %bb.30:
	s_or_b64 exec, exec, s[6:7]
	s_waitcnt lgkmcnt(0)
	v_sub_u32_e32 v13, v1, v13
	s_mov_b64 s[6:7], 0
	s_branch .LBB838_33
.LBB838_31:
                                        ; implicit-def: $vgpr13
                                        ; implicit-def: $vgpr23
                                        ; implicit-def: $vgpr22
                                        ; implicit-def: $vgpr21
                                        ; implicit-def: $vgpr20
                                        ; implicit-def: $vgpr19
                                        ; implicit-def: $vgpr18
                                        ; implicit-def: $vgpr17
                                        ; implicit-def: $vgpr16
                                        ; implicit-def: $vgpr15
                                        ; implicit-def: $vgpr14
	s_branch .LBB838_38
.LBB838_32:
	s_mov_b64 s[6:7], -1
                                        ; implicit-def: $vgpr13
.LBB838_33:
	s_and_b64 vcc, exec, s[6:7]
	v_mov_b32_e32 v23, v1
	v_mov_b32_e32 v22, v2
	;; [unrolled: 1-line block ×10, first 2 shown]
	s_cbranch_vccz .LBB838_37
; %bb.34:
	v_mul_u32_u24_e32 v13, 11, v0
	v_cmp_ne_u32_e32 vcc, 0, v0
	s_waitcnt lgkmcnt(0)
	v_mov_b32_e32 v24, s8
	ds_write_b32 v12, v11
	s_waitcnt lgkmcnt(0)
	s_barrier
	s_and_saveexec_b64 s[6:7], vcc
; %bb.35:
	v_add_u32_e32 v14, -4, v12
	ds_read_b32 v24, v14
; %bb.36:
	s_or_b64 exec, exec, s[6:7]
	s_mulk_i32 s4, 0xf500
	s_add_i32 s4, s4, s22
	v_add_u32_e32 v14, 10, v13
	v_cmp_gt_u32_e32 vcc, s4, v14
	v_add_u32_e32 v15, 9, v13
	v_cndmask_b32_e32 v14, 0, v10, vcc
	v_cmp_gt_u32_e32 vcc, s4, v15
	v_add_u32_e32 v16, 8, v13
	v_cndmask_b32_e32 v15, 0, v9, vcc
	;; [unrolled: 3-line block ×9, first 2 shown]
	v_cmp_gt_u32_e32 vcc, s4, v23
	v_cndmask_b32_e32 v23, 0, v1, vcc
	v_cmp_gt_u32_e32 vcc, s4, v13
	s_waitcnt lgkmcnt(0)
	v_cndmask_b32_e32 v13, 0, v24, vcc
	v_sub_u32_e32 v13, v1, v13
.LBB838_37:
	s_cbranch_execnz .LBB838_48
.LBB838_38:
	s_cmp_eq_u64 s[2:3], 1
	v_cmp_ne_u32_e32 vcc, 0, v0
	s_cbranch_scc1 .LBB838_43
; %bb.39:
	v_mov_b32_e32 v23, 0
	v_mov_b32_e32 v13, v1
	ds_write_b32 v12, v11
	s_waitcnt lgkmcnt(0)
	s_barrier
	s_and_saveexec_b64 s[2:3], vcc
	s_cbranch_execz .LBB838_41
; %bb.40:
	v_add_u32_e32 v13, -4, v12
	ds_read_b32 v13, v13
	v_mov_b32_e32 v23, v0
	s_waitcnt lgkmcnt(0)
	v_sub_u32_e32 v13, v1, v13
.LBB838_41:
	s_or_b64 exec, exec, s[2:3]
	s_cbranch_execz .LBB838_44
; %bb.42:
	v_mov_b32_e32 v22, v2
	v_mov_b32_e32 v21, v3
	;; [unrolled: 1-line block ×10, first 2 shown]
	s_branch .LBB838_47
.LBB838_43:
                                        ; implicit-def: $vgpr13
                                        ; implicit-def: $vgpr23
.LBB838_44:
	v_mad_u32_u24 v14, v0, 11, 10
	v_cmp_gt_u32_e32 vcc, s22, v14
	v_mad_u32_u24 v14, v0, 11, 9
	v_cmp_gt_u32_e64 s[2:3], s22, v14
	v_mad_u32_u24 v14, v0, 11, 8
	v_cmp_gt_u32_e64 s[4:5], s22, v14
	;; [unrolled: 2-line block ×3, first 2 shown]
	v_mad_u32_u24 v14, v0, 11, 6
	s_waitcnt lgkmcnt(0)
	v_cmp_gt_u32_e64 s[8:9], s22, v14
	v_mad_u32_u24 v14, v0, 11, 5
	v_cmp_gt_u32_e64 s[10:11], s22, v14
	v_mad_u32_u24 v14, v0, 11, 4
	;; [unrolled: 2-line block ×4, first 2 shown]
	v_mul_u32_u24_e32 v13, 11, v0
	v_cmp_gt_u32_e64 s[16:17], s22, v14
	v_mad_u32_u24 v14, v0, 11, 1
	v_cmp_gt_u32_e64 s[18:19], s22, v14
	v_cmp_ne_u32_e64 s[20:21], 0, v0
	v_cmp_gt_u32_e64 s[22:23], s22, v13
	s_and_b64 s[22:23], s[20:21], s[22:23]
	v_mov_b32_e32 v13, v1
	ds_write_b32 v12, v11
	s_waitcnt lgkmcnt(0)
	s_barrier
	s_and_saveexec_b64 s[20:21], s[22:23]
	s_cbranch_execz .LBB838_46
; %bb.45:
	v_add_u32_e32 v12, -4, v12
	ds_read_b32 v12, v12
	s_waitcnt lgkmcnt(0)
	v_sub_u32_e32 v13, v1, v12
.LBB838_46:
	s_or_b64 exec, exec, s[20:21]
	v_cndmask_b32_e32 v14, 0, v10, vcc
	v_cndmask_b32_e64 v15, 0, v9, s[2:3]
	v_cndmask_b32_e64 v16, 0, v8, s[4:5]
	;; [unrolled: 1-line block ×9, first 2 shown]
.LBB838_47:
	v_mov_b32_e32 v23, v1
.LBB838_48:
	v_sub_u32_e32 v1, v2, v23
	v_mul_u32_u24_e32 v0, 44, v0
	s_mov_b64 s[2:3], -1
	s_and_b64 vcc, exec, s[0:1]
	v_sub_u32_e32 v2, v3, v22
	v_sub_u32_e32 v3, v4, v21
	;; [unrolled: 1-line block ×9, first 2 shown]
	s_waitcnt lgkmcnt(0)
	s_barrier
	ds_write2_b32 v0, v13, v1 offset1:1
	ds_write2_b32 v0, v2, v3 offset0:2 offset1:3
	ds_write2_b32 v0, v4, v5 offset0:4 offset1:5
	ds_write2_b32 v0, v6, v7 offset0:6 offset1:7
	ds_write2_b32 v0, v8, v9 offset0:8 offset1:9
	ds_write_b32 v0, v10 offset:40
	s_waitcnt lgkmcnt(0)
	s_cbranch_vccnz .LBB838_51
; %bb.49:
	s_andn2_b64 vcc, exec, s[2:3]
	s_cbranch_vccz .LBB838_52
.LBB838_50:
	s_endpgm
.LBB838_51:
	s_barrier
	s_cbranch_execnz .LBB838_50
.LBB838_52:
	s_barrier
	s_endpgm
	.section	.rodata,"a",@progbits
	.p2align	6, 0x0
	.amdhsa_kernel _ZN7rocprim17ROCPRIM_400000_NS6detail17trampoline_kernelINS0_14default_configENS1_35adjacent_difference_config_selectorILb1EjEEZNS1_24adjacent_difference_implIS3_Lb1ELb0EPjN6thrust23THRUST_200600_302600_NS16discard_iteratorINS9_11use_defaultEEENS9_5minusIjEEEE10hipError_tPvRmT2_T3_mT4_P12ihipStream_tbEUlT_E_NS1_11comp_targetILNS1_3genE2ELNS1_11target_archE906ELNS1_3gpuE6ELNS1_3repE0EEENS1_30default_config_static_selectorELNS0_4arch9wavefront6targetE1EEEvT1_
		.amdhsa_group_segment_fixed_size 11264
		.amdhsa_private_segment_fixed_size 0
		.amdhsa_kernarg_size 64
		.amdhsa_user_sgpr_count 6
		.amdhsa_user_sgpr_private_segment_buffer 1
		.amdhsa_user_sgpr_dispatch_ptr 0
		.amdhsa_user_sgpr_queue_ptr 0
		.amdhsa_user_sgpr_kernarg_segment_ptr 1
		.amdhsa_user_sgpr_dispatch_id 0
		.amdhsa_user_sgpr_flat_scratch_init 0
		.amdhsa_user_sgpr_private_segment_size 0
		.amdhsa_uses_dynamic_stack 0
		.amdhsa_system_sgpr_private_segment_wavefront_offset 0
		.amdhsa_system_sgpr_workgroup_id_x 1
		.amdhsa_system_sgpr_workgroup_id_y 0
		.amdhsa_system_sgpr_workgroup_id_z 0
		.amdhsa_system_sgpr_workgroup_info 0
		.amdhsa_system_vgpr_workitem_id 0
		.amdhsa_next_free_vgpr 41
		.amdhsa_next_free_sgpr 98
		.amdhsa_reserve_vcc 1
		.amdhsa_reserve_flat_scratch 0
		.amdhsa_float_round_mode_32 0
		.amdhsa_float_round_mode_16_64 0
		.amdhsa_float_denorm_mode_32 3
		.amdhsa_float_denorm_mode_16_64 3
		.amdhsa_dx10_clamp 1
		.amdhsa_ieee_mode 1
		.amdhsa_fp16_overflow 0
		.amdhsa_exception_fp_ieee_invalid_op 0
		.amdhsa_exception_fp_denorm_src 0
		.amdhsa_exception_fp_ieee_div_zero 0
		.amdhsa_exception_fp_ieee_overflow 0
		.amdhsa_exception_fp_ieee_underflow 0
		.amdhsa_exception_fp_ieee_inexact 0
		.amdhsa_exception_int_div_zero 0
	.end_amdhsa_kernel
	.section	.text._ZN7rocprim17ROCPRIM_400000_NS6detail17trampoline_kernelINS0_14default_configENS1_35adjacent_difference_config_selectorILb1EjEEZNS1_24adjacent_difference_implIS3_Lb1ELb0EPjN6thrust23THRUST_200600_302600_NS16discard_iteratorINS9_11use_defaultEEENS9_5minusIjEEEE10hipError_tPvRmT2_T3_mT4_P12ihipStream_tbEUlT_E_NS1_11comp_targetILNS1_3genE2ELNS1_11target_archE906ELNS1_3gpuE6ELNS1_3repE0EEENS1_30default_config_static_selectorELNS0_4arch9wavefront6targetE1EEEvT1_,"axG",@progbits,_ZN7rocprim17ROCPRIM_400000_NS6detail17trampoline_kernelINS0_14default_configENS1_35adjacent_difference_config_selectorILb1EjEEZNS1_24adjacent_difference_implIS3_Lb1ELb0EPjN6thrust23THRUST_200600_302600_NS16discard_iteratorINS9_11use_defaultEEENS9_5minusIjEEEE10hipError_tPvRmT2_T3_mT4_P12ihipStream_tbEUlT_E_NS1_11comp_targetILNS1_3genE2ELNS1_11target_archE906ELNS1_3gpuE6ELNS1_3repE0EEENS1_30default_config_static_selectorELNS0_4arch9wavefront6targetE1EEEvT1_,comdat
.Lfunc_end838:
	.size	_ZN7rocprim17ROCPRIM_400000_NS6detail17trampoline_kernelINS0_14default_configENS1_35adjacent_difference_config_selectorILb1EjEEZNS1_24adjacent_difference_implIS3_Lb1ELb0EPjN6thrust23THRUST_200600_302600_NS16discard_iteratorINS9_11use_defaultEEENS9_5minusIjEEEE10hipError_tPvRmT2_T3_mT4_P12ihipStream_tbEUlT_E_NS1_11comp_targetILNS1_3genE2ELNS1_11target_archE906ELNS1_3gpuE6ELNS1_3repE0EEENS1_30default_config_static_selectorELNS0_4arch9wavefront6targetE1EEEvT1_, .Lfunc_end838-_ZN7rocprim17ROCPRIM_400000_NS6detail17trampoline_kernelINS0_14default_configENS1_35adjacent_difference_config_selectorILb1EjEEZNS1_24adjacent_difference_implIS3_Lb1ELb0EPjN6thrust23THRUST_200600_302600_NS16discard_iteratorINS9_11use_defaultEEENS9_5minusIjEEEE10hipError_tPvRmT2_T3_mT4_P12ihipStream_tbEUlT_E_NS1_11comp_targetILNS1_3genE2ELNS1_11target_archE906ELNS1_3gpuE6ELNS1_3repE0EEENS1_30default_config_static_selectorELNS0_4arch9wavefront6targetE1EEEvT1_
                                        ; -- End function
	.set _ZN7rocprim17ROCPRIM_400000_NS6detail17trampoline_kernelINS0_14default_configENS1_35adjacent_difference_config_selectorILb1EjEEZNS1_24adjacent_difference_implIS3_Lb1ELb0EPjN6thrust23THRUST_200600_302600_NS16discard_iteratorINS9_11use_defaultEEENS9_5minusIjEEEE10hipError_tPvRmT2_T3_mT4_P12ihipStream_tbEUlT_E_NS1_11comp_targetILNS1_3genE2ELNS1_11target_archE906ELNS1_3gpuE6ELNS1_3repE0EEENS1_30default_config_static_selectorELNS0_4arch9wavefront6targetE1EEEvT1_.num_vgpr, 25
	.set _ZN7rocprim17ROCPRIM_400000_NS6detail17trampoline_kernelINS0_14default_configENS1_35adjacent_difference_config_selectorILb1EjEEZNS1_24adjacent_difference_implIS3_Lb1ELb0EPjN6thrust23THRUST_200600_302600_NS16discard_iteratorINS9_11use_defaultEEENS9_5minusIjEEEE10hipError_tPvRmT2_T3_mT4_P12ihipStream_tbEUlT_E_NS1_11comp_targetILNS1_3genE2ELNS1_11target_archE906ELNS1_3gpuE6ELNS1_3repE0EEENS1_30default_config_static_selectorELNS0_4arch9wavefront6targetE1EEEvT1_.num_agpr, 0
	.set _ZN7rocprim17ROCPRIM_400000_NS6detail17trampoline_kernelINS0_14default_configENS1_35adjacent_difference_config_selectorILb1EjEEZNS1_24adjacent_difference_implIS3_Lb1ELb0EPjN6thrust23THRUST_200600_302600_NS16discard_iteratorINS9_11use_defaultEEENS9_5minusIjEEEE10hipError_tPvRmT2_T3_mT4_P12ihipStream_tbEUlT_E_NS1_11comp_targetILNS1_3genE2ELNS1_11target_archE906ELNS1_3gpuE6ELNS1_3repE0EEENS1_30default_config_static_selectorELNS0_4arch9wavefront6targetE1EEEvT1_.numbered_sgpr, 24
	.set _ZN7rocprim17ROCPRIM_400000_NS6detail17trampoline_kernelINS0_14default_configENS1_35adjacent_difference_config_selectorILb1EjEEZNS1_24adjacent_difference_implIS3_Lb1ELb0EPjN6thrust23THRUST_200600_302600_NS16discard_iteratorINS9_11use_defaultEEENS9_5minusIjEEEE10hipError_tPvRmT2_T3_mT4_P12ihipStream_tbEUlT_E_NS1_11comp_targetILNS1_3genE2ELNS1_11target_archE906ELNS1_3gpuE6ELNS1_3repE0EEENS1_30default_config_static_selectorELNS0_4arch9wavefront6targetE1EEEvT1_.num_named_barrier, 0
	.set _ZN7rocprim17ROCPRIM_400000_NS6detail17trampoline_kernelINS0_14default_configENS1_35adjacent_difference_config_selectorILb1EjEEZNS1_24adjacent_difference_implIS3_Lb1ELb0EPjN6thrust23THRUST_200600_302600_NS16discard_iteratorINS9_11use_defaultEEENS9_5minusIjEEEE10hipError_tPvRmT2_T3_mT4_P12ihipStream_tbEUlT_E_NS1_11comp_targetILNS1_3genE2ELNS1_11target_archE906ELNS1_3gpuE6ELNS1_3repE0EEENS1_30default_config_static_selectorELNS0_4arch9wavefront6targetE1EEEvT1_.private_seg_size, 0
	.set _ZN7rocprim17ROCPRIM_400000_NS6detail17trampoline_kernelINS0_14default_configENS1_35adjacent_difference_config_selectorILb1EjEEZNS1_24adjacent_difference_implIS3_Lb1ELb0EPjN6thrust23THRUST_200600_302600_NS16discard_iteratorINS9_11use_defaultEEENS9_5minusIjEEEE10hipError_tPvRmT2_T3_mT4_P12ihipStream_tbEUlT_E_NS1_11comp_targetILNS1_3genE2ELNS1_11target_archE906ELNS1_3gpuE6ELNS1_3repE0EEENS1_30default_config_static_selectorELNS0_4arch9wavefront6targetE1EEEvT1_.uses_vcc, 1
	.set _ZN7rocprim17ROCPRIM_400000_NS6detail17trampoline_kernelINS0_14default_configENS1_35adjacent_difference_config_selectorILb1EjEEZNS1_24adjacent_difference_implIS3_Lb1ELb0EPjN6thrust23THRUST_200600_302600_NS16discard_iteratorINS9_11use_defaultEEENS9_5minusIjEEEE10hipError_tPvRmT2_T3_mT4_P12ihipStream_tbEUlT_E_NS1_11comp_targetILNS1_3genE2ELNS1_11target_archE906ELNS1_3gpuE6ELNS1_3repE0EEENS1_30default_config_static_selectorELNS0_4arch9wavefront6targetE1EEEvT1_.uses_flat_scratch, 0
	.set _ZN7rocprim17ROCPRIM_400000_NS6detail17trampoline_kernelINS0_14default_configENS1_35adjacent_difference_config_selectorILb1EjEEZNS1_24adjacent_difference_implIS3_Lb1ELb0EPjN6thrust23THRUST_200600_302600_NS16discard_iteratorINS9_11use_defaultEEENS9_5minusIjEEEE10hipError_tPvRmT2_T3_mT4_P12ihipStream_tbEUlT_E_NS1_11comp_targetILNS1_3genE2ELNS1_11target_archE906ELNS1_3gpuE6ELNS1_3repE0EEENS1_30default_config_static_selectorELNS0_4arch9wavefront6targetE1EEEvT1_.has_dyn_sized_stack, 0
	.set _ZN7rocprim17ROCPRIM_400000_NS6detail17trampoline_kernelINS0_14default_configENS1_35adjacent_difference_config_selectorILb1EjEEZNS1_24adjacent_difference_implIS3_Lb1ELb0EPjN6thrust23THRUST_200600_302600_NS16discard_iteratorINS9_11use_defaultEEENS9_5minusIjEEEE10hipError_tPvRmT2_T3_mT4_P12ihipStream_tbEUlT_E_NS1_11comp_targetILNS1_3genE2ELNS1_11target_archE906ELNS1_3gpuE6ELNS1_3repE0EEENS1_30default_config_static_selectorELNS0_4arch9wavefront6targetE1EEEvT1_.has_recursion, 0
	.set _ZN7rocprim17ROCPRIM_400000_NS6detail17trampoline_kernelINS0_14default_configENS1_35adjacent_difference_config_selectorILb1EjEEZNS1_24adjacent_difference_implIS3_Lb1ELb0EPjN6thrust23THRUST_200600_302600_NS16discard_iteratorINS9_11use_defaultEEENS9_5minusIjEEEE10hipError_tPvRmT2_T3_mT4_P12ihipStream_tbEUlT_E_NS1_11comp_targetILNS1_3genE2ELNS1_11target_archE906ELNS1_3gpuE6ELNS1_3repE0EEENS1_30default_config_static_selectorELNS0_4arch9wavefront6targetE1EEEvT1_.has_indirect_call, 0
	.section	.AMDGPU.csdata,"",@progbits
; Kernel info:
; codeLenInByte = 2112
; TotalNumSgprs: 28
; NumVgprs: 25
; ScratchSize: 0
; MemoryBound: 0
; FloatMode: 240
; IeeeMode: 1
; LDSByteSize: 11264 bytes/workgroup (compile time only)
; SGPRBlocks: 12
; VGPRBlocks: 10
; NumSGPRsForWavesPerEU: 102
; NumVGPRsForWavesPerEU: 41
; Occupancy: 5
; WaveLimiterHint : 1
; COMPUTE_PGM_RSRC2:SCRATCH_EN: 0
; COMPUTE_PGM_RSRC2:USER_SGPR: 6
; COMPUTE_PGM_RSRC2:TRAP_HANDLER: 0
; COMPUTE_PGM_RSRC2:TGID_X_EN: 1
; COMPUTE_PGM_RSRC2:TGID_Y_EN: 0
; COMPUTE_PGM_RSRC2:TGID_Z_EN: 0
; COMPUTE_PGM_RSRC2:TIDIG_COMP_CNT: 0
	.section	.text._ZN7rocprim17ROCPRIM_400000_NS6detail17trampoline_kernelINS0_14default_configENS1_35adjacent_difference_config_selectorILb1EjEEZNS1_24adjacent_difference_implIS3_Lb1ELb0EPjN6thrust23THRUST_200600_302600_NS16discard_iteratorINS9_11use_defaultEEENS9_5minusIjEEEE10hipError_tPvRmT2_T3_mT4_P12ihipStream_tbEUlT_E_NS1_11comp_targetILNS1_3genE9ELNS1_11target_archE1100ELNS1_3gpuE3ELNS1_3repE0EEENS1_30default_config_static_selectorELNS0_4arch9wavefront6targetE1EEEvT1_,"axG",@progbits,_ZN7rocprim17ROCPRIM_400000_NS6detail17trampoline_kernelINS0_14default_configENS1_35adjacent_difference_config_selectorILb1EjEEZNS1_24adjacent_difference_implIS3_Lb1ELb0EPjN6thrust23THRUST_200600_302600_NS16discard_iteratorINS9_11use_defaultEEENS9_5minusIjEEEE10hipError_tPvRmT2_T3_mT4_P12ihipStream_tbEUlT_E_NS1_11comp_targetILNS1_3genE9ELNS1_11target_archE1100ELNS1_3gpuE3ELNS1_3repE0EEENS1_30default_config_static_selectorELNS0_4arch9wavefront6targetE1EEEvT1_,comdat
	.protected	_ZN7rocprim17ROCPRIM_400000_NS6detail17trampoline_kernelINS0_14default_configENS1_35adjacent_difference_config_selectorILb1EjEEZNS1_24adjacent_difference_implIS3_Lb1ELb0EPjN6thrust23THRUST_200600_302600_NS16discard_iteratorINS9_11use_defaultEEENS9_5minusIjEEEE10hipError_tPvRmT2_T3_mT4_P12ihipStream_tbEUlT_E_NS1_11comp_targetILNS1_3genE9ELNS1_11target_archE1100ELNS1_3gpuE3ELNS1_3repE0EEENS1_30default_config_static_selectorELNS0_4arch9wavefront6targetE1EEEvT1_ ; -- Begin function _ZN7rocprim17ROCPRIM_400000_NS6detail17trampoline_kernelINS0_14default_configENS1_35adjacent_difference_config_selectorILb1EjEEZNS1_24adjacent_difference_implIS3_Lb1ELb0EPjN6thrust23THRUST_200600_302600_NS16discard_iteratorINS9_11use_defaultEEENS9_5minusIjEEEE10hipError_tPvRmT2_T3_mT4_P12ihipStream_tbEUlT_E_NS1_11comp_targetILNS1_3genE9ELNS1_11target_archE1100ELNS1_3gpuE3ELNS1_3repE0EEENS1_30default_config_static_selectorELNS0_4arch9wavefront6targetE1EEEvT1_
	.globl	_ZN7rocprim17ROCPRIM_400000_NS6detail17trampoline_kernelINS0_14default_configENS1_35adjacent_difference_config_selectorILb1EjEEZNS1_24adjacent_difference_implIS3_Lb1ELb0EPjN6thrust23THRUST_200600_302600_NS16discard_iteratorINS9_11use_defaultEEENS9_5minusIjEEEE10hipError_tPvRmT2_T3_mT4_P12ihipStream_tbEUlT_E_NS1_11comp_targetILNS1_3genE9ELNS1_11target_archE1100ELNS1_3gpuE3ELNS1_3repE0EEENS1_30default_config_static_selectorELNS0_4arch9wavefront6targetE1EEEvT1_
	.p2align	8
	.type	_ZN7rocprim17ROCPRIM_400000_NS6detail17trampoline_kernelINS0_14default_configENS1_35adjacent_difference_config_selectorILb1EjEEZNS1_24adjacent_difference_implIS3_Lb1ELb0EPjN6thrust23THRUST_200600_302600_NS16discard_iteratorINS9_11use_defaultEEENS9_5minusIjEEEE10hipError_tPvRmT2_T3_mT4_P12ihipStream_tbEUlT_E_NS1_11comp_targetILNS1_3genE9ELNS1_11target_archE1100ELNS1_3gpuE3ELNS1_3repE0EEENS1_30default_config_static_selectorELNS0_4arch9wavefront6targetE1EEEvT1_,@function
_ZN7rocprim17ROCPRIM_400000_NS6detail17trampoline_kernelINS0_14default_configENS1_35adjacent_difference_config_selectorILb1EjEEZNS1_24adjacent_difference_implIS3_Lb1ELb0EPjN6thrust23THRUST_200600_302600_NS16discard_iteratorINS9_11use_defaultEEENS9_5minusIjEEEE10hipError_tPvRmT2_T3_mT4_P12ihipStream_tbEUlT_E_NS1_11comp_targetILNS1_3genE9ELNS1_11target_archE1100ELNS1_3gpuE3ELNS1_3repE0EEENS1_30default_config_static_selectorELNS0_4arch9wavefront6targetE1EEEvT1_: ; @_ZN7rocprim17ROCPRIM_400000_NS6detail17trampoline_kernelINS0_14default_configENS1_35adjacent_difference_config_selectorILb1EjEEZNS1_24adjacent_difference_implIS3_Lb1ELb0EPjN6thrust23THRUST_200600_302600_NS16discard_iteratorINS9_11use_defaultEEENS9_5minusIjEEEE10hipError_tPvRmT2_T3_mT4_P12ihipStream_tbEUlT_E_NS1_11comp_targetILNS1_3genE9ELNS1_11target_archE1100ELNS1_3gpuE3ELNS1_3repE0EEENS1_30default_config_static_selectorELNS0_4arch9wavefront6targetE1EEEvT1_
; %bb.0:
	.section	.rodata,"a",@progbits
	.p2align	6, 0x0
	.amdhsa_kernel _ZN7rocprim17ROCPRIM_400000_NS6detail17trampoline_kernelINS0_14default_configENS1_35adjacent_difference_config_selectorILb1EjEEZNS1_24adjacent_difference_implIS3_Lb1ELb0EPjN6thrust23THRUST_200600_302600_NS16discard_iteratorINS9_11use_defaultEEENS9_5minusIjEEEE10hipError_tPvRmT2_T3_mT4_P12ihipStream_tbEUlT_E_NS1_11comp_targetILNS1_3genE9ELNS1_11target_archE1100ELNS1_3gpuE3ELNS1_3repE0EEENS1_30default_config_static_selectorELNS0_4arch9wavefront6targetE1EEEvT1_
		.amdhsa_group_segment_fixed_size 0
		.amdhsa_private_segment_fixed_size 0
		.amdhsa_kernarg_size 64
		.amdhsa_user_sgpr_count 6
		.amdhsa_user_sgpr_private_segment_buffer 1
		.amdhsa_user_sgpr_dispatch_ptr 0
		.amdhsa_user_sgpr_queue_ptr 0
		.amdhsa_user_sgpr_kernarg_segment_ptr 1
		.amdhsa_user_sgpr_dispatch_id 0
		.amdhsa_user_sgpr_flat_scratch_init 0
		.amdhsa_user_sgpr_private_segment_size 0
		.amdhsa_uses_dynamic_stack 0
		.amdhsa_system_sgpr_private_segment_wavefront_offset 0
		.amdhsa_system_sgpr_workgroup_id_x 1
		.amdhsa_system_sgpr_workgroup_id_y 0
		.amdhsa_system_sgpr_workgroup_id_z 0
		.amdhsa_system_sgpr_workgroup_info 0
		.amdhsa_system_vgpr_workitem_id 0
		.amdhsa_next_free_vgpr 1
		.amdhsa_next_free_sgpr 0
		.amdhsa_reserve_vcc 0
		.amdhsa_reserve_flat_scratch 0
		.amdhsa_float_round_mode_32 0
		.amdhsa_float_round_mode_16_64 0
		.amdhsa_float_denorm_mode_32 3
		.amdhsa_float_denorm_mode_16_64 3
		.amdhsa_dx10_clamp 1
		.amdhsa_ieee_mode 1
		.amdhsa_fp16_overflow 0
		.amdhsa_exception_fp_ieee_invalid_op 0
		.amdhsa_exception_fp_denorm_src 0
		.amdhsa_exception_fp_ieee_div_zero 0
		.amdhsa_exception_fp_ieee_overflow 0
		.amdhsa_exception_fp_ieee_underflow 0
		.amdhsa_exception_fp_ieee_inexact 0
		.amdhsa_exception_int_div_zero 0
	.end_amdhsa_kernel
	.section	.text._ZN7rocprim17ROCPRIM_400000_NS6detail17trampoline_kernelINS0_14default_configENS1_35adjacent_difference_config_selectorILb1EjEEZNS1_24adjacent_difference_implIS3_Lb1ELb0EPjN6thrust23THRUST_200600_302600_NS16discard_iteratorINS9_11use_defaultEEENS9_5minusIjEEEE10hipError_tPvRmT2_T3_mT4_P12ihipStream_tbEUlT_E_NS1_11comp_targetILNS1_3genE9ELNS1_11target_archE1100ELNS1_3gpuE3ELNS1_3repE0EEENS1_30default_config_static_selectorELNS0_4arch9wavefront6targetE1EEEvT1_,"axG",@progbits,_ZN7rocprim17ROCPRIM_400000_NS6detail17trampoline_kernelINS0_14default_configENS1_35adjacent_difference_config_selectorILb1EjEEZNS1_24adjacent_difference_implIS3_Lb1ELb0EPjN6thrust23THRUST_200600_302600_NS16discard_iteratorINS9_11use_defaultEEENS9_5minusIjEEEE10hipError_tPvRmT2_T3_mT4_P12ihipStream_tbEUlT_E_NS1_11comp_targetILNS1_3genE9ELNS1_11target_archE1100ELNS1_3gpuE3ELNS1_3repE0EEENS1_30default_config_static_selectorELNS0_4arch9wavefront6targetE1EEEvT1_,comdat
.Lfunc_end839:
	.size	_ZN7rocprim17ROCPRIM_400000_NS6detail17trampoline_kernelINS0_14default_configENS1_35adjacent_difference_config_selectorILb1EjEEZNS1_24adjacent_difference_implIS3_Lb1ELb0EPjN6thrust23THRUST_200600_302600_NS16discard_iteratorINS9_11use_defaultEEENS9_5minusIjEEEE10hipError_tPvRmT2_T3_mT4_P12ihipStream_tbEUlT_E_NS1_11comp_targetILNS1_3genE9ELNS1_11target_archE1100ELNS1_3gpuE3ELNS1_3repE0EEENS1_30default_config_static_selectorELNS0_4arch9wavefront6targetE1EEEvT1_, .Lfunc_end839-_ZN7rocprim17ROCPRIM_400000_NS6detail17trampoline_kernelINS0_14default_configENS1_35adjacent_difference_config_selectorILb1EjEEZNS1_24adjacent_difference_implIS3_Lb1ELb0EPjN6thrust23THRUST_200600_302600_NS16discard_iteratorINS9_11use_defaultEEENS9_5minusIjEEEE10hipError_tPvRmT2_T3_mT4_P12ihipStream_tbEUlT_E_NS1_11comp_targetILNS1_3genE9ELNS1_11target_archE1100ELNS1_3gpuE3ELNS1_3repE0EEENS1_30default_config_static_selectorELNS0_4arch9wavefront6targetE1EEEvT1_
                                        ; -- End function
	.set _ZN7rocprim17ROCPRIM_400000_NS6detail17trampoline_kernelINS0_14default_configENS1_35adjacent_difference_config_selectorILb1EjEEZNS1_24adjacent_difference_implIS3_Lb1ELb0EPjN6thrust23THRUST_200600_302600_NS16discard_iteratorINS9_11use_defaultEEENS9_5minusIjEEEE10hipError_tPvRmT2_T3_mT4_P12ihipStream_tbEUlT_E_NS1_11comp_targetILNS1_3genE9ELNS1_11target_archE1100ELNS1_3gpuE3ELNS1_3repE0EEENS1_30default_config_static_selectorELNS0_4arch9wavefront6targetE1EEEvT1_.num_vgpr, 0
	.set _ZN7rocprim17ROCPRIM_400000_NS6detail17trampoline_kernelINS0_14default_configENS1_35adjacent_difference_config_selectorILb1EjEEZNS1_24adjacent_difference_implIS3_Lb1ELb0EPjN6thrust23THRUST_200600_302600_NS16discard_iteratorINS9_11use_defaultEEENS9_5minusIjEEEE10hipError_tPvRmT2_T3_mT4_P12ihipStream_tbEUlT_E_NS1_11comp_targetILNS1_3genE9ELNS1_11target_archE1100ELNS1_3gpuE3ELNS1_3repE0EEENS1_30default_config_static_selectorELNS0_4arch9wavefront6targetE1EEEvT1_.num_agpr, 0
	.set _ZN7rocprim17ROCPRIM_400000_NS6detail17trampoline_kernelINS0_14default_configENS1_35adjacent_difference_config_selectorILb1EjEEZNS1_24adjacent_difference_implIS3_Lb1ELb0EPjN6thrust23THRUST_200600_302600_NS16discard_iteratorINS9_11use_defaultEEENS9_5minusIjEEEE10hipError_tPvRmT2_T3_mT4_P12ihipStream_tbEUlT_E_NS1_11comp_targetILNS1_3genE9ELNS1_11target_archE1100ELNS1_3gpuE3ELNS1_3repE0EEENS1_30default_config_static_selectorELNS0_4arch9wavefront6targetE1EEEvT1_.numbered_sgpr, 0
	.set _ZN7rocprim17ROCPRIM_400000_NS6detail17trampoline_kernelINS0_14default_configENS1_35adjacent_difference_config_selectorILb1EjEEZNS1_24adjacent_difference_implIS3_Lb1ELb0EPjN6thrust23THRUST_200600_302600_NS16discard_iteratorINS9_11use_defaultEEENS9_5minusIjEEEE10hipError_tPvRmT2_T3_mT4_P12ihipStream_tbEUlT_E_NS1_11comp_targetILNS1_3genE9ELNS1_11target_archE1100ELNS1_3gpuE3ELNS1_3repE0EEENS1_30default_config_static_selectorELNS0_4arch9wavefront6targetE1EEEvT1_.num_named_barrier, 0
	.set _ZN7rocprim17ROCPRIM_400000_NS6detail17trampoline_kernelINS0_14default_configENS1_35adjacent_difference_config_selectorILb1EjEEZNS1_24adjacent_difference_implIS3_Lb1ELb0EPjN6thrust23THRUST_200600_302600_NS16discard_iteratorINS9_11use_defaultEEENS9_5minusIjEEEE10hipError_tPvRmT2_T3_mT4_P12ihipStream_tbEUlT_E_NS1_11comp_targetILNS1_3genE9ELNS1_11target_archE1100ELNS1_3gpuE3ELNS1_3repE0EEENS1_30default_config_static_selectorELNS0_4arch9wavefront6targetE1EEEvT1_.private_seg_size, 0
	.set _ZN7rocprim17ROCPRIM_400000_NS6detail17trampoline_kernelINS0_14default_configENS1_35adjacent_difference_config_selectorILb1EjEEZNS1_24adjacent_difference_implIS3_Lb1ELb0EPjN6thrust23THRUST_200600_302600_NS16discard_iteratorINS9_11use_defaultEEENS9_5minusIjEEEE10hipError_tPvRmT2_T3_mT4_P12ihipStream_tbEUlT_E_NS1_11comp_targetILNS1_3genE9ELNS1_11target_archE1100ELNS1_3gpuE3ELNS1_3repE0EEENS1_30default_config_static_selectorELNS0_4arch9wavefront6targetE1EEEvT1_.uses_vcc, 0
	.set _ZN7rocprim17ROCPRIM_400000_NS6detail17trampoline_kernelINS0_14default_configENS1_35adjacent_difference_config_selectorILb1EjEEZNS1_24adjacent_difference_implIS3_Lb1ELb0EPjN6thrust23THRUST_200600_302600_NS16discard_iteratorINS9_11use_defaultEEENS9_5minusIjEEEE10hipError_tPvRmT2_T3_mT4_P12ihipStream_tbEUlT_E_NS1_11comp_targetILNS1_3genE9ELNS1_11target_archE1100ELNS1_3gpuE3ELNS1_3repE0EEENS1_30default_config_static_selectorELNS0_4arch9wavefront6targetE1EEEvT1_.uses_flat_scratch, 0
	.set _ZN7rocprim17ROCPRIM_400000_NS6detail17trampoline_kernelINS0_14default_configENS1_35adjacent_difference_config_selectorILb1EjEEZNS1_24adjacent_difference_implIS3_Lb1ELb0EPjN6thrust23THRUST_200600_302600_NS16discard_iteratorINS9_11use_defaultEEENS9_5minusIjEEEE10hipError_tPvRmT2_T3_mT4_P12ihipStream_tbEUlT_E_NS1_11comp_targetILNS1_3genE9ELNS1_11target_archE1100ELNS1_3gpuE3ELNS1_3repE0EEENS1_30default_config_static_selectorELNS0_4arch9wavefront6targetE1EEEvT1_.has_dyn_sized_stack, 0
	.set _ZN7rocprim17ROCPRIM_400000_NS6detail17trampoline_kernelINS0_14default_configENS1_35adjacent_difference_config_selectorILb1EjEEZNS1_24adjacent_difference_implIS3_Lb1ELb0EPjN6thrust23THRUST_200600_302600_NS16discard_iteratorINS9_11use_defaultEEENS9_5minusIjEEEE10hipError_tPvRmT2_T3_mT4_P12ihipStream_tbEUlT_E_NS1_11comp_targetILNS1_3genE9ELNS1_11target_archE1100ELNS1_3gpuE3ELNS1_3repE0EEENS1_30default_config_static_selectorELNS0_4arch9wavefront6targetE1EEEvT1_.has_recursion, 0
	.set _ZN7rocprim17ROCPRIM_400000_NS6detail17trampoline_kernelINS0_14default_configENS1_35adjacent_difference_config_selectorILb1EjEEZNS1_24adjacent_difference_implIS3_Lb1ELb0EPjN6thrust23THRUST_200600_302600_NS16discard_iteratorINS9_11use_defaultEEENS9_5minusIjEEEE10hipError_tPvRmT2_T3_mT4_P12ihipStream_tbEUlT_E_NS1_11comp_targetILNS1_3genE9ELNS1_11target_archE1100ELNS1_3gpuE3ELNS1_3repE0EEENS1_30default_config_static_selectorELNS0_4arch9wavefront6targetE1EEEvT1_.has_indirect_call, 0
	.section	.AMDGPU.csdata,"",@progbits
; Kernel info:
; codeLenInByte = 0
; TotalNumSgprs: 4
; NumVgprs: 0
; ScratchSize: 0
; MemoryBound: 0
; FloatMode: 240
; IeeeMode: 1
; LDSByteSize: 0 bytes/workgroup (compile time only)
; SGPRBlocks: 0
; VGPRBlocks: 0
; NumSGPRsForWavesPerEU: 4
; NumVGPRsForWavesPerEU: 1
; Occupancy: 10
; WaveLimiterHint : 0
; COMPUTE_PGM_RSRC2:SCRATCH_EN: 0
; COMPUTE_PGM_RSRC2:USER_SGPR: 6
; COMPUTE_PGM_RSRC2:TRAP_HANDLER: 0
; COMPUTE_PGM_RSRC2:TGID_X_EN: 1
; COMPUTE_PGM_RSRC2:TGID_Y_EN: 0
; COMPUTE_PGM_RSRC2:TGID_Z_EN: 0
; COMPUTE_PGM_RSRC2:TIDIG_COMP_CNT: 0
	.section	.text._ZN7rocprim17ROCPRIM_400000_NS6detail17trampoline_kernelINS0_14default_configENS1_35adjacent_difference_config_selectorILb1EjEEZNS1_24adjacent_difference_implIS3_Lb1ELb0EPjN6thrust23THRUST_200600_302600_NS16discard_iteratorINS9_11use_defaultEEENS9_5minusIjEEEE10hipError_tPvRmT2_T3_mT4_P12ihipStream_tbEUlT_E_NS1_11comp_targetILNS1_3genE8ELNS1_11target_archE1030ELNS1_3gpuE2ELNS1_3repE0EEENS1_30default_config_static_selectorELNS0_4arch9wavefront6targetE1EEEvT1_,"axG",@progbits,_ZN7rocprim17ROCPRIM_400000_NS6detail17trampoline_kernelINS0_14default_configENS1_35adjacent_difference_config_selectorILb1EjEEZNS1_24adjacent_difference_implIS3_Lb1ELb0EPjN6thrust23THRUST_200600_302600_NS16discard_iteratorINS9_11use_defaultEEENS9_5minusIjEEEE10hipError_tPvRmT2_T3_mT4_P12ihipStream_tbEUlT_E_NS1_11comp_targetILNS1_3genE8ELNS1_11target_archE1030ELNS1_3gpuE2ELNS1_3repE0EEENS1_30default_config_static_selectorELNS0_4arch9wavefront6targetE1EEEvT1_,comdat
	.protected	_ZN7rocprim17ROCPRIM_400000_NS6detail17trampoline_kernelINS0_14default_configENS1_35adjacent_difference_config_selectorILb1EjEEZNS1_24adjacent_difference_implIS3_Lb1ELb0EPjN6thrust23THRUST_200600_302600_NS16discard_iteratorINS9_11use_defaultEEENS9_5minusIjEEEE10hipError_tPvRmT2_T3_mT4_P12ihipStream_tbEUlT_E_NS1_11comp_targetILNS1_3genE8ELNS1_11target_archE1030ELNS1_3gpuE2ELNS1_3repE0EEENS1_30default_config_static_selectorELNS0_4arch9wavefront6targetE1EEEvT1_ ; -- Begin function _ZN7rocprim17ROCPRIM_400000_NS6detail17trampoline_kernelINS0_14default_configENS1_35adjacent_difference_config_selectorILb1EjEEZNS1_24adjacent_difference_implIS3_Lb1ELb0EPjN6thrust23THRUST_200600_302600_NS16discard_iteratorINS9_11use_defaultEEENS9_5minusIjEEEE10hipError_tPvRmT2_T3_mT4_P12ihipStream_tbEUlT_E_NS1_11comp_targetILNS1_3genE8ELNS1_11target_archE1030ELNS1_3gpuE2ELNS1_3repE0EEENS1_30default_config_static_selectorELNS0_4arch9wavefront6targetE1EEEvT1_
	.globl	_ZN7rocprim17ROCPRIM_400000_NS6detail17trampoline_kernelINS0_14default_configENS1_35adjacent_difference_config_selectorILb1EjEEZNS1_24adjacent_difference_implIS3_Lb1ELb0EPjN6thrust23THRUST_200600_302600_NS16discard_iteratorINS9_11use_defaultEEENS9_5minusIjEEEE10hipError_tPvRmT2_T3_mT4_P12ihipStream_tbEUlT_E_NS1_11comp_targetILNS1_3genE8ELNS1_11target_archE1030ELNS1_3gpuE2ELNS1_3repE0EEENS1_30default_config_static_selectorELNS0_4arch9wavefront6targetE1EEEvT1_
	.p2align	8
	.type	_ZN7rocprim17ROCPRIM_400000_NS6detail17trampoline_kernelINS0_14default_configENS1_35adjacent_difference_config_selectorILb1EjEEZNS1_24adjacent_difference_implIS3_Lb1ELb0EPjN6thrust23THRUST_200600_302600_NS16discard_iteratorINS9_11use_defaultEEENS9_5minusIjEEEE10hipError_tPvRmT2_T3_mT4_P12ihipStream_tbEUlT_E_NS1_11comp_targetILNS1_3genE8ELNS1_11target_archE1030ELNS1_3gpuE2ELNS1_3repE0EEENS1_30default_config_static_selectorELNS0_4arch9wavefront6targetE1EEEvT1_,@function
_ZN7rocprim17ROCPRIM_400000_NS6detail17trampoline_kernelINS0_14default_configENS1_35adjacent_difference_config_selectorILb1EjEEZNS1_24adjacent_difference_implIS3_Lb1ELb0EPjN6thrust23THRUST_200600_302600_NS16discard_iteratorINS9_11use_defaultEEENS9_5minusIjEEEE10hipError_tPvRmT2_T3_mT4_P12ihipStream_tbEUlT_E_NS1_11comp_targetILNS1_3genE8ELNS1_11target_archE1030ELNS1_3gpuE2ELNS1_3repE0EEENS1_30default_config_static_selectorELNS0_4arch9wavefront6targetE1EEEvT1_: ; @_ZN7rocprim17ROCPRIM_400000_NS6detail17trampoline_kernelINS0_14default_configENS1_35adjacent_difference_config_selectorILb1EjEEZNS1_24adjacent_difference_implIS3_Lb1ELb0EPjN6thrust23THRUST_200600_302600_NS16discard_iteratorINS9_11use_defaultEEENS9_5minusIjEEEE10hipError_tPvRmT2_T3_mT4_P12ihipStream_tbEUlT_E_NS1_11comp_targetILNS1_3genE8ELNS1_11target_archE1030ELNS1_3gpuE2ELNS1_3repE0EEENS1_30default_config_static_selectorELNS0_4arch9wavefront6targetE1EEEvT1_
; %bb.0:
	.section	.rodata,"a",@progbits
	.p2align	6, 0x0
	.amdhsa_kernel _ZN7rocprim17ROCPRIM_400000_NS6detail17trampoline_kernelINS0_14default_configENS1_35adjacent_difference_config_selectorILb1EjEEZNS1_24adjacent_difference_implIS3_Lb1ELb0EPjN6thrust23THRUST_200600_302600_NS16discard_iteratorINS9_11use_defaultEEENS9_5minusIjEEEE10hipError_tPvRmT2_T3_mT4_P12ihipStream_tbEUlT_E_NS1_11comp_targetILNS1_3genE8ELNS1_11target_archE1030ELNS1_3gpuE2ELNS1_3repE0EEENS1_30default_config_static_selectorELNS0_4arch9wavefront6targetE1EEEvT1_
		.amdhsa_group_segment_fixed_size 0
		.amdhsa_private_segment_fixed_size 0
		.amdhsa_kernarg_size 64
		.amdhsa_user_sgpr_count 6
		.amdhsa_user_sgpr_private_segment_buffer 1
		.amdhsa_user_sgpr_dispatch_ptr 0
		.amdhsa_user_sgpr_queue_ptr 0
		.amdhsa_user_sgpr_kernarg_segment_ptr 1
		.amdhsa_user_sgpr_dispatch_id 0
		.amdhsa_user_sgpr_flat_scratch_init 0
		.amdhsa_user_sgpr_private_segment_size 0
		.amdhsa_uses_dynamic_stack 0
		.amdhsa_system_sgpr_private_segment_wavefront_offset 0
		.amdhsa_system_sgpr_workgroup_id_x 1
		.amdhsa_system_sgpr_workgroup_id_y 0
		.amdhsa_system_sgpr_workgroup_id_z 0
		.amdhsa_system_sgpr_workgroup_info 0
		.amdhsa_system_vgpr_workitem_id 0
		.amdhsa_next_free_vgpr 1
		.amdhsa_next_free_sgpr 0
		.amdhsa_reserve_vcc 0
		.amdhsa_reserve_flat_scratch 0
		.amdhsa_float_round_mode_32 0
		.amdhsa_float_round_mode_16_64 0
		.amdhsa_float_denorm_mode_32 3
		.amdhsa_float_denorm_mode_16_64 3
		.amdhsa_dx10_clamp 1
		.amdhsa_ieee_mode 1
		.amdhsa_fp16_overflow 0
		.amdhsa_exception_fp_ieee_invalid_op 0
		.amdhsa_exception_fp_denorm_src 0
		.amdhsa_exception_fp_ieee_div_zero 0
		.amdhsa_exception_fp_ieee_overflow 0
		.amdhsa_exception_fp_ieee_underflow 0
		.amdhsa_exception_fp_ieee_inexact 0
		.amdhsa_exception_int_div_zero 0
	.end_amdhsa_kernel
	.section	.text._ZN7rocprim17ROCPRIM_400000_NS6detail17trampoline_kernelINS0_14default_configENS1_35adjacent_difference_config_selectorILb1EjEEZNS1_24adjacent_difference_implIS3_Lb1ELb0EPjN6thrust23THRUST_200600_302600_NS16discard_iteratorINS9_11use_defaultEEENS9_5minusIjEEEE10hipError_tPvRmT2_T3_mT4_P12ihipStream_tbEUlT_E_NS1_11comp_targetILNS1_3genE8ELNS1_11target_archE1030ELNS1_3gpuE2ELNS1_3repE0EEENS1_30default_config_static_selectorELNS0_4arch9wavefront6targetE1EEEvT1_,"axG",@progbits,_ZN7rocprim17ROCPRIM_400000_NS6detail17trampoline_kernelINS0_14default_configENS1_35adjacent_difference_config_selectorILb1EjEEZNS1_24adjacent_difference_implIS3_Lb1ELb0EPjN6thrust23THRUST_200600_302600_NS16discard_iteratorINS9_11use_defaultEEENS9_5minusIjEEEE10hipError_tPvRmT2_T3_mT4_P12ihipStream_tbEUlT_E_NS1_11comp_targetILNS1_3genE8ELNS1_11target_archE1030ELNS1_3gpuE2ELNS1_3repE0EEENS1_30default_config_static_selectorELNS0_4arch9wavefront6targetE1EEEvT1_,comdat
.Lfunc_end840:
	.size	_ZN7rocprim17ROCPRIM_400000_NS6detail17trampoline_kernelINS0_14default_configENS1_35adjacent_difference_config_selectorILb1EjEEZNS1_24adjacent_difference_implIS3_Lb1ELb0EPjN6thrust23THRUST_200600_302600_NS16discard_iteratorINS9_11use_defaultEEENS9_5minusIjEEEE10hipError_tPvRmT2_T3_mT4_P12ihipStream_tbEUlT_E_NS1_11comp_targetILNS1_3genE8ELNS1_11target_archE1030ELNS1_3gpuE2ELNS1_3repE0EEENS1_30default_config_static_selectorELNS0_4arch9wavefront6targetE1EEEvT1_, .Lfunc_end840-_ZN7rocprim17ROCPRIM_400000_NS6detail17trampoline_kernelINS0_14default_configENS1_35adjacent_difference_config_selectorILb1EjEEZNS1_24adjacent_difference_implIS3_Lb1ELb0EPjN6thrust23THRUST_200600_302600_NS16discard_iteratorINS9_11use_defaultEEENS9_5minusIjEEEE10hipError_tPvRmT2_T3_mT4_P12ihipStream_tbEUlT_E_NS1_11comp_targetILNS1_3genE8ELNS1_11target_archE1030ELNS1_3gpuE2ELNS1_3repE0EEENS1_30default_config_static_selectorELNS0_4arch9wavefront6targetE1EEEvT1_
                                        ; -- End function
	.set _ZN7rocprim17ROCPRIM_400000_NS6detail17trampoline_kernelINS0_14default_configENS1_35adjacent_difference_config_selectorILb1EjEEZNS1_24adjacent_difference_implIS3_Lb1ELb0EPjN6thrust23THRUST_200600_302600_NS16discard_iteratorINS9_11use_defaultEEENS9_5minusIjEEEE10hipError_tPvRmT2_T3_mT4_P12ihipStream_tbEUlT_E_NS1_11comp_targetILNS1_3genE8ELNS1_11target_archE1030ELNS1_3gpuE2ELNS1_3repE0EEENS1_30default_config_static_selectorELNS0_4arch9wavefront6targetE1EEEvT1_.num_vgpr, 0
	.set _ZN7rocprim17ROCPRIM_400000_NS6detail17trampoline_kernelINS0_14default_configENS1_35adjacent_difference_config_selectorILb1EjEEZNS1_24adjacent_difference_implIS3_Lb1ELb0EPjN6thrust23THRUST_200600_302600_NS16discard_iteratorINS9_11use_defaultEEENS9_5minusIjEEEE10hipError_tPvRmT2_T3_mT4_P12ihipStream_tbEUlT_E_NS1_11comp_targetILNS1_3genE8ELNS1_11target_archE1030ELNS1_3gpuE2ELNS1_3repE0EEENS1_30default_config_static_selectorELNS0_4arch9wavefront6targetE1EEEvT1_.num_agpr, 0
	.set _ZN7rocprim17ROCPRIM_400000_NS6detail17trampoline_kernelINS0_14default_configENS1_35adjacent_difference_config_selectorILb1EjEEZNS1_24adjacent_difference_implIS3_Lb1ELb0EPjN6thrust23THRUST_200600_302600_NS16discard_iteratorINS9_11use_defaultEEENS9_5minusIjEEEE10hipError_tPvRmT2_T3_mT4_P12ihipStream_tbEUlT_E_NS1_11comp_targetILNS1_3genE8ELNS1_11target_archE1030ELNS1_3gpuE2ELNS1_3repE0EEENS1_30default_config_static_selectorELNS0_4arch9wavefront6targetE1EEEvT1_.numbered_sgpr, 0
	.set _ZN7rocprim17ROCPRIM_400000_NS6detail17trampoline_kernelINS0_14default_configENS1_35adjacent_difference_config_selectorILb1EjEEZNS1_24adjacent_difference_implIS3_Lb1ELb0EPjN6thrust23THRUST_200600_302600_NS16discard_iteratorINS9_11use_defaultEEENS9_5minusIjEEEE10hipError_tPvRmT2_T3_mT4_P12ihipStream_tbEUlT_E_NS1_11comp_targetILNS1_3genE8ELNS1_11target_archE1030ELNS1_3gpuE2ELNS1_3repE0EEENS1_30default_config_static_selectorELNS0_4arch9wavefront6targetE1EEEvT1_.num_named_barrier, 0
	.set _ZN7rocprim17ROCPRIM_400000_NS6detail17trampoline_kernelINS0_14default_configENS1_35adjacent_difference_config_selectorILb1EjEEZNS1_24adjacent_difference_implIS3_Lb1ELb0EPjN6thrust23THRUST_200600_302600_NS16discard_iteratorINS9_11use_defaultEEENS9_5minusIjEEEE10hipError_tPvRmT2_T3_mT4_P12ihipStream_tbEUlT_E_NS1_11comp_targetILNS1_3genE8ELNS1_11target_archE1030ELNS1_3gpuE2ELNS1_3repE0EEENS1_30default_config_static_selectorELNS0_4arch9wavefront6targetE1EEEvT1_.private_seg_size, 0
	.set _ZN7rocprim17ROCPRIM_400000_NS6detail17trampoline_kernelINS0_14default_configENS1_35adjacent_difference_config_selectorILb1EjEEZNS1_24adjacent_difference_implIS3_Lb1ELb0EPjN6thrust23THRUST_200600_302600_NS16discard_iteratorINS9_11use_defaultEEENS9_5minusIjEEEE10hipError_tPvRmT2_T3_mT4_P12ihipStream_tbEUlT_E_NS1_11comp_targetILNS1_3genE8ELNS1_11target_archE1030ELNS1_3gpuE2ELNS1_3repE0EEENS1_30default_config_static_selectorELNS0_4arch9wavefront6targetE1EEEvT1_.uses_vcc, 0
	.set _ZN7rocprim17ROCPRIM_400000_NS6detail17trampoline_kernelINS0_14default_configENS1_35adjacent_difference_config_selectorILb1EjEEZNS1_24adjacent_difference_implIS3_Lb1ELb0EPjN6thrust23THRUST_200600_302600_NS16discard_iteratorINS9_11use_defaultEEENS9_5minusIjEEEE10hipError_tPvRmT2_T3_mT4_P12ihipStream_tbEUlT_E_NS1_11comp_targetILNS1_3genE8ELNS1_11target_archE1030ELNS1_3gpuE2ELNS1_3repE0EEENS1_30default_config_static_selectorELNS0_4arch9wavefront6targetE1EEEvT1_.uses_flat_scratch, 0
	.set _ZN7rocprim17ROCPRIM_400000_NS6detail17trampoline_kernelINS0_14default_configENS1_35adjacent_difference_config_selectorILb1EjEEZNS1_24adjacent_difference_implIS3_Lb1ELb0EPjN6thrust23THRUST_200600_302600_NS16discard_iteratorINS9_11use_defaultEEENS9_5minusIjEEEE10hipError_tPvRmT2_T3_mT4_P12ihipStream_tbEUlT_E_NS1_11comp_targetILNS1_3genE8ELNS1_11target_archE1030ELNS1_3gpuE2ELNS1_3repE0EEENS1_30default_config_static_selectorELNS0_4arch9wavefront6targetE1EEEvT1_.has_dyn_sized_stack, 0
	.set _ZN7rocprim17ROCPRIM_400000_NS6detail17trampoline_kernelINS0_14default_configENS1_35adjacent_difference_config_selectorILb1EjEEZNS1_24adjacent_difference_implIS3_Lb1ELb0EPjN6thrust23THRUST_200600_302600_NS16discard_iteratorINS9_11use_defaultEEENS9_5minusIjEEEE10hipError_tPvRmT2_T3_mT4_P12ihipStream_tbEUlT_E_NS1_11comp_targetILNS1_3genE8ELNS1_11target_archE1030ELNS1_3gpuE2ELNS1_3repE0EEENS1_30default_config_static_selectorELNS0_4arch9wavefront6targetE1EEEvT1_.has_recursion, 0
	.set _ZN7rocprim17ROCPRIM_400000_NS6detail17trampoline_kernelINS0_14default_configENS1_35adjacent_difference_config_selectorILb1EjEEZNS1_24adjacent_difference_implIS3_Lb1ELb0EPjN6thrust23THRUST_200600_302600_NS16discard_iteratorINS9_11use_defaultEEENS9_5minusIjEEEE10hipError_tPvRmT2_T3_mT4_P12ihipStream_tbEUlT_E_NS1_11comp_targetILNS1_3genE8ELNS1_11target_archE1030ELNS1_3gpuE2ELNS1_3repE0EEENS1_30default_config_static_selectorELNS0_4arch9wavefront6targetE1EEEvT1_.has_indirect_call, 0
	.section	.AMDGPU.csdata,"",@progbits
; Kernel info:
; codeLenInByte = 0
; TotalNumSgprs: 4
; NumVgprs: 0
; ScratchSize: 0
; MemoryBound: 0
; FloatMode: 240
; IeeeMode: 1
; LDSByteSize: 0 bytes/workgroup (compile time only)
; SGPRBlocks: 0
; VGPRBlocks: 0
; NumSGPRsForWavesPerEU: 4
; NumVGPRsForWavesPerEU: 1
; Occupancy: 10
; WaveLimiterHint : 0
; COMPUTE_PGM_RSRC2:SCRATCH_EN: 0
; COMPUTE_PGM_RSRC2:USER_SGPR: 6
; COMPUTE_PGM_RSRC2:TRAP_HANDLER: 0
; COMPUTE_PGM_RSRC2:TGID_X_EN: 1
; COMPUTE_PGM_RSRC2:TGID_Y_EN: 0
; COMPUTE_PGM_RSRC2:TGID_Z_EN: 0
; COMPUTE_PGM_RSRC2:TIDIG_COMP_CNT: 0
	.section	.text._ZN7rocprim17ROCPRIM_400000_NS6detail17trampoline_kernelINS0_14default_configENS1_25transform_config_selectorItLb0EEEZNS1_14transform_implILb0ES3_S5_NS0_18transform_iteratorINS0_17counting_iteratorImlEEZNS1_24adjacent_difference_implIS3_Lb1ELb0EPtN6thrust23THRUST_200600_302600_NS16discard_iteratorINSD_11use_defaultEEENSD_5minusItEEEE10hipError_tPvRmT2_T3_mT4_P12ihipStream_tbEUlmE_tEESB_NS0_8identityIvEEEESJ_SM_SN_mSO_SQ_bEUlT_E_NS1_11comp_targetILNS1_3genE0ELNS1_11target_archE4294967295ELNS1_3gpuE0ELNS1_3repE0EEENS1_30default_config_static_selectorELNS0_4arch9wavefront6targetE1EEEvT1_,"axG",@progbits,_ZN7rocprim17ROCPRIM_400000_NS6detail17trampoline_kernelINS0_14default_configENS1_25transform_config_selectorItLb0EEEZNS1_14transform_implILb0ES3_S5_NS0_18transform_iteratorINS0_17counting_iteratorImlEEZNS1_24adjacent_difference_implIS3_Lb1ELb0EPtN6thrust23THRUST_200600_302600_NS16discard_iteratorINSD_11use_defaultEEENSD_5minusItEEEE10hipError_tPvRmT2_T3_mT4_P12ihipStream_tbEUlmE_tEESB_NS0_8identityIvEEEESJ_SM_SN_mSO_SQ_bEUlT_E_NS1_11comp_targetILNS1_3genE0ELNS1_11target_archE4294967295ELNS1_3gpuE0ELNS1_3repE0EEENS1_30default_config_static_selectorELNS0_4arch9wavefront6targetE1EEEvT1_,comdat
	.protected	_ZN7rocprim17ROCPRIM_400000_NS6detail17trampoline_kernelINS0_14default_configENS1_25transform_config_selectorItLb0EEEZNS1_14transform_implILb0ES3_S5_NS0_18transform_iteratorINS0_17counting_iteratorImlEEZNS1_24adjacent_difference_implIS3_Lb1ELb0EPtN6thrust23THRUST_200600_302600_NS16discard_iteratorINSD_11use_defaultEEENSD_5minusItEEEE10hipError_tPvRmT2_T3_mT4_P12ihipStream_tbEUlmE_tEESB_NS0_8identityIvEEEESJ_SM_SN_mSO_SQ_bEUlT_E_NS1_11comp_targetILNS1_3genE0ELNS1_11target_archE4294967295ELNS1_3gpuE0ELNS1_3repE0EEENS1_30default_config_static_selectorELNS0_4arch9wavefront6targetE1EEEvT1_ ; -- Begin function _ZN7rocprim17ROCPRIM_400000_NS6detail17trampoline_kernelINS0_14default_configENS1_25transform_config_selectorItLb0EEEZNS1_14transform_implILb0ES3_S5_NS0_18transform_iteratorINS0_17counting_iteratorImlEEZNS1_24adjacent_difference_implIS3_Lb1ELb0EPtN6thrust23THRUST_200600_302600_NS16discard_iteratorINSD_11use_defaultEEENSD_5minusItEEEE10hipError_tPvRmT2_T3_mT4_P12ihipStream_tbEUlmE_tEESB_NS0_8identityIvEEEESJ_SM_SN_mSO_SQ_bEUlT_E_NS1_11comp_targetILNS1_3genE0ELNS1_11target_archE4294967295ELNS1_3gpuE0ELNS1_3repE0EEENS1_30default_config_static_selectorELNS0_4arch9wavefront6targetE1EEEvT1_
	.globl	_ZN7rocprim17ROCPRIM_400000_NS6detail17trampoline_kernelINS0_14default_configENS1_25transform_config_selectorItLb0EEEZNS1_14transform_implILb0ES3_S5_NS0_18transform_iteratorINS0_17counting_iteratorImlEEZNS1_24adjacent_difference_implIS3_Lb1ELb0EPtN6thrust23THRUST_200600_302600_NS16discard_iteratorINSD_11use_defaultEEENSD_5minusItEEEE10hipError_tPvRmT2_T3_mT4_P12ihipStream_tbEUlmE_tEESB_NS0_8identityIvEEEESJ_SM_SN_mSO_SQ_bEUlT_E_NS1_11comp_targetILNS1_3genE0ELNS1_11target_archE4294967295ELNS1_3gpuE0ELNS1_3repE0EEENS1_30default_config_static_selectorELNS0_4arch9wavefront6targetE1EEEvT1_
	.p2align	8
	.type	_ZN7rocprim17ROCPRIM_400000_NS6detail17trampoline_kernelINS0_14default_configENS1_25transform_config_selectorItLb0EEEZNS1_14transform_implILb0ES3_S5_NS0_18transform_iteratorINS0_17counting_iteratorImlEEZNS1_24adjacent_difference_implIS3_Lb1ELb0EPtN6thrust23THRUST_200600_302600_NS16discard_iteratorINSD_11use_defaultEEENSD_5minusItEEEE10hipError_tPvRmT2_T3_mT4_P12ihipStream_tbEUlmE_tEESB_NS0_8identityIvEEEESJ_SM_SN_mSO_SQ_bEUlT_E_NS1_11comp_targetILNS1_3genE0ELNS1_11target_archE4294967295ELNS1_3gpuE0ELNS1_3repE0EEENS1_30default_config_static_selectorELNS0_4arch9wavefront6targetE1EEEvT1_,@function
_ZN7rocprim17ROCPRIM_400000_NS6detail17trampoline_kernelINS0_14default_configENS1_25transform_config_selectorItLb0EEEZNS1_14transform_implILb0ES3_S5_NS0_18transform_iteratorINS0_17counting_iteratorImlEEZNS1_24adjacent_difference_implIS3_Lb1ELb0EPtN6thrust23THRUST_200600_302600_NS16discard_iteratorINSD_11use_defaultEEENSD_5minusItEEEE10hipError_tPvRmT2_T3_mT4_P12ihipStream_tbEUlmE_tEESB_NS0_8identityIvEEEESJ_SM_SN_mSO_SQ_bEUlT_E_NS1_11comp_targetILNS1_3genE0ELNS1_11target_archE4294967295ELNS1_3gpuE0ELNS1_3repE0EEENS1_30default_config_static_selectorELNS0_4arch9wavefront6targetE1EEEvT1_: ; @_ZN7rocprim17ROCPRIM_400000_NS6detail17trampoline_kernelINS0_14default_configENS1_25transform_config_selectorItLb0EEEZNS1_14transform_implILb0ES3_S5_NS0_18transform_iteratorINS0_17counting_iteratorImlEEZNS1_24adjacent_difference_implIS3_Lb1ELb0EPtN6thrust23THRUST_200600_302600_NS16discard_iteratorINSD_11use_defaultEEENSD_5minusItEEEE10hipError_tPvRmT2_T3_mT4_P12ihipStream_tbEUlmE_tEESB_NS0_8identityIvEEEESJ_SM_SN_mSO_SQ_bEUlT_E_NS1_11comp_targetILNS1_3genE0ELNS1_11target_archE4294967295ELNS1_3gpuE0ELNS1_3repE0EEENS1_30default_config_static_selectorELNS0_4arch9wavefront6targetE1EEEvT1_
; %bb.0:
	.section	.rodata,"a",@progbits
	.p2align	6, 0x0
	.amdhsa_kernel _ZN7rocprim17ROCPRIM_400000_NS6detail17trampoline_kernelINS0_14default_configENS1_25transform_config_selectorItLb0EEEZNS1_14transform_implILb0ES3_S5_NS0_18transform_iteratorINS0_17counting_iteratorImlEEZNS1_24adjacent_difference_implIS3_Lb1ELb0EPtN6thrust23THRUST_200600_302600_NS16discard_iteratorINSD_11use_defaultEEENSD_5minusItEEEE10hipError_tPvRmT2_T3_mT4_P12ihipStream_tbEUlmE_tEESB_NS0_8identityIvEEEESJ_SM_SN_mSO_SQ_bEUlT_E_NS1_11comp_targetILNS1_3genE0ELNS1_11target_archE4294967295ELNS1_3gpuE0ELNS1_3repE0EEENS1_30default_config_static_selectorELNS0_4arch9wavefront6targetE1EEEvT1_
		.amdhsa_group_segment_fixed_size 0
		.amdhsa_private_segment_fixed_size 0
		.amdhsa_kernarg_size 56
		.amdhsa_user_sgpr_count 6
		.amdhsa_user_sgpr_private_segment_buffer 1
		.amdhsa_user_sgpr_dispatch_ptr 0
		.amdhsa_user_sgpr_queue_ptr 0
		.amdhsa_user_sgpr_kernarg_segment_ptr 1
		.amdhsa_user_sgpr_dispatch_id 0
		.amdhsa_user_sgpr_flat_scratch_init 0
		.amdhsa_user_sgpr_private_segment_size 0
		.amdhsa_uses_dynamic_stack 0
		.amdhsa_system_sgpr_private_segment_wavefront_offset 0
		.amdhsa_system_sgpr_workgroup_id_x 1
		.amdhsa_system_sgpr_workgroup_id_y 0
		.amdhsa_system_sgpr_workgroup_id_z 0
		.amdhsa_system_sgpr_workgroup_info 0
		.amdhsa_system_vgpr_workitem_id 0
		.amdhsa_next_free_vgpr 1
		.amdhsa_next_free_sgpr 0
		.amdhsa_reserve_vcc 0
		.amdhsa_reserve_flat_scratch 0
		.amdhsa_float_round_mode_32 0
		.amdhsa_float_round_mode_16_64 0
		.amdhsa_float_denorm_mode_32 3
		.amdhsa_float_denorm_mode_16_64 3
		.amdhsa_dx10_clamp 1
		.amdhsa_ieee_mode 1
		.amdhsa_fp16_overflow 0
		.amdhsa_exception_fp_ieee_invalid_op 0
		.amdhsa_exception_fp_denorm_src 0
		.amdhsa_exception_fp_ieee_div_zero 0
		.amdhsa_exception_fp_ieee_overflow 0
		.amdhsa_exception_fp_ieee_underflow 0
		.amdhsa_exception_fp_ieee_inexact 0
		.amdhsa_exception_int_div_zero 0
	.end_amdhsa_kernel
	.section	.text._ZN7rocprim17ROCPRIM_400000_NS6detail17trampoline_kernelINS0_14default_configENS1_25transform_config_selectorItLb0EEEZNS1_14transform_implILb0ES3_S5_NS0_18transform_iteratorINS0_17counting_iteratorImlEEZNS1_24adjacent_difference_implIS3_Lb1ELb0EPtN6thrust23THRUST_200600_302600_NS16discard_iteratorINSD_11use_defaultEEENSD_5minusItEEEE10hipError_tPvRmT2_T3_mT4_P12ihipStream_tbEUlmE_tEESB_NS0_8identityIvEEEESJ_SM_SN_mSO_SQ_bEUlT_E_NS1_11comp_targetILNS1_3genE0ELNS1_11target_archE4294967295ELNS1_3gpuE0ELNS1_3repE0EEENS1_30default_config_static_selectorELNS0_4arch9wavefront6targetE1EEEvT1_,"axG",@progbits,_ZN7rocprim17ROCPRIM_400000_NS6detail17trampoline_kernelINS0_14default_configENS1_25transform_config_selectorItLb0EEEZNS1_14transform_implILb0ES3_S5_NS0_18transform_iteratorINS0_17counting_iteratorImlEEZNS1_24adjacent_difference_implIS3_Lb1ELb0EPtN6thrust23THRUST_200600_302600_NS16discard_iteratorINSD_11use_defaultEEENSD_5minusItEEEE10hipError_tPvRmT2_T3_mT4_P12ihipStream_tbEUlmE_tEESB_NS0_8identityIvEEEESJ_SM_SN_mSO_SQ_bEUlT_E_NS1_11comp_targetILNS1_3genE0ELNS1_11target_archE4294967295ELNS1_3gpuE0ELNS1_3repE0EEENS1_30default_config_static_selectorELNS0_4arch9wavefront6targetE1EEEvT1_,comdat
.Lfunc_end841:
	.size	_ZN7rocprim17ROCPRIM_400000_NS6detail17trampoline_kernelINS0_14default_configENS1_25transform_config_selectorItLb0EEEZNS1_14transform_implILb0ES3_S5_NS0_18transform_iteratorINS0_17counting_iteratorImlEEZNS1_24adjacent_difference_implIS3_Lb1ELb0EPtN6thrust23THRUST_200600_302600_NS16discard_iteratorINSD_11use_defaultEEENSD_5minusItEEEE10hipError_tPvRmT2_T3_mT4_P12ihipStream_tbEUlmE_tEESB_NS0_8identityIvEEEESJ_SM_SN_mSO_SQ_bEUlT_E_NS1_11comp_targetILNS1_3genE0ELNS1_11target_archE4294967295ELNS1_3gpuE0ELNS1_3repE0EEENS1_30default_config_static_selectorELNS0_4arch9wavefront6targetE1EEEvT1_, .Lfunc_end841-_ZN7rocprim17ROCPRIM_400000_NS6detail17trampoline_kernelINS0_14default_configENS1_25transform_config_selectorItLb0EEEZNS1_14transform_implILb0ES3_S5_NS0_18transform_iteratorINS0_17counting_iteratorImlEEZNS1_24adjacent_difference_implIS3_Lb1ELb0EPtN6thrust23THRUST_200600_302600_NS16discard_iteratorINSD_11use_defaultEEENSD_5minusItEEEE10hipError_tPvRmT2_T3_mT4_P12ihipStream_tbEUlmE_tEESB_NS0_8identityIvEEEESJ_SM_SN_mSO_SQ_bEUlT_E_NS1_11comp_targetILNS1_3genE0ELNS1_11target_archE4294967295ELNS1_3gpuE0ELNS1_3repE0EEENS1_30default_config_static_selectorELNS0_4arch9wavefront6targetE1EEEvT1_
                                        ; -- End function
	.set _ZN7rocprim17ROCPRIM_400000_NS6detail17trampoline_kernelINS0_14default_configENS1_25transform_config_selectorItLb0EEEZNS1_14transform_implILb0ES3_S5_NS0_18transform_iteratorINS0_17counting_iteratorImlEEZNS1_24adjacent_difference_implIS3_Lb1ELb0EPtN6thrust23THRUST_200600_302600_NS16discard_iteratorINSD_11use_defaultEEENSD_5minusItEEEE10hipError_tPvRmT2_T3_mT4_P12ihipStream_tbEUlmE_tEESB_NS0_8identityIvEEEESJ_SM_SN_mSO_SQ_bEUlT_E_NS1_11comp_targetILNS1_3genE0ELNS1_11target_archE4294967295ELNS1_3gpuE0ELNS1_3repE0EEENS1_30default_config_static_selectorELNS0_4arch9wavefront6targetE1EEEvT1_.num_vgpr, 0
	.set _ZN7rocprim17ROCPRIM_400000_NS6detail17trampoline_kernelINS0_14default_configENS1_25transform_config_selectorItLb0EEEZNS1_14transform_implILb0ES3_S5_NS0_18transform_iteratorINS0_17counting_iteratorImlEEZNS1_24adjacent_difference_implIS3_Lb1ELb0EPtN6thrust23THRUST_200600_302600_NS16discard_iteratorINSD_11use_defaultEEENSD_5minusItEEEE10hipError_tPvRmT2_T3_mT4_P12ihipStream_tbEUlmE_tEESB_NS0_8identityIvEEEESJ_SM_SN_mSO_SQ_bEUlT_E_NS1_11comp_targetILNS1_3genE0ELNS1_11target_archE4294967295ELNS1_3gpuE0ELNS1_3repE0EEENS1_30default_config_static_selectorELNS0_4arch9wavefront6targetE1EEEvT1_.num_agpr, 0
	.set _ZN7rocprim17ROCPRIM_400000_NS6detail17trampoline_kernelINS0_14default_configENS1_25transform_config_selectorItLb0EEEZNS1_14transform_implILb0ES3_S5_NS0_18transform_iteratorINS0_17counting_iteratorImlEEZNS1_24adjacent_difference_implIS3_Lb1ELb0EPtN6thrust23THRUST_200600_302600_NS16discard_iteratorINSD_11use_defaultEEENSD_5minusItEEEE10hipError_tPvRmT2_T3_mT4_P12ihipStream_tbEUlmE_tEESB_NS0_8identityIvEEEESJ_SM_SN_mSO_SQ_bEUlT_E_NS1_11comp_targetILNS1_3genE0ELNS1_11target_archE4294967295ELNS1_3gpuE0ELNS1_3repE0EEENS1_30default_config_static_selectorELNS0_4arch9wavefront6targetE1EEEvT1_.numbered_sgpr, 0
	.set _ZN7rocprim17ROCPRIM_400000_NS6detail17trampoline_kernelINS0_14default_configENS1_25transform_config_selectorItLb0EEEZNS1_14transform_implILb0ES3_S5_NS0_18transform_iteratorINS0_17counting_iteratorImlEEZNS1_24adjacent_difference_implIS3_Lb1ELb0EPtN6thrust23THRUST_200600_302600_NS16discard_iteratorINSD_11use_defaultEEENSD_5minusItEEEE10hipError_tPvRmT2_T3_mT4_P12ihipStream_tbEUlmE_tEESB_NS0_8identityIvEEEESJ_SM_SN_mSO_SQ_bEUlT_E_NS1_11comp_targetILNS1_3genE0ELNS1_11target_archE4294967295ELNS1_3gpuE0ELNS1_3repE0EEENS1_30default_config_static_selectorELNS0_4arch9wavefront6targetE1EEEvT1_.num_named_barrier, 0
	.set _ZN7rocprim17ROCPRIM_400000_NS6detail17trampoline_kernelINS0_14default_configENS1_25transform_config_selectorItLb0EEEZNS1_14transform_implILb0ES3_S5_NS0_18transform_iteratorINS0_17counting_iteratorImlEEZNS1_24adjacent_difference_implIS3_Lb1ELb0EPtN6thrust23THRUST_200600_302600_NS16discard_iteratorINSD_11use_defaultEEENSD_5minusItEEEE10hipError_tPvRmT2_T3_mT4_P12ihipStream_tbEUlmE_tEESB_NS0_8identityIvEEEESJ_SM_SN_mSO_SQ_bEUlT_E_NS1_11comp_targetILNS1_3genE0ELNS1_11target_archE4294967295ELNS1_3gpuE0ELNS1_3repE0EEENS1_30default_config_static_selectorELNS0_4arch9wavefront6targetE1EEEvT1_.private_seg_size, 0
	.set _ZN7rocprim17ROCPRIM_400000_NS6detail17trampoline_kernelINS0_14default_configENS1_25transform_config_selectorItLb0EEEZNS1_14transform_implILb0ES3_S5_NS0_18transform_iteratorINS0_17counting_iteratorImlEEZNS1_24adjacent_difference_implIS3_Lb1ELb0EPtN6thrust23THRUST_200600_302600_NS16discard_iteratorINSD_11use_defaultEEENSD_5minusItEEEE10hipError_tPvRmT2_T3_mT4_P12ihipStream_tbEUlmE_tEESB_NS0_8identityIvEEEESJ_SM_SN_mSO_SQ_bEUlT_E_NS1_11comp_targetILNS1_3genE0ELNS1_11target_archE4294967295ELNS1_3gpuE0ELNS1_3repE0EEENS1_30default_config_static_selectorELNS0_4arch9wavefront6targetE1EEEvT1_.uses_vcc, 0
	.set _ZN7rocprim17ROCPRIM_400000_NS6detail17trampoline_kernelINS0_14default_configENS1_25transform_config_selectorItLb0EEEZNS1_14transform_implILb0ES3_S5_NS0_18transform_iteratorINS0_17counting_iteratorImlEEZNS1_24adjacent_difference_implIS3_Lb1ELb0EPtN6thrust23THRUST_200600_302600_NS16discard_iteratorINSD_11use_defaultEEENSD_5minusItEEEE10hipError_tPvRmT2_T3_mT4_P12ihipStream_tbEUlmE_tEESB_NS0_8identityIvEEEESJ_SM_SN_mSO_SQ_bEUlT_E_NS1_11comp_targetILNS1_3genE0ELNS1_11target_archE4294967295ELNS1_3gpuE0ELNS1_3repE0EEENS1_30default_config_static_selectorELNS0_4arch9wavefront6targetE1EEEvT1_.uses_flat_scratch, 0
	.set _ZN7rocprim17ROCPRIM_400000_NS6detail17trampoline_kernelINS0_14default_configENS1_25transform_config_selectorItLb0EEEZNS1_14transform_implILb0ES3_S5_NS0_18transform_iteratorINS0_17counting_iteratorImlEEZNS1_24adjacent_difference_implIS3_Lb1ELb0EPtN6thrust23THRUST_200600_302600_NS16discard_iteratorINSD_11use_defaultEEENSD_5minusItEEEE10hipError_tPvRmT2_T3_mT4_P12ihipStream_tbEUlmE_tEESB_NS0_8identityIvEEEESJ_SM_SN_mSO_SQ_bEUlT_E_NS1_11comp_targetILNS1_3genE0ELNS1_11target_archE4294967295ELNS1_3gpuE0ELNS1_3repE0EEENS1_30default_config_static_selectorELNS0_4arch9wavefront6targetE1EEEvT1_.has_dyn_sized_stack, 0
	.set _ZN7rocprim17ROCPRIM_400000_NS6detail17trampoline_kernelINS0_14default_configENS1_25transform_config_selectorItLb0EEEZNS1_14transform_implILb0ES3_S5_NS0_18transform_iteratorINS0_17counting_iteratorImlEEZNS1_24adjacent_difference_implIS3_Lb1ELb0EPtN6thrust23THRUST_200600_302600_NS16discard_iteratorINSD_11use_defaultEEENSD_5minusItEEEE10hipError_tPvRmT2_T3_mT4_P12ihipStream_tbEUlmE_tEESB_NS0_8identityIvEEEESJ_SM_SN_mSO_SQ_bEUlT_E_NS1_11comp_targetILNS1_3genE0ELNS1_11target_archE4294967295ELNS1_3gpuE0ELNS1_3repE0EEENS1_30default_config_static_selectorELNS0_4arch9wavefront6targetE1EEEvT1_.has_recursion, 0
	.set _ZN7rocprim17ROCPRIM_400000_NS6detail17trampoline_kernelINS0_14default_configENS1_25transform_config_selectorItLb0EEEZNS1_14transform_implILb0ES3_S5_NS0_18transform_iteratorINS0_17counting_iteratorImlEEZNS1_24adjacent_difference_implIS3_Lb1ELb0EPtN6thrust23THRUST_200600_302600_NS16discard_iteratorINSD_11use_defaultEEENSD_5minusItEEEE10hipError_tPvRmT2_T3_mT4_P12ihipStream_tbEUlmE_tEESB_NS0_8identityIvEEEESJ_SM_SN_mSO_SQ_bEUlT_E_NS1_11comp_targetILNS1_3genE0ELNS1_11target_archE4294967295ELNS1_3gpuE0ELNS1_3repE0EEENS1_30default_config_static_selectorELNS0_4arch9wavefront6targetE1EEEvT1_.has_indirect_call, 0
	.section	.AMDGPU.csdata,"",@progbits
; Kernel info:
; codeLenInByte = 0
; TotalNumSgprs: 4
; NumVgprs: 0
; ScratchSize: 0
; MemoryBound: 0
; FloatMode: 240
; IeeeMode: 1
; LDSByteSize: 0 bytes/workgroup (compile time only)
; SGPRBlocks: 0
; VGPRBlocks: 0
; NumSGPRsForWavesPerEU: 4
; NumVGPRsForWavesPerEU: 1
; Occupancy: 10
; WaveLimiterHint : 0
; COMPUTE_PGM_RSRC2:SCRATCH_EN: 0
; COMPUTE_PGM_RSRC2:USER_SGPR: 6
; COMPUTE_PGM_RSRC2:TRAP_HANDLER: 0
; COMPUTE_PGM_RSRC2:TGID_X_EN: 1
; COMPUTE_PGM_RSRC2:TGID_Y_EN: 0
; COMPUTE_PGM_RSRC2:TGID_Z_EN: 0
; COMPUTE_PGM_RSRC2:TIDIG_COMP_CNT: 0
	.section	.text._ZN7rocprim17ROCPRIM_400000_NS6detail17trampoline_kernelINS0_14default_configENS1_25transform_config_selectorItLb0EEEZNS1_14transform_implILb0ES3_S5_NS0_18transform_iteratorINS0_17counting_iteratorImlEEZNS1_24adjacent_difference_implIS3_Lb1ELb0EPtN6thrust23THRUST_200600_302600_NS16discard_iteratorINSD_11use_defaultEEENSD_5minusItEEEE10hipError_tPvRmT2_T3_mT4_P12ihipStream_tbEUlmE_tEESB_NS0_8identityIvEEEESJ_SM_SN_mSO_SQ_bEUlT_E_NS1_11comp_targetILNS1_3genE5ELNS1_11target_archE942ELNS1_3gpuE9ELNS1_3repE0EEENS1_30default_config_static_selectorELNS0_4arch9wavefront6targetE1EEEvT1_,"axG",@progbits,_ZN7rocprim17ROCPRIM_400000_NS6detail17trampoline_kernelINS0_14default_configENS1_25transform_config_selectorItLb0EEEZNS1_14transform_implILb0ES3_S5_NS0_18transform_iteratorINS0_17counting_iteratorImlEEZNS1_24adjacent_difference_implIS3_Lb1ELb0EPtN6thrust23THRUST_200600_302600_NS16discard_iteratorINSD_11use_defaultEEENSD_5minusItEEEE10hipError_tPvRmT2_T3_mT4_P12ihipStream_tbEUlmE_tEESB_NS0_8identityIvEEEESJ_SM_SN_mSO_SQ_bEUlT_E_NS1_11comp_targetILNS1_3genE5ELNS1_11target_archE942ELNS1_3gpuE9ELNS1_3repE0EEENS1_30default_config_static_selectorELNS0_4arch9wavefront6targetE1EEEvT1_,comdat
	.protected	_ZN7rocprim17ROCPRIM_400000_NS6detail17trampoline_kernelINS0_14default_configENS1_25transform_config_selectorItLb0EEEZNS1_14transform_implILb0ES3_S5_NS0_18transform_iteratorINS0_17counting_iteratorImlEEZNS1_24adjacent_difference_implIS3_Lb1ELb0EPtN6thrust23THRUST_200600_302600_NS16discard_iteratorINSD_11use_defaultEEENSD_5minusItEEEE10hipError_tPvRmT2_T3_mT4_P12ihipStream_tbEUlmE_tEESB_NS0_8identityIvEEEESJ_SM_SN_mSO_SQ_bEUlT_E_NS1_11comp_targetILNS1_3genE5ELNS1_11target_archE942ELNS1_3gpuE9ELNS1_3repE0EEENS1_30default_config_static_selectorELNS0_4arch9wavefront6targetE1EEEvT1_ ; -- Begin function _ZN7rocprim17ROCPRIM_400000_NS6detail17trampoline_kernelINS0_14default_configENS1_25transform_config_selectorItLb0EEEZNS1_14transform_implILb0ES3_S5_NS0_18transform_iteratorINS0_17counting_iteratorImlEEZNS1_24adjacent_difference_implIS3_Lb1ELb0EPtN6thrust23THRUST_200600_302600_NS16discard_iteratorINSD_11use_defaultEEENSD_5minusItEEEE10hipError_tPvRmT2_T3_mT4_P12ihipStream_tbEUlmE_tEESB_NS0_8identityIvEEEESJ_SM_SN_mSO_SQ_bEUlT_E_NS1_11comp_targetILNS1_3genE5ELNS1_11target_archE942ELNS1_3gpuE9ELNS1_3repE0EEENS1_30default_config_static_selectorELNS0_4arch9wavefront6targetE1EEEvT1_
	.globl	_ZN7rocprim17ROCPRIM_400000_NS6detail17trampoline_kernelINS0_14default_configENS1_25transform_config_selectorItLb0EEEZNS1_14transform_implILb0ES3_S5_NS0_18transform_iteratorINS0_17counting_iteratorImlEEZNS1_24adjacent_difference_implIS3_Lb1ELb0EPtN6thrust23THRUST_200600_302600_NS16discard_iteratorINSD_11use_defaultEEENSD_5minusItEEEE10hipError_tPvRmT2_T3_mT4_P12ihipStream_tbEUlmE_tEESB_NS0_8identityIvEEEESJ_SM_SN_mSO_SQ_bEUlT_E_NS1_11comp_targetILNS1_3genE5ELNS1_11target_archE942ELNS1_3gpuE9ELNS1_3repE0EEENS1_30default_config_static_selectorELNS0_4arch9wavefront6targetE1EEEvT1_
	.p2align	8
	.type	_ZN7rocprim17ROCPRIM_400000_NS6detail17trampoline_kernelINS0_14default_configENS1_25transform_config_selectorItLb0EEEZNS1_14transform_implILb0ES3_S5_NS0_18transform_iteratorINS0_17counting_iteratorImlEEZNS1_24adjacent_difference_implIS3_Lb1ELb0EPtN6thrust23THRUST_200600_302600_NS16discard_iteratorINSD_11use_defaultEEENSD_5minusItEEEE10hipError_tPvRmT2_T3_mT4_P12ihipStream_tbEUlmE_tEESB_NS0_8identityIvEEEESJ_SM_SN_mSO_SQ_bEUlT_E_NS1_11comp_targetILNS1_3genE5ELNS1_11target_archE942ELNS1_3gpuE9ELNS1_3repE0EEENS1_30default_config_static_selectorELNS0_4arch9wavefront6targetE1EEEvT1_,@function
_ZN7rocprim17ROCPRIM_400000_NS6detail17trampoline_kernelINS0_14default_configENS1_25transform_config_selectorItLb0EEEZNS1_14transform_implILb0ES3_S5_NS0_18transform_iteratorINS0_17counting_iteratorImlEEZNS1_24adjacent_difference_implIS3_Lb1ELb0EPtN6thrust23THRUST_200600_302600_NS16discard_iteratorINSD_11use_defaultEEENSD_5minusItEEEE10hipError_tPvRmT2_T3_mT4_P12ihipStream_tbEUlmE_tEESB_NS0_8identityIvEEEESJ_SM_SN_mSO_SQ_bEUlT_E_NS1_11comp_targetILNS1_3genE5ELNS1_11target_archE942ELNS1_3gpuE9ELNS1_3repE0EEENS1_30default_config_static_selectorELNS0_4arch9wavefront6targetE1EEEvT1_: ; @_ZN7rocprim17ROCPRIM_400000_NS6detail17trampoline_kernelINS0_14default_configENS1_25transform_config_selectorItLb0EEEZNS1_14transform_implILb0ES3_S5_NS0_18transform_iteratorINS0_17counting_iteratorImlEEZNS1_24adjacent_difference_implIS3_Lb1ELb0EPtN6thrust23THRUST_200600_302600_NS16discard_iteratorINSD_11use_defaultEEENSD_5minusItEEEE10hipError_tPvRmT2_T3_mT4_P12ihipStream_tbEUlmE_tEESB_NS0_8identityIvEEEESJ_SM_SN_mSO_SQ_bEUlT_E_NS1_11comp_targetILNS1_3genE5ELNS1_11target_archE942ELNS1_3gpuE9ELNS1_3repE0EEENS1_30default_config_static_selectorELNS0_4arch9wavefront6targetE1EEEvT1_
; %bb.0:
	.section	.rodata,"a",@progbits
	.p2align	6, 0x0
	.amdhsa_kernel _ZN7rocprim17ROCPRIM_400000_NS6detail17trampoline_kernelINS0_14default_configENS1_25transform_config_selectorItLb0EEEZNS1_14transform_implILb0ES3_S5_NS0_18transform_iteratorINS0_17counting_iteratorImlEEZNS1_24adjacent_difference_implIS3_Lb1ELb0EPtN6thrust23THRUST_200600_302600_NS16discard_iteratorINSD_11use_defaultEEENSD_5minusItEEEE10hipError_tPvRmT2_T3_mT4_P12ihipStream_tbEUlmE_tEESB_NS0_8identityIvEEEESJ_SM_SN_mSO_SQ_bEUlT_E_NS1_11comp_targetILNS1_3genE5ELNS1_11target_archE942ELNS1_3gpuE9ELNS1_3repE0EEENS1_30default_config_static_selectorELNS0_4arch9wavefront6targetE1EEEvT1_
		.amdhsa_group_segment_fixed_size 0
		.amdhsa_private_segment_fixed_size 0
		.amdhsa_kernarg_size 56
		.amdhsa_user_sgpr_count 6
		.amdhsa_user_sgpr_private_segment_buffer 1
		.amdhsa_user_sgpr_dispatch_ptr 0
		.amdhsa_user_sgpr_queue_ptr 0
		.amdhsa_user_sgpr_kernarg_segment_ptr 1
		.amdhsa_user_sgpr_dispatch_id 0
		.amdhsa_user_sgpr_flat_scratch_init 0
		.amdhsa_user_sgpr_private_segment_size 0
		.amdhsa_uses_dynamic_stack 0
		.amdhsa_system_sgpr_private_segment_wavefront_offset 0
		.amdhsa_system_sgpr_workgroup_id_x 1
		.amdhsa_system_sgpr_workgroup_id_y 0
		.amdhsa_system_sgpr_workgroup_id_z 0
		.amdhsa_system_sgpr_workgroup_info 0
		.amdhsa_system_vgpr_workitem_id 0
		.amdhsa_next_free_vgpr 1
		.amdhsa_next_free_sgpr 0
		.amdhsa_reserve_vcc 0
		.amdhsa_reserve_flat_scratch 0
		.amdhsa_float_round_mode_32 0
		.amdhsa_float_round_mode_16_64 0
		.amdhsa_float_denorm_mode_32 3
		.amdhsa_float_denorm_mode_16_64 3
		.amdhsa_dx10_clamp 1
		.amdhsa_ieee_mode 1
		.amdhsa_fp16_overflow 0
		.amdhsa_exception_fp_ieee_invalid_op 0
		.amdhsa_exception_fp_denorm_src 0
		.amdhsa_exception_fp_ieee_div_zero 0
		.amdhsa_exception_fp_ieee_overflow 0
		.amdhsa_exception_fp_ieee_underflow 0
		.amdhsa_exception_fp_ieee_inexact 0
		.amdhsa_exception_int_div_zero 0
	.end_amdhsa_kernel
	.section	.text._ZN7rocprim17ROCPRIM_400000_NS6detail17trampoline_kernelINS0_14default_configENS1_25transform_config_selectorItLb0EEEZNS1_14transform_implILb0ES3_S5_NS0_18transform_iteratorINS0_17counting_iteratorImlEEZNS1_24adjacent_difference_implIS3_Lb1ELb0EPtN6thrust23THRUST_200600_302600_NS16discard_iteratorINSD_11use_defaultEEENSD_5minusItEEEE10hipError_tPvRmT2_T3_mT4_P12ihipStream_tbEUlmE_tEESB_NS0_8identityIvEEEESJ_SM_SN_mSO_SQ_bEUlT_E_NS1_11comp_targetILNS1_3genE5ELNS1_11target_archE942ELNS1_3gpuE9ELNS1_3repE0EEENS1_30default_config_static_selectorELNS0_4arch9wavefront6targetE1EEEvT1_,"axG",@progbits,_ZN7rocprim17ROCPRIM_400000_NS6detail17trampoline_kernelINS0_14default_configENS1_25transform_config_selectorItLb0EEEZNS1_14transform_implILb0ES3_S5_NS0_18transform_iteratorINS0_17counting_iteratorImlEEZNS1_24adjacent_difference_implIS3_Lb1ELb0EPtN6thrust23THRUST_200600_302600_NS16discard_iteratorINSD_11use_defaultEEENSD_5minusItEEEE10hipError_tPvRmT2_T3_mT4_P12ihipStream_tbEUlmE_tEESB_NS0_8identityIvEEEESJ_SM_SN_mSO_SQ_bEUlT_E_NS1_11comp_targetILNS1_3genE5ELNS1_11target_archE942ELNS1_3gpuE9ELNS1_3repE0EEENS1_30default_config_static_selectorELNS0_4arch9wavefront6targetE1EEEvT1_,comdat
.Lfunc_end842:
	.size	_ZN7rocprim17ROCPRIM_400000_NS6detail17trampoline_kernelINS0_14default_configENS1_25transform_config_selectorItLb0EEEZNS1_14transform_implILb0ES3_S5_NS0_18transform_iteratorINS0_17counting_iteratorImlEEZNS1_24adjacent_difference_implIS3_Lb1ELb0EPtN6thrust23THRUST_200600_302600_NS16discard_iteratorINSD_11use_defaultEEENSD_5minusItEEEE10hipError_tPvRmT2_T3_mT4_P12ihipStream_tbEUlmE_tEESB_NS0_8identityIvEEEESJ_SM_SN_mSO_SQ_bEUlT_E_NS1_11comp_targetILNS1_3genE5ELNS1_11target_archE942ELNS1_3gpuE9ELNS1_3repE0EEENS1_30default_config_static_selectorELNS0_4arch9wavefront6targetE1EEEvT1_, .Lfunc_end842-_ZN7rocprim17ROCPRIM_400000_NS6detail17trampoline_kernelINS0_14default_configENS1_25transform_config_selectorItLb0EEEZNS1_14transform_implILb0ES3_S5_NS0_18transform_iteratorINS0_17counting_iteratorImlEEZNS1_24adjacent_difference_implIS3_Lb1ELb0EPtN6thrust23THRUST_200600_302600_NS16discard_iteratorINSD_11use_defaultEEENSD_5minusItEEEE10hipError_tPvRmT2_T3_mT4_P12ihipStream_tbEUlmE_tEESB_NS0_8identityIvEEEESJ_SM_SN_mSO_SQ_bEUlT_E_NS1_11comp_targetILNS1_3genE5ELNS1_11target_archE942ELNS1_3gpuE9ELNS1_3repE0EEENS1_30default_config_static_selectorELNS0_4arch9wavefront6targetE1EEEvT1_
                                        ; -- End function
	.set _ZN7rocprim17ROCPRIM_400000_NS6detail17trampoline_kernelINS0_14default_configENS1_25transform_config_selectorItLb0EEEZNS1_14transform_implILb0ES3_S5_NS0_18transform_iteratorINS0_17counting_iteratorImlEEZNS1_24adjacent_difference_implIS3_Lb1ELb0EPtN6thrust23THRUST_200600_302600_NS16discard_iteratorINSD_11use_defaultEEENSD_5minusItEEEE10hipError_tPvRmT2_T3_mT4_P12ihipStream_tbEUlmE_tEESB_NS0_8identityIvEEEESJ_SM_SN_mSO_SQ_bEUlT_E_NS1_11comp_targetILNS1_3genE5ELNS1_11target_archE942ELNS1_3gpuE9ELNS1_3repE0EEENS1_30default_config_static_selectorELNS0_4arch9wavefront6targetE1EEEvT1_.num_vgpr, 0
	.set _ZN7rocprim17ROCPRIM_400000_NS6detail17trampoline_kernelINS0_14default_configENS1_25transform_config_selectorItLb0EEEZNS1_14transform_implILb0ES3_S5_NS0_18transform_iteratorINS0_17counting_iteratorImlEEZNS1_24adjacent_difference_implIS3_Lb1ELb0EPtN6thrust23THRUST_200600_302600_NS16discard_iteratorINSD_11use_defaultEEENSD_5minusItEEEE10hipError_tPvRmT2_T3_mT4_P12ihipStream_tbEUlmE_tEESB_NS0_8identityIvEEEESJ_SM_SN_mSO_SQ_bEUlT_E_NS1_11comp_targetILNS1_3genE5ELNS1_11target_archE942ELNS1_3gpuE9ELNS1_3repE0EEENS1_30default_config_static_selectorELNS0_4arch9wavefront6targetE1EEEvT1_.num_agpr, 0
	.set _ZN7rocprim17ROCPRIM_400000_NS6detail17trampoline_kernelINS0_14default_configENS1_25transform_config_selectorItLb0EEEZNS1_14transform_implILb0ES3_S5_NS0_18transform_iteratorINS0_17counting_iteratorImlEEZNS1_24adjacent_difference_implIS3_Lb1ELb0EPtN6thrust23THRUST_200600_302600_NS16discard_iteratorINSD_11use_defaultEEENSD_5minusItEEEE10hipError_tPvRmT2_T3_mT4_P12ihipStream_tbEUlmE_tEESB_NS0_8identityIvEEEESJ_SM_SN_mSO_SQ_bEUlT_E_NS1_11comp_targetILNS1_3genE5ELNS1_11target_archE942ELNS1_3gpuE9ELNS1_3repE0EEENS1_30default_config_static_selectorELNS0_4arch9wavefront6targetE1EEEvT1_.numbered_sgpr, 0
	.set _ZN7rocprim17ROCPRIM_400000_NS6detail17trampoline_kernelINS0_14default_configENS1_25transform_config_selectorItLb0EEEZNS1_14transform_implILb0ES3_S5_NS0_18transform_iteratorINS0_17counting_iteratorImlEEZNS1_24adjacent_difference_implIS3_Lb1ELb0EPtN6thrust23THRUST_200600_302600_NS16discard_iteratorINSD_11use_defaultEEENSD_5minusItEEEE10hipError_tPvRmT2_T3_mT4_P12ihipStream_tbEUlmE_tEESB_NS0_8identityIvEEEESJ_SM_SN_mSO_SQ_bEUlT_E_NS1_11comp_targetILNS1_3genE5ELNS1_11target_archE942ELNS1_3gpuE9ELNS1_3repE0EEENS1_30default_config_static_selectorELNS0_4arch9wavefront6targetE1EEEvT1_.num_named_barrier, 0
	.set _ZN7rocprim17ROCPRIM_400000_NS6detail17trampoline_kernelINS0_14default_configENS1_25transform_config_selectorItLb0EEEZNS1_14transform_implILb0ES3_S5_NS0_18transform_iteratorINS0_17counting_iteratorImlEEZNS1_24adjacent_difference_implIS3_Lb1ELb0EPtN6thrust23THRUST_200600_302600_NS16discard_iteratorINSD_11use_defaultEEENSD_5minusItEEEE10hipError_tPvRmT2_T3_mT4_P12ihipStream_tbEUlmE_tEESB_NS0_8identityIvEEEESJ_SM_SN_mSO_SQ_bEUlT_E_NS1_11comp_targetILNS1_3genE5ELNS1_11target_archE942ELNS1_3gpuE9ELNS1_3repE0EEENS1_30default_config_static_selectorELNS0_4arch9wavefront6targetE1EEEvT1_.private_seg_size, 0
	.set _ZN7rocprim17ROCPRIM_400000_NS6detail17trampoline_kernelINS0_14default_configENS1_25transform_config_selectorItLb0EEEZNS1_14transform_implILb0ES3_S5_NS0_18transform_iteratorINS0_17counting_iteratorImlEEZNS1_24adjacent_difference_implIS3_Lb1ELb0EPtN6thrust23THRUST_200600_302600_NS16discard_iteratorINSD_11use_defaultEEENSD_5minusItEEEE10hipError_tPvRmT2_T3_mT4_P12ihipStream_tbEUlmE_tEESB_NS0_8identityIvEEEESJ_SM_SN_mSO_SQ_bEUlT_E_NS1_11comp_targetILNS1_3genE5ELNS1_11target_archE942ELNS1_3gpuE9ELNS1_3repE0EEENS1_30default_config_static_selectorELNS0_4arch9wavefront6targetE1EEEvT1_.uses_vcc, 0
	.set _ZN7rocprim17ROCPRIM_400000_NS6detail17trampoline_kernelINS0_14default_configENS1_25transform_config_selectorItLb0EEEZNS1_14transform_implILb0ES3_S5_NS0_18transform_iteratorINS0_17counting_iteratorImlEEZNS1_24adjacent_difference_implIS3_Lb1ELb0EPtN6thrust23THRUST_200600_302600_NS16discard_iteratorINSD_11use_defaultEEENSD_5minusItEEEE10hipError_tPvRmT2_T3_mT4_P12ihipStream_tbEUlmE_tEESB_NS0_8identityIvEEEESJ_SM_SN_mSO_SQ_bEUlT_E_NS1_11comp_targetILNS1_3genE5ELNS1_11target_archE942ELNS1_3gpuE9ELNS1_3repE0EEENS1_30default_config_static_selectorELNS0_4arch9wavefront6targetE1EEEvT1_.uses_flat_scratch, 0
	.set _ZN7rocprim17ROCPRIM_400000_NS6detail17trampoline_kernelINS0_14default_configENS1_25transform_config_selectorItLb0EEEZNS1_14transform_implILb0ES3_S5_NS0_18transform_iteratorINS0_17counting_iteratorImlEEZNS1_24adjacent_difference_implIS3_Lb1ELb0EPtN6thrust23THRUST_200600_302600_NS16discard_iteratorINSD_11use_defaultEEENSD_5minusItEEEE10hipError_tPvRmT2_T3_mT4_P12ihipStream_tbEUlmE_tEESB_NS0_8identityIvEEEESJ_SM_SN_mSO_SQ_bEUlT_E_NS1_11comp_targetILNS1_3genE5ELNS1_11target_archE942ELNS1_3gpuE9ELNS1_3repE0EEENS1_30default_config_static_selectorELNS0_4arch9wavefront6targetE1EEEvT1_.has_dyn_sized_stack, 0
	.set _ZN7rocprim17ROCPRIM_400000_NS6detail17trampoline_kernelINS0_14default_configENS1_25transform_config_selectorItLb0EEEZNS1_14transform_implILb0ES3_S5_NS0_18transform_iteratorINS0_17counting_iteratorImlEEZNS1_24adjacent_difference_implIS3_Lb1ELb0EPtN6thrust23THRUST_200600_302600_NS16discard_iteratorINSD_11use_defaultEEENSD_5minusItEEEE10hipError_tPvRmT2_T3_mT4_P12ihipStream_tbEUlmE_tEESB_NS0_8identityIvEEEESJ_SM_SN_mSO_SQ_bEUlT_E_NS1_11comp_targetILNS1_3genE5ELNS1_11target_archE942ELNS1_3gpuE9ELNS1_3repE0EEENS1_30default_config_static_selectorELNS0_4arch9wavefront6targetE1EEEvT1_.has_recursion, 0
	.set _ZN7rocprim17ROCPRIM_400000_NS6detail17trampoline_kernelINS0_14default_configENS1_25transform_config_selectorItLb0EEEZNS1_14transform_implILb0ES3_S5_NS0_18transform_iteratorINS0_17counting_iteratorImlEEZNS1_24adjacent_difference_implIS3_Lb1ELb0EPtN6thrust23THRUST_200600_302600_NS16discard_iteratorINSD_11use_defaultEEENSD_5minusItEEEE10hipError_tPvRmT2_T3_mT4_P12ihipStream_tbEUlmE_tEESB_NS0_8identityIvEEEESJ_SM_SN_mSO_SQ_bEUlT_E_NS1_11comp_targetILNS1_3genE5ELNS1_11target_archE942ELNS1_3gpuE9ELNS1_3repE0EEENS1_30default_config_static_selectorELNS0_4arch9wavefront6targetE1EEEvT1_.has_indirect_call, 0
	.section	.AMDGPU.csdata,"",@progbits
; Kernel info:
; codeLenInByte = 0
; TotalNumSgprs: 4
; NumVgprs: 0
; ScratchSize: 0
; MemoryBound: 0
; FloatMode: 240
; IeeeMode: 1
; LDSByteSize: 0 bytes/workgroup (compile time only)
; SGPRBlocks: 0
; VGPRBlocks: 0
; NumSGPRsForWavesPerEU: 4
; NumVGPRsForWavesPerEU: 1
; Occupancy: 10
; WaveLimiterHint : 0
; COMPUTE_PGM_RSRC2:SCRATCH_EN: 0
; COMPUTE_PGM_RSRC2:USER_SGPR: 6
; COMPUTE_PGM_RSRC2:TRAP_HANDLER: 0
; COMPUTE_PGM_RSRC2:TGID_X_EN: 1
; COMPUTE_PGM_RSRC2:TGID_Y_EN: 0
; COMPUTE_PGM_RSRC2:TGID_Z_EN: 0
; COMPUTE_PGM_RSRC2:TIDIG_COMP_CNT: 0
	.section	.text._ZN7rocprim17ROCPRIM_400000_NS6detail17trampoline_kernelINS0_14default_configENS1_25transform_config_selectorItLb0EEEZNS1_14transform_implILb0ES3_S5_NS0_18transform_iteratorINS0_17counting_iteratorImlEEZNS1_24adjacent_difference_implIS3_Lb1ELb0EPtN6thrust23THRUST_200600_302600_NS16discard_iteratorINSD_11use_defaultEEENSD_5minusItEEEE10hipError_tPvRmT2_T3_mT4_P12ihipStream_tbEUlmE_tEESB_NS0_8identityIvEEEESJ_SM_SN_mSO_SQ_bEUlT_E_NS1_11comp_targetILNS1_3genE4ELNS1_11target_archE910ELNS1_3gpuE8ELNS1_3repE0EEENS1_30default_config_static_selectorELNS0_4arch9wavefront6targetE1EEEvT1_,"axG",@progbits,_ZN7rocprim17ROCPRIM_400000_NS6detail17trampoline_kernelINS0_14default_configENS1_25transform_config_selectorItLb0EEEZNS1_14transform_implILb0ES3_S5_NS0_18transform_iteratorINS0_17counting_iteratorImlEEZNS1_24adjacent_difference_implIS3_Lb1ELb0EPtN6thrust23THRUST_200600_302600_NS16discard_iteratorINSD_11use_defaultEEENSD_5minusItEEEE10hipError_tPvRmT2_T3_mT4_P12ihipStream_tbEUlmE_tEESB_NS0_8identityIvEEEESJ_SM_SN_mSO_SQ_bEUlT_E_NS1_11comp_targetILNS1_3genE4ELNS1_11target_archE910ELNS1_3gpuE8ELNS1_3repE0EEENS1_30default_config_static_selectorELNS0_4arch9wavefront6targetE1EEEvT1_,comdat
	.protected	_ZN7rocprim17ROCPRIM_400000_NS6detail17trampoline_kernelINS0_14default_configENS1_25transform_config_selectorItLb0EEEZNS1_14transform_implILb0ES3_S5_NS0_18transform_iteratorINS0_17counting_iteratorImlEEZNS1_24adjacent_difference_implIS3_Lb1ELb0EPtN6thrust23THRUST_200600_302600_NS16discard_iteratorINSD_11use_defaultEEENSD_5minusItEEEE10hipError_tPvRmT2_T3_mT4_P12ihipStream_tbEUlmE_tEESB_NS0_8identityIvEEEESJ_SM_SN_mSO_SQ_bEUlT_E_NS1_11comp_targetILNS1_3genE4ELNS1_11target_archE910ELNS1_3gpuE8ELNS1_3repE0EEENS1_30default_config_static_selectorELNS0_4arch9wavefront6targetE1EEEvT1_ ; -- Begin function _ZN7rocprim17ROCPRIM_400000_NS6detail17trampoline_kernelINS0_14default_configENS1_25transform_config_selectorItLb0EEEZNS1_14transform_implILb0ES3_S5_NS0_18transform_iteratorINS0_17counting_iteratorImlEEZNS1_24adjacent_difference_implIS3_Lb1ELb0EPtN6thrust23THRUST_200600_302600_NS16discard_iteratorINSD_11use_defaultEEENSD_5minusItEEEE10hipError_tPvRmT2_T3_mT4_P12ihipStream_tbEUlmE_tEESB_NS0_8identityIvEEEESJ_SM_SN_mSO_SQ_bEUlT_E_NS1_11comp_targetILNS1_3genE4ELNS1_11target_archE910ELNS1_3gpuE8ELNS1_3repE0EEENS1_30default_config_static_selectorELNS0_4arch9wavefront6targetE1EEEvT1_
	.globl	_ZN7rocprim17ROCPRIM_400000_NS6detail17trampoline_kernelINS0_14default_configENS1_25transform_config_selectorItLb0EEEZNS1_14transform_implILb0ES3_S5_NS0_18transform_iteratorINS0_17counting_iteratorImlEEZNS1_24adjacent_difference_implIS3_Lb1ELb0EPtN6thrust23THRUST_200600_302600_NS16discard_iteratorINSD_11use_defaultEEENSD_5minusItEEEE10hipError_tPvRmT2_T3_mT4_P12ihipStream_tbEUlmE_tEESB_NS0_8identityIvEEEESJ_SM_SN_mSO_SQ_bEUlT_E_NS1_11comp_targetILNS1_3genE4ELNS1_11target_archE910ELNS1_3gpuE8ELNS1_3repE0EEENS1_30default_config_static_selectorELNS0_4arch9wavefront6targetE1EEEvT1_
	.p2align	8
	.type	_ZN7rocprim17ROCPRIM_400000_NS6detail17trampoline_kernelINS0_14default_configENS1_25transform_config_selectorItLb0EEEZNS1_14transform_implILb0ES3_S5_NS0_18transform_iteratorINS0_17counting_iteratorImlEEZNS1_24adjacent_difference_implIS3_Lb1ELb0EPtN6thrust23THRUST_200600_302600_NS16discard_iteratorINSD_11use_defaultEEENSD_5minusItEEEE10hipError_tPvRmT2_T3_mT4_P12ihipStream_tbEUlmE_tEESB_NS0_8identityIvEEEESJ_SM_SN_mSO_SQ_bEUlT_E_NS1_11comp_targetILNS1_3genE4ELNS1_11target_archE910ELNS1_3gpuE8ELNS1_3repE0EEENS1_30default_config_static_selectorELNS0_4arch9wavefront6targetE1EEEvT1_,@function
_ZN7rocprim17ROCPRIM_400000_NS6detail17trampoline_kernelINS0_14default_configENS1_25transform_config_selectorItLb0EEEZNS1_14transform_implILb0ES3_S5_NS0_18transform_iteratorINS0_17counting_iteratorImlEEZNS1_24adjacent_difference_implIS3_Lb1ELb0EPtN6thrust23THRUST_200600_302600_NS16discard_iteratorINSD_11use_defaultEEENSD_5minusItEEEE10hipError_tPvRmT2_T3_mT4_P12ihipStream_tbEUlmE_tEESB_NS0_8identityIvEEEESJ_SM_SN_mSO_SQ_bEUlT_E_NS1_11comp_targetILNS1_3genE4ELNS1_11target_archE910ELNS1_3gpuE8ELNS1_3repE0EEENS1_30default_config_static_selectorELNS0_4arch9wavefront6targetE1EEEvT1_: ; @_ZN7rocprim17ROCPRIM_400000_NS6detail17trampoline_kernelINS0_14default_configENS1_25transform_config_selectorItLb0EEEZNS1_14transform_implILb0ES3_S5_NS0_18transform_iteratorINS0_17counting_iteratorImlEEZNS1_24adjacent_difference_implIS3_Lb1ELb0EPtN6thrust23THRUST_200600_302600_NS16discard_iteratorINSD_11use_defaultEEENSD_5minusItEEEE10hipError_tPvRmT2_T3_mT4_P12ihipStream_tbEUlmE_tEESB_NS0_8identityIvEEEESJ_SM_SN_mSO_SQ_bEUlT_E_NS1_11comp_targetILNS1_3genE4ELNS1_11target_archE910ELNS1_3gpuE8ELNS1_3repE0EEENS1_30default_config_static_selectorELNS0_4arch9wavefront6targetE1EEEvT1_
; %bb.0:
	.section	.rodata,"a",@progbits
	.p2align	6, 0x0
	.amdhsa_kernel _ZN7rocprim17ROCPRIM_400000_NS6detail17trampoline_kernelINS0_14default_configENS1_25transform_config_selectorItLb0EEEZNS1_14transform_implILb0ES3_S5_NS0_18transform_iteratorINS0_17counting_iteratorImlEEZNS1_24adjacent_difference_implIS3_Lb1ELb0EPtN6thrust23THRUST_200600_302600_NS16discard_iteratorINSD_11use_defaultEEENSD_5minusItEEEE10hipError_tPvRmT2_T3_mT4_P12ihipStream_tbEUlmE_tEESB_NS0_8identityIvEEEESJ_SM_SN_mSO_SQ_bEUlT_E_NS1_11comp_targetILNS1_3genE4ELNS1_11target_archE910ELNS1_3gpuE8ELNS1_3repE0EEENS1_30default_config_static_selectorELNS0_4arch9wavefront6targetE1EEEvT1_
		.amdhsa_group_segment_fixed_size 0
		.amdhsa_private_segment_fixed_size 0
		.amdhsa_kernarg_size 56
		.amdhsa_user_sgpr_count 6
		.amdhsa_user_sgpr_private_segment_buffer 1
		.amdhsa_user_sgpr_dispatch_ptr 0
		.amdhsa_user_sgpr_queue_ptr 0
		.amdhsa_user_sgpr_kernarg_segment_ptr 1
		.amdhsa_user_sgpr_dispatch_id 0
		.amdhsa_user_sgpr_flat_scratch_init 0
		.amdhsa_user_sgpr_private_segment_size 0
		.amdhsa_uses_dynamic_stack 0
		.amdhsa_system_sgpr_private_segment_wavefront_offset 0
		.amdhsa_system_sgpr_workgroup_id_x 1
		.amdhsa_system_sgpr_workgroup_id_y 0
		.amdhsa_system_sgpr_workgroup_id_z 0
		.amdhsa_system_sgpr_workgroup_info 0
		.amdhsa_system_vgpr_workitem_id 0
		.amdhsa_next_free_vgpr 1
		.amdhsa_next_free_sgpr 0
		.amdhsa_reserve_vcc 0
		.amdhsa_reserve_flat_scratch 0
		.amdhsa_float_round_mode_32 0
		.amdhsa_float_round_mode_16_64 0
		.amdhsa_float_denorm_mode_32 3
		.amdhsa_float_denorm_mode_16_64 3
		.amdhsa_dx10_clamp 1
		.amdhsa_ieee_mode 1
		.amdhsa_fp16_overflow 0
		.amdhsa_exception_fp_ieee_invalid_op 0
		.amdhsa_exception_fp_denorm_src 0
		.amdhsa_exception_fp_ieee_div_zero 0
		.amdhsa_exception_fp_ieee_overflow 0
		.amdhsa_exception_fp_ieee_underflow 0
		.amdhsa_exception_fp_ieee_inexact 0
		.amdhsa_exception_int_div_zero 0
	.end_amdhsa_kernel
	.section	.text._ZN7rocprim17ROCPRIM_400000_NS6detail17trampoline_kernelINS0_14default_configENS1_25transform_config_selectorItLb0EEEZNS1_14transform_implILb0ES3_S5_NS0_18transform_iteratorINS0_17counting_iteratorImlEEZNS1_24adjacent_difference_implIS3_Lb1ELb0EPtN6thrust23THRUST_200600_302600_NS16discard_iteratorINSD_11use_defaultEEENSD_5minusItEEEE10hipError_tPvRmT2_T3_mT4_P12ihipStream_tbEUlmE_tEESB_NS0_8identityIvEEEESJ_SM_SN_mSO_SQ_bEUlT_E_NS1_11comp_targetILNS1_3genE4ELNS1_11target_archE910ELNS1_3gpuE8ELNS1_3repE0EEENS1_30default_config_static_selectorELNS0_4arch9wavefront6targetE1EEEvT1_,"axG",@progbits,_ZN7rocprim17ROCPRIM_400000_NS6detail17trampoline_kernelINS0_14default_configENS1_25transform_config_selectorItLb0EEEZNS1_14transform_implILb0ES3_S5_NS0_18transform_iteratorINS0_17counting_iteratorImlEEZNS1_24adjacent_difference_implIS3_Lb1ELb0EPtN6thrust23THRUST_200600_302600_NS16discard_iteratorINSD_11use_defaultEEENSD_5minusItEEEE10hipError_tPvRmT2_T3_mT4_P12ihipStream_tbEUlmE_tEESB_NS0_8identityIvEEEESJ_SM_SN_mSO_SQ_bEUlT_E_NS1_11comp_targetILNS1_3genE4ELNS1_11target_archE910ELNS1_3gpuE8ELNS1_3repE0EEENS1_30default_config_static_selectorELNS0_4arch9wavefront6targetE1EEEvT1_,comdat
.Lfunc_end843:
	.size	_ZN7rocprim17ROCPRIM_400000_NS6detail17trampoline_kernelINS0_14default_configENS1_25transform_config_selectorItLb0EEEZNS1_14transform_implILb0ES3_S5_NS0_18transform_iteratorINS0_17counting_iteratorImlEEZNS1_24adjacent_difference_implIS3_Lb1ELb0EPtN6thrust23THRUST_200600_302600_NS16discard_iteratorINSD_11use_defaultEEENSD_5minusItEEEE10hipError_tPvRmT2_T3_mT4_P12ihipStream_tbEUlmE_tEESB_NS0_8identityIvEEEESJ_SM_SN_mSO_SQ_bEUlT_E_NS1_11comp_targetILNS1_3genE4ELNS1_11target_archE910ELNS1_3gpuE8ELNS1_3repE0EEENS1_30default_config_static_selectorELNS0_4arch9wavefront6targetE1EEEvT1_, .Lfunc_end843-_ZN7rocprim17ROCPRIM_400000_NS6detail17trampoline_kernelINS0_14default_configENS1_25transform_config_selectorItLb0EEEZNS1_14transform_implILb0ES3_S5_NS0_18transform_iteratorINS0_17counting_iteratorImlEEZNS1_24adjacent_difference_implIS3_Lb1ELb0EPtN6thrust23THRUST_200600_302600_NS16discard_iteratorINSD_11use_defaultEEENSD_5minusItEEEE10hipError_tPvRmT2_T3_mT4_P12ihipStream_tbEUlmE_tEESB_NS0_8identityIvEEEESJ_SM_SN_mSO_SQ_bEUlT_E_NS1_11comp_targetILNS1_3genE4ELNS1_11target_archE910ELNS1_3gpuE8ELNS1_3repE0EEENS1_30default_config_static_selectorELNS0_4arch9wavefront6targetE1EEEvT1_
                                        ; -- End function
	.set _ZN7rocprim17ROCPRIM_400000_NS6detail17trampoline_kernelINS0_14default_configENS1_25transform_config_selectorItLb0EEEZNS1_14transform_implILb0ES3_S5_NS0_18transform_iteratorINS0_17counting_iteratorImlEEZNS1_24adjacent_difference_implIS3_Lb1ELb0EPtN6thrust23THRUST_200600_302600_NS16discard_iteratorINSD_11use_defaultEEENSD_5minusItEEEE10hipError_tPvRmT2_T3_mT4_P12ihipStream_tbEUlmE_tEESB_NS0_8identityIvEEEESJ_SM_SN_mSO_SQ_bEUlT_E_NS1_11comp_targetILNS1_3genE4ELNS1_11target_archE910ELNS1_3gpuE8ELNS1_3repE0EEENS1_30default_config_static_selectorELNS0_4arch9wavefront6targetE1EEEvT1_.num_vgpr, 0
	.set _ZN7rocprim17ROCPRIM_400000_NS6detail17trampoline_kernelINS0_14default_configENS1_25transform_config_selectorItLb0EEEZNS1_14transform_implILb0ES3_S5_NS0_18transform_iteratorINS0_17counting_iteratorImlEEZNS1_24adjacent_difference_implIS3_Lb1ELb0EPtN6thrust23THRUST_200600_302600_NS16discard_iteratorINSD_11use_defaultEEENSD_5minusItEEEE10hipError_tPvRmT2_T3_mT4_P12ihipStream_tbEUlmE_tEESB_NS0_8identityIvEEEESJ_SM_SN_mSO_SQ_bEUlT_E_NS1_11comp_targetILNS1_3genE4ELNS1_11target_archE910ELNS1_3gpuE8ELNS1_3repE0EEENS1_30default_config_static_selectorELNS0_4arch9wavefront6targetE1EEEvT1_.num_agpr, 0
	.set _ZN7rocprim17ROCPRIM_400000_NS6detail17trampoline_kernelINS0_14default_configENS1_25transform_config_selectorItLb0EEEZNS1_14transform_implILb0ES3_S5_NS0_18transform_iteratorINS0_17counting_iteratorImlEEZNS1_24adjacent_difference_implIS3_Lb1ELb0EPtN6thrust23THRUST_200600_302600_NS16discard_iteratorINSD_11use_defaultEEENSD_5minusItEEEE10hipError_tPvRmT2_T3_mT4_P12ihipStream_tbEUlmE_tEESB_NS0_8identityIvEEEESJ_SM_SN_mSO_SQ_bEUlT_E_NS1_11comp_targetILNS1_3genE4ELNS1_11target_archE910ELNS1_3gpuE8ELNS1_3repE0EEENS1_30default_config_static_selectorELNS0_4arch9wavefront6targetE1EEEvT1_.numbered_sgpr, 0
	.set _ZN7rocprim17ROCPRIM_400000_NS6detail17trampoline_kernelINS0_14default_configENS1_25transform_config_selectorItLb0EEEZNS1_14transform_implILb0ES3_S5_NS0_18transform_iteratorINS0_17counting_iteratorImlEEZNS1_24adjacent_difference_implIS3_Lb1ELb0EPtN6thrust23THRUST_200600_302600_NS16discard_iteratorINSD_11use_defaultEEENSD_5minusItEEEE10hipError_tPvRmT2_T3_mT4_P12ihipStream_tbEUlmE_tEESB_NS0_8identityIvEEEESJ_SM_SN_mSO_SQ_bEUlT_E_NS1_11comp_targetILNS1_3genE4ELNS1_11target_archE910ELNS1_3gpuE8ELNS1_3repE0EEENS1_30default_config_static_selectorELNS0_4arch9wavefront6targetE1EEEvT1_.num_named_barrier, 0
	.set _ZN7rocprim17ROCPRIM_400000_NS6detail17trampoline_kernelINS0_14default_configENS1_25transform_config_selectorItLb0EEEZNS1_14transform_implILb0ES3_S5_NS0_18transform_iteratorINS0_17counting_iteratorImlEEZNS1_24adjacent_difference_implIS3_Lb1ELb0EPtN6thrust23THRUST_200600_302600_NS16discard_iteratorINSD_11use_defaultEEENSD_5minusItEEEE10hipError_tPvRmT2_T3_mT4_P12ihipStream_tbEUlmE_tEESB_NS0_8identityIvEEEESJ_SM_SN_mSO_SQ_bEUlT_E_NS1_11comp_targetILNS1_3genE4ELNS1_11target_archE910ELNS1_3gpuE8ELNS1_3repE0EEENS1_30default_config_static_selectorELNS0_4arch9wavefront6targetE1EEEvT1_.private_seg_size, 0
	.set _ZN7rocprim17ROCPRIM_400000_NS6detail17trampoline_kernelINS0_14default_configENS1_25transform_config_selectorItLb0EEEZNS1_14transform_implILb0ES3_S5_NS0_18transform_iteratorINS0_17counting_iteratorImlEEZNS1_24adjacent_difference_implIS3_Lb1ELb0EPtN6thrust23THRUST_200600_302600_NS16discard_iteratorINSD_11use_defaultEEENSD_5minusItEEEE10hipError_tPvRmT2_T3_mT4_P12ihipStream_tbEUlmE_tEESB_NS0_8identityIvEEEESJ_SM_SN_mSO_SQ_bEUlT_E_NS1_11comp_targetILNS1_3genE4ELNS1_11target_archE910ELNS1_3gpuE8ELNS1_3repE0EEENS1_30default_config_static_selectorELNS0_4arch9wavefront6targetE1EEEvT1_.uses_vcc, 0
	.set _ZN7rocprim17ROCPRIM_400000_NS6detail17trampoline_kernelINS0_14default_configENS1_25transform_config_selectorItLb0EEEZNS1_14transform_implILb0ES3_S5_NS0_18transform_iteratorINS0_17counting_iteratorImlEEZNS1_24adjacent_difference_implIS3_Lb1ELb0EPtN6thrust23THRUST_200600_302600_NS16discard_iteratorINSD_11use_defaultEEENSD_5minusItEEEE10hipError_tPvRmT2_T3_mT4_P12ihipStream_tbEUlmE_tEESB_NS0_8identityIvEEEESJ_SM_SN_mSO_SQ_bEUlT_E_NS1_11comp_targetILNS1_3genE4ELNS1_11target_archE910ELNS1_3gpuE8ELNS1_3repE0EEENS1_30default_config_static_selectorELNS0_4arch9wavefront6targetE1EEEvT1_.uses_flat_scratch, 0
	.set _ZN7rocprim17ROCPRIM_400000_NS6detail17trampoline_kernelINS0_14default_configENS1_25transform_config_selectorItLb0EEEZNS1_14transform_implILb0ES3_S5_NS0_18transform_iteratorINS0_17counting_iteratorImlEEZNS1_24adjacent_difference_implIS3_Lb1ELb0EPtN6thrust23THRUST_200600_302600_NS16discard_iteratorINSD_11use_defaultEEENSD_5minusItEEEE10hipError_tPvRmT2_T3_mT4_P12ihipStream_tbEUlmE_tEESB_NS0_8identityIvEEEESJ_SM_SN_mSO_SQ_bEUlT_E_NS1_11comp_targetILNS1_3genE4ELNS1_11target_archE910ELNS1_3gpuE8ELNS1_3repE0EEENS1_30default_config_static_selectorELNS0_4arch9wavefront6targetE1EEEvT1_.has_dyn_sized_stack, 0
	.set _ZN7rocprim17ROCPRIM_400000_NS6detail17trampoline_kernelINS0_14default_configENS1_25transform_config_selectorItLb0EEEZNS1_14transform_implILb0ES3_S5_NS0_18transform_iteratorINS0_17counting_iteratorImlEEZNS1_24adjacent_difference_implIS3_Lb1ELb0EPtN6thrust23THRUST_200600_302600_NS16discard_iteratorINSD_11use_defaultEEENSD_5minusItEEEE10hipError_tPvRmT2_T3_mT4_P12ihipStream_tbEUlmE_tEESB_NS0_8identityIvEEEESJ_SM_SN_mSO_SQ_bEUlT_E_NS1_11comp_targetILNS1_3genE4ELNS1_11target_archE910ELNS1_3gpuE8ELNS1_3repE0EEENS1_30default_config_static_selectorELNS0_4arch9wavefront6targetE1EEEvT1_.has_recursion, 0
	.set _ZN7rocprim17ROCPRIM_400000_NS6detail17trampoline_kernelINS0_14default_configENS1_25transform_config_selectorItLb0EEEZNS1_14transform_implILb0ES3_S5_NS0_18transform_iteratorINS0_17counting_iteratorImlEEZNS1_24adjacent_difference_implIS3_Lb1ELb0EPtN6thrust23THRUST_200600_302600_NS16discard_iteratorINSD_11use_defaultEEENSD_5minusItEEEE10hipError_tPvRmT2_T3_mT4_P12ihipStream_tbEUlmE_tEESB_NS0_8identityIvEEEESJ_SM_SN_mSO_SQ_bEUlT_E_NS1_11comp_targetILNS1_3genE4ELNS1_11target_archE910ELNS1_3gpuE8ELNS1_3repE0EEENS1_30default_config_static_selectorELNS0_4arch9wavefront6targetE1EEEvT1_.has_indirect_call, 0
	.section	.AMDGPU.csdata,"",@progbits
; Kernel info:
; codeLenInByte = 0
; TotalNumSgprs: 4
; NumVgprs: 0
; ScratchSize: 0
; MemoryBound: 0
; FloatMode: 240
; IeeeMode: 1
; LDSByteSize: 0 bytes/workgroup (compile time only)
; SGPRBlocks: 0
; VGPRBlocks: 0
; NumSGPRsForWavesPerEU: 4
; NumVGPRsForWavesPerEU: 1
; Occupancy: 10
; WaveLimiterHint : 0
; COMPUTE_PGM_RSRC2:SCRATCH_EN: 0
; COMPUTE_PGM_RSRC2:USER_SGPR: 6
; COMPUTE_PGM_RSRC2:TRAP_HANDLER: 0
; COMPUTE_PGM_RSRC2:TGID_X_EN: 1
; COMPUTE_PGM_RSRC2:TGID_Y_EN: 0
; COMPUTE_PGM_RSRC2:TGID_Z_EN: 0
; COMPUTE_PGM_RSRC2:TIDIG_COMP_CNT: 0
	.section	.text._ZN7rocprim17ROCPRIM_400000_NS6detail17trampoline_kernelINS0_14default_configENS1_25transform_config_selectorItLb0EEEZNS1_14transform_implILb0ES3_S5_NS0_18transform_iteratorINS0_17counting_iteratorImlEEZNS1_24adjacent_difference_implIS3_Lb1ELb0EPtN6thrust23THRUST_200600_302600_NS16discard_iteratorINSD_11use_defaultEEENSD_5minusItEEEE10hipError_tPvRmT2_T3_mT4_P12ihipStream_tbEUlmE_tEESB_NS0_8identityIvEEEESJ_SM_SN_mSO_SQ_bEUlT_E_NS1_11comp_targetILNS1_3genE3ELNS1_11target_archE908ELNS1_3gpuE7ELNS1_3repE0EEENS1_30default_config_static_selectorELNS0_4arch9wavefront6targetE1EEEvT1_,"axG",@progbits,_ZN7rocprim17ROCPRIM_400000_NS6detail17trampoline_kernelINS0_14default_configENS1_25transform_config_selectorItLb0EEEZNS1_14transform_implILb0ES3_S5_NS0_18transform_iteratorINS0_17counting_iteratorImlEEZNS1_24adjacent_difference_implIS3_Lb1ELb0EPtN6thrust23THRUST_200600_302600_NS16discard_iteratorINSD_11use_defaultEEENSD_5minusItEEEE10hipError_tPvRmT2_T3_mT4_P12ihipStream_tbEUlmE_tEESB_NS0_8identityIvEEEESJ_SM_SN_mSO_SQ_bEUlT_E_NS1_11comp_targetILNS1_3genE3ELNS1_11target_archE908ELNS1_3gpuE7ELNS1_3repE0EEENS1_30default_config_static_selectorELNS0_4arch9wavefront6targetE1EEEvT1_,comdat
	.protected	_ZN7rocprim17ROCPRIM_400000_NS6detail17trampoline_kernelINS0_14default_configENS1_25transform_config_selectorItLb0EEEZNS1_14transform_implILb0ES3_S5_NS0_18transform_iteratorINS0_17counting_iteratorImlEEZNS1_24adjacent_difference_implIS3_Lb1ELb0EPtN6thrust23THRUST_200600_302600_NS16discard_iteratorINSD_11use_defaultEEENSD_5minusItEEEE10hipError_tPvRmT2_T3_mT4_P12ihipStream_tbEUlmE_tEESB_NS0_8identityIvEEEESJ_SM_SN_mSO_SQ_bEUlT_E_NS1_11comp_targetILNS1_3genE3ELNS1_11target_archE908ELNS1_3gpuE7ELNS1_3repE0EEENS1_30default_config_static_selectorELNS0_4arch9wavefront6targetE1EEEvT1_ ; -- Begin function _ZN7rocprim17ROCPRIM_400000_NS6detail17trampoline_kernelINS0_14default_configENS1_25transform_config_selectorItLb0EEEZNS1_14transform_implILb0ES3_S5_NS0_18transform_iteratorINS0_17counting_iteratorImlEEZNS1_24adjacent_difference_implIS3_Lb1ELb0EPtN6thrust23THRUST_200600_302600_NS16discard_iteratorINSD_11use_defaultEEENSD_5minusItEEEE10hipError_tPvRmT2_T3_mT4_P12ihipStream_tbEUlmE_tEESB_NS0_8identityIvEEEESJ_SM_SN_mSO_SQ_bEUlT_E_NS1_11comp_targetILNS1_3genE3ELNS1_11target_archE908ELNS1_3gpuE7ELNS1_3repE0EEENS1_30default_config_static_selectorELNS0_4arch9wavefront6targetE1EEEvT1_
	.globl	_ZN7rocprim17ROCPRIM_400000_NS6detail17trampoline_kernelINS0_14default_configENS1_25transform_config_selectorItLb0EEEZNS1_14transform_implILb0ES3_S5_NS0_18transform_iteratorINS0_17counting_iteratorImlEEZNS1_24adjacent_difference_implIS3_Lb1ELb0EPtN6thrust23THRUST_200600_302600_NS16discard_iteratorINSD_11use_defaultEEENSD_5minusItEEEE10hipError_tPvRmT2_T3_mT4_P12ihipStream_tbEUlmE_tEESB_NS0_8identityIvEEEESJ_SM_SN_mSO_SQ_bEUlT_E_NS1_11comp_targetILNS1_3genE3ELNS1_11target_archE908ELNS1_3gpuE7ELNS1_3repE0EEENS1_30default_config_static_selectorELNS0_4arch9wavefront6targetE1EEEvT1_
	.p2align	8
	.type	_ZN7rocprim17ROCPRIM_400000_NS6detail17trampoline_kernelINS0_14default_configENS1_25transform_config_selectorItLb0EEEZNS1_14transform_implILb0ES3_S5_NS0_18transform_iteratorINS0_17counting_iteratorImlEEZNS1_24adjacent_difference_implIS3_Lb1ELb0EPtN6thrust23THRUST_200600_302600_NS16discard_iteratorINSD_11use_defaultEEENSD_5minusItEEEE10hipError_tPvRmT2_T3_mT4_P12ihipStream_tbEUlmE_tEESB_NS0_8identityIvEEEESJ_SM_SN_mSO_SQ_bEUlT_E_NS1_11comp_targetILNS1_3genE3ELNS1_11target_archE908ELNS1_3gpuE7ELNS1_3repE0EEENS1_30default_config_static_selectorELNS0_4arch9wavefront6targetE1EEEvT1_,@function
_ZN7rocprim17ROCPRIM_400000_NS6detail17trampoline_kernelINS0_14default_configENS1_25transform_config_selectorItLb0EEEZNS1_14transform_implILb0ES3_S5_NS0_18transform_iteratorINS0_17counting_iteratorImlEEZNS1_24adjacent_difference_implIS3_Lb1ELb0EPtN6thrust23THRUST_200600_302600_NS16discard_iteratorINSD_11use_defaultEEENSD_5minusItEEEE10hipError_tPvRmT2_T3_mT4_P12ihipStream_tbEUlmE_tEESB_NS0_8identityIvEEEESJ_SM_SN_mSO_SQ_bEUlT_E_NS1_11comp_targetILNS1_3genE3ELNS1_11target_archE908ELNS1_3gpuE7ELNS1_3repE0EEENS1_30default_config_static_selectorELNS0_4arch9wavefront6targetE1EEEvT1_: ; @_ZN7rocprim17ROCPRIM_400000_NS6detail17trampoline_kernelINS0_14default_configENS1_25transform_config_selectorItLb0EEEZNS1_14transform_implILb0ES3_S5_NS0_18transform_iteratorINS0_17counting_iteratorImlEEZNS1_24adjacent_difference_implIS3_Lb1ELb0EPtN6thrust23THRUST_200600_302600_NS16discard_iteratorINSD_11use_defaultEEENSD_5minusItEEEE10hipError_tPvRmT2_T3_mT4_P12ihipStream_tbEUlmE_tEESB_NS0_8identityIvEEEESJ_SM_SN_mSO_SQ_bEUlT_E_NS1_11comp_targetILNS1_3genE3ELNS1_11target_archE908ELNS1_3gpuE7ELNS1_3repE0EEENS1_30default_config_static_selectorELNS0_4arch9wavefront6targetE1EEEvT1_
; %bb.0:
	.section	.rodata,"a",@progbits
	.p2align	6, 0x0
	.amdhsa_kernel _ZN7rocprim17ROCPRIM_400000_NS6detail17trampoline_kernelINS0_14default_configENS1_25transform_config_selectorItLb0EEEZNS1_14transform_implILb0ES3_S5_NS0_18transform_iteratorINS0_17counting_iteratorImlEEZNS1_24adjacent_difference_implIS3_Lb1ELb0EPtN6thrust23THRUST_200600_302600_NS16discard_iteratorINSD_11use_defaultEEENSD_5minusItEEEE10hipError_tPvRmT2_T3_mT4_P12ihipStream_tbEUlmE_tEESB_NS0_8identityIvEEEESJ_SM_SN_mSO_SQ_bEUlT_E_NS1_11comp_targetILNS1_3genE3ELNS1_11target_archE908ELNS1_3gpuE7ELNS1_3repE0EEENS1_30default_config_static_selectorELNS0_4arch9wavefront6targetE1EEEvT1_
		.amdhsa_group_segment_fixed_size 0
		.amdhsa_private_segment_fixed_size 0
		.amdhsa_kernarg_size 56
		.amdhsa_user_sgpr_count 6
		.amdhsa_user_sgpr_private_segment_buffer 1
		.amdhsa_user_sgpr_dispatch_ptr 0
		.amdhsa_user_sgpr_queue_ptr 0
		.amdhsa_user_sgpr_kernarg_segment_ptr 1
		.amdhsa_user_sgpr_dispatch_id 0
		.amdhsa_user_sgpr_flat_scratch_init 0
		.amdhsa_user_sgpr_private_segment_size 0
		.amdhsa_uses_dynamic_stack 0
		.amdhsa_system_sgpr_private_segment_wavefront_offset 0
		.amdhsa_system_sgpr_workgroup_id_x 1
		.amdhsa_system_sgpr_workgroup_id_y 0
		.amdhsa_system_sgpr_workgroup_id_z 0
		.amdhsa_system_sgpr_workgroup_info 0
		.amdhsa_system_vgpr_workitem_id 0
		.amdhsa_next_free_vgpr 1
		.amdhsa_next_free_sgpr 0
		.amdhsa_reserve_vcc 0
		.amdhsa_reserve_flat_scratch 0
		.amdhsa_float_round_mode_32 0
		.amdhsa_float_round_mode_16_64 0
		.amdhsa_float_denorm_mode_32 3
		.amdhsa_float_denorm_mode_16_64 3
		.amdhsa_dx10_clamp 1
		.amdhsa_ieee_mode 1
		.amdhsa_fp16_overflow 0
		.amdhsa_exception_fp_ieee_invalid_op 0
		.amdhsa_exception_fp_denorm_src 0
		.amdhsa_exception_fp_ieee_div_zero 0
		.amdhsa_exception_fp_ieee_overflow 0
		.amdhsa_exception_fp_ieee_underflow 0
		.amdhsa_exception_fp_ieee_inexact 0
		.amdhsa_exception_int_div_zero 0
	.end_amdhsa_kernel
	.section	.text._ZN7rocprim17ROCPRIM_400000_NS6detail17trampoline_kernelINS0_14default_configENS1_25transform_config_selectorItLb0EEEZNS1_14transform_implILb0ES3_S5_NS0_18transform_iteratorINS0_17counting_iteratorImlEEZNS1_24adjacent_difference_implIS3_Lb1ELb0EPtN6thrust23THRUST_200600_302600_NS16discard_iteratorINSD_11use_defaultEEENSD_5minusItEEEE10hipError_tPvRmT2_T3_mT4_P12ihipStream_tbEUlmE_tEESB_NS0_8identityIvEEEESJ_SM_SN_mSO_SQ_bEUlT_E_NS1_11comp_targetILNS1_3genE3ELNS1_11target_archE908ELNS1_3gpuE7ELNS1_3repE0EEENS1_30default_config_static_selectorELNS0_4arch9wavefront6targetE1EEEvT1_,"axG",@progbits,_ZN7rocprim17ROCPRIM_400000_NS6detail17trampoline_kernelINS0_14default_configENS1_25transform_config_selectorItLb0EEEZNS1_14transform_implILb0ES3_S5_NS0_18transform_iteratorINS0_17counting_iteratorImlEEZNS1_24adjacent_difference_implIS3_Lb1ELb0EPtN6thrust23THRUST_200600_302600_NS16discard_iteratorINSD_11use_defaultEEENSD_5minusItEEEE10hipError_tPvRmT2_T3_mT4_P12ihipStream_tbEUlmE_tEESB_NS0_8identityIvEEEESJ_SM_SN_mSO_SQ_bEUlT_E_NS1_11comp_targetILNS1_3genE3ELNS1_11target_archE908ELNS1_3gpuE7ELNS1_3repE0EEENS1_30default_config_static_selectorELNS0_4arch9wavefront6targetE1EEEvT1_,comdat
.Lfunc_end844:
	.size	_ZN7rocprim17ROCPRIM_400000_NS6detail17trampoline_kernelINS0_14default_configENS1_25transform_config_selectorItLb0EEEZNS1_14transform_implILb0ES3_S5_NS0_18transform_iteratorINS0_17counting_iteratorImlEEZNS1_24adjacent_difference_implIS3_Lb1ELb0EPtN6thrust23THRUST_200600_302600_NS16discard_iteratorINSD_11use_defaultEEENSD_5minusItEEEE10hipError_tPvRmT2_T3_mT4_P12ihipStream_tbEUlmE_tEESB_NS0_8identityIvEEEESJ_SM_SN_mSO_SQ_bEUlT_E_NS1_11comp_targetILNS1_3genE3ELNS1_11target_archE908ELNS1_3gpuE7ELNS1_3repE0EEENS1_30default_config_static_selectorELNS0_4arch9wavefront6targetE1EEEvT1_, .Lfunc_end844-_ZN7rocprim17ROCPRIM_400000_NS6detail17trampoline_kernelINS0_14default_configENS1_25transform_config_selectorItLb0EEEZNS1_14transform_implILb0ES3_S5_NS0_18transform_iteratorINS0_17counting_iteratorImlEEZNS1_24adjacent_difference_implIS3_Lb1ELb0EPtN6thrust23THRUST_200600_302600_NS16discard_iteratorINSD_11use_defaultEEENSD_5minusItEEEE10hipError_tPvRmT2_T3_mT4_P12ihipStream_tbEUlmE_tEESB_NS0_8identityIvEEEESJ_SM_SN_mSO_SQ_bEUlT_E_NS1_11comp_targetILNS1_3genE3ELNS1_11target_archE908ELNS1_3gpuE7ELNS1_3repE0EEENS1_30default_config_static_selectorELNS0_4arch9wavefront6targetE1EEEvT1_
                                        ; -- End function
	.set _ZN7rocprim17ROCPRIM_400000_NS6detail17trampoline_kernelINS0_14default_configENS1_25transform_config_selectorItLb0EEEZNS1_14transform_implILb0ES3_S5_NS0_18transform_iteratorINS0_17counting_iteratorImlEEZNS1_24adjacent_difference_implIS3_Lb1ELb0EPtN6thrust23THRUST_200600_302600_NS16discard_iteratorINSD_11use_defaultEEENSD_5minusItEEEE10hipError_tPvRmT2_T3_mT4_P12ihipStream_tbEUlmE_tEESB_NS0_8identityIvEEEESJ_SM_SN_mSO_SQ_bEUlT_E_NS1_11comp_targetILNS1_3genE3ELNS1_11target_archE908ELNS1_3gpuE7ELNS1_3repE0EEENS1_30default_config_static_selectorELNS0_4arch9wavefront6targetE1EEEvT1_.num_vgpr, 0
	.set _ZN7rocprim17ROCPRIM_400000_NS6detail17trampoline_kernelINS0_14default_configENS1_25transform_config_selectorItLb0EEEZNS1_14transform_implILb0ES3_S5_NS0_18transform_iteratorINS0_17counting_iteratorImlEEZNS1_24adjacent_difference_implIS3_Lb1ELb0EPtN6thrust23THRUST_200600_302600_NS16discard_iteratorINSD_11use_defaultEEENSD_5minusItEEEE10hipError_tPvRmT2_T3_mT4_P12ihipStream_tbEUlmE_tEESB_NS0_8identityIvEEEESJ_SM_SN_mSO_SQ_bEUlT_E_NS1_11comp_targetILNS1_3genE3ELNS1_11target_archE908ELNS1_3gpuE7ELNS1_3repE0EEENS1_30default_config_static_selectorELNS0_4arch9wavefront6targetE1EEEvT1_.num_agpr, 0
	.set _ZN7rocprim17ROCPRIM_400000_NS6detail17trampoline_kernelINS0_14default_configENS1_25transform_config_selectorItLb0EEEZNS1_14transform_implILb0ES3_S5_NS0_18transform_iteratorINS0_17counting_iteratorImlEEZNS1_24adjacent_difference_implIS3_Lb1ELb0EPtN6thrust23THRUST_200600_302600_NS16discard_iteratorINSD_11use_defaultEEENSD_5minusItEEEE10hipError_tPvRmT2_T3_mT4_P12ihipStream_tbEUlmE_tEESB_NS0_8identityIvEEEESJ_SM_SN_mSO_SQ_bEUlT_E_NS1_11comp_targetILNS1_3genE3ELNS1_11target_archE908ELNS1_3gpuE7ELNS1_3repE0EEENS1_30default_config_static_selectorELNS0_4arch9wavefront6targetE1EEEvT1_.numbered_sgpr, 0
	.set _ZN7rocprim17ROCPRIM_400000_NS6detail17trampoline_kernelINS0_14default_configENS1_25transform_config_selectorItLb0EEEZNS1_14transform_implILb0ES3_S5_NS0_18transform_iteratorINS0_17counting_iteratorImlEEZNS1_24adjacent_difference_implIS3_Lb1ELb0EPtN6thrust23THRUST_200600_302600_NS16discard_iteratorINSD_11use_defaultEEENSD_5minusItEEEE10hipError_tPvRmT2_T3_mT4_P12ihipStream_tbEUlmE_tEESB_NS0_8identityIvEEEESJ_SM_SN_mSO_SQ_bEUlT_E_NS1_11comp_targetILNS1_3genE3ELNS1_11target_archE908ELNS1_3gpuE7ELNS1_3repE0EEENS1_30default_config_static_selectorELNS0_4arch9wavefront6targetE1EEEvT1_.num_named_barrier, 0
	.set _ZN7rocprim17ROCPRIM_400000_NS6detail17trampoline_kernelINS0_14default_configENS1_25transform_config_selectorItLb0EEEZNS1_14transform_implILb0ES3_S5_NS0_18transform_iteratorINS0_17counting_iteratorImlEEZNS1_24adjacent_difference_implIS3_Lb1ELb0EPtN6thrust23THRUST_200600_302600_NS16discard_iteratorINSD_11use_defaultEEENSD_5minusItEEEE10hipError_tPvRmT2_T3_mT4_P12ihipStream_tbEUlmE_tEESB_NS0_8identityIvEEEESJ_SM_SN_mSO_SQ_bEUlT_E_NS1_11comp_targetILNS1_3genE3ELNS1_11target_archE908ELNS1_3gpuE7ELNS1_3repE0EEENS1_30default_config_static_selectorELNS0_4arch9wavefront6targetE1EEEvT1_.private_seg_size, 0
	.set _ZN7rocprim17ROCPRIM_400000_NS6detail17trampoline_kernelINS0_14default_configENS1_25transform_config_selectorItLb0EEEZNS1_14transform_implILb0ES3_S5_NS0_18transform_iteratorINS0_17counting_iteratorImlEEZNS1_24adjacent_difference_implIS3_Lb1ELb0EPtN6thrust23THRUST_200600_302600_NS16discard_iteratorINSD_11use_defaultEEENSD_5minusItEEEE10hipError_tPvRmT2_T3_mT4_P12ihipStream_tbEUlmE_tEESB_NS0_8identityIvEEEESJ_SM_SN_mSO_SQ_bEUlT_E_NS1_11comp_targetILNS1_3genE3ELNS1_11target_archE908ELNS1_3gpuE7ELNS1_3repE0EEENS1_30default_config_static_selectorELNS0_4arch9wavefront6targetE1EEEvT1_.uses_vcc, 0
	.set _ZN7rocprim17ROCPRIM_400000_NS6detail17trampoline_kernelINS0_14default_configENS1_25transform_config_selectorItLb0EEEZNS1_14transform_implILb0ES3_S5_NS0_18transform_iteratorINS0_17counting_iteratorImlEEZNS1_24adjacent_difference_implIS3_Lb1ELb0EPtN6thrust23THRUST_200600_302600_NS16discard_iteratorINSD_11use_defaultEEENSD_5minusItEEEE10hipError_tPvRmT2_T3_mT4_P12ihipStream_tbEUlmE_tEESB_NS0_8identityIvEEEESJ_SM_SN_mSO_SQ_bEUlT_E_NS1_11comp_targetILNS1_3genE3ELNS1_11target_archE908ELNS1_3gpuE7ELNS1_3repE0EEENS1_30default_config_static_selectorELNS0_4arch9wavefront6targetE1EEEvT1_.uses_flat_scratch, 0
	.set _ZN7rocprim17ROCPRIM_400000_NS6detail17trampoline_kernelINS0_14default_configENS1_25transform_config_selectorItLb0EEEZNS1_14transform_implILb0ES3_S5_NS0_18transform_iteratorINS0_17counting_iteratorImlEEZNS1_24adjacent_difference_implIS3_Lb1ELb0EPtN6thrust23THRUST_200600_302600_NS16discard_iteratorINSD_11use_defaultEEENSD_5minusItEEEE10hipError_tPvRmT2_T3_mT4_P12ihipStream_tbEUlmE_tEESB_NS0_8identityIvEEEESJ_SM_SN_mSO_SQ_bEUlT_E_NS1_11comp_targetILNS1_3genE3ELNS1_11target_archE908ELNS1_3gpuE7ELNS1_3repE0EEENS1_30default_config_static_selectorELNS0_4arch9wavefront6targetE1EEEvT1_.has_dyn_sized_stack, 0
	.set _ZN7rocprim17ROCPRIM_400000_NS6detail17trampoline_kernelINS0_14default_configENS1_25transform_config_selectorItLb0EEEZNS1_14transform_implILb0ES3_S5_NS0_18transform_iteratorINS0_17counting_iteratorImlEEZNS1_24adjacent_difference_implIS3_Lb1ELb0EPtN6thrust23THRUST_200600_302600_NS16discard_iteratorINSD_11use_defaultEEENSD_5minusItEEEE10hipError_tPvRmT2_T3_mT4_P12ihipStream_tbEUlmE_tEESB_NS0_8identityIvEEEESJ_SM_SN_mSO_SQ_bEUlT_E_NS1_11comp_targetILNS1_3genE3ELNS1_11target_archE908ELNS1_3gpuE7ELNS1_3repE0EEENS1_30default_config_static_selectorELNS0_4arch9wavefront6targetE1EEEvT1_.has_recursion, 0
	.set _ZN7rocprim17ROCPRIM_400000_NS6detail17trampoline_kernelINS0_14default_configENS1_25transform_config_selectorItLb0EEEZNS1_14transform_implILb0ES3_S5_NS0_18transform_iteratorINS0_17counting_iteratorImlEEZNS1_24adjacent_difference_implIS3_Lb1ELb0EPtN6thrust23THRUST_200600_302600_NS16discard_iteratorINSD_11use_defaultEEENSD_5minusItEEEE10hipError_tPvRmT2_T3_mT4_P12ihipStream_tbEUlmE_tEESB_NS0_8identityIvEEEESJ_SM_SN_mSO_SQ_bEUlT_E_NS1_11comp_targetILNS1_3genE3ELNS1_11target_archE908ELNS1_3gpuE7ELNS1_3repE0EEENS1_30default_config_static_selectorELNS0_4arch9wavefront6targetE1EEEvT1_.has_indirect_call, 0
	.section	.AMDGPU.csdata,"",@progbits
; Kernel info:
; codeLenInByte = 0
; TotalNumSgprs: 4
; NumVgprs: 0
; ScratchSize: 0
; MemoryBound: 0
; FloatMode: 240
; IeeeMode: 1
; LDSByteSize: 0 bytes/workgroup (compile time only)
; SGPRBlocks: 0
; VGPRBlocks: 0
; NumSGPRsForWavesPerEU: 4
; NumVGPRsForWavesPerEU: 1
; Occupancy: 10
; WaveLimiterHint : 0
; COMPUTE_PGM_RSRC2:SCRATCH_EN: 0
; COMPUTE_PGM_RSRC2:USER_SGPR: 6
; COMPUTE_PGM_RSRC2:TRAP_HANDLER: 0
; COMPUTE_PGM_RSRC2:TGID_X_EN: 1
; COMPUTE_PGM_RSRC2:TGID_Y_EN: 0
; COMPUTE_PGM_RSRC2:TGID_Z_EN: 0
; COMPUTE_PGM_RSRC2:TIDIG_COMP_CNT: 0
	.section	.text._ZN7rocprim17ROCPRIM_400000_NS6detail17trampoline_kernelINS0_14default_configENS1_25transform_config_selectorItLb0EEEZNS1_14transform_implILb0ES3_S5_NS0_18transform_iteratorINS0_17counting_iteratorImlEEZNS1_24adjacent_difference_implIS3_Lb1ELb0EPtN6thrust23THRUST_200600_302600_NS16discard_iteratorINSD_11use_defaultEEENSD_5minusItEEEE10hipError_tPvRmT2_T3_mT4_P12ihipStream_tbEUlmE_tEESB_NS0_8identityIvEEEESJ_SM_SN_mSO_SQ_bEUlT_E_NS1_11comp_targetILNS1_3genE2ELNS1_11target_archE906ELNS1_3gpuE6ELNS1_3repE0EEENS1_30default_config_static_selectorELNS0_4arch9wavefront6targetE1EEEvT1_,"axG",@progbits,_ZN7rocprim17ROCPRIM_400000_NS6detail17trampoline_kernelINS0_14default_configENS1_25transform_config_selectorItLb0EEEZNS1_14transform_implILb0ES3_S5_NS0_18transform_iteratorINS0_17counting_iteratorImlEEZNS1_24adjacent_difference_implIS3_Lb1ELb0EPtN6thrust23THRUST_200600_302600_NS16discard_iteratorINSD_11use_defaultEEENSD_5minusItEEEE10hipError_tPvRmT2_T3_mT4_P12ihipStream_tbEUlmE_tEESB_NS0_8identityIvEEEESJ_SM_SN_mSO_SQ_bEUlT_E_NS1_11comp_targetILNS1_3genE2ELNS1_11target_archE906ELNS1_3gpuE6ELNS1_3repE0EEENS1_30default_config_static_selectorELNS0_4arch9wavefront6targetE1EEEvT1_,comdat
	.protected	_ZN7rocprim17ROCPRIM_400000_NS6detail17trampoline_kernelINS0_14default_configENS1_25transform_config_selectorItLb0EEEZNS1_14transform_implILb0ES3_S5_NS0_18transform_iteratorINS0_17counting_iteratorImlEEZNS1_24adjacent_difference_implIS3_Lb1ELb0EPtN6thrust23THRUST_200600_302600_NS16discard_iteratorINSD_11use_defaultEEENSD_5minusItEEEE10hipError_tPvRmT2_T3_mT4_P12ihipStream_tbEUlmE_tEESB_NS0_8identityIvEEEESJ_SM_SN_mSO_SQ_bEUlT_E_NS1_11comp_targetILNS1_3genE2ELNS1_11target_archE906ELNS1_3gpuE6ELNS1_3repE0EEENS1_30default_config_static_selectorELNS0_4arch9wavefront6targetE1EEEvT1_ ; -- Begin function _ZN7rocprim17ROCPRIM_400000_NS6detail17trampoline_kernelINS0_14default_configENS1_25transform_config_selectorItLb0EEEZNS1_14transform_implILb0ES3_S5_NS0_18transform_iteratorINS0_17counting_iteratorImlEEZNS1_24adjacent_difference_implIS3_Lb1ELb0EPtN6thrust23THRUST_200600_302600_NS16discard_iteratorINSD_11use_defaultEEENSD_5minusItEEEE10hipError_tPvRmT2_T3_mT4_P12ihipStream_tbEUlmE_tEESB_NS0_8identityIvEEEESJ_SM_SN_mSO_SQ_bEUlT_E_NS1_11comp_targetILNS1_3genE2ELNS1_11target_archE906ELNS1_3gpuE6ELNS1_3repE0EEENS1_30default_config_static_selectorELNS0_4arch9wavefront6targetE1EEEvT1_
	.globl	_ZN7rocprim17ROCPRIM_400000_NS6detail17trampoline_kernelINS0_14default_configENS1_25transform_config_selectorItLb0EEEZNS1_14transform_implILb0ES3_S5_NS0_18transform_iteratorINS0_17counting_iteratorImlEEZNS1_24adjacent_difference_implIS3_Lb1ELb0EPtN6thrust23THRUST_200600_302600_NS16discard_iteratorINSD_11use_defaultEEENSD_5minusItEEEE10hipError_tPvRmT2_T3_mT4_P12ihipStream_tbEUlmE_tEESB_NS0_8identityIvEEEESJ_SM_SN_mSO_SQ_bEUlT_E_NS1_11comp_targetILNS1_3genE2ELNS1_11target_archE906ELNS1_3gpuE6ELNS1_3repE0EEENS1_30default_config_static_selectorELNS0_4arch9wavefront6targetE1EEEvT1_
	.p2align	8
	.type	_ZN7rocprim17ROCPRIM_400000_NS6detail17trampoline_kernelINS0_14default_configENS1_25transform_config_selectorItLb0EEEZNS1_14transform_implILb0ES3_S5_NS0_18transform_iteratorINS0_17counting_iteratorImlEEZNS1_24adjacent_difference_implIS3_Lb1ELb0EPtN6thrust23THRUST_200600_302600_NS16discard_iteratorINSD_11use_defaultEEENSD_5minusItEEEE10hipError_tPvRmT2_T3_mT4_P12ihipStream_tbEUlmE_tEESB_NS0_8identityIvEEEESJ_SM_SN_mSO_SQ_bEUlT_E_NS1_11comp_targetILNS1_3genE2ELNS1_11target_archE906ELNS1_3gpuE6ELNS1_3repE0EEENS1_30default_config_static_selectorELNS0_4arch9wavefront6targetE1EEEvT1_,@function
_ZN7rocprim17ROCPRIM_400000_NS6detail17trampoline_kernelINS0_14default_configENS1_25transform_config_selectorItLb0EEEZNS1_14transform_implILb0ES3_S5_NS0_18transform_iteratorINS0_17counting_iteratorImlEEZNS1_24adjacent_difference_implIS3_Lb1ELb0EPtN6thrust23THRUST_200600_302600_NS16discard_iteratorINSD_11use_defaultEEENSD_5minusItEEEE10hipError_tPvRmT2_T3_mT4_P12ihipStream_tbEUlmE_tEESB_NS0_8identityIvEEEESJ_SM_SN_mSO_SQ_bEUlT_E_NS1_11comp_targetILNS1_3genE2ELNS1_11target_archE906ELNS1_3gpuE6ELNS1_3repE0EEENS1_30default_config_static_selectorELNS0_4arch9wavefront6targetE1EEEvT1_: ; @_ZN7rocprim17ROCPRIM_400000_NS6detail17trampoline_kernelINS0_14default_configENS1_25transform_config_selectorItLb0EEEZNS1_14transform_implILb0ES3_S5_NS0_18transform_iteratorINS0_17counting_iteratorImlEEZNS1_24adjacent_difference_implIS3_Lb1ELb0EPtN6thrust23THRUST_200600_302600_NS16discard_iteratorINSD_11use_defaultEEENSD_5minusItEEEE10hipError_tPvRmT2_T3_mT4_P12ihipStream_tbEUlmE_tEESB_NS0_8identityIvEEEESJ_SM_SN_mSO_SQ_bEUlT_E_NS1_11comp_targetILNS1_3genE2ELNS1_11target_archE906ELNS1_3gpuE6ELNS1_3repE0EEENS1_30default_config_static_selectorELNS0_4arch9wavefront6targetE1EEEvT1_
; %bb.0:
	s_load_dwordx4 s[0:3], s[4:5], 0x18
	s_load_dwordx2 s[12:13], s[4:5], 0x28
	s_load_dwordx4 s[8:11], s[4:5], 0x0
	s_load_dword s14, s[4:5], 0x10
	s_waitcnt lgkmcnt(0)
	s_load_dword s3, s[4:5], 0x38
                                        ; kill: killed $sgpr4_sgpr5
	s_lshl_b64 s[4:5], s[0:1], 1
	s_add_u32 s18, s12, s4
	s_addc_u32 s19, s13, s5
	s_lshl_b32 s12, s6, 11
	s_waitcnt lgkmcnt(0)
	s_add_i32 s3, s3, -1
	s_add_u32 s4, s8, s12
	s_addc_u32 s5, s9, 0
	s_add_u32 s20, s4, s0
	s_addc_u32 s21, s5, s1
	s_mov_b32 s13, 0
	s_cmp_lg_u32 s6, s3
	v_lshlrev_b32_e32 v5, 1, v0
	s_cbranch_scc0 .LBB845_2
; %bb.1:
	v_mov_b32_e32 v1, s21
	v_add_co_u32_e32 v2, vcc, s20, v0
	v_addc_co_u32_e32 v3, vcc, 0, v1, vcc
	v_mad_u64_u32 v[1:2], s[0:1], v2, s14, 0
	s_mov_b32 s15, s13
	s_lshl_b64 s[4:5], s[12:13], 1
	v_mad_u64_u32 v[2:3], s[0:1], v3, s14, v[2:3]
	v_mov_b32_e32 v3, s11
	s_lshl_b64 s[0:1], s[14:15], 10
	v_lshlrev_b64 v[1:2], 1, v[1:2]
	v_mov_b32_e32 v8, s1
	v_add_co_u32_e32 v1, vcc, s10, v1
	v_addc_co_u32_e32 v2, vcc, v3, v2, vcc
	v_add_co_u32_e32 v3, vcc, s0, v1
	v_addc_co_u32_e32 v4, vcc, v2, v8, vcc
	;; [unrolled: 2-line block ×3, first 2 shown]
	global_load_ushort v9, v[1:2], off
	global_load_ushort v10, v[3:4], off
	;; [unrolled: 1-line block ×3, first 2 shown]
	v_add_co_u32_e32 v1, vcc, s0, v6
	v_addc_co_u32_e32 v2, vcc, v7, v8, vcc
	global_load_ushort v1, v[1:2], off
	s_add_u32 s4, s18, s4
	s_addc_u32 s5, s19, s5
	v_mov_b32_e32 v2, s5
	v_add_co_u32_e32 v3, vcc, s4, v5
	v_addc_co_u32_e32 v4, vcc, 0, v2, vcc
	s_mov_b64 s[8:9], -1
	s_waitcnt vmcnt(3)
	global_store_short v5, v9, s[4:5]
	s_waitcnt vmcnt(3)
	global_store_short v5, v10, s[4:5] offset:1024
	s_waitcnt vmcnt(3)
	global_store_short v5, v11, s[4:5] offset:2048
	s_cbranch_execz .LBB845_3
	s_branch .LBB845_17
.LBB845_2:
	s_mov_b64 s[8:9], 0
                                        ; implicit-def: $vgpr1
                                        ; implicit-def: $vgpr3_vgpr4
.LBB845_3:
	s_sub_i32 s15, s2, s12
	s_waitcnt vmcnt(3)
	v_mov_b32_e32 v1, 0
	v_cmp_gt_u32_e32 vcc, s15, v0
	v_mov_b32_e32 v2, v1
	s_and_saveexec_b64 s[2:3], vcc
	s_cbranch_execz .LBB845_5
; %bb.4:
	v_mov_b32_e32 v2, s21
	v_add_co_u32_e64 v3, s[0:1], s20, v0
	v_addc_co_u32_e64 v4, s[0:1], 0, v2, s[0:1]
	v_mad_u64_u32 v[2:3], s[0:1], v3, s14, 0
	v_mad_u64_u32 v[3:4], s[0:1], v4, s14, v[3:4]
	v_mov_b32_e32 v4, s11
	v_lshlrev_b64 v[2:3], 1, v[2:3]
	v_add_co_u32_e64 v2, s[0:1], s10, v2
	v_addc_co_u32_e64 v3, s[0:1], v4, v3, s[0:1]
	global_load_ushort v2, v[2:3], off
	v_mov_b32_e32 v3, v1
	s_waitcnt vmcnt(0)
	v_and_b32_e32 v2, 0xffff, v2
	v_mov_b32_e32 v1, v2
	v_mov_b32_e32 v2, v3
.LBB845_5:
	s_or_b64 exec, exec, s[2:3]
	v_or_b32_e32 v3, 0x200, v0
	v_cmp_gt_u32_e64 s[0:1], s15, v3
	s_and_saveexec_b64 s[4:5], s[0:1]
	s_cbranch_execz .LBB845_7
; %bb.6:
	v_mov_b32_e32 v4, s21
	v_add_co_u32_e64 v3, s[2:3], s20, v3
	v_addc_co_u32_e64 v6, s[2:3], 0, v4, s[2:3]
	v_mad_u64_u32 v[3:4], s[2:3], v3, s14, 0
	v_mad_u64_u32 v[6:7], s[2:3], v6, s14, v[4:5]
	v_mov_b32_e32 v4, v6
	v_lshlrev_b64 v[3:4], 1, v[3:4]
	v_mov_b32_e32 v6, s11
	v_add_co_u32_e64 v3, s[2:3], s10, v3
	v_addc_co_u32_e64 v4, s[2:3], v6, v4, s[2:3]
	global_load_ushort v3, v[3:4], off
	s_mov_b32 s2, 0x5040100
	s_waitcnt vmcnt(0)
	v_perm_b32 v1, v3, v1, s2
.LBB845_7:
	s_or_b64 exec, exec, s[4:5]
	v_or_b32_e32 v3, 0x400, v0
	v_cmp_gt_u32_e64 s[2:3], s15, v3
	s_and_saveexec_b64 s[6:7], s[2:3]
	s_cbranch_execz .LBB845_9
; %bb.8:
	v_mov_b32_e32 v4, s21
	v_add_co_u32_e64 v3, s[4:5], s20, v3
	v_addc_co_u32_e64 v6, s[4:5], 0, v4, s[4:5]
	v_mad_u64_u32 v[3:4], s[4:5], v3, s14, 0
	v_mad_u64_u32 v[6:7], s[4:5], v6, s14, v[4:5]
	v_mov_b32_e32 v4, v6
	v_lshlrev_b64 v[3:4], 1, v[3:4]
	v_mov_b32_e32 v6, s11
	v_add_co_u32_e64 v3, s[4:5], s10, v3
	v_addc_co_u32_e64 v4, s[4:5], v6, v4, s[4:5]
	global_load_ushort v3, v[3:4], off
	s_mov_b32 s4, 0xffff
	s_waitcnt vmcnt(0)
	v_bfi_b32 v2, s4, v3, v2
.LBB845_9:
	s_or_b64 exec, exec, s[6:7]
	v_or_b32_e32 v0, 0x600, v0
	v_cmp_gt_u32_e64 s[4:5], s15, v0
	s_and_saveexec_b64 s[16:17], s[4:5]
	s_cbranch_execz .LBB845_11
; %bb.10:
	v_mov_b32_e32 v3, s21
	v_add_co_u32_e64 v0, s[6:7], s20, v0
	v_addc_co_u32_e64 v6, s[6:7], 0, v3, s[6:7]
	v_mad_u64_u32 v[3:4], s[6:7], v0, s14, 0
	v_mov_b32_e32 v0, v4
	v_mad_u64_u32 v[6:7], s[6:7], v6, s14, v[0:1]
	v_mov_b32_e32 v0, s11
	v_mov_b32_e32 v4, v6
	v_lshlrev_b64 v[3:4], 1, v[3:4]
	v_add_co_u32_e64 v3, s[6:7], s10, v3
	v_addc_co_u32_e64 v4, s[6:7], v0, v4, s[6:7]
	global_load_ushort v0, v[3:4], off
	s_mov_b32 s6, 0x5040100
	s_waitcnt vmcnt(0)
	v_perm_b32 v2, v0, v2, s6
.LBB845_11:
	s_or_b64 exec, exec, s[16:17]
	s_lshl_b64 s[6:7], s[12:13], 1
	s_add_u32 s6, s18, s6
	s_addc_u32 s7, s19, s7
	v_mov_b32_e32 v0, 0
	v_mov_b32_e32 v4, s7
	v_add_co_u32_e64 v3, s[6:7], s6, v5
	v_cndmask_b32_sdwa v0, v0, v1, vcc dst_sel:DWORD dst_unused:UNUSED_PAD src0_sel:DWORD src1_sel:WORD_0
	v_addc_co_u32_e64 v4, s[6:7], 0, v4, s[6:7]
	s_and_saveexec_b64 s[6:7], vcc
	s_cbranch_execnz .LBB845_20
; %bb.12:
	s_or_b64 exec, exec, s[6:7]
	v_cndmask_b32_e64 v0, v0, v1, s[0:1]
	s_and_saveexec_b64 s[6:7], s[0:1]
	s_cbranch_execnz .LBB845_21
.LBB845_13:
	s_or_b64 exec, exec, s[6:7]
	s_and_saveexec_b64 s[0:1], s[2:3]
	s_cbranch_execnz .LBB845_22
.LBB845_14:
	s_or_b64 exec, exec, s[0:1]
                                        ; implicit-def: $vgpr1
	s_and_saveexec_b64 s[0:1], s[4:5]
.LBB845_15:
	v_cndmask_b32_e64 v0, 0, v2, s[4:5]
	v_lshrrev_b32_e32 v1, 16, v0
	s_or_b64 s[8:9], s[8:9], exec
.LBB845_16:
	s_or_b64 exec, exec, s[0:1]
.LBB845_17:
	s_and_saveexec_b64 s[0:1], s[8:9]
	s_cbranch_execnz .LBB845_19
; %bb.18:
	s_endpgm
.LBB845_19:
	s_waitcnt vmcnt(3)
	global_store_short v[3:4], v1, off offset:3072
	s_endpgm
.LBB845_20:
	global_store_short v[3:4], v0, off
	s_or_b64 exec, exec, s[6:7]
	v_cndmask_b32_e64 v0, v0, v1, s[0:1]
	s_and_saveexec_b64 s[6:7], s[0:1]
	s_cbranch_execz .LBB845_13
.LBB845_21:
	global_store_short_d16_hi v[3:4], v0, off offset:1024
	s_or_b64 exec, exec, s[6:7]
	s_and_saveexec_b64 s[0:1], s[2:3]
	s_cbranch_execz .LBB845_14
.LBB845_22:
	v_cndmask_b32_e64 v0, 0, v2, s[2:3]
	global_store_short v[3:4], v0, off offset:2048
	s_or_b64 exec, exec, s[0:1]
                                        ; implicit-def: $vgpr1
	s_and_saveexec_b64 s[0:1], s[4:5]
	s_cbranch_execnz .LBB845_15
	s_branch .LBB845_16
	.section	.rodata,"a",@progbits
	.p2align	6, 0x0
	.amdhsa_kernel _ZN7rocprim17ROCPRIM_400000_NS6detail17trampoline_kernelINS0_14default_configENS1_25transform_config_selectorItLb0EEEZNS1_14transform_implILb0ES3_S5_NS0_18transform_iteratorINS0_17counting_iteratorImlEEZNS1_24adjacent_difference_implIS3_Lb1ELb0EPtN6thrust23THRUST_200600_302600_NS16discard_iteratorINSD_11use_defaultEEENSD_5minusItEEEE10hipError_tPvRmT2_T3_mT4_P12ihipStream_tbEUlmE_tEESB_NS0_8identityIvEEEESJ_SM_SN_mSO_SQ_bEUlT_E_NS1_11comp_targetILNS1_3genE2ELNS1_11target_archE906ELNS1_3gpuE6ELNS1_3repE0EEENS1_30default_config_static_selectorELNS0_4arch9wavefront6targetE1EEEvT1_
		.amdhsa_group_segment_fixed_size 0
		.amdhsa_private_segment_fixed_size 0
		.amdhsa_kernarg_size 312
		.amdhsa_user_sgpr_count 6
		.amdhsa_user_sgpr_private_segment_buffer 1
		.amdhsa_user_sgpr_dispatch_ptr 0
		.amdhsa_user_sgpr_queue_ptr 0
		.amdhsa_user_sgpr_kernarg_segment_ptr 1
		.amdhsa_user_sgpr_dispatch_id 0
		.amdhsa_user_sgpr_flat_scratch_init 0
		.amdhsa_user_sgpr_private_segment_size 0
		.amdhsa_uses_dynamic_stack 0
		.amdhsa_system_sgpr_private_segment_wavefront_offset 0
		.amdhsa_system_sgpr_workgroup_id_x 1
		.amdhsa_system_sgpr_workgroup_id_y 0
		.amdhsa_system_sgpr_workgroup_id_z 0
		.amdhsa_system_sgpr_workgroup_info 0
		.amdhsa_system_vgpr_workitem_id 0
		.amdhsa_next_free_vgpr 12
		.amdhsa_next_free_sgpr 22
		.amdhsa_reserve_vcc 1
		.amdhsa_reserve_flat_scratch 0
		.amdhsa_float_round_mode_32 0
		.amdhsa_float_round_mode_16_64 0
		.amdhsa_float_denorm_mode_32 3
		.amdhsa_float_denorm_mode_16_64 3
		.amdhsa_dx10_clamp 1
		.amdhsa_ieee_mode 1
		.amdhsa_fp16_overflow 0
		.amdhsa_exception_fp_ieee_invalid_op 0
		.amdhsa_exception_fp_denorm_src 0
		.amdhsa_exception_fp_ieee_div_zero 0
		.amdhsa_exception_fp_ieee_overflow 0
		.amdhsa_exception_fp_ieee_underflow 0
		.amdhsa_exception_fp_ieee_inexact 0
		.amdhsa_exception_int_div_zero 0
	.end_amdhsa_kernel
	.section	.text._ZN7rocprim17ROCPRIM_400000_NS6detail17trampoline_kernelINS0_14default_configENS1_25transform_config_selectorItLb0EEEZNS1_14transform_implILb0ES3_S5_NS0_18transform_iteratorINS0_17counting_iteratorImlEEZNS1_24adjacent_difference_implIS3_Lb1ELb0EPtN6thrust23THRUST_200600_302600_NS16discard_iteratorINSD_11use_defaultEEENSD_5minusItEEEE10hipError_tPvRmT2_T3_mT4_P12ihipStream_tbEUlmE_tEESB_NS0_8identityIvEEEESJ_SM_SN_mSO_SQ_bEUlT_E_NS1_11comp_targetILNS1_3genE2ELNS1_11target_archE906ELNS1_3gpuE6ELNS1_3repE0EEENS1_30default_config_static_selectorELNS0_4arch9wavefront6targetE1EEEvT1_,"axG",@progbits,_ZN7rocprim17ROCPRIM_400000_NS6detail17trampoline_kernelINS0_14default_configENS1_25transform_config_selectorItLb0EEEZNS1_14transform_implILb0ES3_S5_NS0_18transform_iteratorINS0_17counting_iteratorImlEEZNS1_24adjacent_difference_implIS3_Lb1ELb0EPtN6thrust23THRUST_200600_302600_NS16discard_iteratorINSD_11use_defaultEEENSD_5minusItEEEE10hipError_tPvRmT2_T3_mT4_P12ihipStream_tbEUlmE_tEESB_NS0_8identityIvEEEESJ_SM_SN_mSO_SQ_bEUlT_E_NS1_11comp_targetILNS1_3genE2ELNS1_11target_archE906ELNS1_3gpuE6ELNS1_3repE0EEENS1_30default_config_static_selectorELNS0_4arch9wavefront6targetE1EEEvT1_,comdat
.Lfunc_end845:
	.size	_ZN7rocprim17ROCPRIM_400000_NS6detail17trampoline_kernelINS0_14default_configENS1_25transform_config_selectorItLb0EEEZNS1_14transform_implILb0ES3_S5_NS0_18transform_iteratorINS0_17counting_iteratorImlEEZNS1_24adjacent_difference_implIS3_Lb1ELb0EPtN6thrust23THRUST_200600_302600_NS16discard_iteratorINSD_11use_defaultEEENSD_5minusItEEEE10hipError_tPvRmT2_T3_mT4_P12ihipStream_tbEUlmE_tEESB_NS0_8identityIvEEEESJ_SM_SN_mSO_SQ_bEUlT_E_NS1_11comp_targetILNS1_3genE2ELNS1_11target_archE906ELNS1_3gpuE6ELNS1_3repE0EEENS1_30default_config_static_selectorELNS0_4arch9wavefront6targetE1EEEvT1_, .Lfunc_end845-_ZN7rocprim17ROCPRIM_400000_NS6detail17trampoline_kernelINS0_14default_configENS1_25transform_config_selectorItLb0EEEZNS1_14transform_implILb0ES3_S5_NS0_18transform_iteratorINS0_17counting_iteratorImlEEZNS1_24adjacent_difference_implIS3_Lb1ELb0EPtN6thrust23THRUST_200600_302600_NS16discard_iteratorINSD_11use_defaultEEENSD_5minusItEEEE10hipError_tPvRmT2_T3_mT4_P12ihipStream_tbEUlmE_tEESB_NS0_8identityIvEEEESJ_SM_SN_mSO_SQ_bEUlT_E_NS1_11comp_targetILNS1_3genE2ELNS1_11target_archE906ELNS1_3gpuE6ELNS1_3repE0EEENS1_30default_config_static_selectorELNS0_4arch9wavefront6targetE1EEEvT1_
                                        ; -- End function
	.set _ZN7rocprim17ROCPRIM_400000_NS6detail17trampoline_kernelINS0_14default_configENS1_25transform_config_selectorItLb0EEEZNS1_14transform_implILb0ES3_S5_NS0_18transform_iteratorINS0_17counting_iteratorImlEEZNS1_24adjacent_difference_implIS3_Lb1ELb0EPtN6thrust23THRUST_200600_302600_NS16discard_iteratorINSD_11use_defaultEEENSD_5minusItEEEE10hipError_tPvRmT2_T3_mT4_P12ihipStream_tbEUlmE_tEESB_NS0_8identityIvEEEESJ_SM_SN_mSO_SQ_bEUlT_E_NS1_11comp_targetILNS1_3genE2ELNS1_11target_archE906ELNS1_3gpuE6ELNS1_3repE0EEENS1_30default_config_static_selectorELNS0_4arch9wavefront6targetE1EEEvT1_.num_vgpr, 12
	.set _ZN7rocprim17ROCPRIM_400000_NS6detail17trampoline_kernelINS0_14default_configENS1_25transform_config_selectorItLb0EEEZNS1_14transform_implILb0ES3_S5_NS0_18transform_iteratorINS0_17counting_iteratorImlEEZNS1_24adjacent_difference_implIS3_Lb1ELb0EPtN6thrust23THRUST_200600_302600_NS16discard_iteratorINSD_11use_defaultEEENSD_5minusItEEEE10hipError_tPvRmT2_T3_mT4_P12ihipStream_tbEUlmE_tEESB_NS0_8identityIvEEEESJ_SM_SN_mSO_SQ_bEUlT_E_NS1_11comp_targetILNS1_3genE2ELNS1_11target_archE906ELNS1_3gpuE6ELNS1_3repE0EEENS1_30default_config_static_selectorELNS0_4arch9wavefront6targetE1EEEvT1_.num_agpr, 0
	.set _ZN7rocprim17ROCPRIM_400000_NS6detail17trampoline_kernelINS0_14default_configENS1_25transform_config_selectorItLb0EEEZNS1_14transform_implILb0ES3_S5_NS0_18transform_iteratorINS0_17counting_iteratorImlEEZNS1_24adjacent_difference_implIS3_Lb1ELb0EPtN6thrust23THRUST_200600_302600_NS16discard_iteratorINSD_11use_defaultEEENSD_5minusItEEEE10hipError_tPvRmT2_T3_mT4_P12ihipStream_tbEUlmE_tEESB_NS0_8identityIvEEEESJ_SM_SN_mSO_SQ_bEUlT_E_NS1_11comp_targetILNS1_3genE2ELNS1_11target_archE906ELNS1_3gpuE6ELNS1_3repE0EEENS1_30default_config_static_selectorELNS0_4arch9wavefront6targetE1EEEvT1_.numbered_sgpr, 22
	.set _ZN7rocprim17ROCPRIM_400000_NS6detail17trampoline_kernelINS0_14default_configENS1_25transform_config_selectorItLb0EEEZNS1_14transform_implILb0ES3_S5_NS0_18transform_iteratorINS0_17counting_iteratorImlEEZNS1_24adjacent_difference_implIS3_Lb1ELb0EPtN6thrust23THRUST_200600_302600_NS16discard_iteratorINSD_11use_defaultEEENSD_5minusItEEEE10hipError_tPvRmT2_T3_mT4_P12ihipStream_tbEUlmE_tEESB_NS0_8identityIvEEEESJ_SM_SN_mSO_SQ_bEUlT_E_NS1_11comp_targetILNS1_3genE2ELNS1_11target_archE906ELNS1_3gpuE6ELNS1_3repE0EEENS1_30default_config_static_selectorELNS0_4arch9wavefront6targetE1EEEvT1_.num_named_barrier, 0
	.set _ZN7rocprim17ROCPRIM_400000_NS6detail17trampoline_kernelINS0_14default_configENS1_25transform_config_selectorItLb0EEEZNS1_14transform_implILb0ES3_S5_NS0_18transform_iteratorINS0_17counting_iteratorImlEEZNS1_24adjacent_difference_implIS3_Lb1ELb0EPtN6thrust23THRUST_200600_302600_NS16discard_iteratorINSD_11use_defaultEEENSD_5minusItEEEE10hipError_tPvRmT2_T3_mT4_P12ihipStream_tbEUlmE_tEESB_NS0_8identityIvEEEESJ_SM_SN_mSO_SQ_bEUlT_E_NS1_11comp_targetILNS1_3genE2ELNS1_11target_archE906ELNS1_3gpuE6ELNS1_3repE0EEENS1_30default_config_static_selectorELNS0_4arch9wavefront6targetE1EEEvT1_.private_seg_size, 0
	.set _ZN7rocprim17ROCPRIM_400000_NS6detail17trampoline_kernelINS0_14default_configENS1_25transform_config_selectorItLb0EEEZNS1_14transform_implILb0ES3_S5_NS0_18transform_iteratorINS0_17counting_iteratorImlEEZNS1_24adjacent_difference_implIS3_Lb1ELb0EPtN6thrust23THRUST_200600_302600_NS16discard_iteratorINSD_11use_defaultEEENSD_5minusItEEEE10hipError_tPvRmT2_T3_mT4_P12ihipStream_tbEUlmE_tEESB_NS0_8identityIvEEEESJ_SM_SN_mSO_SQ_bEUlT_E_NS1_11comp_targetILNS1_3genE2ELNS1_11target_archE906ELNS1_3gpuE6ELNS1_3repE0EEENS1_30default_config_static_selectorELNS0_4arch9wavefront6targetE1EEEvT1_.uses_vcc, 1
	.set _ZN7rocprim17ROCPRIM_400000_NS6detail17trampoline_kernelINS0_14default_configENS1_25transform_config_selectorItLb0EEEZNS1_14transform_implILb0ES3_S5_NS0_18transform_iteratorINS0_17counting_iteratorImlEEZNS1_24adjacent_difference_implIS3_Lb1ELb0EPtN6thrust23THRUST_200600_302600_NS16discard_iteratorINSD_11use_defaultEEENSD_5minusItEEEE10hipError_tPvRmT2_T3_mT4_P12ihipStream_tbEUlmE_tEESB_NS0_8identityIvEEEESJ_SM_SN_mSO_SQ_bEUlT_E_NS1_11comp_targetILNS1_3genE2ELNS1_11target_archE906ELNS1_3gpuE6ELNS1_3repE0EEENS1_30default_config_static_selectorELNS0_4arch9wavefront6targetE1EEEvT1_.uses_flat_scratch, 0
	.set _ZN7rocprim17ROCPRIM_400000_NS6detail17trampoline_kernelINS0_14default_configENS1_25transform_config_selectorItLb0EEEZNS1_14transform_implILb0ES3_S5_NS0_18transform_iteratorINS0_17counting_iteratorImlEEZNS1_24adjacent_difference_implIS3_Lb1ELb0EPtN6thrust23THRUST_200600_302600_NS16discard_iteratorINSD_11use_defaultEEENSD_5minusItEEEE10hipError_tPvRmT2_T3_mT4_P12ihipStream_tbEUlmE_tEESB_NS0_8identityIvEEEESJ_SM_SN_mSO_SQ_bEUlT_E_NS1_11comp_targetILNS1_3genE2ELNS1_11target_archE906ELNS1_3gpuE6ELNS1_3repE0EEENS1_30default_config_static_selectorELNS0_4arch9wavefront6targetE1EEEvT1_.has_dyn_sized_stack, 0
	.set _ZN7rocprim17ROCPRIM_400000_NS6detail17trampoline_kernelINS0_14default_configENS1_25transform_config_selectorItLb0EEEZNS1_14transform_implILb0ES3_S5_NS0_18transform_iteratorINS0_17counting_iteratorImlEEZNS1_24adjacent_difference_implIS3_Lb1ELb0EPtN6thrust23THRUST_200600_302600_NS16discard_iteratorINSD_11use_defaultEEENSD_5minusItEEEE10hipError_tPvRmT2_T3_mT4_P12ihipStream_tbEUlmE_tEESB_NS0_8identityIvEEEESJ_SM_SN_mSO_SQ_bEUlT_E_NS1_11comp_targetILNS1_3genE2ELNS1_11target_archE906ELNS1_3gpuE6ELNS1_3repE0EEENS1_30default_config_static_selectorELNS0_4arch9wavefront6targetE1EEEvT1_.has_recursion, 0
	.set _ZN7rocprim17ROCPRIM_400000_NS6detail17trampoline_kernelINS0_14default_configENS1_25transform_config_selectorItLb0EEEZNS1_14transform_implILb0ES3_S5_NS0_18transform_iteratorINS0_17counting_iteratorImlEEZNS1_24adjacent_difference_implIS3_Lb1ELb0EPtN6thrust23THRUST_200600_302600_NS16discard_iteratorINSD_11use_defaultEEENSD_5minusItEEEE10hipError_tPvRmT2_T3_mT4_P12ihipStream_tbEUlmE_tEESB_NS0_8identityIvEEEESJ_SM_SN_mSO_SQ_bEUlT_E_NS1_11comp_targetILNS1_3genE2ELNS1_11target_archE906ELNS1_3gpuE6ELNS1_3repE0EEENS1_30default_config_static_selectorELNS0_4arch9wavefront6targetE1EEEvT1_.has_indirect_call, 0
	.section	.AMDGPU.csdata,"",@progbits
; Kernel info:
; codeLenInByte = 1016
; TotalNumSgprs: 26
; NumVgprs: 12
; ScratchSize: 0
; MemoryBound: 0
; FloatMode: 240
; IeeeMode: 1
; LDSByteSize: 0 bytes/workgroup (compile time only)
; SGPRBlocks: 3
; VGPRBlocks: 2
; NumSGPRsForWavesPerEU: 26
; NumVGPRsForWavesPerEU: 12
; Occupancy: 10
; WaveLimiterHint : 1
; COMPUTE_PGM_RSRC2:SCRATCH_EN: 0
; COMPUTE_PGM_RSRC2:USER_SGPR: 6
; COMPUTE_PGM_RSRC2:TRAP_HANDLER: 0
; COMPUTE_PGM_RSRC2:TGID_X_EN: 1
; COMPUTE_PGM_RSRC2:TGID_Y_EN: 0
; COMPUTE_PGM_RSRC2:TGID_Z_EN: 0
; COMPUTE_PGM_RSRC2:TIDIG_COMP_CNT: 0
	.section	.text._ZN7rocprim17ROCPRIM_400000_NS6detail17trampoline_kernelINS0_14default_configENS1_25transform_config_selectorItLb0EEEZNS1_14transform_implILb0ES3_S5_NS0_18transform_iteratorINS0_17counting_iteratorImlEEZNS1_24adjacent_difference_implIS3_Lb1ELb0EPtN6thrust23THRUST_200600_302600_NS16discard_iteratorINSD_11use_defaultEEENSD_5minusItEEEE10hipError_tPvRmT2_T3_mT4_P12ihipStream_tbEUlmE_tEESB_NS0_8identityIvEEEESJ_SM_SN_mSO_SQ_bEUlT_E_NS1_11comp_targetILNS1_3genE10ELNS1_11target_archE1201ELNS1_3gpuE5ELNS1_3repE0EEENS1_30default_config_static_selectorELNS0_4arch9wavefront6targetE1EEEvT1_,"axG",@progbits,_ZN7rocprim17ROCPRIM_400000_NS6detail17trampoline_kernelINS0_14default_configENS1_25transform_config_selectorItLb0EEEZNS1_14transform_implILb0ES3_S5_NS0_18transform_iteratorINS0_17counting_iteratorImlEEZNS1_24adjacent_difference_implIS3_Lb1ELb0EPtN6thrust23THRUST_200600_302600_NS16discard_iteratorINSD_11use_defaultEEENSD_5minusItEEEE10hipError_tPvRmT2_T3_mT4_P12ihipStream_tbEUlmE_tEESB_NS0_8identityIvEEEESJ_SM_SN_mSO_SQ_bEUlT_E_NS1_11comp_targetILNS1_3genE10ELNS1_11target_archE1201ELNS1_3gpuE5ELNS1_3repE0EEENS1_30default_config_static_selectorELNS0_4arch9wavefront6targetE1EEEvT1_,comdat
	.protected	_ZN7rocprim17ROCPRIM_400000_NS6detail17trampoline_kernelINS0_14default_configENS1_25transform_config_selectorItLb0EEEZNS1_14transform_implILb0ES3_S5_NS0_18transform_iteratorINS0_17counting_iteratorImlEEZNS1_24adjacent_difference_implIS3_Lb1ELb0EPtN6thrust23THRUST_200600_302600_NS16discard_iteratorINSD_11use_defaultEEENSD_5minusItEEEE10hipError_tPvRmT2_T3_mT4_P12ihipStream_tbEUlmE_tEESB_NS0_8identityIvEEEESJ_SM_SN_mSO_SQ_bEUlT_E_NS1_11comp_targetILNS1_3genE10ELNS1_11target_archE1201ELNS1_3gpuE5ELNS1_3repE0EEENS1_30default_config_static_selectorELNS0_4arch9wavefront6targetE1EEEvT1_ ; -- Begin function _ZN7rocprim17ROCPRIM_400000_NS6detail17trampoline_kernelINS0_14default_configENS1_25transform_config_selectorItLb0EEEZNS1_14transform_implILb0ES3_S5_NS0_18transform_iteratorINS0_17counting_iteratorImlEEZNS1_24adjacent_difference_implIS3_Lb1ELb0EPtN6thrust23THRUST_200600_302600_NS16discard_iteratorINSD_11use_defaultEEENSD_5minusItEEEE10hipError_tPvRmT2_T3_mT4_P12ihipStream_tbEUlmE_tEESB_NS0_8identityIvEEEESJ_SM_SN_mSO_SQ_bEUlT_E_NS1_11comp_targetILNS1_3genE10ELNS1_11target_archE1201ELNS1_3gpuE5ELNS1_3repE0EEENS1_30default_config_static_selectorELNS0_4arch9wavefront6targetE1EEEvT1_
	.globl	_ZN7rocprim17ROCPRIM_400000_NS6detail17trampoline_kernelINS0_14default_configENS1_25transform_config_selectorItLb0EEEZNS1_14transform_implILb0ES3_S5_NS0_18transform_iteratorINS0_17counting_iteratorImlEEZNS1_24adjacent_difference_implIS3_Lb1ELb0EPtN6thrust23THRUST_200600_302600_NS16discard_iteratorINSD_11use_defaultEEENSD_5minusItEEEE10hipError_tPvRmT2_T3_mT4_P12ihipStream_tbEUlmE_tEESB_NS0_8identityIvEEEESJ_SM_SN_mSO_SQ_bEUlT_E_NS1_11comp_targetILNS1_3genE10ELNS1_11target_archE1201ELNS1_3gpuE5ELNS1_3repE0EEENS1_30default_config_static_selectorELNS0_4arch9wavefront6targetE1EEEvT1_
	.p2align	8
	.type	_ZN7rocprim17ROCPRIM_400000_NS6detail17trampoline_kernelINS0_14default_configENS1_25transform_config_selectorItLb0EEEZNS1_14transform_implILb0ES3_S5_NS0_18transform_iteratorINS0_17counting_iteratorImlEEZNS1_24adjacent_difference_implIS3_Lb1ELb0EPtN6thrust23THRUST_200600_302600_NS16discard_iteratorINSD_11use_defaultEEENSD_5minusItEEEE10hipError_tPvRmT2_T3_mT4_P12ihipStream_tbEUlmE_tEESB_NS0_8identityIvEEEESJ_SM_SN_mSO_SQ_bEUlT_E_NS1_11comp_targetILNS1_3genE10ELNS1_11target_archE1201ELNS1_3gpuE5ELNS1_3repE0EEENS1_30default_config_static_selectorELNS0_4arch9wavefront6targetE1EEEvT1_,@function
_ZN7rocprim17ROCPRIM_400000_NS6detail17trampoline_kernelINS0_14default_configENS1_25transform_config_selectorItLb0EEEZNS1_14transform_implILb0ES3_S5_NS0_18transform_iteratorINS0_17counting_iteratorImlEEZNS1_24adjacent_difference_implIS3_Lb1ELb0EPtN6thrust23THRUST_200600_302600_NS16discard_iteratorINSD_11use_defaultEEENSD_5minusItEEEE10hipError_tPvRmT2_T3_mT4_P12ihipStream_tbEUlmE_tEESB_NS0_8identityIvEEEESJ_SM_SN_mSO_SQ_bEUlT_E_NS1_11comp_targetILNS1_3genE10ELNS1_11target_archE1201ELNS1_3gpuE5ELNS1_3repE0EEENS1_30default_config_static_selectorELNS0_4arch9wavefront6targetE1EEEvT1_: ; @_ZN7rocprim17ROCPRIM_400000_NS6detail17trampoline_kernelINS0_14default_configENS1_25transform_config_selectorItLb0EEEZNS1_14transform_implILb0ES3_S5_NS0_18transform_iteratorINS0_17counting_iteratorImlEEZNS1_24adjacent_difference_implIS3_Lb1ELb0EPtN6thrust23THRUST_200600_302600_NS16discard_iteratorINSD_11use_defaultEEENSD_5minusItEEEE10hipError_tPvRmT2_T3_mT4_P12ihipStream_tbEUlmE_tEESB_NS0_8identityIvEEEESJ_SM_SN_mSO_SQ_bEUlT_E_NS1_11comp_targetILNS1_3genE10ELNS1_11target_archE1201ELNS1_3gpuE5ELNS1_3repE0EEENS1_30default_config_static_selectorELNS0_4arch9wavefront6targetE1EEEvT1_
; %bb.0:
	.section	.rodata,"a",@progbits
	.p2align	6, 0x0
	.amdhsa_kernel _ZN7rocprim17ROCPRIM_400000_NS6detail17trampoline_kernelINS0_14default_configENS1_25transform_config_selectorItLb0EEEZNS1_14transform_implILb0ES3_S5_NS0_18transform_iteratorINS0_17counting_iteratorImlEEZNS1_24adjacent_difference_implIS3_Lb1ELb0EPtN6thrust23THRUST_200600_302600_NS16discard_iteratorINSD_11use_defaultEEENSD_5minusItEEEE10hipError_tPvRmT2_T3_mT4_P12ihipStream_tbEUlmE_tEESB_NS0_8identityIvEEEESJ_SM_SN_mSO_SQ_bEUlT_E_NS1_11comp_targetILNS1_3genE10ELNS1_11target_archE1201ELNS1_3gpuE5ELNS1_3repE0EEENS1_30default_config_static_selectorELNS0_4arch9wavefront6targetE1EEEvT1_
		.amdhsa_group_segment_fixed_size 0
		.amdhsa_private_segment_fixed_size 0
		.amdhsa_kernarg_size 56
		.amdhsa_user_sgpr_count 6
		.amdhsa_user_sgpr_private_segment_buffer 1
		.amdhsa_user_sgpr_dispatch_ptr 0
		.amdhsa_user_sgpr_queue_ptr 0
		.amdhsa_user_sgpr_kernarg_segment_ptr 1
		.amdhsa_user_sgpr_dispatch_id 0
		.amdhsa_user_sgpr_flat_scratch_init 0
		.amdhsa_user_sgpr_private_segment_size 0
		.amdhsa_uses_dynamic_stack 0
		.amdhsa_system_sgpr_private_segment_wavefront_offset 0
		.amdhsa_system_sgpr_workgroup_id_x 1
		.amdhsa_system_sgpr_workgroup_id_y 0
		.amdhsa_system_sgpr_workgroup_id_z 0
		.amdhsa_system_sgpr_workgroup_info 0
		.amdhsa_system_vgpr_workitem_id 0
		.amdhsa_next_free_vgpr 1
		.amdhsa_next_free_sgpr 0
		.amdhsa_reserve_vcc 0
		.amdhsa_reserve_flat_scratch 0
		.amdhsa_float_round_mode_32 0
		.amdhsa_float_round_mode_16_64 0
		.amdhsa_float_denorm_mode_32 3
		.amdhsa_float_denorm_mode_16_64 3
		.amdhsa_dx10_clamp 1
		.amdhsa_ieee_mode 1
		.amdhsa_fp16_overflow 0
		.amdhsa_exception_fp_ieee_invalid_op 0
		.amdhsa_exception_fp_denorm_src 0
		.amdhsa_exception_fp_ieee_div_zero 0
		.amdhsa_exception_fp_ieee_overflow 0
		.amdhsa_exception_fp_ieee_underflow 0
		.amdhsa_exception_fp_ieee_inexact 0
		.amdhsa_exception_int_div_zero 0
	.end_amdhsa_kernel
	.section	.text._ZN7rocprim17ROCPRIM_400000_NS6detail17trampoline_kernelINS0_14default_configENS1_25transform_config_selectorItLb0EEEZNS1_14transform_implILb0ES3_S5_NS0_18transform_iteratorINS0_17counting_iteratorImlEEZNS1_24adjacent_difference_implIS3_Lb1ELb0EPtN6thrust23THRUST_200600_302600_NS16discard_iteratorINSD_11use_defaultEEENSD_5minusItEEEE10hipError_tPvRmT2_T3_mT4_P12ihipStream_tbEUlmE_tEESB_NS0_8identityIvEEEESJ_SM_SN_mSO_SQ_bEUlT_E_NS1_11comp_targetILNS1_3genE10ELNS1_11target_archE1201ELNS1_3gpuE5ELNS1_3repE0EEENS1_30default_config_static_selectorELNS0_4arch9wavefront6targetE1EEEvT1_,"axG",@progbits,_ZN7rocprim17ROCPRIM_400000_NS6detail17trampoline_kernelINS0_14default_configENS1_25transform_config_selectorItLb0EEEZNS1_14transform_implILb0ES3_S5_NS0_18transform_iteratorINS0_17counting_iteratorImlEEZNS1_24adjacent_difference_implIS3_Lb1ELb0EPtN6thrust23THRUST_200600_302600_NS16discard_iteratorINSD_11use_defaultEEENSD_5minusItEEEE10hipError_tPvRmT2_T3_mT4_P12ihipStream_tbEUlmE_tEESB_NS0_8identityIvEEEESJ_SM_SN_mSO_SQ_bEUlT_E_NS1_11comp_targetILNS1_3genE10ELNS1_11target_archE1201ELNS1_3gpuE5ELNS1_3repE0EEENS1_30default_config_static_selectorELNS0_4arch9wavefront6targetE1EEEvT1_,comdat
.Lfunc_end846:
	.size	_ZN7rocprim17ROCPRIM_400000_NS6detail17trampoline_kernelINS0_14default_configENS1_25transform_config_selectorItLb0EEEZNS1_14transform_implILb0ES3_S5_NS0_18transform_iteratorINS0_17counting_iteratorImlEEZNS1_24adjacent_difference_implIS3_Lb1ELb0EPtN6thrust23THRUST_200600_302600_NS16discard_iteratorINSD_11use_defaultEEENSD_5minusItEEEE10hipError_tPvRmT2_T3_mT4_P12ihipStream_tbEUlmE_tEESB_NS0_8identityIvEEEESJ_SM_SN_mSO_SQ_bEUlT_E_NS1_11comp_targetILNS1_3genE10ELNS1_11target_archE1201ELNS1_3gpuE5ELNS1_3repE0EEENS1_30default_config_static_selectorELNS0_4arch9wavefront6targetE1EEEvT1_, .Lfunc_end846-_ZN7rocprim17ROCPRIM_400000_NS6detail17trampoline_kernelINS0_14default_configENS1_25transform_config_selectorItLb0EEEZNS1_14transform_implILb0ES3_S5_NS0_18transform_iteratorINS0_17counting_iteratorImlEEZNS1_24adjacent_difference_implIS3_Lb1ELb0EPtN6thrust23THRUST_200600_302600_NS16discard_iteratorINSD_11use_defaultEEENSD_5minusItEEEE10hipError_tPvRmT2_T3_mT4_P12ihipStream_tbEUlmE_tEESB_NS0_8identityIvEEEESJ_SM_SN_mSO_SQ_bEUlT_E_NS1_11comp_targetILNS1_3genE10ELNS1_11target_archE1201ELNS1_3gpuE5ELNS1_3repE0EEENS1_30default_config_static_selectorELNS0_4arch9wavefront6targetE1EEEvT1_
                                        ; -- End function
	.set _ZN7rocprim17ROCPRIM_400000_NS6detail17trampoline_kernelINS0_14default_configENS1_25transform_config_selectorItLb0EEEZNS1_14transform_implILb0ES3_S5_NS0_18transform_iteratorINS0_17counting_iteratorImlEEZNS1_24adjacent_difference_implIS3_Lb1ELb0EPtN6thrust23THRUST_200600_302600_NS16discard_iteratorINSD_11use_defaultEEENSD_5minusItEEEE10hipError_tPvRmT2_T3_mT4_P12ihipStream_tbEUlmE_tEESB_NS0_8identityIvEEEESJ_SM_SN_mSO_SQ_bEUlT_E_NS1_11comp_targetILNS1_3genE10ELNS1_11target_archE1201ELNS1_3gpuE5ELNS1_3repE0EEENS1_30default_config_static_selectorELNS0_4arch9wavefront6targetE1EEEvT1_.num_vgpr, 0
	.set _ZN7rocprim17ROCPRIM_400000_NS6detail17trampoline_kernelINS0_14default_configENS1_25transform_config_selectorItLb0EEEZNS1_14transform_implILb0ES3_S5_NS0_18transform_iteratorINS0_17counting_iteratorImlEEZNS1_24adjacent_difference_implIS3_Lb1ELb0EPtN6thrust23THRUST_200600_302600_NS16discard_iteratorINSD_11use_defaultEEENSD_5minusItEEEE10hipError_tPvRmT2_T3_mT4_P12ihipStream_tbEUlmE_tEESB_NS0_8identityIvEEEESJ_SM_SN_mSO_SQ_bEUlT_E_NS1_11comp_targetILNS1_3genE10ELNS1_11target_archE1201ELNS1_3gpuE5ELNS1_3repE0EEENS1_30default_config_static_selectorELNS0_4arch9wavefront6targetE1EEEvT1_.num_agpr, 0
	.set _ZN7rocprim17ROCPRIM_400000_NS6detail17trampoline_kernelINS0_14default_configENS1_25transform_config_selectorItLb0EEEZNS1_14transform_implILb0ES3_S5_NS0_18transform_iteratorINS0_17counting_iteratorImlEEZNS1_24adjacent_difference_implIS3_Lb1ELb0EPtN6thrust23THRUST_200600_302600_NS16discard_iteratorINSD_11use_defaultEEENSD_5minusItEEEE10hipError_tPvRmT2_T3_mT4_P12ihipStream_tbEUlmE_tEESB_NS0_8identityIvEEEESJ_SM_SN_mSO_SQ_bEUlT_E_NS1_11comp_targetILNS1_3genE10ELNS1_11target_archE1201ELNS1_3gpuE5ELNS1_3repE0EEENS1_30default_config_static_selectorELNS0_4arch9wavefront6targetE1EEEvT1_.numbered_sgpr, 0
	.set _ZN7rocprim17ROCPRIM_400000_NS6detail17trampoline_kernelINS0_14default_configENS1_25transform_config_selectorItLb0EEEZNS1_14transform_implILb0ES3_S5_NS0_18transform_iteratorINS0_17counting_iteratorImlEEZNS1_24adjacent_difference_implIS3_Lb1ELb0EPtN6thrust23THRUST_200600_302600_NS16discard_iteratorINSD_11use_defaultEEENSD_5minusItEEEE10hipError_tPvRmT2_T3_mT4_P12ihipStream_tbEUlmE_tEESB_NS0_8identityIvEEEESJ_SM_SN_mSO_SQ_bEUlT_E_NS1_11comp_targetILNS1_3genE10ELNS1_11target_archE1201ELNS1_3gpuE5ELNS1_3repE0EEENS1_30default_config_static_selectorELNS0_4arch9wavefront6targetE1EEEvT1_.num_named_barrier, 0
	.set _ZN7rocprim17ROCPRIM_400000_NS6detail17trampoline_kernelINS0_14default_configENS1_25transform_config_selectorItLb0EEEZNS1_14transform_implILb0ES3_S5_NS0_18transform_iteratorINS0_17counting_iteratorImlEEZNS1_24adjacent_difference_implIS3_Lb1ELb0EPtN6thrust23THRUST_200600_302600_NS16discard_iteratorINSD_11use_defaultEEENSD_5minusItEEEE10hipError_tPvRmT2_T3_mT4_P12ihipStream_tbEUlmE_tEESB_NS0_8identityIvEEEESJ_SM_SN_mSO_SQ_bEUlT_E_NS1_11comp_targetILNS1_3genE10ELNS1_11target_archE1201ELNS1_3gpuE5ELNS1_3repE0EEENS1_30default_config_static_selectorELNS0_4arch9wavefront6targetE1EEEvT1_.private_seg_size, 0
	.set _ZN7rocprim17ROCPRIM_400000_NS6detail17trampoline_kernelINS0_14default_configENS1_25transform_config_selectorItLb0EEEZNS1_14transform_implILb0ES3_S5_NS0_18transform_iteratorINS0_17counting_iteratorImlEEZNS1_24adjacent_difference_implIS3_Lb1ELb0EPtN6thrust23THRUST_200600_302600_NS16discard_iteratorINSD_11use_defaultEEENSD_5minusItEEEE10hipError_tPvRmT2_T3_mT4_P12ihipStream_tbEUlmE_tEESB_NS0_8identityIvEEEESJ_SM_SN_mSO_SQ_bEUlT_E_NS1_11comp_targetILNS1_3genE10ELNS1_11target_archE1201ELNS1_3gpuE5ELNS1_3repE0EEENS1_30default_config_static_selectorELNS0_4arch9wavefront6targetE1EEEvT1_.uses_vcc, 0
	.set _ZN7rocprim17ROCPRIM_400000_NS6detail17trampoline_kernelINS0_14default_configENS1_25transform_config_selectorItLb0EEEZNS1_14transform_implILb0ES3_S5_NS0_18transform_iteratorINS0_17counting_iteratorImlEEZNS1_24adjacent_difference_implIS3_Lb1ELb0EPtN6thrust23THRUST_200600_302600_NS16discard_iteratorINSD_11use_defaultEEENSD_5minusItEEEE10hipError_tPvRmT2_T3_mT4_P12ihipStream_tbEUlmE_tEESB_NS0_8identityIvEEEESJ_SM_SN_mSO_SQ_bEUlT_E_NS1_11comp_targetILNS1_3genE10ELNS1_11target_archE1201ELNS1_3gpuE5ELNS1_3repE0EEENS1_30default_config_static_selectorELNS0_4arch9wavefront6targetE1EEEvT1_.uses_flat_scratch, 0
	.set _ZN7rocprim17ROCPRIM_400000_NS6detail17trampoline_kernelINS0_14default_configENS1_25transform_config_selectorItLb0EEEZNS1_14transform_implILb0ES3_S5_NS0_18transform_iteratorINS0_17counting_iteratorImlEEZNS1_24adjacent_difference_implIS3_Lb1ELb0EPtN6thrust23THRUST_200600_302600_NS16discard_iteratorINSD_11use_defaultEEENSD_5minusItEEEE10hipError_tPvRmT2_T3_mT4_P12ihipStream_tbEUlmE_tEESB_NS0_8identityIvEEEESJ_SM_SN_mSO_SQ_bEUlT_E_NS1_11comp_targetILNS1_3genE10ELNS1_11target_archE1201ELNS1_3gpuE5ELNS1_3repE0EEENS1_30default_config_static_selectorELNS0_4arch9wavefront6targetE1EEEvT1_.has_dyn_sized_stack, 0
	.set _ZN7rocprim17ROCPRIM_400000_NS6detail17trampoline_kernelINS0_14default_configENS1_25transform_config_selectorItLb0EEEZNS1_14transform_implILb0ES3_S5_NS0_18transform_iteratorINS0_17counting_iteratorImlEEZNS1_24adjacent_difference_implIS3_Lb1ELb0EPtN6thrust23THRUST_200600_302600_NS16discard_iteratorINSD_11use_defaultEEENSD_5minusItEEEE10hipError_tPvRmT2_T3_mT4_P12ihipStream_tbEUlmE_tEESB_NS0_8identityIvEEEESJ_SM_SN_mSO_SQ_bEUlT_E_NS1_11comp_targetILNS1_3genE10ELNS1_11target_archE1201ELNS1_3gpuE5ELNS1_3repE0EEENS1_30default_config_static_selectorELNS0_4arch9wavefront6targetE1EEEvT1_.has_recursion, 0
	.set _ZN7rocprim17ROCPRIM_400000_NS6detail17trampoline_kernelINS0_14default_configENS1_25transform_config_selectorItLb0EEEZNS1_14transform_implILb0ES3_S5_NS0_18transform_iteratorINS0_17counting_iteratorImlEEZNS1_24adjacent_difference_implIS3_Lb1ELb0EPtN6thrust23THRUST_200600_302600_NS16discard_iteratorINSD_11use_defaultEEENSD_5minusItEEEE10hipError_tPvRmT2_T3_mT4_P12ihipStream_tbEUlmE_tEESB_NS0_8identityIvEEEESJ_SM_SN_mSO_SQ_bEUlT_E_NS1_11comp_targetILNS1_3genE10ELNS1_11target_archE1201ELNS1_3gpuE5ELNS1_3repE0EEENS1_30default_config_static_selectorELNS0_4arch9wavefront6targetE1EEEvT1_.has_indirect_call, 0
	.section	.AMDGPU.csdata,"",@progbits
; Kernel info:
; codeLenInByte = 0
; TotalNumSgprs: 4
; NumVgprs: 0
; ScratchSize: 0
; MemoryBound: 0
; FloatMode: 240
; IeeeMode: 1
; LDSByteSize: 0 bytes/workgroup (compile time only)
; SGPRBlocks: 0
; VGPRBlocks: 0
; NumSGPRsForWavesPerEU: 4
; NumVGPRsForWavesPerEU: 1
; Occupancy: 10
; WaveLimiterHint : 0
; COMPUTE_PGM_RSRC2:SCRATCH_EN: 0
; COMPUTE_PGM_RSRC2:USER_SGPR: 6
; COMPUTE_PGM_RSRC2:TRAP_HANDLER: 0
; COMPUTE_PGM_RSRC2:TGID_X_EN: 1
; COMPUTE_PGM_RSRC2:TGID_Y_EN: 0
; COMPUTE_PGM_RSRC2:TGID_Z_EN: 0
; COMPUTE_PGM_RSRC2:TIDIG_COMP_CNT: 0
	.section	.text._ZN7rocprim17ROCPRIM_400000_NS6detail17trampoline_kernelINS0_14default_configENS1_25transform_config_selectorItLb0EEEZNS1_14transform_implILb0ES3_S5_NS0_18transform_iteratorINS0_17counting_iteratorImlEEZNS1_24adjacent_difference_implIS3_Lb1ELb0EPtN6thrust23THRUST_200600_302600_NS16discard_iteratorINSD_11use_defaultEEENSD_5minusItEEEE10hipError_tPvRmT2_T3_mT4_P12ihipStream_tbEUlmE_tEESB_NS0_8identityIvEEEESJ_SM_SN_mSO_SQ_bEUlT_E_NS1_11comp_targetILNS1_3genE10ELNS1_11target_archE1200ELNS1_3gpuE4ELNS1_3repE0EEENS1_30default_config_static_selectorELNS0_4arch9wavefront6targetE1EEEvT1_,"axG",@progbits,_ZN7rocprim17ROCPRIM_400000_NS6detail17trampoline_kernelINS0_14default_configENS1_25transform_config_selectorItLb0EEEZNS1_14transform_implILb0ES3_S5_NS0_18transform_iteratorINS0_17counting_iteratorImlEEZNS1_24adjacent_difference_implIS3_Lb1ELb0EPtN6thrust23THRUST_200600_302600_NS16discard_iteratorINSD_11use_defaultEEENSD_5minusItEEEE10hipError_tPvRmT2_T3_mT4_P12ihipStream_tbEUlmE_tEESB_NS0_8identityIvEEEESJ_SM_SN_mSO_SQ_bEUlT_E_NS1_11comp_targetILNS1_3genE10ELNS1_11target_archE1200ELNS1_3gpuE4ELNS1_3repE0EEENS1_30default_config_static_selectorELNS0_4arch9wavefront6targetE1EEEvT1_,comdat
	.protected	_ZN7rocprim17ROCPRIM_400000_NS6detail17trampoline_kernelINS0_14default_configENS1_25transform_config_selectorItLb0EEEZNS1_14transform_implILb0ES3_S5_NS0_18transform_iteratorINS0_17counting_iteratorImlEEZNS1_24adjacent_difference_implIS3_Lb1ELb0EPtN6thrust23THRUST_200600_302600_NS16discard_iteratorINSD_11use_defaultEEENSD_5minusItEEEE10hipError_tPvRmT2_T3_mT4_P12ihipStream_tbEUlmE_tEESB_NS0_8identityIvEEEESJ_SM_SN_mSO_SQ_bEUlT_E_NS1_11comp_targetILNS1_3genE10ELNS1_11target_archE1200ELNS1_3gpuE4ELNS1_3repE0EEENS1_30default_config_static_selectorELNS0_4arch9wavefront6targetE1EEEvT1_ ; -- Begin function _ZN7rocprim17ROCPRIM_400000_NS6detail17trampoline_kernelINS0_14default_configENS1_25transform_config_selectorItLb0EEEZNS1_14transform_implILb0ES3_S5_NS0_18transform_iteratorINS0_17counting_iteratorImlEEZNS1_24adjacent_difference_implIS3_Lb1ELb0EPtN6thrust23THRUST_200600_302600_NS16discard_iteratorINSD_11use_defaultEEENSD_5minusItEEEE10hipError_tPvRmT2_T3_mT4_P12ihipStream_tbEUlmE_tEESB_NS0_8identityIvEEEESJ_SM_SN_mSO_SQ_bEUlT_E_NS1_11comp_targetILNS1_3genE10ELNS1_11target_archE1200ELNS1_3gpuE4ELNS1_3repE0EEENS1_30default_config_static_selectorELNS0_4arch9wavefront6targetE1EEEvT1_
	.globl	_ZN7rocprim17ROCPRIM_400000_NS6detail17trampoline_kernelINS0_14default_configENS1_25transform_config_selectorItLb0EEEZNS1_14transform_implILb0ES3_S5_NS0_18transform_iteratorINS0_17counting_iteratorImlEEZNS1_24adjacent_difference_implIS3_Lb1ELb0EPtN6thrust23THRUST_200600_302600_NS16discard_iteratorINSD_11use_defaultEEENSD_5minusItEEEE10hipError_tPvRmT2_T3_mT4_P12ihipStream_tbEUlmE_tEESB_NS0_8identityIvEEEESJ_SM_SN_mSO_SQ_bEUlT_E_NS1_11comp_targetILNS1_3genE10ELNS1_11target_archE1200ELNS1_3gpuE4ELNS1_3repE0EEENS1_30default_config_static_selectorELNS0_4arch9wavefront6targetE1EEEvT1_
	.p2align	8
	.type	_ZN7rocprim17ROCPRIM_400000_NS6detail17trampoline_kernelINS0_14default_configENS1_25transform_config_selectorItLb0EEEZNS1_14transform_implILb0ES3_S5_NS0_18transform_iteratorINS0_17counting_iteratorImlEEZNS1_24adjacent_difference_implIS3_Lb1ELb0EPtN6thrust23THRUST_200600_302600_NS16discard_iteratorINSD_11use_defaultEEENSD_5minusItEEEE10hipError_tPvRmT2_T3_mT4_P12ihipStream_tbEUlmE_tEESB_NS0_8identityIvEEEESJ_SM_SN_mSO_SQ_bEUlT_E_NS1_11comp_targetILNS1_3genE10ELNS1_11target_archE1200ELNS1_3gpuE4ELNS1_3repE0EEENS1_30default_config_static_selectorELNS0_4arch9wavefront6targetE1EEEvT1_,@function
_ZN7rocprim17ROCPRIM_400000_NS6detail17trampoline_kernelINS0_14default_configENS1_25transform_config_selectorItLb0EEEZNS1_14transform_implILb0ES3_S5_NS0_18transform_iteratorINS0_17counting_iteratorImlEEZNS1_24adjacent_difference_implIS3_Lb1ELb0EPtN6thrust23THRUST_200600_302600_NS16discard_iteratorINSD_11use_defaultEEENSD_5minusItEEEE10hipError_tPvRmT2_T3_mT4_P12ihipStream_tbEUlmE_tEESB_NS0_8identityIvEEEESJ_SM_SN_mSO_SQ_bEUlT_E_NS1_11comp_targetILNS1_3genE10ELNS1_11target_archE1200ELNS1_3gpuE4ELNS1_3repE0EEENS1_30default_config_static_selectorELNS0_4arch9wavefront6targetE1EEEvT1_: ; @_ZN7rocprim17ROCPRIM_400000_NS6detail17trampoline_kernelINS0_14default_configENS1_25transform_config_selectorItLb0EEEZNS1_14transform_implILb0ES3_S5_NS0_18transform_iteratorINS0_17counting_iteratorImlEEZNS1_24adjacent_difference_implIS3_Lb1ELb0EPtN6thrust23THRUST_200600_302600_NS16discard_iteratorINSD_11use_defaultEEENSD_5minusItEEEE10hipError_tPvRmT2_T3_mT4_P12ihipStream_tbEUlmE_tEESB_NS0_8identityIvEEEESJ_SM_SN_mSO_SQ_bEUlT_E_NS1_11comp_targetILNS1_3genE10ELNS1_11target_archE1200ELNS1_3gpuE4ELNS1_3repE0EEENS1_30default_config_static_selectorELNS0_4arch9wavefront6targetE1EEEvT1_
; %bb.0:
	.section	.rodata,"a",@progbits
	.p2align	6, 0x0
	.amdhsa_kernel _ZN7rocprim17ROCPRIM_400000_NS6detail17trampoline_kernelINS0_14default_configENS1_25transform_config_selectorItLb0EEEZNS1_14transform_implILb0ES3_S5_NS0_18transform_iteratorINS0_17counting_iteratorImlEEZNS1_24adjacent_difference_implIS3_Lb1ELb0EPtN6thrust23THRUST_200600_302600_NS16discard_iteratorINSD_11use_defaultEEENSD_5minusItEEEE10hipError_tPvRmT2_T3_mT4_P12ihipStream_tbEUlmE_tEESB_NS0_8identityIvEEEESJ_SM_SN_mSO_SQ_bEUlT_E_NS1_11comp_targetILNS1_3genE10ELNS1_11target_archE1200ELNS1_3gpuE4ELNS1_3repE0EEENS1_30default_config_static_selectorELNS0_4arch9wavefront6targetE1EEEvT1_
		.amdhsa_group_segment_fixed_size 0
		.amdhsa_private_segment_fixed_size 0
		.amdhsa_kernarg_size 56
		.amdhsa_user_sgpr_count 6
		.amdhsa_user_sgpr_private_segment_buffer 1
		.amdhsa_user_sgpr_dispatch_ptr 0
		.amdhsa_user_sgpr_queue_ptr 0
		.amdhsa_user_sgpr_kernarg_segment_ptr 1
		.amdhsa_user_sgpr_dispatch_id 0
		.amdhsa_user_sgpr_flat_scratch_init 0
		.amdhsa_user_sgpr_private_segment_size 0
		.amdhsa_uses_dynamic_stack 0
		.amdhsa_system_sgpr_private_segment_wavefront_offset 0
		.amdhsa_system_sgpr_workgroup_id_x 1
		.amdhsa_system_sgpr_workgroup_id_y 0
		.amdhsa_system_sgpr_workgroup_id_z 0
		.amdhsa_system_sgpr_workgroup_info 0
		.amdhsa_system_vgpr_workitem_id 0
		.amdhsa_next_free_vgpr 1
		.amdhsa_next_free_sgpr 0
		.amdhsa_reserve_vcc 0
		.amdhsa_reserve_flat_scratch 0
		.amdhsa_float_round_mode_32 0
		.amdhsa_float_round_mode_16_64 0
		.amdhsa_float_denorm_mode_32 3
		.amdhsa_float_denorm_mode_16_64 3
		.amdhsa_dx10_clamp 1
		.amdhsa_ieee_mode 1
		.amdhsa_fp16_overflow 0
		.amdhsa_exception_fp_ieee_invalid_op 0
		.amdhsa_exception_fp_denorm_src 0
		.amdhsa_exception_fp_ieee_div_zero 0
		.amdhsa_exception_fp_ieee_overflow 0
		.amdhsa_exception_fp_ieee_underflow 0
		.amdhsa_exception_fp_ieee_inexact 0
		.amdhsa_exception_int_div_zero 0
	.end_amdhsa_kernel
	.section	.text._ZN7rocprim17ROCPRIM_400000_NS6detail17trampoline_kernelINS0_14default_configENS1_25transform_config_selectorItLb0EEEZNS1_14transform_implILb0ES3_S5_NS0_18transform_iteratorINS0_17counting_iteratorImlEEZNS1_24adjacent_difference_implIS3_Lb1ELb0EPtN6thrust23THRUST_200600_302600_NS16discard_iteratorINSD_11use_defaultEEENSD_5minusItEEEE10hipError_tPvRmT2_T3_mT4_P12ihipStream_tbEUlmE_tEESB_NS0_8identityIvEEEESJ_SM_SN_mSO_SQ_bEUlT_E_NS1_11comp_targetILNS1_3genE10ELNS1_11target_archE1200ELNS1_3gpuE4ELNS1_3repE0EEENS1_30default_config_static_selectorELNS0_4arch9wavefront6targetE1EEEvT1_,"axG",@progbits,_ZN7rocprim17ROCPRIM_400000_NS6detail17trampoline_kernelINS0_14default_configENS1_25transform_config_selectorItLb0EEEZNS1_14transform_implILb0ES3_S5_NS0_18transform_iteratorINS0_17counting_iteratorImlEEZNS1_24adjacent_difference_implIS3_Lb1ELb0EPtN6thrust23THRUST_200600_302600_NS16discard_iteratorINSD_11use_defaultEEENSD_5minusItEEEE10hipError_tPvRmT2_T3_mT4_P12ihipStream_tbEUlmE_tEESB_NS0_8identityIvEEEESJ_SM_SN_mSO_SQ_bEUlT_E_NS1_11comp_targetILNS1_3genE10ELNS1_11target_archE1200ELNS1_3gpuE4ELNS1_3repE0EEENS1_30default_config_static_selectorELNS0_4arch9wavefront6targetE1EEEvT1_,comdat
.Lfunc_end847:
	.size	_ZN7rocprim17ROCPRIM_400000_NS6detail17trampoline_kernelINS0_14default_configENS1_25transform_config_selectorItLb0EEEZNS1_14transform_implILb0ES3_S5_NS0_18transform_iteratorINS0_17counting_iteratorImlEEZNS1_24adjacent_difference_implIS3_Lb1ELb0EPtN6thrust23THRUST_200600_302600_NS16discard_iteratorINSD_11use_defaultEEENSD_5minusItEEEE10hipError_tPvRmT2_T3_mT4_P12ihipStream_tbEUlmE_tEESB_NS0_8identityIvEEEESJ_SM_SN_mSO_SQ_bEUlT_E_NS1_11comp_targetILNS1_3genE10ELNS1_11target_archE1200ELNS1_3gpuE4ELNS1_3repE0EEENS1_30default_config_static_selectorELNS0_4arch9wavefront6targetE1EEEvT1_, .Lfunc_end847-_ZN7rocprim17ROCPRIM_400000_NS6detail17trampoline_kernelINS0_14default_configENS1_25transform_config_selectorItLb0EEEZNS1_14transform_implILb0ES3_S5_NS0_18transform_iteratorINS0_17counting_iteratorImlEEZNS1_24adjacent_difference_implIS3_Lb1ELb0EPtN6thrust23THRUST_200600_302600_NS16discard_iteratorINSD_11use_defaultEEENSD_5minusItEEEE10hipError_tPvRmT2_T3_mT4_P12ihipStream_tbEUlmE_tEESB_NS0_8identityIvEEEESJ_SM_SN_mSO_SQ_bEUlT_E_NS1_11comp_targetILNS1_3genE10ELNS1_11target_archE1200ELNS1_3gpuE4ELNS1_3repE0EEENS1_30default_config_static_selectorELNS0_4arch9wavefront6targetE1EEEvT1_
                                        ; -- End function
	.set _ZN7rocprim17ROCPRIM_400000_NS6detail17trampoline_kernelINS0_14default_configENS1_25transform_config_selectorItLb0EEEZNS1_14transform_implILb0ES3_S5_NS0_18transform_iteratorINS0_17counting_iteratorImlEEZNS1_24adjacent_difference_implIS3_Lb1ELb0EPtN6thrust23THRUST_200600_302600_NS16discard_iteratorINSD_11use_defaultEEENSD_5minusItEEEE10hipError_tPvRmT2_T3_mT4_P12ihipStream_tbEUlmE_tEESB_NS0_8identityIvEEEESJ_SM_SN_mSO_SQ_bEUlT_E_NS1_11comp_targetILNS1_3genE10ELNS1_11target_archE1200ELNS1_3gpuE4ELNS1_3repE0EEENS1_30default_config_static_selectorELNS0_4arch9wavefront6targetE1EEEvT1_.num_vgpr, 0
	.set _ZN7rocprim17ROCPRIM_400000_NS6detail17trampoline_kernelINS0_14default_configENS1_25transform_config_selectorItLb0EEEZNS1_14transform_implILb0ES3_S5_NS0_18transform_iteratorINS0_17counting_iteratorImlEEZNS1_24adjacent_difference_implIS3_Lb1ELb0EPtN6thrust23THRUST_200600_302600_NS16discard_iteratorINSD_11use_defaultEEENSD_5minusItEEEE10hipError_tPvRmT2_T3_mT4_P12ihipStream_tbEUlmE_tEESB_NS0_8identityIvEEEESJ_SM_SN_mSO_SQ_bEUlT_E_NS1_11comp_targetILNS1_3genE10ELNS1_11target_archE1200ELNS1_3gpuE4ELNS1_3repE0EEENS1_30default_config_static_selectorELNS0_4arch9wavefront6targetE1EEEvT1_.num_agpr, 0
	.set _ZN7rocprim17ROCPRIM_400000_NS6detail17trampoline_kernelINS0_14default_configENS1_25transform_config_selectorItLb0EEEZNS1_14transform_implILb0ES3_S5_NS0_18transform_iteratorINS0_17counting_iteratorImlEEZNS1_24adjacent_difference_implIS3_Lb1ELb0EPtN6thrust23THRUST_200600_302600_NS16discard_iteratorINSD_11use_defaultEEENSD_5minusItEEEE10hipError_tPvRmT2_T3_mT4_P12ihipStream_tbEUlmE_tEESB_NS0_8identityIvEEEESJ_SM_SN_mSO_SQ_bEUlT_E_NS1_11comp_targetILNS1_3genE10ELNS1_11target_archE1200ELNS1_3gpuE4ELNS1_3repE0EEENS1_30default_config_static_selectorELNS0_4arch9wavefront6targetE1EEEvT1_.numbered_sgpr, 0
	.set _ZN7rocprim17ROCPRIM_400000_NS6detail17trampoline_kernelINS0_14default_configENS1_25transform_config_selectorItLb0EEEZNS1_14transform_implILb0ES3_S5_NS0_18transform_iteratorINS0_17counting_iteratorImlEEZNS1_24adjacent_difference_implIS3_Lb1ELb0EPtN6thrust23THRUST_200600_302600_NS16discard_iteratorINSD_11use_defaultEEENSD_5minusItEEEE10hipError_tPvRmT2_T3_mT4_P12ihipStream_tbEUlmE_tEESB_NS0_8identityIvEEEESJ_SM_SN_mSO_SQ_bEUlT_E_NS1_11comp_targetILNS1_3genE10ELNS1_11target_archE1200ELNS1_3gpuE4ELNS1_3repE0EEENS1_30default_config_static_selectorELNS0_4arch9wavefront6targetE1EEEvT1_.num_named_barrier, 0
	.set _ZN7rocprim17ROCPRIM_400000_NS6detail17trampoline_kernelINS0_14default_configENS1_25transform_config_selectorItLb0EEEZNS1_14transform_implILb0ES3_S5_NS0_18transform_iteratorINS0_17counting_iteratorImlEEZNS1_24adjacent_difference_implIS3_Lb1ELb0EPtN6thrust23THRUST_200600_302600_NS16discard_iteratorINSD_11use_defaultEEENSD_5minusItEEEE10hipError_tPvRmT2_T3_mT4_P12ihipStream_tbEUlmE_tEESB_NS0_8identityIvEEEESJ_SM_SN_mSO_SQ_bEUlT_E_NS1_11comp_targetILNS1_3genE10ELNS1_11target_archE1200ELNS1_3gpuE4ELNS1_3repE0EEENS1_30default_config_static_selectorELNS0_4arch9wavefront6targetE1EEEvT1_.private_seg_size, 0
	.set _ZN7rocprim17ROCPRIM_400000_NS6detail17trampoline_kernelINS0_14default_configENS1_25transform_config_selectorItLb0EEEZNS1_14transform_implILb0ES3_S5_NS0_18transform_iteratorINS0_17counting_iteratorImlEEZNS1_24adjacent_difference_implIS3_Lb1ELb0EPtN6thrust23THRUST_200600_302600_NS16discard_iteratorINSD_11use_defaultEEENSD_5minusItEEEE10hipError_tPvRmT2_T3_mT4_P12ihipStream_tbEUlmE_tEESB_NS0_8identityIvEEEESJ_SM_SN_mSO_SQ_bEUlT_E_NS1_11comp_targetILNS1_3genE10ELNS1_11target_archE1200ELNS1_3gpuE4ELNS1_3repE0EEENS1_30default_config_static_selectorELNS0_4arch9wavefront6targetE1EEEvT1_.uses_vcc, 0
	.set _ZN7rocprim17ROCPRIM_400000_NS6detail17trampoline_kernelINS0_14default_configENS1_25transform_config_selectorItLb0EEEZNS1_14transform_implILb0ES3_S5_NS0_18transform_iteratorINS0_17counting_iteratorImlEEZNS1_24adjacent_difference_implIS3_Lb1ELb0EPtN6thrust23THRUST_200600_302600_NS16discard_iteratorINSD_11use_defaultEEENSD_5minusItEEEE10hipError_tPvRmT2_T3_mT4_P12ihipStream_tbEUlmE_tEESB_NS0_8identityIvEEEESJ_SM_SN_mSO_SQ_bEUlT_E_NS1_11comp_targetILNS1_3genE10ELNS1_11target_archE1200ELNS1_3gpuE4ELNS1_3repE0EEENS1_30default_config_static_selectorELNS0_4arch9wavefront6targetE1EEEvT1_.uses_flat_scratch, 0
	.set _ZN7rocprim17ROCPRIM_400000_NS6detail17trampoline_kernelINS0_14default_configENS1_25transform_config_selectorItLb0EEEZNS1_14transform_implILb0ES3_S5_NS0_18transform_iteratorINS0_17counting_iteratorImlEEZNS1_24adjacent_difference_implIS3_Lb1ELb0EPtN6thrust23THRUST_200600_302600_NS16discard_iteratorINSD_11use_defaultEEENSD_5minusItEEEE10hipError_tPvRmT2_T3_mT4_P12ihipStream_tbEUlmE_tEESB_NS0_8identityIvEEEESJ_SM_SN_mSO_SQ_bEUlT_E_NS1_11comp_targetILNS1_3genE10ELNS1_11target_archE1200ELNS1_3gpuE4ELNS1_3repE0EEENS1_30default_config_static_selectorELNS0_4arch9wavefront6targetE1EEEvT1_.has_dyn_sized_stack, 0
	.set _ZN7rocprim17ROCPRIM_400000_NS6detail17trampoline_kernelINS0_14default_configENS1_25transform_config_selectorItLb0EEEZNS1_14transform_implILb0ES3_S5_NS0_18transform_iteratorINS0_17counting_iteratorImlEEZNS1_24adjacent_difference_implIS3_Lb1ELb0EPtN6thrust23THRUST_200600_302600_NS16discard_iteratorINSD_11use_defaultEEENSD_5minusItEEEE10hipError_tPvRmT2_T3_mT4_P12ihipStream_tbEUlmE_tEESB_NS0_8identityIvEEEESJ_SM_SN_mSO_SQ_bEUlT_E_NS1_11comp_targetILNS1_3genE10ELNS1_11target_archE1200ELNS1_3gpuE4ELNS1_3repE0EEENS1_30default_config_static_selectorELNS0_4arch9wavefront6targetE1EEEvT1_.has_recursion, 0
	.set _ZN7rocprim17ROCPRIM_400000_NS6detail17trampoline_kernelINS0_14default_configENS1_25transform_config_selectorItLb0EEEZNS1_14transform_implILb0ES3_S5_NS0_18transform_iteratorINS0_17counting_iteratorImlEEZNS1_24adjacent_difference_implIS3_Lb1ELb0EPtN6thrust23THRUST_200600_302600_NS16discard_iteratorINSD_11use_defaultEEENSD_5minusItEEEE10hipError_tPvRmT2_T3_mT4_P12ihipStream_tbEUlmE_tEESB_NS0_8identityIvEEEESJ_SM_SN_mSO_SQ_bEUlT_E_NS1_11comp_targetILNS1_3genE10ELNS1_11target_archE1200ELNS1_3gpuE4ELNS1_3repE0EEENS1_30default_config_static_selectorELNS0_4arch9wavefront6targetE1EEEvT1_.has_indirect_call, 0
	.section	.AMDGPU.csdata,"",@progbits
; Kernel info:
; codeLenInByte = 0
; TotalNumSgprs: 4
; NumVgprs: 0
; ScratchSize: 0
; MemoryBound: 0
; FloatMode: 240
; IeeeMode: 1
; LDSByteSize: 0 bytes/workgroup (compile time only)
; SGPRBlocks: 0
; VGPRBlocks: 0
; NumSGPRsForWavesPerEU: 4
; NumVGPRsForWavesPerEU: 1
; Occupancy: 10
; WaveLimiterHint : 0
; COMPUTE_PGM_RSRC2:SCRATCH_EN: 0
; COMPUTE_PGM_RSRC2:USER_SGPR: 6
; COMPUTE_PGM_RSRC2:TRAP_HANDLER: 0
; COMPUTE_PGM_RSRC2:TGID_X_EN: 1
; COMPUTE_PGM_RSRC2:TGID_Y_EN: 0
; COMPUTE_PGM_RSRC2:TGID_Z_EN: 0
; COMPUTE_PGM_RSRC2:TIDIG_COMP_CNT: 0
	.section	.text._ZN7rocprim17ROCPRIM_400000_NS6detail17trampoline_kernelINS0_14default_configENS1_25transform_config_selectorItLb0EEEZNS1_14transform_implILb0ES3_S5_NS0_18transform_iteratorINS0_17counting_iteratorImlEEZNS1_24adjacent_difference_implIS3_Lb1ELb0EPtN6thrust23THRUST_200600_302600_NS16discard_iteratorINSD_11use_defaultEEENSD_5minusItEEEE10hipError_tPvRmT2_T3_mT4_P12ihipStream_tbEUlmE_tEESB_NS0_8identityIvEEEESJ_SM_SN_mSO_SQ_bEUlT_E_NS1_11comp_targetILNS1_3genE9ELNS1_11target_archE1100ELNS1_3gpuE3ELNS1_3repE0EEENS1_30default_config_static_selectorELNS0_4arch9wavefront6targetE1EEEvT1_,"axG",@progbits,_ZN7rocprim17ROCPRIM_400000_NS6detail17trampoline_kernelINS0_14default_configENS1_25transform_config_selectorItLb0EEEZNS1_14transform_implILb0ES3_S5_NS0_18transform_iteratorINS0_17counting_iteratorImlEEZNS1_24adjacent_difference_implIS3_Lb1ELb0EPtN6thrust23THRUST_200600_302600_NS16discard_iteratorINSD_11use_defaultEEENSD_5minusItEEEE10hipError_tPvRmT2_T3_mT4_P12ihipStream_tbEUlmE_tEESB_NS0_8identityIvEEEESJ_SM_SN_mSO_SQ_bEUlT_E_NS1_11comp_targetILNS1_3genE9ELNS1_11target_archE1100ELNS1_3gpuE3ELNS1_3repE0EEENS1_30default_config_static_selectorELNS0_4arch9wavefront6targetE1EEEvT1_,comdat
	.protected	_ZN7rocprim17ROCPRIM_400000_NS6detail17trampoline_kernelINS0_14default_configENS1_25transform_config_selectorItLb0EEEZNS1_14transform_implILb0ES3_S5_NS0_18transform_iteratorINS0_17counting_iteratorImlEEZNS1_24adjacent_difference_implIS3_Lb1ELb0EPtN6thrust23THRUST_200600_302600_NS16discard_iteratorINSD_11use_defaultEEENSD_5minusItEEEE10hipError_tPvRmT2_T3_mT4_P12ihipStream_tbEUlmE_tEESB_NS0_8identityIvEEEESJ_SM_SN_mSO_SQ_bEUlT_E_NS1_11comp_targetILNS1_3genE9ELNS1_11target_archE1100ELNS1_3gpuE3ELNS1_3repE0EEENS1_30default_config_static_selectorELNS0_4arch9wavefront6targetE1EEEvT1_ ; -- Begin function _ZN7rocprim17ROCPRIM_400000_NS6detail17trampoline_kernelINS0_14default_configENS1_25transform_config_selectorItLb0EEEZNS1_14transform_implILb0ES3_S5_NS0_18transform_iteratorINS0_17counting_iteratorImlEEZNS1_24adjacent_difference_implIS3_Lb1ELb0EPtN6thrust23THRUST_200600_302600_NS16discard_iteratorINSD_11use_defaultEEENSD_5minusItEEEE10hipError_tPvRmT2_T3_mT4_P12ihipStream_tbEUlmE_tEESB_NS0_8identityIvEEEESJ_SM_SN_mSO_SQ_bEUlT_E_NS1_11comp_targetILNS1_3genE9ELNS1_11target_archE1100ELNS1_3gpuE3ELNS1_3repE0EEENS1_30default_config_static_selectorELNS0_4arch9wavefront6targetE1EEEvT1_
	.globl	_ZN7rocprim17ROCPRIM_400000_NS6detail17trampoline_kernelINS0_14default_configENS1_25transform_config_selectorItLb0EEEZNS1_14transform_implILb0ES3_S5_NS0_18transform_iteratorINS0_17counting_iteratorImlEEZNS1_24adjacent_difference_implIS3_Lb1ELb0EPtN6thrust23THRUST_200600_302600_NS16discard_iteratorINSD_11use_defaultEEENSD_5minusItEEEE10hipError_tPvRmT2_T3_mT4_P12ihipStream_tbEUlmE_tEESB_NS0_8identityIvEEEESJ_SM_SN_mSO_SQ_bEUlT_E_NS1_11comp_targetILNS1_3genE9ELNS1_11target_archE1100ELNS1_3gpuE3ELNS1_3repE0EEENS1_30default_config_static_selectorELNS0_4arch9wavefront6targetE1EEEvT1_
	.p2align	8
	.type	_ZN7rocprim17ROCPRIM_400000_NS6detail17trampoline_kernelINS0_14default_configENS1_25transform_config_selectorItLb0EEEZNS1_14transform_implILb0ES3_S5_NS0_18transform_iteratorINS0_17counting_iteratorImlEEZNS1_24adjacent_difference_implIS3_Lb1ELb0EPtN6thrust23THRUST_200600_302600_NS16discard_iteratorINSD_11use_defaultEEENSD_5minusItEEEE10hipError_tPvRmT2_T3_mT4_P12ihipStream_tbEUlmE_tEESB_NS0_8identityIvEEEESJ_SM_SN_mSO_SQ_bEUlT_E_NS1_11comp_targetILNS1_3genE9ELNS1_11target_archE1100ELNS1_3gpuE3ELNS1_3repE0EEENS1_30default_config_static_selectorELNS0_4arch9wavefront6targetE1EEEvT1_,@function
_ZN7rocprim17ROCPRIM_400000_NS6detail17trampoline_kernelINS0_14default_configENS1_25transform_config_selectorItLb0EEEZNS1_14transform_implILb0ES3_S5_NS0_18transform_iteratorINS0_17counting_iteratorImlEEZNS1_24adjacent_difference_implIS3_Lb1ELb0EPtN6thrust23THRUST_200600_302600_NS16discard_iteratorINSD_11use_defaultEEENSD_5minusItEEEE10hipError_tPvRmT2_T3_mT4_P12ihipStream_tbEUlmE_tEESB_NS0_8identityIvEEEESJ_SM_SN_mSO_SQ_bEUlT_E_NS1_11comp_targetILNS1_3genE9ELNS1_11target_archE1100ELNS1_3gpuE3ELNS1_3repE0EEENS1_30default_config_static_selectorELNS0_4arch9wavefront6targetE1EEEvT1_: ; @_ZN7rocprim17ROCPRIM_400000_NS6detail17trampoline_kernelINS0_14default_configENS1_25transform_config_selectorItLb0EEEZNS1_14transform_implILb0ES3_S5_NS0_18transform_iteratorINS0_17counting_iteratorImlEEZNS1_24adjacent_difference_implIS3_Lb1ELb0EPtN6thrust23THRUST_200600_302600_NS16discard_iteratorINSD_11use_defaultEEENSD_5minusItEEEE10hipError_tPvRmT2_T3_mT4_P12ihipStream_tbEUlmE_tEESB_NS0_8identityIvEEEESJ_SM_SN_mSO_SQ_bEUlT_E_NS1_11comp_targetILNS1_3genE9ELNS1_11target_archE1100ELNS1_3gpuE3ELNS1_3repE0EEENS1_30default_config_static_selectorELNS0_4arch9wavefront6targetE1EEEvT1_
; %bb.0:
	.section	.rodata,"a",@progbits
	.p2align	6, 0x0
	.amdhsa_kernel _ZN7rocprim17ROCPRIM_400000_NS6detail17trampoline_kernelINS0_14default_configENS1_25transform_config_selectorItLb0EEEZNS1_14transform_implILb0ES3_S5_NS0_18transform_iteratorINS0_17counting_iteratorImlEEZNS1_24adjacent_difference_implIS3_Lb1ELb0EPtN6thrust23THRUST_200600_302600_NS16discard_iteratorINSD_11use_defaultEEENSD_5minusItEEEE10hipError_tPvRmT2_T3_mT4_P12ihipStream_tbEUlmE_tEESB_NS0_8identityIvEEEESJ_SM_SN_mSO_SQ_bEUlT_E_NS1_11comp_targetILNS1_3genE9ELNS1_11target_archE1100ELNS1_3gpuE3ELNS1_3repE0EEENS1_30default_config_static_selectorELNS0_4arch9wavefront6targetE1EEEvT1_
		.amdhsa_group_segment_fixed_size 0
		.amdhsa_private_segment_fixed_size 0
		.amdhsa_kernarg_size 56
		.amdhsa_user_sgpr_count 6
		.amdhsa_user_sgpr_private_segment_buffer 1
		.amdhsa_user_sgpr_dispatch_ptr 0
		.amdhsa_user_sgpr_queue_ptr 0
		.amdhsa_user_sgpr_kernarg_segment_ptr 1
		.amdhsa_user_sgpr_dispatch_id 0
		.amdhsa_user_sgpr_flat_scratch_init 0
		.amdhsa_user_sgpr_private_segment_size 0
		.amdhsa_uses_dynamic_stack 0
		.amdhsa_system_sgpr_private_segment_wavefront_offset 0
		.amdhsa_system_sgpr_workgroup_id_x 1
		.amdhsa_system_sgpr_workgroup_id_y 0
		.amdhsa_system_sgpr_workgroup_id_z 0
		.amdhsa_system_sgpr_workgroup_info 0
		.amdhsa_system_vgpr_workitem_id 0
		.amdhsa_next_free_vgpr 1
		.amdhsa_next_free_sgpr 0
		.amdhsa_reserve_vcc 0
		.amdhsa_reserve_flat_scratch 0
		.amdhsa_float_round_mode_32 0
		.amdhsa_float_round_mode_16_64 0
		.amdhsa_float_denorm_mode_32 3
		.amdhsa_float_denorm_mode_16_64 3
		.amdhsa_dx10_clamp 1
		.amdhsa_ieee_mode 1
		.amdhsa_fp16_overflow 0
		.amdhsa_exception_fp_ieee_invalid_op 0
		.amdhsa_exception_fp_denorm_src 0
		.amdhsa_exception_fp_ieee_div_zero 0
		.amdhsa_exception_fp_ieee_overflow 0
		.amdhsa_exception_fp_ieee_underflow 0
		.amdhsa_exception_fp_ieee_inexact 0
		.amdhsa_exception_int_div_zero 0
	.end_amdhsa_kernel
	.section	.text._ZN7rocprim17ROCPRIM_400000_NS6detail17trampoline_kernelINS0_14default_configENS1_25transform_config_selectorItLb0EEEZNS1_14transform_implILb0ES3_S5_NS0_18transform_iteratorINS0_17counting_iteratorImlEEZNS1_24adjacent_difference_implIS3_Lb1ELb0EPtN6thrust23THRUST_200600_302600_NS16discard_iteratorINSD_11use_defaultEEENSD_5minusItEEEE10hipError_tPvRmT2_T3_mT4_P12ihipStream_tbEUlmE_tEESB_NS0_8identityIvEEEESJ_SM_SN_mSO_SQ_bEUlT_E_NS1_11comp_targetILNS1_3genE9ELNS1_11target_archE1100ELNS1_3gpuE3ELNS1_3repE0EEENS1_30default_config_static_selectorELNS0_4arch9wavefront6targetE1EEEvT1_,"axG",@progbits,_ZN7rocprim17ROCPRIM_400000_NS6detail17trampoline_kernelINS0_14default_configENS1_25transform_config_selectorItLb0EEEZNS1_14transform_implILb0ES3_S5_NS0_18transform_iteratorINS0_17counting_iteratorImlEEZNS1_24adjacent_difference_implIS3_Lb1ELb0EPtN6thrust23THRUST_200600_302600_NS16discard_iteratorINSD_11use_defaultEEENSD_5minusItEEEE10hipError_tPvRmT2_T3_mT4_P12ihipStream_tbEUlmE_tEESB_NS0_8identityIvEEEESJ_SM_SN_mSO_SQ_bEUlT_E_NS1_11comp_targetILNS1_3genE9ELNS1_11target_archE1100ELNS1_3gpuE3ELNS1_3repE0EEENS1_30default_config_static_selectorELNS0_4arch9wavefront6targetE1EEEvT1_,comdat
.Lfunc_end848:
	.size	_ZN7rocprim17ROCPRIM_400000_NS6detail17trampoline_kernelINS0_14default_configENS1_25transform_config_selectorItLb0EEEZNS1_14transform_implILb0ES3_S5_NS0_18transform_iteratorINS0_17counting_iteratorImlEEZNS1_24adjacent_difference_implIS3_Lb1ELb0EPtN6thrust23THRUST_200600_302600_NS16discard_iteratorINSD_11use_defaultEEENSD_5minusItEEEE10hipError_tPvRmT2_T3_mT4_P12ihipStream_tbEUlmE_tEESB_NS0_8identityIvEEEESJ_SM_SN_mSO_SQ_bEUlT_E_NS1_11comp_targetILNS1_3genE9ELNS1_11target_archE1100ELNS1_3gpuE3ELNS1_3repE0EEENS1_30default_config_static_selectorELNS0_4arch9wavefront6targetE1EEEvT1_, .Lfunc_end848-_ZN7rocprim17ROCPRIM_400000_NS6detail17trampoline_kernelINS0_14default_configENS1_25transform_config_selectorItLb0EEEZNS1_14transform_implILb0ES3_S5_NS0_18transform_iteratorINS0_17counting_iteratorImlEEZNS1_24adjacent_difference_implIS3_Lb1ELb0EPtN6thrust23THRUST_200600_302600_NS16discard_iteratorINSD_11use_defaultEEENSD_5minusItEEEE10hipError_tPvRmT2_T3_mT4_P12ihipStream_tbEUlmE_tEESB_NS0_8identityIvEEEESJ_SM_SN_mSO_SQ_bEUlT_E_NS1_11comp_targetILNS1_3genE9ELNS1_11target_archE1100ELNS1_3gpuE3ELNS1_3repE0EEENS1_30default_config_static_selectorELNS0_4arch9wavefront6targetE1EEEvT1_
                                        ; -- End function
	.set _ZN7rocprim17ROCPRIM_400000_NS6detail17trampoline_kernelINS0_14default_configENS1_25transform_config_selectorItLb0EEEZNS1_14transform_implILb0ES3_S5_NS0_18transform_iteratorINS0_17counting_iteratorImlEEZNS1_24adjacent_difference_implIS3_Lb1ELb0EPtN6thrust23THRUST_200600_302600_NS16discard_iteratorINSD_11use_defaultEEENSD_5minusItEEEE10hipError_tPvRmT2_T3_mT4_P12ihipStream_tbEUlmE_tEESB_NS0_8identityIvEEEESJ_SM_SN_mSO_SQ_bEUlT_E_NS1_11comp_targetILNS1_3genE9ELNS1_11target_archE1100ELNS1_3gpuE3ELNS1_3repE0EEENS1_30default_config_static_selectorELNS0_4arch9wavefront6targetE1EEEvT1_.num_vgpr, 0
	.set _ZN7rocprim17ROCPRIM_400000_NS6detail17trampoline_kernelINS0_14default_configENS1_25transform_config_selectorItLb0EEEZNS1_14transform_implILb0ES3_S5_NS0_18transform_iteratorINS0_17counting_iteratorImlEEZNS1_24adjacent_difference_implIS3_Lb1ELb0EPtN6thrust23THRUST_200600_302600_NS16discard_iteratorINSD_11use_defaultEEENSD_5minusItEEEE10hipError_tPvRmT2_T3_mT4_P12ihipStream_tbEUlmE_tEESB_NS0_8identityIvEEEESJ_SM_SN_mSO_SQ_bEUlT_E_NS1_11comp_targetILNS1_3genE9ELNS1_11target_archE1100ELNS1_3gpuE3ELNS1_3repE0EEENS1_30default_config_static_selectorELNS0_4arch9wavefront6targetE1EEEvT1_.num_agpr, 0
	.set _ZN7rocprim17ROCPRIM_400000_NS6detail17trampoline_kernelINS0_14default_configENS1_25transform_config_selectorItLb0EEEZNS1_14transform_implILb0ES3_S5_NS0_18transform_iteratorINS0_17counting_iteratorImlEEZNS1_24adjacent_difference_implIS3_Lb1ELb0EPtN6thrust23THRUST_200600_302600_NS16discard_iteratorINSD_11use_defaultEEENSD_5minusItEEEE10hipError_tPvRmT2_T3_mT4_P12ihipStream_tbEUlmE_tEESB_NS0_8identityIvEEEESJ_SM_SN_mSO_SQ_bEUlT_E_NS1_11comp_targetILNS1_3genE9ELNS1_11target_archE1100ELNS1_3gpuE3ELNS1_3repE0EEENS1_30default_config_static_selectorELNS0_4arch9wavefront6targetE1EEEvT1_.numbered_sgpr, 0
	.set _ZN7rocprim17ROCPRIM_400000_NS6detail17trampoline_kernelINS0_14default_configENS1_25transform_config_selectorItLb0EEEZNS1_14transform_implILb0ES3_S5_NS0_18transform_iteratorINS0_17counting_iteratorImlEEZNS1_24adjacent_difference_implIS3_Lb1ELb0EPtN6thrust23THRUST_200600_302600_NS16discard_iteratorINSD_11use_defaultEEENSD_5minusItEEEE10hipError_tPvRmT2_T3_mT4_P12ihipStream_tbEUlmE_tEESB_NS0_8identityIvEEEESJ_SM_SN_mSO_SQ_bEUlT_E_NS1_11comp_targetILNS1_3genE9ELNS1_11target_archE1100ELNS1_3gpuE3ELNS1_3repE0EEENS1_30default_config_static_selectorELNS0_4arch9wavefront6targetE1EEEvT1_.num_named_barrier, 0
	.set _ZN7rocprim17ROCPRIM_400000_NS6detail17trampoline_kernelINS0_14default_configENS1_25transform_config_selectorItLb0EEEZNS1_14transform_implILb0ES3_S5_NS0_18transform_iteratorINS0_17counting_iteratorImlEEZNS1_24adjacent_difference_implIS3_Lb1ELb0EPtN6thrust23THRUST_200600_302600_NS16discard_iteratorINSD_11use_defaultEEENSD_5minusItEEEE10hipError_tPvRmT2_T3_mT4_P12ihipStream_tbEUlmE_tEESB_NS0_8identityIvEEEESJ_SM_SN_mSO_SQ_bEUlT_E_NS1_11comp_targetILNS1_3genE9ELNS1_11target_archE1100ELNS1_3gpuE3ELNS1_3repE0EEENS1_30default_config_static_selectorELNS0_4arch9wavefront6targetE1EEEvT1_.private_seg_size, 0
	.set _ZN7rocprim17ROCPRIM_400000_NS6detail17trampoline_kernelINS0_14default_configENS1_25transform_config_selectorItLb0EEEZNS1_14transform_implILb0ES3_S5_NS0_18transform_iteratorINS0_17counting_iteratorImlEEZNS1_24adjacent_difference_implIS3_Lb1ELb0EPtN6thrust23THRUST_200600_302600_NS16discard_iteratorINSD_11use_defaultEEENSD_5minusItEEEE10hipError_tPvRmT2_T3_mT4_P12ihipStream_tbEUlmE_tEESB_NS0_8identityIvEEEESJ_SM_SN_mSO_SQ_bEUlT_E_NS1_11comp_targetILNS1_3genE9ELNS1_11target_archE1100ELNS1_3gpuE3ELNS1_3repE0EEENS1_30default_config_static_selectorELNS0_4arch9wavefront6targetE1EEEvT1_.uses_vcc, 0
	.set _ZN7rocprim17ROCPRIM_400000_NS6detail17trampoline_kernelINS0_14default_configENS1_25transform_config_selectorItLb0EEEZNS1_14transform_implILb0ES3_S5_NS0_18transform_iteratorINS0_17counting_iteratorImlEEZNS1_24adjacent_difference_implIS3_Lb1ELb0EPtN6thrust23THRUST_200600_302600_NS16discard_iteratorINSD_11use_defaultEEENSD_5minusItEEEE10hipError_tPvRmT2_T3_mT4_P12ihipStream_tbEUlmE_tEESB_NS0_8identityIvEEEESJ_SM_SN_mSO_SQ_bEUlT_E_NS1_11comp_targetILNS1_3genE9ELNS1_11target_archE1100ELNS1_3gpuE3ELNS1_3repE0EEENS1_30default_config_static_selectorELNS0_4arch9wavefront6targetE1EEEvT1_.uses_flat_scratch, 0
	.set _ZN7rocprim17ROCPRIM_400000_NS6detail17trampoline_kernelINS0_14default_configENS1_25transform_config_selectorItLb0EEEZNS1_14transform_implILb0ES3_S5_NS0_18transform_iteratorINS0_17counting_iteratorImlEEZNS1_24adjacent_difference_implIS3_Lb1ELb0EPtN6thrust23THRUST_200600_302600_NS16discard_iteratorINSD_11use_defaultEEENSD_5minusItEEEE10hipError_tPvRmT2_T3_mT4_P12ihipStream_tbEUlmE_tEESB_NS0_8identityIvEEEESJ_SM_SN_mSO_SQ_bEUlT_E_NS1_11comp_targetILNS1_3genE9ELNS1_11target_archE1100ELNS1_3gpuE3ELNS1_3repE0EEENS1_30default_config_static_selectorELNS0_4arch9wavefront6targetE1EEEvT1_.has_dyn_sized_stack, 0
	.set _ZN7rocprim17ROCPRIM_400000_NS6detail17trampoline_kernelINS0_14default_configENS1_25transform_config_selectorItLb0EEEZNS1_14transform_implILb0ES3_S5_NS0_18transform_iteratorINS0_17counting_iteratorImlEEZNS1_24adjacent_difference_implIS3_Lb1ELb0EPtN6thrust23THRUST_200600_302600_NS16discard_iteratorINSD_11use_defaultEEENSD_5minusItEEEE10hipError_tPvRmT2_T3_mT4_P12ihipStream_tbEUlmE_tEESB_NS0_8identityIvEEEESJ_SM_SN_mSO_SQ_bEUlT_E_NS1_11comp_targetILNS1_3genE9ELNS1_11target_archE1100ELNS1_3gpuE3ELNS1_3repE0EEENS1_30default_config_static_selectorELNS0_4arch9wavefront6targetE1EEEvT1_.has_recursion, 0
	.set _ZN7rocprim17ROCPRIM_400000_NS6detail17trampoline_kernelINS0_14default_configENS1_25transform_config_selectorItLb0EEEZNS1_14transform_implILb0ES3_S5_NS0_18transform_iteratorINS0_17counting_iteratorImlEEZNS1_24adjacent_difference_implIS3_Lb1ELb0EPtN6thrust23THRUST_200600_302600_NS16discard_iteratorINSD_11use_defaultEEENSD_5minusItEEEE10hipError_tPvRmT2_T3_mT4_P12ihipStream_tbEUlmE_tEESB_NS0_8identityIvEEEESJ_SM_SN_mSO_SQ_bEUlT_E_NS1_11comp_targetILNS1_3genE9ELNS1_11target_archE1100ELNS1_3gpuE3ELNS1_3repE0EEENS1_30default_config_static_selectorELNS0_4arch9wavefront6targetE1EEEvT1_.has_indirect_call, 0
	.section	.AMDGPU.csdata,"",@progbits
; Kernel info:
; codeLenInByte = 0
; TotalNumSgprs: 4
; NumVgprs: 0
; ScratchSize: 0
; MemoryBound: 0
; FloatMode: 240
; IeeeMode: 1
; LDSByteSize: 0 bytes/workgroup (compile time only)
; SGPRBlocks: 0
; VGPRBlocks: 0
; NumSGPRsForWavesPerEU: 4
; NumVGPRsForWavesPerEU: 1
; Occupancy: 10
; WaveLimiterHint : 0
; COMPUTE_PGM_RSRC2:SCRATCH_EN: 0
; COMPUTE_PGM_RSRC2:USER_SGPR: 6
; COMPUTE_PGM_RSRC2:TRAP_HANDLER: 0
; COMPUTE_PGM_RSRC2:TGID_X_EN: 1
; COMPUTE_PGM_RSRC2:TGID_Y_EN: 0
; COMPUTE_PGM_RSRC2:TGID_Z_EN: 0
; COMPUTE_PGM_RSRC2:TIDIG_COMP_CNT: 0
	.section	.text._ZN7rocprim17ROCPRIM_400000_NS6detail17trampoline_kernelINS0_14default_configENS1_25transform_config_selectorItLb0EEEZNS1_14transform_implILb0ES3_S5_NS0_18transform_iteratorINS0_17counting_iteratorImlEEZNS1_24adjacent_difference_implIS3_Lb1ELb0EPtN6thrust23THRUST_200600_302600_NS16discard_iteratorINSD_11use_defaultEEENSD_5minusItEEEE10hipError_tPvRmT2_T3_mT4_P12ihipStream_tbEUlmE_tEESB_NS0_8identityIvEEEESJ_SM_SN_mSO_SQ_bEUlT_E_NS1_11comp_targetILNS1_3genE8ELNS1_11target_archE1030ELNS1_3gpuE2ELNS1_3repE0EEENS1_30default_config_static_selectorELNS0_4arch9wavefront6targetE1EEEvT1_,"axG",@progbits,_ZN7rocprim17ROCPRIM_400000_NS6detail17trampoline_kernelINS0_14default_configENS1_25transform_config_selectorItLb0EEEZNS1_14transform_implILb0ES3_S5_NS0_18transform_iteratorINS0_17counting_iteratorImlEEZNS1_24adjacent_difference_implIS3_Lb1ELb0EPtN6thrust23THRUST_200600_302600_NS16discard_iteratorINSD_11use_defaultEEENSD_5minusItEEEE10hipError_tPvRmT2_T3_mT4_P12ihipStream_tbEUlmE_tEESB_NS0_8identityIvEEEESJ_SM_SN_mSO_SQ_bEUlT_E_NS1_11comp_targetILNS1_3genE8ELNS1_11target_archE1030ELNS1_3gpuE2ELNS1_3repE0EEENS1_30default_config_static_selectorELNS0_4arch9wavefront6targetE1EEEvT1_,comdat
	.protected	_ZN7rocprim17ROCPRIM_400000_NS6detail17trampoline_kernelINS0_14default_configENS1_25transform_config_selectorItLb0EEEZNS1_14transform_implILb0ES3_S5_NS0_18transform_iteratorINS0_17counting_iteratorImlEEZNS1_24adjacent_difference_implIS3_Lb1ELb0EPtN6thrust23THRUST_200600_302600_NS16discard_iteratorINSD_11use_defaultEEENSD_5minusItEEEE10hipError_tPvRmT2_T3_mT4_P12ihipStream_tbEUlmE_tEESB_NS0_8identityIvEEEESJ_SM_SN_mSO_SQ_bEUlT_E_NS1_11comp_targetILNS1_3genE8ELNS1_11target_archE1030ELNS1_3gpuE2ELNS1_3repE0EEENS1_30default_config_static_selectorELNS0_4arch9wavefront6targetE1EEEvT1_ ; -- Begin function _ZN7rocprim17ROCPRIM_400000_NS6detail17trampoline_kernelINS0_14default_configENS1_25transform_config_selectorItLb0EEEZNS1_14transform_implILb0ES3_S5_NS0_18transform_iteratorINS0_17counting_iteratorImlEEZNS1_24adjacent_difference_implIS3_Lb1ELb0EPtN6thrust23THRUST_200600_302600_NS16discard_iteratorINSD_11use_defaultEEENSD_5minusItEEEE10hipError_tPvRmT2_T3_mT4_P12ihipStream_tbEUlmE_tEESB_NS0_8identityIvEEEESJ_SM_SN_mSO_SQ_bEUlT_E_NS1_11comp_targetILNS1_3genE8ELNS1_11target_archE1030ELNS1_3gpuE2ELNS1_3repE0EEENS1_30default_config_static_selectorELNS0_4arch9wavefront6targetE1EEEvT1_
	.globl	_ZN7rocprim17ROCPRIM_400000_NS6detail17trampoline_kernelINS0_14default_configENS1_25transform_config_selectorItLb0EEEZNS1_14transform_implILb0ES3_S5_NS0_18transform_iteratorINS0_17counting_iteratorImlEEZNS1_24adjacent_difference_implIS3_Lb1ELb0EPtN6thrust23THRUST_200600_302600_NS16discard_iteratorINSD_11use_defaultEEENSD_5minusItEEEE10hipError_tPvRmT2_T3_mT4_P12ihipStream_tbEUlmE_tEESB_NS0_8identityIvEEEESJ_SM_SN_mSO_SQ_bEUlT_E_NS1_11comp_targetILNS1_3genE8ELNS1_11target_archE1030ELNS1_3gpuE2ELNS1_3repE0EEENS1_30default_config_static_selectorELNS0_4arch9wavefront6targetE1EEEvT1_
	.p2align	8
	.type	_ZN7rocprim17ROCPRIM_400000_NS6detail17trampoline_kernelINS0_14default_configENS1_25transform_config_selectorItLb0EEEZNS1_14transform_implILb0ES3_S5_NS0_18transform_iteratorINS0_17counting_iteratorImlEEZNS1_24adjacent_difference_implIS3_Lb1ELb0EPtN6thrust23THRUST_200600_302600_NS16discard_iteratorINSD_11use_defaultEEENSD_5minusItEEEE10hipError_tPvRmT2_T3_mT4_P12ihipStream_tbEUlmE_tEESB_NS0_8identityIvEEEESJ_SM_SN_mSO_SQ_bEUlT_E_NS1_11comp_targetILNS1_3genE8ELNS1_11target_archE1030ELNS1_3gpuE2ELNS1_3repE0EEENS1_30default_config_static_selectorELNS0_4arch9wavefront6targetE1EEEvT1_,@function
_ZN7rocprim17ROCPRIM_400000_NS6detail17trampoline_kernelINS0_14default_configENS1_25transform_config_selectorItLb0EEEZNS1_14transform_implILb0ES3_S5_NS0_18transform_iteratorINS0_17counting_iteratorImlEEZNS1_24adjacent_difference_implIS3_Lb1ELb0EPtN6thrust23THRUST_200600_302600_NS16discard_iteratorINSD_11use_defaultEEENSD_5minusItEEEE10hipError_tPvRmT2_T3_mT4_P12ihipStream_tbEUlmE_tEESB_NS0_8identityIvEEEESJ_SM_SN_mSO_SQ_bEUlT_E_NS1_11comp_targetILNS1_3genE8ELNS1_11target_archE1030ELNS1_3gpuE2ELNS1_3repE0EEENS1_30default_config_static_selectorELNS0_4arch9wavefront6targetE1EEEvT1_: ; @_ZN7rocprim17ROCPRIM_400000_NS6detail17trampoline_kernelINS0_14default_configENS1_25transform_config_selectorItLb0EEEZNS1_14transform_implILb0ES3_S5_NS0_18transform_iteratorINS0_17counting_iteratorImlEEZNS1_24adjacent_difference_implIS3_Lb1ELb0EPtN6thrust23THRUST_200600_302600_NS16discard_iteratorINSD_11use_defaultEEENSD_5minusItEEEE10hipError_tPvRmT2_T3_mT4_P12ihipStream_tbEUlmE_tEESB_NS0_8identityIvEEEESJ_SM_SN_mSO_SQ_bEUlT_E_NS1_11comp_targetILNS1_3genE8ELNS1_11target_archE1030ELNS1_3gpuE2ELNS1_3repE0EEENS1_30default_config_static_selectorELNS0_4arch9wavefront6targetE1EEEvT1_
; %bb.0:
	.section	.rodata,"a",@progbits
	.p2align	6, 0x0
	.amdhsa_kernel _ZN7rocprim17ROCPRIM_400000_NS6detail17trampoline_kernelINS0_14default_configENS1_25transform_config_selectorItLb0EEEZNS1_14transform_implILb0ES3_S5_NS0_18transform_iteratorINS0_17counting_iteratorImlEEZNS1_24adjacent_difference_implIS3_Lb1ELb0EPtN6thrust23THRUST_200600_302600_NS16discard_iteratorINSD_11use_defaultEEENSD_5minusItEEEE10hipError_tPvRmT2_T3_mT4_P12ihipStream_tbEUlmE_tEESB_NS0_8identityIvEEEESJ_SM_SN_mSO_SQ_bEUlT_E_NS1_11comp_targetILNS1_3genE8ELNS1_11target_archE1030ELNS1_3gpuE2ELNS1_3repE0EEENS1_30default_config_static_selectorELNS0_4arch9wavefront6targetE1EEEvT1_
		.amdhsa_group_segment_fixed_size 0
		.amdhsa_private_segment_fixed_size 0
		.amdhsa_kernarg_size 56
		.amdhsa_user_sgpr_count 6
		.amdhsa_user_sgpr_private_segment_buffer 1
		.amdhsa_user_sgpr_dispatch_ptr 0
		.amdhsa_user_sgpr_queue_ptr 0
		.amdhsa_user_sgpr_kernarg_segment_ptr 1
		.amdhsa_user_sgpr_dispatch_id 0
		.amdhsa_user_sgpr_flat_scratch_init 0
		.amdhsa_user_sgpr_private_segment_size 0
		.amdhsa_uses_dynamic_stack 0
		.amdhsa_system_sgpr_private_segment_wavefront_offset 0
		.amdhsa_system_sgpr_workgroup_id_x 1
		.amdhsa_system_sgpr_workgroup_id_y 0
		.amdhsa_system_sgpr_workgroup_id_z 0
		.amdhsa_system_sgpr_workgroup_info 0
		.amdhsa_system_vgpr_workitem_id 0
		.amdhsa_next_free_vgpr 1
		.amdhsa_next_free_sgpr 0
		.amdhsa_reserve_vcc 0
		.amdhsa_reserve_flat_scratch 0
		.amdhsa_float_round_mode_32 0
		.amdhsa_float_round_mode_16_64 0
		.amdhsa_float_denorm_mode_32 3
		.amdhsa_float_denorm_mode_16_64 3
		.amdhsa_dx10_clamp 1
		.amdhsa_ieee_mode 1
		.amdhsa_fp16_overflow 0
		.amdhsa_exception_fp_ieee_invalid_op 0
		.amdhsa_exception_fp_denorm_src 0
		.amdhsa_exception_fp_ieee_div_zero 0
		.amdhsa_exception_fp_ieee_overflow 0
		.amdhsa_exception_fp_ieee_underflow 0
		.amdhsa_exception_fp_ieee_inexact 0
		.amdhsa_exception_int_div_zero 0
	.end_amdhsa_kernel
	.section	.text._ZN7rocprim17ROCPRIM_400000_NS6detail17trampoline_kernelINS0_14default_configENS1_25transform_config_selectorItLb0EEEZNS1_14transform_implILb0ES3_S5_NS0_18transform_iteratorINS0_17counting_iteratorImlEEZNS1_24adjacent_difference_implIS3_Lb1ELb0EPtN6thrust23THRUST_200600_302600_NS16discard_iteratorINSD_11use_defaultEEENSD_5minusItEEEE10hipError_tPvRmT2_T3_mT4_P12ihipStream_tbEUlmE_tEESB_NS0_8identityIvEEEESJ_SM_SN_mSO_SQ_bEUlT_E_NS1_11comp_targetILNS1_3genE8ELNS1_11target_archE1030ELNS1_3gpuE2ELNS1_3repE0EEENS1_30default_config_static_selectorELNS0_4arch9wavefront6targetE1EEEvT1_,"axG",@progbits,_ZN7rocprim17ROCPRIM_400000_NS6detail17trampoline_kernelINS0_14default_configENS1_25transform_config_selectorItLb0EEEZNS1_14transform_implILb0ES3_S5_NS0_18transform_iteratorINS0_17counting_iteratorImlEEZNS1_24adjacent_difference_implIS3_Lb1ELb0EPtN6thrust23THRUST_200600_302600_NS16discard_iteratorINSD_11use_defaultEEENSD_5minusItEEEE10hipError_tPvRmT2_T3_mT4_P12ihipStream_tbEUlmE_tEESB_NS0_8identityIvEEEESJ_SM_SN_mSO_SQ_bEUlT_E_NS1_11comp_targetILNS1_3genE8ELNS1_11target_archE1030ELNS1_3gpuE2ELNS1_3repE0EEENS1_30default_config_static_selectorELNS0_4arch9wavefront6targetE1EEEvT1_,comdat
.Lfunc_end849:
	.size	_ZN7rocprim17ROCPRIM_400000_NS6detail17trampoline_kernelINS0_14default_configENS1_25transform_config_selectorItLb0EEEZNS1_14transform_implILb0ES3_S5_NS0_18transform_iteratorINS0_17counting_iteratorImlEEZNS1_24adjacent_difference_implIS3_Lb1ELb0EPtN6thrust23THRUST_200600_302600_NS16discard_iteratorINSD_11use_defaultEEENSD_5minusItEEEE10hipError_tPvRmT2_T3_mT4_P12ihipStream_tbEUlmE_tEESB_NS0_8identityIvEEEESJ_SM_SN_mSO_SQ_bEUlT_E_NS1_11comp_targetILNS1_3genE8ELNS1_11target_archE1030ELNS1_3gpuE2ELNS1_3repE0EEENS1_30default_config_static_selectorELNS0_4arch9wavefront6targetE1EEEvT1_, .Lfunc_end849-_ZN7rocprim17ROCPRIM_400000_NS6detail17trampoline_kernelINS0_14default_configENS1_25transform_config_selectorItLb0EEEZNS1_14transform_implILb0ES3_S5_NS0_18transform_iteratorINS0_17counting_iteratorImlEEZNS1_24adjacent_difference_implIS3_Lb1ELb0EPtN6thrust23THRUST_200600_302600_NS16discard_iteratorINSD_11use_defaultEEENSD_5minusItEEEE10hipError_tPvRmT2_T3_mT4_P12ihipStream_tbEUlmE_tEESB_NS0_8identityIvEEEESJ_SM_SN_mSO_SQ_bEUlT_E_NS1_11comp_targetILNS1_3genE8ELNS1_11target_archE1030ELNS1_3gpuE2ELNS1_3repE0EEENS1_30default_config_static_selectorELNS0_4arch9wavefront6targetE1EEEvT1_
                                        ; -- End function
	.set _ZN7rocprim17ROCPRIM_400000_NS6detail17trampoline_kernelINS0_14default_configENS1_25transform_config_selectorItLb0EEEZNS1_14transform_implILb0ES3_S5_NS0_18transform_iteratorINS0_17counting_iteratorImlEEZNS1_24adjacent_difference_implIS3_Lb1ELb0EPtN6thrust23THRUST_200600_302600_NS16discard_iteratorINSD_11use_defaultEEENSD_5minusItEEEE10hipError_tPvRmT2_T3_mT4_P12ihipStream_tbEUlmE_tEESB_NS0_8identityIvEEEESJ_SM_SN_mSO_SQ_bEUlT_E_NS1_11comp_targetILNS1_3genE8ELNS1_11target_archE1030ELNS1_3gpuE2ELNS1_3repE0EEENS1_30default_config_static_selectorELNS0_4arch9wavefront6targetE1EEEvT1_.num_vgpr, 0
	.set _ZN7rocprim17ROCPRIM_400000_NS6detail17trampoline_kernelINS0_14default_configENS1_25transform_config_selectorItLb0EEEZNS1_14transform_implILb0ES3_S5_NS0_18transform_iteratorINS0_17counting_iteratorImlEEZNS1_24adjacent_difference_implIS3_Lb1ELb0EPtN6thrust23THRUST_200600_302600_NS16discard_iteratorINSD_11use_defaultEEENSD_5minusItEEEE10hipError_tPvRmT2_T3_mT4_P12ihipStream_tbEUlmE_tEESB_NS0_8identityIvEEEESJ_SM_SN_mSO_SQ_bEUlT_E_NS1_11comp_targetILNS1_3genE8ELNS1_11target_archE1030ELNS1_3gpuE2ELNS1_3repE0EEENS1_30default_config_static_selectorELNS0_4arch9wavefront6targetE1EEEvT1_.num_agpr, 0
	.set _ZN7rocprim17ROCPRIM_400000_NS6detail17trampoline_kernelINS0_14default_configENS1_25transform_config_selectorItLb0EEEZNS1_14transform_implILb0ES3_S5_NS0_18transform_iteratorINS0_17counting_iteratorImlEEZNS1_24adjacent_difference_implIS3_Lb1ELb0EPtN6thrust23THRUST_200600_302600_NS16discard_iteratorINSD_11use_defaultEEENSD_5minusItEEEE10hipError_tPvRmT2_T3_mT4_P12ihipStream_tbEUlmE_tEESB_NS0_8identityIvEEEESJ_SM_SN_mSO_SQ_bEUlT_E_NS1_11comp_targetILNS1_3genE8ELNS1_11target_archE1030ELNS1_3gpuE2ELNS1_3repE0EEENS1_30default_config_static_selectorELNS0_4arch9wavefront6targetE1EEEvT1_.numbered_sgpr, 0
	.set _ZN7rocprim17ROCPRIM_400000_NS6detail17trampoline_kernelINS0_14default_configENS1_25transform_config_selectorItLb0EEEZNS1_14transform_implILb0ES3_S5_NS0_18transform_iteratorINS0_17counting_iteratorImlEEZNS1_24adjacent_difference_implIS3_Lb1ELb0EPtN6thrust23THRUST_200600_302600_NS16discard_iteratorINSD_11use_defaultEEENSD_5minusItEEEE10hipError_tPvRmT2_T3_mT4_P12ihipStream_tbEUlmE_tEESB_NS0_8identityIvEEEESJ_SM_SN_mSO_SQ_bEUlT_E_NS1_11comp_targetILNS1_3genE8ELNS1_11target_archE1030ELNS1_3gpuE2ELNS1_3repE0EEENS1_30default_config_static_selectorELNS0_4arch9wavefront6targetE1EEEvT1_.num_named_barrier, 0
	.set _ZN7rocprim17ROCPRIM_400000_NS6detail17trampoline_kernelINS0_14default_configENS1_25transform_config_selectorItLb0EEEZNS1_14transform_implILb0ES3_S5_NS0_18transform_iteratorINS0_17counting_iteratorImlEEZNS1_24adjacent_difference_implIS3_Lb1ELb0EPtN6thrust23THRUST_200600_302600_NS16discard_iteratorINSD_11use_defaultEEENSD_5minusItEEEE10hipError_tPvRmT2_T3_mT4_P12ihipStream_tbEUlmE_tEESB_NS0_8identityIvEEEESJ_SM_SN_mSO_SQ_bEUlT_E_NS1_11comp_targetILNS1_3genE8ELNS1_11target_archE1030ELNS1_3gpuE2ELNS1_3repE0EEENS1_30default_config_static_selectorELNS0_4arch9wavefront6targetE1EEEvT1_.private_seg_size, 0
	.set _ZN7rocprim17ROCPRIM_400000_NS6detail17trampoline_kernelINS0_14default_configENS1_25transform_config_selectorItLb0EEEZNS1_14transform_implILb0ES3_S5_NS0_18transform_iteratorINS0_17counting_iteratorImlEEZNS1_24adjacent_difference_implIS3_Lb1ELb0EPtN6thrust23THRUST_200600_302600_NS16discard_iteratorINSD_11use_defaultEEENSD_5minusItEEEE10hipError_tPvRmT2_T3_mT4_P12ihipStream_tbEUlmE_tEESB_NS0_8identityIvEEEESJ_SM_SN_mSO_SQ_bEUlT_E_NS1_11comp_targetILNS1_3genE8ELNS1_11target_archE1030ELNS1_3gpuE2ELNS1_3repE0EEENS1_30default_config_static_selectorELNS0_4arch9wavefront6targetE1EEEvT1_.uses_vcc, 0
	.set _ZN7rocprim17ROCPRIM_400000_NS6detail17trampoline_kernelINS0_14default_configENS1_25transform_config_selectorItLb0EEEZNS1_14transform_implILb0ES3_S5_NS0_18transform_iteratorINS0_17counting_iteratorImlEEZNS1_24adjacent_difference_implIS3_Lb1ELb0EPtN6thrust23THRUST_200600_302600_NS16discard_iteratorINSD_11use_defaultEEENSD_5minusItEEEE10hipError_tPvRmT2_T3_mT4_P12ihipStream_tbEUlmE_tEESB_NS0_8identityIvEEEESJ_SM_SN_mSO_SQ_bEUlT_E_NS1_11comp_targetILNS1_3genE8ELNS1_11target_archE1030ELNS1_3gpuE2ELNS1_3repE0EEENS1_30default_config_static_selectorELNS0_4arch9wavefront6targetE1EEEvT1_.uses_flat_scratch, 0
	.set _ZN7rocprim17ROCPRIM_400000_NS6detail17trampoline_kernelINS0_14default_configENS1_25transform_config_selectorItLb0EEEZNS1_14transform_implILb0ES3_S5_NS0_18transform_iteratorINS0_17counting_iteratorImlEEZNS1_24adjacent_difference_implIS3_Lb1ELb0EPtN6thrust23THRUST_200600_302600_NS16discard_iteratorINSD_11use_defaultEEENSD_5minusItEEEE10hipError_tPvRmT2_T3_mT4_P12ihipStream_tbEUlmE_tEESB_NS0_8identityIvEEEESJ_SM_SN_mSO_SQ_bEUlT_E_NS1_11comp_targetILNS1_3genE8ELNS1_11target_archE1030ELNS1_3gpuE2ELNS1_3repE0EEENS1_30default_config_static_selectorELNS0_4arch9wavefront6targetE1EEEvT1_.has_dyn_sized_stack, 0
	.set _ZN7rocprim17ROCPRIM_400000_NS6detail17trampoline_kernelINS0_14default_configENS1_25transform_config_selectorItLb0EEEZNS1_14transform_implILb0ES3_S5_NS0_18transform_iteratorINS0_17counting_iteratorImlEEZNS1_24adjacent_difference_implIS3_Lb1ELb0EPtN6thrust23THRUST_200600_302600_NS16discard_iteratorINSD_11use_defaultEEENSD_5minusItEEEE10hipError_tPvRmT2_T3_mT4_P12ihipStream_tbEUlmE_tEESB_NS0_8identityIvEEEESJ_SM_SN_mSO_SQ_bEUlT_E_NS1_11comp_targetILNS1_3genE8ELNS1_11target_archE1030ELNS1_3gpuE2ELNS1_3repE0EEENS1_30default_config_static_selectorELNS0_4arch9wavefront6targetE1EEEvT1_.has_recursion, 0
	.set _ZN7rocprim17ROCPRIM_400000_NS6detail17trampoline_kernelINS0_14default_configENS1_25transform_config_selectorItLb0EEEZNS1_14transform_implILb0ES3_S5_NS0_18transform_iteratorINS0_17counting_iteratorImlEEZNS1_24adjacent_difference_implIS3_Lb1ELb0EPtN6thrust23THRUST_200600_302600_NS16discard_iteratorINSD_11use_defaultEEENSD_5minusItEEEE10hipError_tPvRmT2_T3_mT4_P12ihipStream_tbEUlmE_tEESB_NS0_8identityIvEEEESJ_SM_SN_mSO_SQ_bEUlT_E_NS1_11comp_targetILNS1_3genE8ELNS1_11target_archE1030ELNS1_3gpuE2ELNS1_3repE0EEENS1_30default_config_static_selectorELNS0_4arch9wavefront6targetE1EEEvT1_.has_indirect_call, 0
	.section	.AMDGPU.csdata,"",@progbits
; Kernel info:
; codeLenInByte = 0
; TotalNumSgprs: 4
; NumVgprs: 0
; ScratchSize: 0
; MemoryBound: 0
; FloatMode: 240
; IeeeMode: 1
; LDSByteSize: 0 bytes/workgroup (compile time only)
; SGPRBlocks: 0
; VGPRBlocks: 0
; NumSGPRsForWavesPerEU: 4
; NumVGPRsForWavesPerEU: 1
; Occupancy: 10
; WaveLimiterHint : 0
; COMPUTE_PGM_RSRC2:SCRATCH_EN: 0
; COMPUTE_PGM_RSRC2:USER_SGPR: 6
; COMPUTE_PGM_RSRC2:TRAP_HANDLER: 0
; COMPUTE_PGM_RSRC2:TGID_X_EN: 1
; COMPUTE_PGM_RSRC2:TGID_Y_EN: 0
; COMPUTE_PGM_RSRC2:TGID_Z_EN: 0
; COMPUTE_PGM_RSRC2:TIDIG_COMP_CNT: 0
	.section	.text._ZN7rocprim17ROCPRIM_400000_NS6detail17trampoline_kernelINS0_14default_configENS1_35adjacent_difference_config_selectorILb1EtEEZNS1_24adjacent_difference_implIS3_Lb1ELb0EPtN6thrust23THRUST_200600_302600_NS16discard_iteratorINS9_11use_defaultEEENS9_5minusItEEEE10hipError_tPvRmT2_T3_mT4_P12ihipStream_tbEUlT_E_NS1_11comp_targetILNS1_3genE0ELNS1_11target_archE4294967295ELNS1_3gpuE0ELNS1_3repE0EEENS1_30default_config_static_selectorELNS0_4arch9wavefront6targetE1EEEvT1_,"axG",@progbits,_ZN7rocprim17ROCPRIM_400000_NS6detail17trampoline_kernelINS0_14default_configENS1_35adjacent_difference_config_selectorILb1EtEEZNS1_24adjacent_difference_implIS3_Lb1ELb0EPtN6thrust23THRUST_200600_302600_NS16discard_iteratorINS9_11use_defaultEEENS9_5minusItEEEE10hipError_tPvRmT2_T3_mT4_P12ihipStream_tbEUlT_E_NS1_11comp_targetILNS1_3genE0ELNS1_11target_archE4294967295ELNS1_3gpuE0ELNS1_3repE0EEENS1_30default_config_static_selectorELNS0_4arch9wavefront6targetE1EEEvT1_,comdat
	.protected	_ZN7rocprim17ROCPRIM_400000_NS6detail17trampoline_kernelINS0_14default_configENS1_35adjacent_difference_config_selectorILb1EtEEZNS1_24adjacent_difference_implIS3_Lb1ELb0EPtN6thrust23THRUST_200600_302600_NS16discard_iteratorINS9_11use_defaultEEENS9_5minusItEEEE10hipError_tPvRmT2_T3_mT4_P12ihipStream_tbEUlT_E_NS1_11comp_targetILNS1_3genE0ELNS1_11target_archE4294967295ELNS1_3gpuE0ELNS1_3repE0EEENS1_30default_config_static_selectorELNS0_4arch9wavefront6targetE1EEEvT1_ ; -- Begin function _ZN7rocprim17ROCPRIM_400000_NS6detail17trampoline_kernelINS0_14default_configENS1_35adjacent_difference_config_selectorILb1EtEEZNS1_24adjacent_difference_implIS3_Lb1ELb0EPtN6thrust23THRUST_200600_302600_NS16discard_iteratorINS9_11use_defaultEEENS9_5minusItEEEE10hipError_tPvRmT2_T3_mT4_P12ihipStream_tbEUlT_E_NS1_11comp_targetILNS1_3genE0ELNS1_11target_archE4294967295ELNS1_3gpuE0ELNS1_3repE0EEENS1_30default_config_static_selectorELNS0_4arch9wavefront6targetE1EEEvT1_
	.globl	_ZN7rocprim17ROCPRIM_400000_NS6detail17trampoline_kernelINS0_14default_configENS1_35adjacent_difference_config_selectorILb1EtEEZNS1_24adjacent_difference_implIS3_Lb1ELb0EPtN6thrust23THRUST_200600_302600_NS16discard_iteratorINS9_11use_defaultEEENS9_5minusItEEEE10hipError_tPvRmT2_T3_mT4_P12ihipStream_tbEUlT_E_NS1_11comp_targetILNS1_3genE0ELNS1_11target_archE4294967295ELNS1_3gpuE0ELNS1_3repE0EEENS1_30default_config_static_selectorELNS0_4arch9wavefront6targetE1EEEvT1_
	.p2align	8
	.type	_ZN7rocprim17ROCPRIM_400000_NS6detail17trampoline_kernelINS0_14default_configENS1_35adjacent_difference_config_selectorILb1EtEEZNS1_24adjacent_difference_implIS3_Lb1ELb0EPtN6thrust23THRUST_200600_302600_NS16discard_iteratorINS9_11use_defaultEEENS9_5minusItEEEE10hipError_tPvRmT2_T3_mT4_P12ihipStream_tbEUlT_E_NS1_11comp_targetILNS1_3genE0ELNS1_11target_archE4294967295ELNS1_3gpuE0ELNS1_3repE0EEENS1_30default_config_static_selectorELNS0_4arch9wavefront6targetE1EEEvT1_,@function
_ZN7rocprim17ROCPRIM_400000_NS6detail17trampoline_kernelINS0_14default_configENS1_35adjacent_difference_config_selectorILb1EtEEZNS1_24adjacent_difference_implIS3_Lb1ELb0EPtN6thrust23THRUST_200600_302600_NS16discard_iteratorINS9_11use_defaultEEENS9_5minusItEEEE10hipError_tPvRmT2_T3_mT4_P12ihipStream_tbEUlT_E_NS1_11comp_targetILNS1_3genE0ELNS1_11target_archE4294967295ELNS1_3gpuE0ELNS1_3repE0EEENS1_30default_config_static_selectorELNS0_4arch9wavefront6targetE1EEEvT1_: ; @_ZN7rocprim17ROCPRIM_400000_NS6detail17trampoline_kernelINS0_14default_configENS1_35adjacent_difference_config_selectorILb1EtEEZNS1_24adjacent_difference_implIS3_Lb1ELb0EPtN6thrust23THRUST_200600_302600_NS16discard_iteratorINS9_11use_defaultEEENS9_5minusItEEEE10hipError_tPvRmT2_T3_mT4_P12ihipStream_tbEUlT_E_NS1_11comp_targetILNS1_3genE0ELNS1_11target_archE4294967295ELNS1_3gpuE0ELNS1_3repE0EEENS1_30default_config_static_selectorELNS0_4arch9wavefront6targetE1EEEvT1_
; %bb.0:
	.section	.rodata,"a",@progbits
	.p2align	6, 0x0
	.amdhsa_kernel _ZN7rocprim17ROCPRIM_400000_NS6detail17trampoline_kernelINS0_14default_configENS1_35adjacent_difference_config_selectorILb1EtEEZNS1_24adjacent_difference_implIS3_Lb1ELb0EPtN6thrust23THRUST_200600_302600_NS16discard_iteratorINS9_11use_defaultEEENS9_5minusItEEEE10hipError_tPvRmT2_T3_mT4_P12ihipStream_tbEUlT_E_NS1_11comp_targetILNS1_3genE0ELNS1_11target_archE4294967295ELNS1_3gpuE0ELNS1_3repE0EEENS1_30default_config_static_selectorELNS0_4arch9wavefront6targetE1EEEvT1_
		.amdhsa_group_segment_fixed_size 0
		.amdhsa_private_segment_fixed_size 0
		.amdhsa_kernarg_size 64
		.amdhsa_user_sgpr_count 6
		.amdhsa_user_sgpr_private_segment_buffer 1
		.amdhsa_user_sgpr_dispatch_ptr 0
		.amdhsa_user_sgpr_queue_ptr 0
		.amdhsa_user_sgpr_kernarg_segment_ptr 1
		.amdhsa_user_sgpr_dispatch_id 0
		.amdhsa_user_sgpr_flat_scratch_init 0
		.amdhsa_user_sgpr_private_segment_size 0
		.amdhsa_uses_dynamic_stack 0
		.amdhsa_system_sgpr_private_segment_wavefront_offset 0
		.amdhsa_system_sgpr_workgroup_id_x 1
		.amdhsa_system_sgpr_workgroup_id_y 0
		.amdhsa_system_sgpr_workgroup_id_z 0
		.amdhsa_system_sgpr_workgroup_info 0
		.amdhsa_system_vgpr_workitem_id 0
		.amdhsa_next_free_vgpr 1
		.amdhsa_next_free_sgpr 0
		.amdhsa_reserve_vcc 0
		.amdhsa_reserve_flat_scratch 0
		.amdhsa_float_round_mode_32 0
		.amdhsa_float_round_mode_16_64 0
		.amdhsa_float_denorm_mode_32 3
		.amdhsa_float_denorm_mode_16_64 3
		.amdhsa_dx10_clamp 1
		.amdhsa_ieee_mode 1
		.amdhsa_fp16_overflow 0
		.amdhsa_exception_fp_ieee_invalid_op 0
		.amdhsa_exception_fp_denorm_src 0
		.amdhsa_exception_fp_ieee_div_zero 0
		.amdhsa_exception_fp_ieee_overflow 0
		.amdhsa_exception_fp_ieee_underflow 0
		.amdhsa_exception_fp_ieee_inexact 0
		.amdhsa_exception_int_div_zero 0
	.end_amdhsa_kernel
	.section	.text._ZN7rocprim17ROCPRIM_400000_NS6detail17trampoline_kernelINS0_14default_configENS1_35adjacent_difference_config_selectorILb1EtEEZNS1_24adjacent_difference_implIS3_Lb1ELb0EPtN6thrust23THRUST_200600_302600_NS16discard_iteratorINS9_11use_defaultEEENS9_5minusItEEEE10hipError_tPvRmT2_T3_mT4_P12ihipStream_tbEUlT_E_NS1_11comp_targetILNS1_3genE0ELNS1_11target_archE4294967295ELNS1_3gpuE0ELNS1_3repE0EEENS1_30default_config_static_selectorELNS0_4arch9wavefront6targetE1EEEvT1_,"axG",@progbits,_ZN7rocprim17ROCPRIM_400000_NS6detail17trampoline_kernelINS0_14default_configENS1_35adjacent_difference_config_selectorILb1EtEEZNS1_24adjacent_difference_implIS3_Lb1ELb0EPtN6thrust23THRUST_200600_302600_NS16discard_iteratorINS9_11use_defaultEEENS9_5minusItEEEE10hipError_tPvRmT2_T3_mT4_P12ihipStream_tbEUlT_E_NS1_11comp_targetILNS1_3genE0ELNS1_11target_archE4294967295ELNS1_3gpuE0ELNS1_3repE0EEENS1_30default_config_static_selectorELNS0_4arch9wavefront6targetE1EEEvT1_,comdat
.Lfunc_end850:
	.size	_ZN7rocprim17ROCPRIM_400000_NS6detail17trampoline_kernelINS0_14default_configENS1_35adjacent_difference_config_selectorILb1EtEEZNS1_24adjacent_difference_implIS3_Lb1ELb0EPtN6thrust23THRUST_200600_302600_NS16discard_iteratorINS9_11use_defaultEEENS9_5minusItEEEE10hipError_tPvRmT2_T3_mT4_P12ihipStream_tbEUlT_E_NS1_11comp_targetILNS1_3genE0ELNS1_11target_archE4294967295ELNS1_3gpuE0ELNS1_3repE0EEENS1_30default_config_static_selectorELNS0_4arch9wavefront6targetE1EEEvT1_, .Lfunc_end850-_ZN7rocprim17ROCPRIM_400000_NS6detail17trampoline_kernelINS0_14default_configENS1_35adjacent_difference_config_selectorILb1EtEEZNS1_24adjacent_difference_implIS3_Lb1ELb0EPtN6thrust23THRUST_200600_302600_NS16discard_iteratorINS9_11use_defaultEEENS9_5minusItEEEE10hipError_tPvRmT2_T3_mT4_P12ihipStream_tbEUlT_E_NS1_11comp_targetILNS1_3genE0ELNS1_11target_archE4294967295ELNS1_3gpuE0ELNS1_3repE0EEENS1_30default_config_static_selectorELNS0_4arch9wavefront6targetE1EEEvT1_
                                        ; -- End function
	.set _ZN7rocprim17ROCPRIM_400000_NS6detail17trampoline_kernelINS0_14default_configENS1_35adjacent_difference_config_selectorILb1EtEEZNS1_24adjacent_difference_implIS3_Lb1ELb0EPtN6thrust23THRUST_200600_302600_NS16discard_iteratorINS9_11use_defaultEEENS9_5minusItEEEE10hipError_tPvRmT2_T3_mT4_P12ihipStream_tbEUlT_E_NS1_11comp_targetILNS1_3genE0ELNS1_11target_archE4294967295ELNS1_3gpuE0ELNS1_3repE0EEENS1_30default_config_static_selectorELNS0_4arch9wavefront6targetE1EEEvT1_.num_vgpr, 0
	.set _ZN7rocprim17ROCPRIM_400000_NS6detail17trampoline_kernelINS0_14default_configENS1_35adjacent_difference_config_selectorILb1EtEEZNS1_24adjacent_difference_implIS3_Lb1ELb0EPtN6thrust23THRUST_200600_302600_NS16discard_iteratorINS9_11use_defaultEEENS9_5minusItEEEE10hipError_tPvRmT2_T3_mT4_P12ihipStream_tbEUlT_E_NS1_11comp_targetILNS1_3genE0ELNS1_11target_archE4294967295ELNS1_3gpuE0ELNS1_3repE0EEENS1_30default_config_static_selectorELNS0_4arch9wavefront6targetE1EEEvT1_.num_agpr, 0
	.set _ZN7rocprim17ROCPRIM_400000_NS6detail17trampoline_kernelINS0_14default_configENS1_35adjacent_difference_config_selectorILb1EtEEZNS1_24adjacent_difference_implIS3_Lb1ELb0EPtN6thrust23THRUST_200600_302600_NS16discard_iteratorINS9_11use_defaultEEENS9_5minusItEEEE10hipError_tPvRmT2_T3_mT4_P12ihipStream_tbEUlT_E_NS1_11comp_targetILNS1_3genE0ELNS1_11target_archE4294967295ELNS1_3gpuE0ELNS1_3repE0EEENS1_30default_config_static_selectorELNS0_4arch9wavefront6targetE1EEEvT1_.numbered_sgpr, 0
	.set _ZN7rocprim17ROCPRIM_400000_NS6detail17trampoline_kernelINS0_14default_configENS1_35adjacent_difference_config_selectorILb1EtEEZNS1_24adjacent_difference_implIS3_Lb1ELb0EPtN6thrust23THRUST_200600_302600_NS16discard_iteratorINS9_11use_defaultEEENS9_5minusItEEEE10hipError_tPvRmT2_T3_mT4_P12ihipStream_tbEUlT_E_NS1_11comp_targetILNS1_3genE0ELNS1_11target_archE4294967295ELNS1_3gpuE0ELNS1_3repE0EEENS1_30default_config_static_selectorELNS0_4arch9wavefront6targetE1EEEvT1_.num_named_barrier, 0
	.set _ZN7rocprim17ROCPRIM_400000_NS6detail17trampoline_kernelINS0_14default_configENS1_35adjacent_difference_config_selectorILb1EtEEZNS1_24adjacent_difference_implIS3_Lb1ELb0EPtN6thrust23THRUST_200600_302600_NS16discard_iteratorINS9_11use_defaultEEENS9_5minusItEEEE10hipError_tPvRmT2_T3_mT4_P12ihipStream_tbEUlT_E_NS1_11comp_targetILNS1_3genE0ELNS1_11target_archE4294967295ELNS1_3gpuE0ELNS1_3repE0EEENS1_30default_config_static_selectorELNS0_4arch9wavefront6targetE1EEEvT1_.private_seg_size, 0
	.set _ZN7rocprim17ROCPRIM_400000_NS6detail17trampoline_kernelINS0_14default_configENS1_35adjacent_difference_config_selectorILb1EtEEZNS1_24adjacent_difference_implIS3_Lb1ELb0EPtN6thrust23THRUST_200600_302600_NS16discard_iteratorINS9_11use_defaultEEENS9_5minusItEEEE10hipError_tPvRmT2_T3_mT4_P12ihipStream_tbEUlT_E_NS1_11comp_targetILNS1_3genE0ELNS1_11target_archE4294967295ELNS1_3gpuE0ELNS1_3repE0EEENS1_30default_config_static_selectorELNS0_4arch9wavefront6targetE1EEEvT1_.uses_vcc, 0
	.set _ZN7rocprim17ROCPRIM_400000_NS6detail17trampoline_kernelINS0_14default_configENS1_35adjacent_difference_config_selectorILb1EtEEZNS1_24adjacent_difference_implIS3_Lb1ELb0EPtN6thrust23THRUST_200600_302600_NS16discard_iteratorINS9_11use_defaultEEENS9_5minusItEEEE10hipError_tPvRmT2_T3_mT4_P12ihipStream_tbEUlT_E_NS1_11comp_targetILNS1_3genE0ELNS1_11target_archE4294967295ELNS1_3gpuE0ELNS1_3repE0EEENS1_30default_config_static_selectorELNS0_4arch9wavefront6targetE1EEEvT1_.uses_flat_scratch, 0
	.set _ZN7rocprim17ROCPRIM_400000_NS6detail17trampoline_kernelINS0_14default_configENS1_35adjacent_difference_config_selectorILb1EtEEZNS1_24adjacent_difference_implIS3_Lb1ELb0EPtN6thrust23THRUST_200600_302600_NS16discard_iteratorINS9_11use_defaultEEENS9_5minusItEEEE10hipError_tPvRmT2_T3_mT4_P12ihipStream_tbEUlT_E_NS1_11comp_targetILNS1_3genE0ELNS1_11target_archE4294967295ELNS1_3gpuE0ELNS1_3repE0EEENS1_30default_config_static_selectorELNS0_4arch9wavefront6targetE1EEEvT1_.has_dyn_sized_stack, 0
	.set _ZN7rocprim17ROCPRIM_400000_NS6detail17trampoline_kernelINS0_14default_configENS1_35adjacent_difference_config_selectorILb1EtEEZNS1_24adjacent_difference_implIS3_Lb1ELb0EPtN6thrust23THRUST_200600_302600_NS16discard_iteratorINS9_11use_defaultEEENS9_5minusItEEEE10hipError_tPvRmT2_T3_mT4_P12ihipStream_tbEUlT_E_NS1_11comp_targetILNS1_3genE0ELNS1_11target_archE4294967295ELNS1_3gpuE0ELNS1_3repE0EEENS1_30default_config_static_selectorELNS0_4arch9wavefront6targetE1EEEvT1_.has_recursion, 0
	.set _ZN7rocprim17ROCPRIM_400000_NS6detail17trampoline_kernelINS0_14default_configENS1_35adjacent_difference_config_selectorILb1EtEEZNS1_24adjacent_difference_implIS3_Lb1ELb0EPtN6thrust23THRUST_200600_302600_NS16discard_iteratorINS9_11use_defaultEEENS9_5minusItEEEE10hipError_tPvRmT2_T3_mT4_P12ihipStream_tbEUlT_E_NS1_11comp_targetILNS1_3genE0ELNS1_11target_archE4294967295ELNS1_3gpuE0ELNS1_3repE0EEENS1_30default_config_static_selectorELNS0_4arch9wavefront6targetE1EEEvT1_.has_indirect_call, 0
	.section	.AMDGPU.csdata,"",@progbits
; Kernel info:
; codeLenInByte = 0
; TotalNumSgprs: 4
; NumVgprs: 0
; ScratchSize: 0
; MemoryBound: 0
; FloatMode: 240
; IeeeMode: 1
; LDSByteSize: 0 bytes/workgroup (compile time only)
; SGPRBlocks: 0
; VGPRBlocks: 0
; NumSGPRsForWavesPerEU: 4
; NumVGPRsForWavesPerEU: 1
; Occupancy: 10
; WaveLimiterHint : 0
; COMPUTE_PGM_RSRC2:SCRATCH_EN: 0
; COMPUTE_PGM_RSRC2:USER_SGPR: 6
; COMPUTE_PGM_RSRC2:TRAP_HANDLER: 0
; COMPUTE_PGM_RSRC2:TGID_X_EN: 1
; COMPUTE_PGM_RSRC2:TGID_Y_EN: 0
; COMPUTE_PGM_RSRC2:TGID_Z_EN: 0
; COMPUTE_PGM_RSRC2:TIDIG_COMP_CNT: 0
	.section	.text._ZN7rocprim17ROCPRIM_400000_NS6detail17trampoline_kernelINS0_14default_configENS1_35adjacent_difference_config_selectorILb1EtEEZNS1_24adjacent_difference_implIS3_Lb1ELb0EPtN6thrust23THRUST_200600_302600_NS16discard_iteratorINS9_11use_defaultEEENS9_5minusItEEEE10hipError_tPvRmT2_T3_mT4_P12ihipStream_tbEUlT_E_NS1_11comp_targetILNS1_3genE10ELNS1_11target_archE1201ELNS1_3gpuE5ELNS1_3repE0EEENS1_30default_config_static_selectorELNS0_4arch9wavefront6targetE1EEEvT1_,"axG",@progbits,_ZN7rocprim17ROCPRIM_400000_NS6detail17trampoline_kernelINS0_14default_configENS1_35adjacent_difference_config_selectorILb1EtEEZNS1_24adjacent_difference_implIS3_Lb1ELb0EPtN6thrust23THRUST_200600_302600_NS16discard_iteratorINS9_11use_defaultEEENS9_5minusItEEEE10hipError_tPvRmT2_T3_mT4_P12ihipStream_tbEUlT_E_NS1_11comp_targetILNS1_3genE10ELNS1_11target_archE1201ELNS1_3gpuE5ELNS1_3repE0EEENS1_30default_config_static_selectorELNS0_4arch9wavefront6targetE1EEEvT1_,comdat
	.protected	_ZN7rocprim17ROCPRIM_400000_NS6detail17trampoline_kernelINS0_14default_configENS1_35adjacent_difference_config_selectorILb1EtEEZNS1_24adjacent_difference_implIS3_Lb1ELb0EPtN6thrust23THRUST_200600_302600_NS16discard_iteratorINS9_11use_defaultEEENS9_5minusItEEEE10hipError_tPvRmT2_T3_mT4_P12ihipStream_tbEUlT_E_NS1_11comp_targetILNS1_3genE10ELNS1_11target_archE1201ELNS1_3gpuE5ELNS1_3repE0EEENS1_30default_config_static_selectorELNS0_4arch9wavefront6targetE1EEEvT1_ ; -- Begin function _ZN7rocprim17ROCPRIM_400000_NS6detail17trampoline_kernelINS0_14default_configENS1_35adjacent_difference_config_selectorILb1EtEEZNS1_24adjacent_difference_implIS3_Lb1ELb0EPtN6thrust23THRUST_200600_302600_NS16discard_iteratorINS9_11use_defaultEEENS9_5minusItEEEE10hipError_tPvRmT2_T3_mT4_P12ihipStream_tbEUlT_E_NS1_11comp_targetILNS1_3genE10ELNS1_11target_archE1201ELNS1_3gpuE5ELNS1_3repE0EEENS1_30default_config_static_selectorELNS0_4arch9wavefront6targetE1EEEvT1_
	.globl	_ZN7rocprim17ROCPRIM_400000_NS6detail17trampoline_kernelINS0_14default_configENS1_35adjacent_difference_config_selectorILb1EtEEZNS1_24adjacent_difference_implIS3_Lb1ELb0EPtN6thrust23THRUST_200600_302600_NS16discard_iteratorINS9_11use_defaultEEENS9_5minusItEEEE10hipError_tPvRmT2_T3_mT4_P12ihipStream_tbEUlT_E_NS1_11comp_targetILNS1_3genE10ELNS1_11target_archE1201ELNS1_3gpuE5ELNS1_3repE0EEENS1_30default_config_static_selectorELNS0_4arch9wavefront6targetE1EEEvT1_
	.p2align	8
	.type	_ZN7rocprim17ROCPRIM_400000_NS6detail17trampoline_kernelINS0_14default_configENS1_35adjacent_difference_config_selectorILb1EtEEZNS1_24adjacent_difference_implIS3_Lb1ELb0EPtN6thrust23THRUST_200600_302600_NS16discard_iteratorINS9_11use_defaultEEENS9_5minusItEEEE10hipError_tPvRmT2_T3_mT4_P12ihipStream_tbEUlT_E_NS1_11comp_targetILNS1_3genE10ELNS1_11target_archE1201ELNS1_3gpuE5ELNS1_3repE0EEENS1_30default_config_static_selectorELNS0_4arch9wavefront6targetE1EEEvT1_,@function
_ZN7rocprim17ROCPRIM_400000_NS6detail17trampoline_kernelINS0_14default_configENS1_35adjacent_difference_config_selectorILb1EtEEZNS1_24adjacent_difference_implIS3_Lb1ELb0EPtN6thrust23THRUST_200600_302600_NS16discard_iteratorINS9_11use_defaultEEENS9_5minusItEEEE10hipError_tPvRmT2_T3_mT4_P12ihipStream_tbEUlT_E_NS1_11comp_targetILNS1_3genE10ELNS1_11target_archE1201ELNS1_3gpuE5ELNS1_3repE0EEENS1_30default_config_static_selectorELNS0_4arch9wavefront6targetE1EEEvT1_: ; @_ZN7rocprim17ROCPRIM_400000_NS6detail17trampoline_kernelINS0_14default_configENS1_35adjacent_difference_config_selectorILb1EtEEZNS1_24adjacent_difference_implIS3_Lb1ELb0EPtN6thrust23THRUST_200600_302600_NS16discard_iteratorINS9_11use_defaultEEENS9_5minusItEEEE10hipError_tPvRmT2_T3_mT4_P12ihipStream_tbEUlT_E_NS1_11comp_targetILNS1_3genE10ELNS1_11target_archE1201ELNS1_3gpuE5ELNS1_3repE0EEENS1_30default_config_static_selectorELNS0_4arch9wavefront6targetE1EEEvT1_
; %bb.0:
	.section	.rodata,"a",@progbits
	.p2align	6, 0x0
	.amdhsa_kernel _ZN7rocprim17ROCPRIM_400000_NS6detail17trampoline_kernelINS0_14default_configENS1_35adjacent_difference_config_selectorILb1EtEEZNS1_24adjacent_difference_implIS3_Lb1ELb0EPtN6thrust23THRUST_200600_302600_NS16discard_iteratorINS9_11use_defaultEEENS9_5minusItEEEE10hipError_tPvRmT2_T3_mT4_P12ihipStream_tbEUlT_E_NS1_11comp_targetILNS1_3genE10ELNS1_11target_archE1201ELNS1_3gpuE5ELNS1_3repE0EEENS1_30default_config_static_selectorELNS0_4arch9wavefront6targetE1EEEvT1_
		.amdhsa_group_segment_fixed_size 0
		.amdhsa_private_segment_fixed_size 0
		.amdhsa_kernarg_size 64
		.amdhsa_user_sgpr_count 6
		.amdhsa_user_sgpr_private_segment_buffer 1
		.amdhsa_user_sgpr_dispatch_ptr 0
		.amdhsa_user_sgpr_queue_ptr 0
		.amdhsa_user_sgpr_kernarg_segment_ptr 1
		.amdhsa_user_sgpr_dispatch_id 0
		.amdhsa_user_sgpr_flat_scratch_init 0
		.amdhsa_user_sgpr_private_segment_size 0
		.amdhsa_uses_dynamic_stack 0
		.amdhsa_system_sgpr_private_segment_wavefront_offset 0
		.amdhsa_system_sgpr_workgroup_id_x 1
		.amdhsa_system_sgpr_workgroup_id_y 0
		.amdhsa_system_sgpr_workgroup_id_z 0
		.amdhsa_system_sgpr_workgroup_info 0
		.amdhsa_system_vgpr_workitem_id 0
		.amdhsa_next_free_vgpr 1
		.amdhsa_next_free_sgpr 0
		.amdhsa_reserve_vcc 0
		.amdhsa_reserve_flat_scratch 0
		.amdhsa_float_round_mode_32 0
		.amdhsa_float_round_mode_16_64 0
		.amdhsa_float_denorm_mode_32 3
		.amdhsa_float_denorm_mode_16_64 3
		.amdhsa_dx10_clamp 1
		.amdhsa_ieee_mode 1
		.amdhsa_fp16_overflow 0
		.amdhsa_exception_fp_ieee_invalid_op 0
		.amdhsa_exception_fp_denorm_src 0
		.amdhsa_exception_fp_ieee_div_zero 0
		.amdhsa_exception_fp_ieee_overflow 0
		.amdhsa_exception_fp_ieee_underflow 0
		.amdhsa_exception_fp_ieee_inexact 0
		.amdhsa_exception_int_div_zero 0
	.end_amdhsa_kernel
	.section	.text._ZN7rocprim17ROCPRIM_400000_NS6detail17trampoline_kernelINS0_14default_configENS1_35adjacent_difference_config_selectorILb1EtEEZNS1_24adjacent_difference_implIS3_Lb1ELb0EPtN6thrust23THRUST_200600_302600_NS16discard_iteratorINS9_11use_defaultEEENS9_5minusItEEEE10hipError_tPvRmT2_T3_mT4_P12ihipStream_tbEUlT_E_NS1_11comp_targetILNS1_3genE10ELNS1_11target_archE1201ELNS1_3gpuE5ELNS1_3repE0EEENS1_30default_config_static_selectorELNS0_4arch9wavefront6targetE1EEEvT1_,"axG",@progbits,_ZN7rocprim17ROCPRIM_400000_NS6detail17trampoline_kernelINS0_14default_configENS1_35adjacent_difference_config_selectorILb1EtEEZNS1_24adjacent_difference_implIS3_Lb1ELb0EPtN6thrust23THRUST_200600_302600_NS16discard_iteratorINS9_11use_defaultEEENS9_5minusItEEEE10hipError_tPvRmT2_T3_mT4_P12ihipStream_tbEUlT_E_NS1_11comp_targetILNS1_3genE10ELNS1_11target_archE1201ELNS1_3gpuE5ELNS1_3repE0EEENS1_30default_config_static_selectorELNS0_4arch9wavefront6targetE1EEEvT1_,comdat
.Lfunc_end851:
	.size	_ZN7rocprim17ROCPRIM_400000_NS6detail17trampoline_kernelINS0_14default_configENS1_35adjacent_difference_config_selectorILb1EtEEZNS1_24adjacent_difference_implIS3_Lb1ELb0EPtN6thrust23THRUST_200600_302600_NS16discard_iteratorINS9_11use_defaultEEENS9_5minusItEEEE10hipError_tPvRmT2_T3_mT4_P12ihipStream_tbEUlT_E_NS1_11comp_targetILNS1_3genE10ELNS1_11target_archE1201ELNS1_3gpuE5ELNS1_3repE0EEENS1_30default_config_static_selectorELNS0_4arch9wavefront6targetE1EEEvT1_, .Lfunc_end851-_ZN7rocprim17ROCPRIM_400000_NS6detail17trampoline_kernelINS0_14default_configENS1_35adjacent_difference_config_selectorILb1EtEEZNS1_24adjacent_difference_implIS3_Lb1ELb0EPtN6thrust23THRUST_200600_302600_NS16discard_iteratorINS9_11use_defaultEEENS9_5minusItEEEE10hipError_tPvRmT2_T3_mT4_P12ihipStream_tbEUlT_E_NS1_11comp_targetILNS1_3genE10ELNS1_11target_archE1201ELNS1_3gpuE5ELNS1_3repE0EEENS1_30default_config_static_selectorELNS0_4arch9wavefront6targetE1EEEvT1_
                                        ; -- End function
	.set _ZN7rocprim17ROCPRIM_400000_NS6detail17trampoline_kernelINS0_14default_configENS1_35adjacent_difference_config_selectorILb1EtEEZNS1_24adjacent_difference_implIS3_Lb1ELb0EPtN6thrust23THRUST_200600_302600_NS16discard_iteratorINS9_11use_defaultEEENS9_5minusItEEEE10hipError_tPvRmT2_T3_mT4_P12ihipStream_tbEUlT_E_NS1_11comp_targetILNS1_3genE10ELNS1_11target_archE1201ELNS1_3gpuE5ELNS1_3repE0EEENS1_30default_config_static_selectorELNS0_4arch9wavefront6targetE1EEEvT1_.num_vgpr, 0
	.set _ZN7rocprim17ROCPRIM_400000_NS6detail17trampoline_kernelINS0_14default_configENS1_35adjacent_difference_config_selectorILb1EtEEZNS1_24adjacent_difference_implIS3_Lb1ELb0EPtN6thrust23THRUST_200600_302600_NS16discard_iteratorINS9_11use_defaultEEENS9_5minusItEEEE10hipError_tPvRmT2_T3_mT4_P12ihipStream_tbEUlT_E_NS1_11comp_targetILNS1_3genE10ELNS1_11target_archE1201ELNS1_3gpuE5ELNS1_3repE0EEENS1_30default_config_static_selectorELNS0_4arch9wavefront6targetE1EEEvT1_.num_agpr, 0
	.set _ZN7rocprim17ROCPRIM_400000_NS6detail17trampoline_kernelINS0_14default_configENS1_35adjacent_difference_config_selectorILb1EtEEZNS1_24adjacent_difference_implIS3_Lb1ELb0EPtN6thrust23THRUST_200600_302600_NS16discard_iteratorINS9_11use_defaultEEENS9_5minusItEEEE10hipError_tPvRmT2_T3_mT4_P12ihipStream_tbEUlT_E_NS1_11comp_targetILNS1_3genE10ELNS1_11target_archE1201ELNS1_3gpuE5ELNS1_3repE0EEENS1_30default_config_static_selectorELNS0_4arch9wavefront6targetE1EEEvT1_.numbered_sgpr, 0
	.set _ZN7rocprim17ROCPRIM_400000_NS6detail17trampoline_kernelINS0_14default_configENS1_35adjacent_difference_config_selectorILb1EtEEZNS1_24adjacent_difference_implIS3_Lb1ELb0EPtN6thrust23THRUST_200600_302600_NS16discard_iteratorINS9_11use_defaultEEENS9_5minusItEEEE10hipError_tPvRmT2_T3_mT4_P12ihipStream_tbEUlT_E_NS1_11comp_targetILNS1_3genE10ELNS1_11target_archE1201ELNS1_3gpuE5ELNS1_3repE0EEENS1_30default_config_static_selectorELNS0_4arch9wavefront6targetE1EEEvT1_.num_named_barrier, 0
	.set _ZN7rocprim17ROCPRIM_400000_NS6detail17trampoline_kernelINS0_14default_configENS1_35adjacent_difference_config_selectorILb1EtEEZNS1_24adjacent_difference_implIS3_Lb1ELb0EPtN6thrust23THRUST_200600_302600_NS16discard_iteratorINS9_11use_defaultEEENS9_5minusItEEEE10hipError_tPvRmT2_T3_mT4_P12ihipStream_tbEUlT_E_NS1_11comp_targetILNS1_3genE10ELNS1_11target_archE1201ELNS1_3gpuE5ELNS1_3repE0EEENS1_30default_config_static_selectorELNS0_4arch9wavefront6targetE1EEEvT1_.private_seg_size, 0
	.set _ZN7rocprim17ROCPRIM_400000_NS6detail17trampoline_kernelINS0_14default_configENS1_35adjacent_difference_config_selectorILb1EtEEZNS1_24adjacent_difference_implIS3_Lb1ELb0EPtN6thrust23THRUST_200600_302600_NS16discard_iteratorINS9_11use_defaultEEENS9_5minusItEEEE10hipError_tPvRmT2_T3_mT4_P12ihipStream_tbEUlT_E_NS1_11comp_targetILNS1_3genE10ELNS1_11target_archE1201ELNS1_3gpuE5ELNS1_3repE0EEENS1_30default_config_static_selectorELNS0_4arch9wavefront6targetE1EEEvT1_.uses_vcc, 0
	.set _ZN7rocprim17ROCPRIM_400000_NS6detail17trampoline_kernelINS0_14default_configENS1_35adjacent_difference_config_selectorILb1EtEEZNS1_24adjacent_difference_implIS3_Lb1ELb0EPtN6thrust23THRUST_200600_302600_NS16discard_iteratorINS9_11use_defaultEEENS9_5minusItEEEE10hipError_tPvRmT2_T3_mT4_P12ihipStream_tbEUlT_E_NS1_11comp_targetILNS1_3genE10ELNS1_11target_archE1201ELNS1_3gpuE5ELNS1_3repE0EEENS1_30default_config_static_selectorELNS0_4arch9wavefront6targetE1EEEvT1_.uses_flat_scratch, 0
	.set _ZN7rocprim17ROCPRIM_400000_NS6detail17trampoline_kernelINS0_14default_configENS1_35adjacent_difference_config_selectorILb1EtEEZNS1_24adjacent_difference_implIS3_Lb1ELb0EPtN6thrust23THRUST_200600_302600_NS16discard_iteratorINS9_11use_defaultEEENS9_5minusItEEEE10hipError_tPvRmT2_T3_mT4_P12ihipStream_tbEUlT_E_NS1_11comp_targetILNS1_3genE10ELNS1_11target_archE1201ELNS1_3gpuE5ELNS1_3repE0EEENS1_30default_config_static_selectorELNS0_4arch9wavefront6targetE1EEEvT1_.has_dyn_sized_stack, 0
	.set _ZN7rocprim17ROCPRIM_400000_NS6detail17trampoline_kernelINS0_14default_configENS1_35adjacent_difference_config_selectorILb1EtEEZNS1_24adjacent_difference_implIS3_Lb1ELb0EPtN6thrust23THRUST_200600_302600_NS16discard_iteratorINS9_11use_defaultEEENS9_5minusItEEEE10hipError_tPvRmT2_T3_mT4_P12ihipStream_tbEUlT_E_NS1_11comp_targetILNS1_3genE10ELNS1_11target_archE1201ELNS1_3gpuE5ELNS1_3repE0EEENS1_30default_config_static_selectorELNS0_4arch9wavefront6targetE1EEEvT1_.has_recursion, 0
	.set _ZN7rocprim17ROCPRIM_400000_NS6detail17trampoline_kernelINS0_14default_configENS1_35adjacent_difference_config_selectorILb1EtEEZNS1_24adjacent_difference_implIS3_Lb1ELb0EPtN6thrust23THRUST_200600_302600_NS16discard_iteratorINS9_11use_defaultEEENS9_5minusItEEEE10hipError_tPvRmT2_T3_mT4_P12ihipStream_tbEUlT_E_NS1_11comp_targetILNS1_3genE10ELNS1_11target_archE1201ELNS1_3gpuE5ELNS1_3repE0EEENS1_30default_config_static_selectorELNS0_4arch9wavefront6targetE1EEEvT1_.has_indirect_call, 0
	.section	.AMDGPU.csdata,"",@progbits
; Kernel info:
; codeLenInByte = 0
; TotalNumSgprs: 4
; NumVgprs: 0
; ScratchSize: 0
; MemoryBound: 0
; FloatMode: 240
; IeeeMode: 1
; LDSByteSize: 0 bytes/workgroup (compile time only)
; SGPRBlocks: 0
; VGPRBlocks: 0
; NumSGPRsForWavesPerEU: 4
; NumVGPRsForWavesPerEU: 1
; Occupancy: 10
; WaveLimiterHint : 0
; COMPUTE_PGM_RSRC2:SCRATCH_EN: 0
; COMPUTE_PGM_RSRC2:USER_SGPR: 6
; COMPUTE_PGM_RSRC2:TRAP_HANDLER: 0
; COMPUTE_PGM_RSRC2:TGID_X_EN: 1
; COMPUTE_PGM_RSRC2:TGID_Y_EN: 0
; COMPUTE_PGM_RSRC2:TGID_Z_EN: 0
; COMPUTE_PGM_RSRC2:TIDIG_COMP_CNT: 0
	.section	.text._ZN7rocprim17ROCPRIM_400000_NS6detail17trampoline_kernelINS0_14default_configENS1_35adjacent_difference_config_selectorILb1EtEEZNS1_24adjacent_difference_implIS3_Lb1ELb0EPtN6thrust23THRUST_200600_302600_NS16discard_iteratorINS9_11use_defaultEEENS9_5minusItEEEE10hipError_tPvRmT2_T3_mT4_P12ihipStream_tbEUlT_E_NS1_11comp_targetILNS1_3genE5ELNS1_11target_archE942ELNS1_3gpuE9ELNS1_3repE0EEENS1_30default_config_static_selectorELNS0_4arch9wavefront6targetE1EEEvT1_,"axG",@progbits,_ZN7rocprim17ROCPRIM_400000_NS6detail17trampoline_kernelINS0_14default_configENS1_35adjacent_difference_config_selectorILb1EtEEZNS1_24adjacent_difference_implIS3_Lb1ELb0EPtN6thrust23THRUST_200600_302600_NS16discard_iteratorINS9_11use_defaultEEENS9_5minusItEEEE10hipError_tPvRmT2_T3_mT4_P12ihipStream_tbEUlT_E_NS1_11comp_targetILNS1_3genE5ELNS1_11target_archE942ELNS1_3gpuE9ELNS1_3repE0EEENS1_30default_config_static_selectorELNS0_4arch9wavefront6targetE1EEEvT1_,comdat
	.protected	_ZN7rocprim17ROCPRIM_400000_NS6detail17trampoline_kernelINS0_14default_configENS1_35adjacent_difference_config_selectorILb1EtEEZNS1_24adjacent_difference_implIS3_Lb1ELb0EPtN6thrust23THRUST_200600_302600_NS16discard_iteratorINS9_11use_defaultEEENS9_5minusItEEEE10hipError_tPvRmT2_T3_mT4_P12ihipStream_tbEUlT_E_NS1_11comp_targetILNS1_3genE5ELNS1_11target_archE942ELNS1_3gpuE9ELNS1_3repE0EEENS1_30default_config_static_selectorELNS0_4arch9wavefront6targetE1EEEvT1_ ; -- Begin function _ZN7rocprim17ROCPRIM_400000_NS6detail17trampoline_kernelINS0_14default_configENS1_35adjacent_difference_config_selectorILb1EtEEZNS1_24adjacent_difference_implIS3_Lb1ELb0EPtN6thrust23THRUST_200600_302600_NS16discard_iteratorINS9_11use_defaultEEENS9_5minusItEEEE10hipError_tPvRmT2_T3_mT4_P12ihipStream_tbEUlT_E_NS1_11comp_targetILNS1_3genE5ELNS1_11target_archE942ELNS1_3gpuE9ELNS1_3repE0EEENS1_30default_config_static_selectorELNS0_4arch9wavefront6targetE1EEEvT1_
	.globl	_ZN7rocprim17ROCPRIM_400000_NS6detail17trampoline_kernelINS0_14default_configENS1_35adjacent_difference_config_selectorILb1EtEEZNS1_24adjacent_difference_implIS3_Lb1ELb0EPtN6thrust23THRUST_200600_302600_NS16discard_iteratorINS9_11use_defaultEEENS9_5minusItEEEE10hipError_tPvRmT2_T3_mT4_P12ihipStream_tbEUlT_E_NS1_11comp_targetILNS1_3genE5ELNS1_11target_archE942ELNS1_3gpuE9ELNS1_3repE0EEENS1_30default_config_static_selectorELNS0_4arch9wavefront6targetE1EEEvT1_
	.p2align	8
	.type	_ZN7rocprim17ROCPRIM_400000_NS6detail17trampoline_kernelINS0_14default_configENS1_35adjacent_difference_config_selectorILb1EtEEZNS1_24adjacent_difference_implIS3_Lb1ELb0EPtN6thrust23THRUST_200600_302600_NS16discard_iteratorINS9_11use_defaultEEENS9_5minusItEEEE10hipError_tPvRmT2_T3_mT4_P12ihipStream_tbEUlT_E_NS1_11comp_targetILNS1_3genE5ELNS1_11target_archE942ELNS1_3gpuE9ELNS1_3repE0EEENS1_30default_config_static_selectorELNS0_4arch9wavefront6targetE1EEEvT1_,@function
_ZN7rocprim17ROCPRIM_400000_NS6detail17trampoline_kernelINS0_14default_configENS1_35adjacent_difference_config_selectorILb1EtEEZNS1_24adjacent_difference_implIS3_Lb1ELb0EPtN6thrust23THRUST_200600_302600_NS16discard_iteratorINS9_11use_defaultEEENS9_5minusItEEEE10hipError_tPvRmT2_T3_mT4_P12ihipStream_tbEUlT_E_NS1_11comp_targetILNS1_3genE5ELNS1_11target_archE942ELNS1_3gpuE9ELNS1_3repE0EEENS1_30default_config_static_selectorELNS0_4arch9wavefront6targetE1EEEvT1_: ; @_ZN7rocprim17ROCPRIM_400000_NS6detail17trampoline_kernelINS0_14default_configENS1_35adjacent_difference_config_selectorILb1EtEEZNS1_24adjacent_difference_implIS3_Lb1ELb0EPtN6thrust23THRUST_200600_302600_NS16discard_iteratorINS9_11use_defaultEEENS9_5minusItEEEE10hipError_tPvRmT2_T3_mT4_P12ihipStream_tbEUlT_E_NS1_11comp_targetILNS1_3genE5ELNS1_11target_archE942ELNS1_3gpuE9ELNS1_3repE0EEENS1_30default_config_static_selectorELNS0_4arch9wavefront6targetE1EEEvT1_
; %bb.0:
	.section	.rodata,"a",@progbits
	.p2align	6, 0x0
	.amdhsa_kernel _ZN7rocprim17ROCPRIM_400000_NS6detail17trampoline_kernelINS0_14default_configENS1_35adjacent_difference_config_selectorILb1EtEEZNS1_24adjacent_difference_implIS3_Lb1ELb0EPtN6thrust23THRUST_200600_302600_NS16discard_iteratorINS9_11use_defaultEEENS9_5minusItEEEE10hipError_tPvRmT2_T3_mT4_P12ihipStream_tbEUlT_E_NS1_11comp_targetILNS1_3genE5ELNS1_11target_archE942ELNS1_3gpuE9ELNS1_3repE0EEENS1_30default_config_static_selectorELNS0_4arch9wavefront6targetE1EEEvT1_
		.amdhsa_group_segment_fixed_size 0
		.amdhsa_private_segment_fixed_size 0
		.amdhsa_kernarg_size 64
		.amdhsa_user_sgpr_count 6
		.amdhsa_user_sgpr_private_segment_buffer 1
		.amdhsa_user_sgpr_dispatch_ptr 0
		.amdhsa_user_sgpr_queue_ptr 0
		.amdhsa_user_sgpr_kernarg_segment_ptr 1
		.amdhsa_user_sgpr_dispatch_id 0
		.amdhsa_user_sgpr_flat_scratch_init 0
		.amdhsa_user_sgpr_private_segment_size 0
		.amdhsa_uses_dynamic_stack 0
		.amdhsa_system_sgpr_private_segment_wavefront_offset 0
		.amdhsa_system_sgpr_workgroup_id_x 1
		.amdhsa_system_sgpr_workgroup_id_y 0
		.amdhsa_system_sgpr_workgroup_id_z 0
		.amdhsa_system_sgpr_workgroup_info 0
		.amdhsa_system_vgpr_workitem_id 0
		.amdhsa_next_free_vgpr 1
		.amdhsa_next_free_sgpr 0
		.amdhsa_reserve_vcc 0
		.amdhsa_reserve_flat_scratch 0
		.amdhsa_float_round_mode_32 0
		.amdhsa_float_round_mode_16_64 0
		.amdhsa_float_denorm_mode_32 3
		.amdhsa_float_denorm_mode_16_64 3
		.amdhsa_dx10_clamp 1
		.amdhsa_ieee_mode 1
		.amdhsa_fp16_overflow 0
		.amdhsa_exception_fp_ieee_invalid_op 0
		.amdhsa_exception_fp_denorm_src 0
		.amdhsa_exception_fp_ieee_div_zero 0
		.amdhsa_exception_fp_ieee_overflow 0
		.amdhsa_exception_fp_ieee_underflow 0
		.amdhsa_exception_fp_ieee_inexact 0
		.amdhsa_exception_int_div_zero 0
	.end_amdhsa_kernel
	.section	.text._ZN7rocprim17ROCPRIM_400000_NS6detail17trampoline_kernelINS0_14default_configENS1_35adjacent_difference_config_selectorILb1EtEEZNS1_24adjacent_difference_implIS3_Lb1ELb0EPtN6thrust23THRUST_200600_302600_NS16discard_iteratorINS9_11use_defaultEEENS9_5minusItEEEE10hipError_tPvRmT2_T3_mT4_P12ihipStream_tbEUlT_E_NS1_11comp_targetILNS1_3genE5ELNS1_11target_archE942ELNS1_3gpuE9ELNS1_3repE0EEENS1_30default_config_static_selectorELNS0_4arch9wavefront6targetE1EEEvT1_,"axG",@progbits,_ZN7rocprim17ROCPRIM_400000_NS6detail17trampoline_kernelINS0_14default_configENS1_35adjacent_difference_config_selectorILb1EtEEZNS1_24adjacent_difference_implIS3_Lb1ELb0EPtN6thrust23THRUST_200600_302600_NS16discard_iteratorINS9_11use_defaultEEENS9_5minusItEEEE10hipError_tPvRmT2_T3_mT4_P12ihipStream_tbEUlT_E_NS1_11comp_targetILNS1_3genE5ELNS1_11target_archE942ELNS1_3gpuE9ELNS1_3repE0EEENS1_30default_config_static_selectorELNS0_4arch9wavefront6targetE1EEEvT1_,comdat
.Lfunc_end852:
	.size	_ZN7rocprim17ROCPRIM_400000_NS6detail17trampoline_kernelINS0_14default_configENS1_35adjacent_difference_config_selectorILb1EtEEZNS1_24adjacent_difference_implIS3_Lb1ELb0EPtN6thrust23THRUST_200600_302600_NS16discard_iteratorINS9_11use_defaultEEENS9_5minusItEEEE10hipError_tPvRmT2_T3_mT4_P12ihipStream_tbEUlT_E_NS1_11comp_targetILNS1_3genE5ELNS1_11target_archE942ELNS1_3gpuE9ELNS1_3repE0EEENS1_30default_config_static_selectorELNS0_4arch9wavefront6targetE1EEEvT1_, .Lfunc_end852-_ZN7rocprim17ROCPRIM_400000_NS6detail17trampoline_kernelINS0_14default_configENS1_35adjacent_difference_config_selectorILb1EtEEZNS1_24adjacent_difference_implIS3_Lb1ELb0EPtN6thrust23THRUST_200600_302600_NS16discard_iteratorINS9_11use_defaultEEENS9_5minusItEEEE10hipError_tPvRmT2_T3_mT4_P12ihipStream_tbEUlT_E_NS1_11comp_targetILNS1_3genE5ELNS1_11target_archE942ELNS1_3gpuE9ELNS1_3repE0EEENS1_30default_config_static_selectorELNS0_4arch9wavefront6targetE1EEEvT1_
                                        ; -- End function
	.set _ZN7rocprim17ROCPRIM_400000_NS6detail17trampoline_kernelINS0_14default_configENS1_35adjacent_difference_config_selectorILb1EtEEZNS1_24adjacent_difference_implIS3_Lb1ELb0EPtN6thrust23THRUST_200600_302600_NS16discard_iteratorINS9_11use_defaultEEENS9_5minusItEEEE10hipError_tPvRmT2_T3_mT4_P12ihipStream_tbEUlT_E_NS1_11comp_targetILNS1_3genE5ELNS1_11target_archE942ELNS1_3gpuE9ELNS1_3repE0EEENS1_30default_config_static_selectorELNS0_4arch9wavefront6targetE1EEEvT1_.num_vgpr, 0
	.set _ZN7rocprim17ROCPRIM_400000_NS6detail17trampoline_kernelINS0_14default_configENS1_35adjacent_difference_config_selectorILb1EtEEZNS1_24adjacent_difference_implIS3_Lb1ELb0EPtN6thrust23THRUST_200600_302600_NS16discard_iteratorINS9_11use_defaultEEENS9_5minusItEEEE10hipError_tPvRmT2_T3_mT4_P12ihipStream_tbEUlT_E_NS1_11comp_targetILNS1_3genE5ELNS1_11target_archE942ELNS1_3gpuE9ELNS1_3repE0EEENS1_30default_config_static_selectorELNS0_4arch9wavefront6targetE1EEEvT1_.num_agpr, 0
	.set _ZN7rocprim17ROCPRIM_400000_NS6detail17trampoline_kernelINS0_14default_configENS1_35adjacent_difference_config_selectorILb1EtEEZNS1_24adjacent_difference_implIS3_Lb1ELb0EPtN6thrust23THRUST_200600_302600_NS16discard_iteratorINS9_11use_defaultEEENS9_5minusItEEEE10hipError_tPvRmT2_T3_mT4_P12ihipStream_tbEUlT_E_NS1_11comp_targetILNS1_3genE5ELNS1_11target_archE942ELNS1_3gpuE9ELNS1_3repE0EEENS1_30default_config_static_selectorELNS0_4arch9wavefront6targetE1EEEvT1_.numbered_sgpr, 0
	.set _ZN7rocprim17ROCPRIM_400000_NS6detail17trampoline_kernelINS0_14default_configENS1_35adjacent_difference_config_selectorILb1EtEEZNS1_24adjacent_difference_implIS3_Lb1ELb0EPtN6thrust23THRUST_200600_302600_NS16discard_iteratorINS9_11use_defaultEEENS9_5minusItEEEE10hipError_tPvRmT2_T3_mT4_P12ihipStream_tbEUlT_E_NS1_11comp_targetILNS1_3genE5ELNS1_11target_archE942ELNS1_3gpuE9ELNS1_3repE0EEENS1_30default_config_static_selectorELNS0_4arch9wavefront6targetE1EEEvT1_.num_named_barrier, 0
	.set _ZN7rocprim17ROCPRIM_400000_NS6detail17trampoline_kernelINS0_14default_configENS1_35adjacent_difference_config_selectorILb1EtEEZNS1_24adjacent_difference_implIS3_Lb1ELb0EPtN6thrust23THRUST_200600_302600_NS16discard_iteratorINS9_11use_defaultEEENS9_5minusItEEEE10hipError_tPvRmT2_T3_mT4_P12ihipStream_tbEUlT_E_NS1_11comp_targetILNS1_3genE5ELNS1_11target_archE942ELNS1_3gpuE9ELNS1_3repE0EEENS1_30default_config_static_selectorELNS0_4arch9wavefront6targetE1EEEvT1_.private_seg_size, 0
	.set _ZN7rocprim17ROCPRIM_400000_NS6detail17trampoline_kernelINS0_14default_configENS1_35adjacent_difference_config_selectorILb1EtEEZNS1_24adjacent_difference_implIS3_Lb1ELb0EPtN6thrust23THRUST_200600_302600_NS16discard_iteratorINS9_11use_defaultEEENS9_5minusItEEEE10hipError_tPvRmT2_T3_mT4_P12ihipStream_tbEUlT_E_NS1_11comp_targetILNS1_3genE5ELNS1_11target_archE942ELNS1_3gpuE9ELNS1_3repE0EEENS1_30default_config_static_selectorELNS0_4arch9wavefront6targetE1EEEvT1_.uses_vcc, 0
	.set _ZN7rocprim17ROCPRIM_400000_NS6detail17trampoline_kernelINS0_14default_configENS1_35adjacent_difference_config_selectorILb1EtEEZNS1_24adjacent_difference_implIS3_Lb1ELb0EPtN6thrust23THRUST_200600_302600_NS16discard_iteratorINS9_11use_defaultEEENS9_5minusItEEEE10hipError_tPvRmT2_T3_mT4_P12ihipStream_tbEUlT_E_NS1_11comp_targetILNS1_3genE5ELNS1_11target_archE942ELNS1_3gpuE9ELNS1_3repE0EEENS1_30default_config_static_selectorELNS0_4arch9wavefront6targetE1EEEvT1_.uses_flat_scratch, 0
	.set _ZN7rocprim17ROCPRIM_400000_NS6detail17trampoline_kernelINS0_14default_configENS1_35adjacent_difference_config_selectorILb1EtEEZNS1_24adjacent_difference_implIS3_Lb1ELb0EPtN6thrust23THRUST_200600_302600_NS16discard_iteratorINS9_11use_defaultEEENS9_5minusItEEEE10hipError_tPvRmT2_T3_mT4_P12ihipStream_tbEUlT_E_NS1_11comp_targetILNS1_3genE5ELNS1_11target_archE942ELNS1_3gpuE9ELNS1_3repE0EEENS1_30default_config_static_selectorELNS0_4arch9wavefront6targetE1EEEvT1_.has_dyn_sized_stack, 0
	.set _ZN7rocprim17ROCPRIM_400000_NS6detail17trampoline_kernelINS0_14default_configENS1_35adjacent_difference_config_selectorILb1EtEEZNS1_24adjacent_difference_implIS3_Lb1ELb0EPtN6thrust23THRUST_200600_302600_NS16discard_iteratorINS9_11use_defaultEEENS9_5minusItEEEE10hipError_tPvRmT2_T3_mT4_P12ihipStream_tbEUlT_E_NS1_11comp_targetILNS1_3genE5ELNS1_11target_archE942ELNS1_3gpuE9ELNS1_3repE0EEENS1_30default_config_static_selectorELNS0_4arch9wavefront6targetE1EEEvT1_.has_recursion, 0
	.set _ZN7rocprim17ROCPRIM_400000_NS6detail17trampoline_kernelINS0_14default_configENS1_35adjacent_difference_config_selectorILb1EtEEZNS1_24adjacent_difference_implIS3_Lb1ELb0EPtN6thrust23THRUST_200600_302600_NS16discard_iteratorINS9_11use_defaultEEENS9_5minusItEEEE10hipError_tPvRmT2_T3_mT4_P12ihipStream_tbEUlT_E_NS1_11comp_targetILNS1_3genE5ELNS1_11target_archE942ELNS1_3gpuE9ELNS1_3repE0EEENS1_30default_config_static_selectorELNS0_4arch9wavefront6targetE1EEEvT1_.has_indirect_call, 0
	.section	.AMDGPU.csdata,"",@progbits
; Kernel info:
; codeLenInByte = 0
; TotalNumSgprs: 4
; NumVgprs: 0
; ScratchSize: 0
; MemoryBound: 0
; FloatMode: 240
; IeeeMode: 1
; LDSByteSize: 0 bytes/workgroup (compile time only)
; SGPRBlocks: 0
; VGPRBlocks: 0
; NumSGPRsForWavesPerEU: 4
; NumVGPRsForWavesPerEU: 1
; Occupancy: 10
; WaveLimiterHint : 0
; COMPUTE_PGM_RSRC2:SCRATCH_EN: 0
; COMPUTE_PGM_RSRC2:USER_SGPR: 6
; COMPUTE_PGM_RSRC2:TRAP_HANDLER: 0
; COMPUTE_PGM_RSRC2:TGID_X_EN: 1
; COMPUTE_PGM_RSRC2:TGID_Y_EN: 0
; COMPUTE_PGM_RSRC2:TGID_Z_EN: 0
; COMPUTE_PGM_RSRC2:TIDIG_COMP_CNT: 0
	.section	.text._ZN7rocprim17ROCPRIM_400000_NS6detail17trampoline_kernelINS0_14default_configENS1_35adjacent_difference_config_selectorILb1EtEEZNS1_24adjacent_difference_implIS3_Lb1ELb0EPtN6thrust23THRUST_200600_302600_NS16discard_iteratorINS9_11use_defaultEEENS9_5minusItEEEE10hipError_tPvRmT2_T3_mT4_P12ihipStream_tbEUlT_E_NS1_11comp_targetILNS1_3genE4ELNS1_11target_archE910ELNS1_3gpuE8ELNS1_3repE0EEENS1_30default_config_static_selectorELNS0_4arch9wavefront6targetE1EEEvT1_,"axG",@progbits,_ZN7rocprim17ROCPRIM_400000_NS6detail17trampoline_kernelINS0_14default_configENS1_35adjacent_difference_config_selectorILb1EtEEZNS1_24adjacent_difference_implIS3_Lb1ELb0EPtN6thrust23THRUST_200600_302600_NS16discard_iteratorINS9_11use_defaultEEENS9_5minusItEEEE10hipError_tPvRmT2_T3_mT4_P12ihipStream_tbEUlT_E_NS1_11comp_targetILNS1_3genE4ELNS1_11target_archE910ELNS1_3gpuE8ELNS1_3repE0EEENS1_30default_config_static_selectorELNS0_4arch9wavefront6targetE1EEEvT1_,comdat
	.protected	_ZN7rocprim17ROCPRIM_400000_NS6detail17trampoline_kernelINS0_14default_configENS1_35adjacent_difference_config_selectorILb1EtEEZNS1_24adjacent_difference_implIS3_Lb1ELb0EPtN6thrust23THRUST_200600_302600_NS16discard_iteratorINS9_11use_defaultEEENS9_5minusItEEEE10hipError_tPvRmT2_T3_mT4_P12ihipStream_tbEUlT_E_NS1_11comp_targetILNS1_3genE4ELNS1_11target_archE910ELNS1_3gpuE8ELNS1_3repE0EEENS1_30default_config_static_selectorELNS0_4arch9wavefront6targetE1EEEvT1_ ; -- Begin function _ZN7rocprim17ROCPRIM_400000_NS6detail17trampoline_kernelINS0_14default_configENS1_35adjacent_difference_config_selectorILb1EtEEZNS1_24adjacent_difference_implIS3_Lb1ELb0EPtN6thrust23THRUST_200600_302600_NS16discard_iteratorINS9_11use_defaultEEENS9_5minusItEEEE10hipError_tPvRmT2_T3_mT4_P12ihipStream_tbEUlT_E_NS1_11comp_targetILNS1_3genE4ELNS1_11target_archE910ELNS1_3gpuE8ELNS1_3repE0EEENS1_30default_config_static_selectorELNS0_4arch9wavefront6targetE1EEEvT1_
	.globl	_ZN7rocprim17ROCPRIM_400000_NS6detail17trampoline_kernelINS0_14default_configENS1_35adjacent_difference_config_selectorILb1EtEEZNS1_24adjacent_difference_implIS3_Lb1ELb0EPtN6thrust23THRUST_200600_302600_NS16discard_iteratorINS9_11use_defaultEEENS9_5minusItEEEE10hipError_tPvRmT2_T3_mT4_P12ihipStream_tbEUlT_E_NS1_11comp_targetILNS1_3genE4ELNS1_11target_archE910ELNS1_3gpuE8ELNS1_3repE0EEENS1_30default_config_static_selectorELNS0_4arch9wavefront6targetE1EEEvT1_
	.p2align	8
	.type	_ZN7rocprim17ROCPRIM_400000_NS6detail17trampoline_kernelINS0_14default_configENS1_35adjacent_difference_config_selectorILb1EtEEZNS1_24adjacent_difference_implIS3_Lb1ELb0EPtN6thrust23THRUST_200600_302600_NS16discard_iteratorINS9_11use_defaultEEENS9_5minusItEEEE10hipError_tPvRmT2_T3_mT4_P12ihipStream_tbEUlT_E_NS1_11comp_targetILNS1_3genE4ELNS1_11target_archE910ELNS1_3gpuE8ELNS1_3repE0EEENS1_30default_config_static_selectorELNS0_4arch9wavefront6targetE1EEEvT1_,@function
_ZN7rocprim17ROCPRIM_400000_NS6detail17trampoline_kernelINS0_14default_configENS1_35adjacent_difference_config_selectorILb1EtEEZNS1_24adjacent_difference_implIS3_Lb1ELb0EPtN6thrust23THRUST_200600_302600_NS16discard_iteratorINS9_11use_defaultEEENS9_5minusItEEEE10hipError_tPvRmT2_T3_mT4_P12ihipStream_tbEUlT_E_NS1_11comp_targetILNS1_3genE4ELNS1_11target_archE910ELNS1_3gpuE8ELNS1_3repE0EEENS1_30default_config_static_selectorELNS0_4arch9wavefront6targetE1EEEvT1_: ; @_ZN7rocprim17ROCPRIM_400000_NS6detail17trampoline_kernelINS0_14default_configENS1_35adjacent_difference_config_selectorILb1EtEEZNS1_24adjacent_difference_implIS3_Lb1ELb0EPtN6thrust23THRUST_200600_302600_NS16discard_iteratorINS9_11use_defaultEEENS9_5minusItEEEE10hipError_tPvRmT2_T3_mT4_P12ihipStream_tbEUlT_E_NS1_11comp_targetILNS1_3genE4ELNS1_11target_archE910ELNS1_3gpuE8ELNS1_3repE0EEENS1_30default_config_static_selectorELNS0_4arch9wavefront6targetE1EEEvT1_
; %bb.0:
	.section	.rodata,"a",@progbits
	.p2align	6, 0x0
	.amdhsa_kernel _ZN7rocprim17ROCPRIM_400000_NS6detail17trampoline_kernelINS0_14default_configENS1_35adjacent_difference_config_selectorILb1EtEEZNS1_24adjacent_difference_implIS3_Lb1ELb0EPtN6thrust23THRUST_200600_302600_NS16discard_iteratorINS9_11use_defaultEEENS9_5minusItEEEE10hipError_tPvRmT2_T3_mT4_P12ihipStream_tbEUlT_E_NS1_11comp_targetILNS1_3genE4ELNS1_11target_archE910ELNS1_3gpuE8ELNS1_3repE0EEENS1_30default_config_static_selectorELNS0_4arch9wavefront6targetE1EEEvT1_
		.amdhsa_group_segment_fixed_size 0
		.amdhsa_private_segment_fixed_size 0
		.amdhsa_kernarg_size 64
		.amdhsa_user_sgpr_count 6
		.amdhsa_user_sgpr_private_segment_buffer 1
		.amdhsa_user_sgpr_dispatch_ptr 0
		.amdhsa_user_sgpr_queue_ptr 0
		.amdhsa_user_sgpr_kernarg_segment_ptr 1
		.amdhsa_user_sgpr_dispatch_id 0
		.amdhsa_user_sgpr_flat_scratch_init 0
		.amdhsa_user_sgpr_private_segment_size 0
		.amdhsa_uses_dynamic_stack 0
		.amdhsa_system_sgpr_private_segment_wavefront_offset 0
		.amdhsa_system_sgpr_workgroup_id_x 1
		.amdhsa_system_sgpr_workgroup_id_y 0
		.amdhsa_system_sgpr_workgroup_id_z 0
		.amdhsa_system_sgpr_workgroup_info 0
		.amdhsa_system_vgpr_workitem_id 0
		.amdhsa_next_free_vgpr 1
		.amdhsa_next_free_sgpr 0
		.amdhsa_reserve_vcc 0
		.amdhsa_reserve_flat_scratch 0
		.amdhsa_float_round_mode_32 0
		.amdhsa_float_round_mode_16_64 0
		.amdhsa_float_denorm_mode_32 3
		.amdhsa_float_denorm_mode_16_64 3
		.amdhsa_dx10_clamp 1
		.amdhsa_ieee_mode 1
		.amdhsa_fp16_overflow 0
		.amdhsa_exception_fp_ieee_invalid_op 0
		.amdhsa_exception_fp_denorm_src 0
		.amdhsa_exception_fp_ieee_div_zero 0
		.amdhsa_exception_fp_ieee_overflow 0
		.amdhsa_exception_fp_ieee_underflow 0
		.amdhsa_exception_fp_ieee_inexact 0
		.amdhsa_exception_int_div_zero 0
	.end_amdhsa_kernel
	.section	.text._ZN7rocprim17ROCPRIM_400000_NS6detail17trampoline_kernelINS0_14default_configENS1_35adjacent_difference_config_selectorILb1EtEEZNS1_24adjacent_difference_implIS3_Lb1ELb0EPtN6thrust23THRUST_200600_302600_NS16discard_iteratorINS9_11use_defaultEEENS9_5minusItEEEE10hipError_tPvRmT2_T3_mT4_P12ihipStream_tbEUlT_E_NS1_11comp_targetILNS1_3genE4ELNS1_11target_archE910ELNS1_3gpuE8ELNS1_3repE0EEENS1_30default_config_static_selectorELNS0_4arch9wavefront6targetE1EEEvT1_,"axG",@progbits,_ZN7rocprim17ROCPRIM_400000_NS6detail17trampoline_kernelINS0_14default_configENS1_35adjacent_difference_config_selectorILb1EtEEZNS1_24adjacent_difference_implIS3_Lb1ELb0EPtN6thrust23THRUST_200600_302600_NS16discard_iteratorINS9_11use_defaultEEENS9_5minusItEEEE10hipError_tPvRmT2_T3_mT4_P12ihipStream_tbEUlT_E_NS1_11comp_targetILNS1_3genE4ELNS1_11target_archE910ELNS1_3gpuE8ELNS1_3repE0EEENS1_30default_config_static_selectorELNS0_4arch9wavefront6targetE1EEEvT1_,comdat
.Lfunc_end853:
	.size	_ZN7rocprim17ROCPRIM_400000_NS6detail17trampoline_kernelINS0_14default_configENS1_35adjacent_difference_config_selectorILb1EtEEZNS1_24adjacent_difference_implIS3_Lb1ELb0EPtN6thrust23THRUST_200600_302600_NS16discard_iteratorINS9_11use_defaultEEENS9_5minusItEEEE10hipError_tPvRmT2_T3_mT4_P12ihipStream_tbEUlT_E_NS1_11comp_targetILNS1_3genE4ELNS1_11target_archE910ELNS1_3gpuE8ELNS1_3repE0EEENS1_30default_config_static_selectorELNS0_4arch9wavefront6targetE1EEEvT1_, .Lfunc_end853-_ZN7rocprim17ROCPRIM_400000_NS6detail17trampoline_kernelINS0_14default_configENS1_35adjacent_difference_config_selectorILb1EtEEZNS1_24adjacent_difference_implIS3_Lb1ELb0EPtN6thrust23THRUST_200600_302600_NS16discard_iteratorINS9_11use_defaultEEENS9_5minusItEEEE10hipError_tPvRmT2_T3_mT4_P12ihipStream_tbEUlT_E_NS1_11comp_targetILNS1_3genE4ELNS1_11target_archE910ELNS1_3gpuE8ELNS1_3repE0EEENS1_30default_config_static_selectorELNS0_4arch9wavefront6targetE1EEEvT1_
                                        ; -- End function
	.set _ZN7rocprim17ROCPRIM_400000_NS6detail17trampoline_kernelINS0_14default_configENS1_35adjacent_difference_config_selectorILb1EtEEZNS1_24adjacent_difference_implIS3_Lb1ELb0EPtN6thrust23THRUST_200600_302600_NS16discard_iteratorINS9_11use_defaultEEENS9_5minusItEEEE10hipError_tPvRmT2_T3_mT4_P12ihipStream_tbEUlT_E_NS1_11comp_targetILNS1_3genE4ELNS1_11target_archE910ELNS1_3gpuE8ELNS1_3repE0EEENS1_30default_config_static_selectorELNS0_4arch9wavefront6targetE1EEEvT1_.num_vgpr, 0
	.set _ZN7rocprim17ROCPRIM_400000_NS6detail17trampoline_kernelINS0_14default_configENS1_35adjacent_difference_config_selectorILb1EtEEZNS1_24adjacent_difference_implIS3_Lb1ELb0EPtN6thrust23THRUST_200600_302600_NS16discard_iteratorINS9_11use_defaultEEENS9_5minusItEEEE10hipError_tPvRmT2_T3_mT4_P12ihipStream_tbEUlT_E_NS1_11comp_targetILNS1_3genE4ELNS1_11target_archE910ELNS1_3gpuE8ELNS1_3repE0EEENS1_30default_config_static_selectorELNS0_4arch9wavefront6targetE1EEEvT1_.num_agpr, 0
	.set _ZN7rocprim17ROCPRIM_400000_NS6detail17trampoline_kernelINS0_14default_configENS1_35adjacent_difference_config_selectorILb1EtEEZNS1_24adjacent_difference_implIS3_Lb1ELb0EPtN6thrust23THRUST_200600_302600_NS16discard_iteratorINS9_11use_defaultEEENS9_5minusItEEEE10hipError_tPvRmT2_T3_mT4_P12ihipStream_tbEUlT_E_NS1_11comp_targetILNS1_3genE4ELNS1_11target_archE910ELNS1_3gpuE8ELNS1_3repE0EEENS1_30default_config_static_selectorELNS0_4arch9wavefront6targetE1EEEvT1_.numbered_sgpr, 0
	.set _ZN7rocprim17ROCPRIM_400000_NS6detail17trampoline_kernelINS0_14default_configENS1_35adjacent_difference_config_selectorILb1EtEEZNS1_24adjacent_difference_implIS3_Lb1ELb0EPtN6thrust23THRUST_200600_302600_NS16discard_iteratorINS9_11use_defaultEEENS9_5minusItEEEE10hipError_tPvRmT2_T3_mT4_P12ihipStream_tbEUlT_E_NS1_11comp_targetILNS1_3genE4ELNS1_11target_archE910ELNS1_3gpuE8ELNS1_3repE0EEENS1_30default_config_static_selectorELNS0_4arch9wavefront6targetE1EEEvT1_.num_named_barrier, 0
	.set _ZN7rocprim17ROCPRIM_400000_NS6detail17trampoline_kernelINS0_14default_configENS1_35adjacent_difference_config_selectorILb1EtEEZNS1_24adjacent_difference_implIS3_Lb1ELb0EPtN6thrust23THRUST_200600_302600_NS16discard_iteratorINS9_11use_defaultEEENS9_5minusItEEEE10hipError_tPvRmT2_T3_mT4_P12ihipStream_tbEUlT_E_NS1_11comp_targetILNS1_3genE4ELNS1_11target_archE910ELNS1_3gpuE8ELNS1_3repE0EEENS1_30default_config_static_selectorELNS0_4arch9wavefront6targetE1EEEvT1_.private_seg_size, 0
	.set _ZN7rocprim17ROCPRIM_400000_NS6detail17trampoline_kernelINS0_14default_configENS1_35adjacent_difference_config_selectorILb1EtEEZNS1_24adjacent_difference_implIS3_Lb1ELb0EPtN6thrust23THRUST_200600_302600_NS16discard_iteratorINS9_11use_defaultEEENS9_5minusItEEEE10hipError_tPvRmT2_T3_mT4_P12ihipStream_tbEUlT_E_NS1_11comp_targetILNS1_3genE4ELNS1_11target_archE910ELNS1_3gpuE8ELNS1_3repE0EEENS1_30default_config_static_selectorELNS0_4arch9wavefront6targetE1EEEvT1_.uses_vcc, 0
	.set _ZN7rocprim17ROCPRIM_400000_NS6detail17trampoline_kernelINS0_14default_configENS1_35adjacent_difference_config_selectorILb1EtEEZNS1_24adjacent_difference_implIS3_Lb1ELb0EPtN6thrust23THRUST_200600_302600_NS16discard_iteratorINS9_11use_defaultEEENS9_5minusItEEEE10hipError_tPvRmT2_T3_mT4_P12ihipStream_tbEUlT_E_NS1_11comp_targetILNS1_3genE4ELNS1_11target_archE910ELNS1_3gpuE8ELNS1_3repE0EEENS1_30default_config_static_selectorELNS0_4arch9wavefront6targetE1EEEvT1_.uses_flat_scratch, 0
	.set _ZN7rocprim17ROCPRIM_400000_NS6detail17trampoline_kernelINS0_14default_configENS1_35adjacent_difference_config_selectorILb1EtEEZNS1_24adjacent_difference_implIS3_Lb1ELb0EPtN6thrust23THRUST_200600_302600_NS16discard_iteratorINS9_11use_defaultEEENS9_5minusItEEEE10hipError_tPvRmT2_T3_mT4_P12ihipStream_tbEUlT_E_NS1_11comp_targetILNS1_3genE4ELNS1_11target_archE910ELNS1_3gpuE8ELNS1_3repE0EEENS1_30default_config_static_selectorELNS0_4arch9wavefront6targetE1EEEvT1_.has_dyn_sized_stack, 0
	.set _ZN7rocprim17ROCPRIM_400000_NS6detail17trampoline_kernelINS0_14default_configENS1_35adjacent_difference_config_selectorILb1EtEEZNS1_24adjacent_difference_implIS3_Lb1ELb0EPtN6thrust23THRUST_200600_302600_NS16discard_iteratorINS9_11use_defaultEEENS9_5minusItEEEE10hipError_tPvRmT2_T3_mT4_P12ihipStream_tbEUlT_E_NS1_11comp_targetILNS1_3genE4ELNS1_11target_archE910ELNS1_3gpuE8ELNS1_3repE0EEENS1_30default_config_static_selectorELNS0_4arch9wavefront6targetE1EEEvT1_.has_recursion, 0
	.set _ZN7rocprim17ROCPRIM_400000_NS6detail17trampoline_kernelINS0_14default_configENS1_35adjacent_difference_config_selectorILb1EtEEZNS1_24adjacent_difference_implIS3_Lb1ELb0EPtN6thrust23THRUST_200600_302600_NS16discard_iteratorINS9_11use_defaultEEENS9_5minusItEEEE10hipError_tPvRmT2_T3_mT4_P12ihipStream_tbEUlT_E_NS1_11comp_targetILNS1_3genE4ELNS1_11target_archE910ELNS1_3gpuE8ELNS1_3repE0EEENS1_30default_config_static_selectorELNS0_4arch9wavefront6targetE1EEEvT1_.has_indirect_call, 0
	.section	.AMDGPU.csdata,"",@progbits
; Kernel info:
; codeLenInByte = 0
; TotalNumSgprs: 4
; NumVgprs: 0
; ScratchSize: 0
; MemoryBound: 0
; FloatMode: 240
; IeeeMode: 1
; LDSByteSize: 0 bytes/workgroup (compile time only)
; SGPRBlocks: 0
; VGPRBlocks: 0
; NumSGPRsForWavesPerEU: 4
; NumVGPRsForWavesPerEU: 1
; Occupancy: 10
; WaveLimiterHint : 0
; COMPUTE_PGM_RSRC2:SCRATCH_EN: 0
; COMPUTE_PGM_RSRC2:USER_SGPR: 6
; COMPUTE_PGM_RSRC2:TRAP_HANDLER: 0
; COMPUTE_PGM_RSRC2:TGID_X_EN: 1
; COMPUTE_PGM_RSRC2:TGID_Y_EN: 0
; COMPUTE_PGM_RSRC2:TGID_Z_EN: 0
; COMPUTE_PGM_RSRC2:TIDIG_COMP_CNT: 0
	.section	.text._ZN7rocprim17ROCPRIM_400000_NS6detail17trampoline_kernelINS0_14default_configENS1_35adjacent_difference_config_selectorILb1EtEEZNS1_24adjacent_difference_implIS3_Lb1ELb0EPtN6thrust23THRUST_200600_302600_NS16discard_iteratorINS9_11use_defaultEEENS9_5minusItEEEE10hipError_tPvRmT2_T3_mT4_P12ihipStream_tbEUlT_E_NS1_11comp_targetILNS1_3genE3ELNS1_11target_archE908ELNS1_3gpuE7ELNS1_3repE0EEENS1_30default_config_static_selectorELNS0_4arch9wavefront6targetE1EEEvT1_,"axG",@progbits,_ZN7rocprim17ROCPRIM_400000_NS6detail17trampoline_kernelINS0_14default_configENS1_35adjacent_difference_config_selectorILb1EtEEZNS1_24adjacent_difference_implIS3_Lb1ELb0EPtN6thrust23THRUST_200600_302600_NS16discard_iteratorINS9_11use_defaultEEENS9_5minusItEEEE10hipError_tPvRmT2_T3_mT4_P12ihipStream_tbEUlT_E_NS1_11comp_targetILNS1_3genE3ELNS1_11target_archE908ELNS1_3gpuE7ELNS1_3repE0EEENS1_30default_config_static_selectorELNS0_4arch9wavefront6targetE1EEEvT1_,comdat
	.protected	_ZN7rocprim17ROCPRIM_400000_NS6detail17trampoline_kernelINS0_14default_configENS1_35adjacent_difference_config_selectorILb1EtEEZNS1_24adjacent_difference_implIS3_Lb1ELb0EPtN6thrust23THRUST_200600_302600_NS16discard_iteratorINS9_11use_defaultEEENS9_5minusItEEEE10hipError_tPvRmT2_T3_mT4_P12ihipStream_tbEUlT_E_NS1_11comp_targetILNS1_3genE3ELNS1_11target_archE908ELNS1_3gpuE7ELNS1_3repE0EEENS1_30default_config_static_selectorELNS0_4arch9wavefront6targetE1EEEvT1_ ; -- Begin function _ZN7rocprim17ROCPRIM_400000_NS6detail17trampoline_kernelINS0_14default_configENS1_35adjacent_difference_config_selectorILb1EtEEZNS1_24adjacent_difference_implIS3_Lb1ELb0EPtN6thrust23THRUST_200600_302600_NS16discard_iteratorINS9_11use_defaultEEENS9_5minusItEEEE10hipError_tPvRmT2_T3_mT4_P12ihipStream_tbEUlT_E_NS1_11comp_targetILNS1_3genE3ELNS1_11target_archE908ELNS1_3gpuE7ELNS1_3repE0EEENS1_30default_config_static_selectorELNS0_4arch9wavefront6targetE1EEEvT1_
	.globl	_ZN7rocprim17ROCPRIM_400000_NS6detail17trampoline_kernelINS0_14default_configENS1_35adjacent_difference_config_selectorILb1EtEEZNS1_24adjacent_difference_implIS3_Lb1ELb0EPtN6thrust23THRUST_200600_302600_NS16discard_iteratorINS9_11use_defaultEEENS9_5minusItEEEE10hipError_tPvRmT2_T3_mT4_P12ihipStream_tbEUlT_E_NS1_11comp_targetILNS1_3genE3ELNS1_11target_archE908ELNS1_3gpuE7ELNS1_3repE0EEENS1_30default_config_static_selectorELNS0_4arch9wavefront6targetE1EEEvT1_
	.p2align	8
	.type	_ZN7rocprim17ROCPRIM_400000_NS6detail17trampoline_kernelINS0_14default_configENS1_35adjacent_difference_config_selectorILb1EtEEZNS1_24adjacent_difference_implIS3_Lb1ELb0EPtN6thrust23THRUST_200600_302600_NS16discard_iteratorINS9_11use_defaultEEENS9_5minusItEEEE10hipError_tPvRmT2_T3_mT4_P12ihipStream_tbEUlT_E_NS1_11comp_targetILNS1_3genE3ELNS1_11target_archE908ELNS1_3gpuE7ELNS1_3repE0EEENS1_30default_config_static_selectorELNS0_4arch9wavefront6targetE1EEEvT1_,@function
_ZN7rocprim17ROCPRIM_400000_NS6detail17trampoline_kernelINS0_14default_configENS1_35adjacent_difference_config_selectorILb1EtEEZNS1_24adjacent_difference_implIS3_Lb1ELb0EPtN6thrust23THRUST_200600_302600_NS16discard_iteratorINS9_11use_defaultEEENS9_5minusItEEEE10hipError_tPvRmT2_T3_mT4_P12ihipStream_tbEUlT_E_NS1_11comp_targetILNS1_3genE3ELNS1_11target_archE908ELNS1_3gpuE7ELNS1_3repE0EEENS1_30default_config_static_selectorELNS0_4arch9wavefront6targetE1EEEvT1_: ; @_ZN7rocprim17ROCPRIM_400000_NS6detail17trampoline_kernelINS0_14default_configENS1_35adjacent_difference_config_selectorILb1EtEEZNS1_24adjacent_difference_implIS3_Lb1ELb0EPtN6thrust23THRUST_200600_302600_NS16discard_iteratorINS9_11use_defaultEEENS9_5minusItEEEE10hipError_tPvRmT2_T3_mT4_P12ihipStream_tbEUlT_E_NS1_11comp_targetILNS1_3genE3ELNS1_11target_archE908ELNS1_3gpuE7ELNS1_3repE0EEENS1_30default_config_static_selectorELNS0_4arch9wavefront6targetE1EEEvT1_
; %bb.0:
	.section	.rodata,"a",@progbits
	.p2align	6, 0x0
	.amdhsa_kernel _ZN7rocprim17ROCPRIM_400000_NS6detail17trampoline_kernelINS0_14default_configENS1_35adjacent_difference_config_selectorILb1EtEEZNS1_24adjacent_difference_implIS3_Lb1ELb0EPtN6thrust23THRUST_200600_302600_NS16discard_iteratorINS9_11use_defaultEEENS9_5minusItEEEE10hipError_tPvRmT2_T3_mT4_P12ihipStream_tbEUlT_E_NS1_11comp_targetILNS1_3genE3ELNS1_11target_archE908ELNS1_3gpuE7ELNS1_3repE0EEENS1_30default_config_static_selectorELNS0_4arch9wavefront6targetE1EEEvT1_
		.amdhsa_group_segment_fixed_size 0
		.amdhsa_private_segment_fixed_size 0
		.amdhsa_kernarg_size 64
		.amdhsa_user_sgpr_count 6
		.amdhsa_user_sgpr_private_segment_buffer 1
		.amdhsa_user_sgpr_dispatch_ptr 0
		.amdhsa_user_sgpr_queue_ptr 0
		.amdhsa_user_sgpr_kernarg_segment_ptr 1
		.amdhsa_user_sgpr_dispatch_id 0
		.amdhsa_user_sgpr_flat_scratch_init 0
		.amdhsa_user_sgpr_private_segment_size 0
		.amdhsa_uses_dynamic_stack 0
		.amdhsa_system_sgpr_private_segment_wavefront_offset 0
		.amdhsa_system_sgpr_workgroup_id_x 1
		.amdhsa_system_sgpr_workgroup_id_y 0
		.amdhsa_system_sgpr_workgroup_id_z 0
		.amdhsa_system_sgpr_workgroup_info 0
		.amdhsa_system_vgpr_workitem_id 0
		.amdhsa_next_free_vgpr 1
		.amdhsa_next_free_sgpr 0
		.amdhsa_reserve_vcc 0
		.amdhsa_reserve_flat_scratch 0
		.amdhsa_float_round_mode_32 0
		.amdhsa_float_round_mode_16_64 0
		.amdhsa_float_denorm_mode_32 3
		.amdhsa_float_denorm_mode_16_64 3
		.amdhsa_dx10_clamp 1
		.amdhsa_ieee_mode 1
		.amdhsa_fp16_overflow 0
		.amdhsa_exception_fp_ieee_invalid_op 0
		.amdhsa_exception_fp_denorm_src 0
		.amdhsa_exception_fp_ieee_div_zero 0
		.amdhsa_exception_fp_ieee_overflow 0
		.amdhsa_exception_fp_ieee_underflow 0
		.amdhsa_exception_fp_ieee_inexact 0
		.amdhsa_exception_int_div_zero 0
	.end_amdhsa_kernel
	.section	.text._ZN7rocprim17ROCPRIM_400000_NS6detail17trampoline_kernelINS0_14default_configENS1_35adjacent_difference_config_selectorILb1EtEEZNS1_24adjacent_difference_implIS3_Lb1ELb0EPtN6thrust23THRUST_200600_302600_NS16discard_iteratorINS9_11use_defaultEEENS9_5minusItEEEE10hipError_tPvRmT2_T3_mT4_P12ihipStream_tbEUlT_E_NS1_11comp_targetILNS1_3genE3ELNS1_11target_archE908ELNS1_3gpuE7ELNS1_3repE0EEENS1_30default_config_static_selectorELNS0_4arch9wavefront6targetE1EEEvT1_,"axG",@progbits,_ZN7rocprim17ROCPRIM_400000_NS6detail17trampoline_kernelINS0_14default_configENS1_35adjacent_difference_config_selectorILb1EtEEZNS1_24adjacent_difference_implIS3_Lb1ELb0EPtN6thrust23THRUST_200600_302600_NS16discard_iteratorINS9_11use_defaultEEENS9_5minusItEEEE10hipError_tPvRmT2_T3_mT4_P12ihipStream_tbEUlT_E_NS1_11comp_targetILNS1_3genE3ELNS1_11target_archE908ELNS1_3gpuE7ELNS1_3repE0EEENS1_30default_config_static_selectorELNS0_4arch9wavefront6targetE1EEEvT1_,comdat
.Lfunc_end854:
	.size	_ZN7rocprim17ROCPRIM_400000_NS6detail17trampoline_kernelINS0_14default_configENS1_35adjacent_difference_config_selectorILb1EtEEZNS1_24adjacent_difference_implIS3_Lb1ELb0EPtN6thrust23THRUST_200600_302600_NS16discard_iteratorINS9_11use_defaultEEENS9_5minusItEEEE10hipError_tPvRmT2_T3_mT4_P12ihipStream_tbEUlT_E_NS1_11comp_targetILNS1_3genE3ELNS1_11target_archE908ELNS1_3gpuE7ELNS1_3repE0EEENS1_30default_config_static_selectorELNS0_4arch9wavefront6targetE1EEEvT1_, .Lfunc_end854-_ZN7rocprim17ROCPRIM_400000_NS6detail17trampoline_kernelINS0_14default_configENS1_35adjacent_difference_config_selectorILb1EtEEZNS1_24adjacent_difference_implIS3_Lb1ELb0EPtN6thrust23THRUST_200600_302600_NS16discard_iteratorINS9_11use_defaultEEENS9_5minusItEEEE10hipError_tPvRmT2_T3_mT4_P12ihipStream_tbEUlT_E_NS1_11comp_targetILNS1_3genE3ELNS1_11target_archE908ELNS1_3gpuE7ELNS1_3repE0EEENS1_30default_config_static_selectorELNS0_4arch9wavefront6targetE1EEEvT1_
                                        ; -- End function
	.set _ZN7rocprim17ROCPRIM_400000_NS6detail17trampoline_kernelINS0_14default_configENS1_35adjacent_difference_config_selectorILb1EtEEZNS1_24adjacent_difference_implIS3_Lb1ELb0EPtN6thrust23THRUST_200600_302600_NS16discard_iteratorINS9_11use_defaultEEENS9_5minusItEEEE10hipError_tPvRmT2_T3_mT4_P12ihipStream_tbEUlT_E_NS1_11comp_targetILNS1_3genE3ELNS1_11target_archE908ELNS1_3gpuE7ELNS1_3repE0EEENS1_30default_config_static_selectorELNS0_4arch9wavefront6targetE1EEEvT1_.num_vgpr, 0
	.set _ZN7rocprim17ROCPRIM_400000_NS6detail17trampoline_kernelINS0_14default_configENS1_35adjacent_difference_config_selectorILb1EtEEZNS1_24adjacent_difference_implIS3_Lb1ELb0EPtN6thrust23THRUST_200600_302600_NS16discard_iteratorINS9_11use_defaultEEENS9_5minusItEEEE10hipError_tPvRmT2_T3_mT4_P12ihipStream_tbEUlT_E_NS1_11comp_targetILNS1_3genE3ELNS1_11target_archE908ELNS1_3gpuE7ELNS1_3repE0EEENS1_30default_config_static_selectorELNS0_4arch9wavefront6targetE1EEEvT1_.num_agpr, 0
	.set _ZN7rocprim17ROCPRIM_400000_NS6detail17trampoline_kernelINS0_14default_configENS1_35adjacent_difference_config_selectorILb1EtEEZNS1_24adjacent_difference_implIS3_Lb1ELb0EPtN6thrust23THRUST_200600_302600_NS16discard_iteratorINS9_11use_defaultEEENS9_5minusItEEEE10hipError_tPvRmT2_T3_mT4_P12ihipStream_tbEUlT_E_NS1_11comp_targetILNS1_3genE3ELNS1_11target_archE908ELNS1_3gpuE7ELNS1_3repE0EEENS1_30default_config_static_selectorELNS0_4arch9wavefront6targetE1EEEvT1_.numbered_sgpr, 0
	.set _ZN7rocprim17ROCPRIM_400000_NS6detail17trampoline_kernelINS0_14default_configENS1_35adjacent_difference_config_selectorILb1EtEEZNS1_24adjacent_difference_implIS3_Lb1ELb0EPtN6thrust23THRUST_200600_302600_NS16discard_iteratorINS9_11use_defaultEEENS9_5minusItEEEE10hipError_tPvRmT2_T3_mT4_P12ihipStream_tbEUlT_E_NS1_11comp_targetILNS1_3genE3ELNS1_11target_archE908ELNS1_3gpuE7ELNS1_3repE0EEENS1_30default_config_static_selectorELNS0_4arch9wavefront6targetE1EEEvT1_.num_named_barrier, 0
	.set _ZN7rocprim17ROCPRIM_400000_NS6detail17trampoline_kernelINS0_14default_configENS1_35adjacent_difference_config_selectorILb1EtEEZNS1_24adjacent_difference_implIS3_Lb1ELb0EPtN6thrust23THRUST_200600_302600_NS16discard_iteratorINS9_11use_defaultEEENS9_5minusItEEEE10hipError_tPvRmT2_T3_mT4_P12ihipStream_tbEUlT_E_NS1_11comp_targetILNS1_3genE3ELNS1_11target_archE908ELNS1_3gpuE7ELNS1_3repE0EEENS1_30default_config_static_selectorELNS0_4arch9wavefront6targetE1EEEvT1_.private_seg_size, 0
	.set _ZN7rocprim17ROCPRIM_400000_NS6detail17trampoline_kernelINS0_14default_configENS1_35adjacent_difference_config_selectorILb1EtEEZNS1_24adjacent_difference_implIS3_Lb1ELb0EPtN6thrust23THRUST_200600_302600_NS16discard_iteratorINS9_11use_defaultEEENS9_5minusItEEEE10hipError_tPvRmT2_T3_mT4_P12ihipStream_tbEUlT_E_NS1_11comp_targetILNS1_3genE3ELNS1_11target_archE908ELNS1_3gpuE7ELNS1_3repE0EEENS1_30default_config_static_selectorELNS0_4arch9wavefront6targetE1EEEvT1_.uses_vcc, 0
	.set _ZN7rocprim17ROCPRIM_400000_NS6detail17trampoline_kernelINS0_14default_configENS1_35adjacent_difference_config_selectorILb1EtEEZNS1_24adjacent_difference_implIS3_Lb1ELb0EPtN6thrust23THRUST_200600_302600_NS16discard_iteratorINS9_11use_defaultEEENS9_5minusItEEEE10hipError_tPvRmT2_T3_mT4_P12ihipStream_tbEUlT_E_NS1_11comp_targetILNS1_3genE3ELNS1_11target_archE908ELNS1_3gpuE7ELNS1_3repE0EEENS1_30default_config_static_selectorELNS0_4arch9wavefront6targetE1EEEvT1_.uses_flat_scratch, 0
	.set _ZN7rocprim17ROCPRIM_400000_NS6detail17trampoline_kernelINS0_14default_configENS1_35adjacent_difference_config_selectorILb1EtEEZNS1_24adjacent_difference_implIS3_Lb1ELb0EPtN6thrust23THRUST_200600_302600_NS16discard_iteratorINS9_11use_defaultEEENS9_5minusItEEEE10hipError_tPvRmT2_T3_mT4_P12ihipStream_tbEUlT_E_NS1_11comp_targetILNS1_3genE3ELNS1_11target_archE908ELNS1_3gpuE7ELNS1_3repE0EEENS1_30default_config_static_selectorELNS0_4arch9wavefront6targetE1EEEvT1_.has_dyn_sized_stack, 0
	.set _ZN7rocprim17ROCPRIM_400000_NS6detail17trampoline_kernelINS0_14default_configENS1_35adjacent_difference_config_selectorILb1EtEEZNS1_24adjacent_difference_implIS3_Lb1ELb0EPtN6thrust23THRUST_200600_302600_NS16discard_iteratorINS9_11use_defaultEEENS9_5minusItEEEE10hipError_tPvRmT2_T3_mT4_P12ihipStream_tbEUlT_E_NS1_11comp_targetILNS1_3genE3ELNS1_11target_archE908ELNS1_3gpuE7ELNS1_3repE0EEENS1_30default_config_static_selectorELNS0_4arch9wavefront6targetE1EEEvT1_.has_recursion, 0
	.set _ZN7rocprim17ROCPRIM_400000_NS6detail17trampoline_kernelINS0_14default_configENS1_35adjacent_difference_config_selectorILb1EtEEZNS1_24adjacent_difference_implIS3_Lb1ELb0EPtN6thrust23THRUST_200600_302600_NS16discard_iteratorINS9_11use_defaultEEENS9_5minusItEEEE10hipError_tPvRmT2_T3_mT4_P12ihipStream_tbEUlT_E_NS1_11comp_targetILNS1_3genE3ELNS1_11target_archE908ELNS1_3gpuE7ELNS1_3repE0EEENS1_30default_config_static_selectorELNS0_4arch9wavefront6targetE1EEEvT1_.has_indirect_call, 0
	.section	.AMDGPU.csdata,"",@progbits
; Kernel info:
; codeLenInByte = 0
; TotalNumSgprs: 4
; NumVgprs: 0
; ScratchSize: 0
; MemoryBound: 0
; FloatMode: 240
; IeeeMode: 1
; LDSByteSize: 0 bytes/workgroup (compile time only)
; SGPRBlocks: 0
; VGPRBlocks: 0
; NumSGPRsForWavesPerEU: 4
; NumVGPRsForWavesPerEU: 1
; Occupancy: 10
; WaveLimiterHint : 0
; COMPUTE_PGM_RSRC2:SCRATCH_EN: 0
; COMPUTE_PGM_RSRC2:USER_SGPR: 6
; COMPUTE_PGM_RSRC2:TRAP_HANDLER: 0
; COMPUTE_PGM_RSRC2:TGID_X_EN: 1
; COMPUTE_PGM_RSRC2:TGID_Y_EN: 0
; COMPUTE_PGM_RSRC2:TGID_Z_EN: 0
; COMPUTE_PGM_RSRC2:TIDIG_COMP_CNT: 0
	.section	.text._ZN7rocprim17ROCPRIM_400000_NS6detail17trampoline_kernelINS0_14default_configENS1_35adjacent_difference_config_selectorILb1EtEEZNS1_24adjacent_difference_implIS3_Lb1ELb0EPtN6thrust23THRUST_200600_302600_NS16discard_iteratorINS9_11use_defaultEEENS9_5minusItEEEE10hipError_tPvRmT2_T3_mT4_P12ihipStream_tbEUlT_E_NS1_11comp_targetILNS1_3genE2ELNS1_11target_archE906ELNS1_3gpuE6ELNS1_3repE0EEENS1_30default_config_static_selectorELNS0_4arch9wavefront6targetE1EEEvT1_,"axG",@progbits,_ZN7rocprim17ROCPRIM_400000_NS6detail17trampoline_kernelINS0_14default_configENS1_35adjacent_difference_config_selectorILb1EtEEZNS1_24adjacent_difference_implIS3_Lb1ELb0EPtN6thrust23THRUST_200600_302600_NS16discard_iteratorINS9_11use_defaultEEENS9_5minusItEEEE10hipError_tPvRmT2_T3_mT4_P12ihipStream_tbEUlT_E_NS1_11comp_targetILNS1_3genE2ELNS1_11target_archE906ELNS1_3gpuE6ELNS1_3repE0EEENS1_30default_config_static_selectorELNS0_4arch9wavefront6targetE1EEEvT1_,comdat
	.protected	_ZN7rocprim17ROCPRIM_400000_NS6detail17trampoline_kernelINS0_14default_configENS1_35adjacent_difference_config_selectorILb1EtEEZNS1_24adjacent_difference_implIS3_Lb1ELb0EPtN6thrust23THRUST_200600_302600_NS16discard_iteratorINS9_11use_defaultEEENS9_5minusItEEEE10hipError_tPvRmT2_T3_mT4_P12ihipStream_tbEUlT_E_NS1_11comp_targetILNS1_3genE2ELNS1_11target_archE906ELNS1_3gpuE6ELNS1_3repE0EEENS1_30default_config_static_selectorELNS0_4arch9wavefront6targetE1EEEvT1_ ; -- Begin function _ZN7rocprim17ROCPRIM_400000_NS6detail17trampoline_kernelINS0_14default_configENS1_35adjacent_difference_config_selectorILb1EtEEZNS1_24adjacent_difference_implIS3_Lb1ELb0EPtN6thrust23THRUST_200600_302600_NS16discard_iteratorINS9_11use_defaultEEENS9_5minusItEEEE10hipError_tPvRmT2_T3_mT4_P12ihipStream_tbEUlT_E_NS1_11comp_targetILNS1_3genE2ELNS1_11target_archE906ELNS1_3gpuE6ELNS1_3repE0EEENS1_30default_config_static_selectorELNS0_4arch9wavefront6targetE1EEEvT1_
	.globl	_ZN7rocprim17ROCPRIM_400000_NS6detail17trampoline_kernelINS0_14default_configENS1_35adjacent_difference_config_selectorILb1EtEEZNS1_24adjacent_difference_implIS3_Lb1ELb0EPtN6thrust23THRUST_200600_302600_NS16discard_iteratorINS9_11use_defaultEEENS9_5minusItEEEE10hipError_tPvRmT2_T3_mT4_P12ihipStream_tbEUlT_E_NS1_11comp_targetILNS1_3genE2ELNS1_11target_archE906ELNS1_3gpuE6ELNS1_3repE0EEENS1_30default_config_static_selectorELNS0_4arch9wavefront6targetE1EEEvT1_
	.p2align	8
	.type	_ZN7rocprim17ROCPRIM_400000_NS6detail17trampoline_kernelINS0_14default_configENS1_35adjacent_difference_config_selectorILb1EtEEZNS1_24adjacent_difference_implIS3_Lb1ELb0EPtN6thrust23THRUST_200600_302600_NS16discard_iteratorINS9_11use_defaultEEENS9_5minusItEEEE10hipError_tPvRmT2_T3_mT4_P12ihipStream_tbEUlT_E_NS1_11comp_targetILNS1_3genE2ELNS1_11target_archE906ELNS1_3gpuE6ELNS1_3repE0EEENS1_30default_config_static_selectorELNS0_4arch9wavefront6targetE1EEEvT1_,@function
_ZN7rocprim17ROCPRIM_400000_NS6detail17trampoline_kernelINS0_14default_configENS1_35adjacent_difference_config_selectorILb1EtEEZNS1_24adjacent_difference_implIS3_Lb1ELb0EPtN6thrust23THRUST_200600_302600_NS16discard_iteratorINS9_11use_defaultEEENS9_5minusItEEEE10hipError_tPvRmT2_T3_mT4_P12ihipStream_tbEUlT_E_NS1_11comp_targetILNS1_3genE2ELNS1_11target_archE906ELNS1_3gpuE6ELNS1_3repE0EEENS1_30default_config_static_selectorELNS0_4arch9wavefront6targetE1EEEvT1_: ; @_ZN7rocprim17ROCPRIM_400000_NS6detail17trampoline_kernelINS0_14default_configENS1_35adjacent_difference_config_selectorILb1EtEEZNS1_24adjacent_difference_implIS3_Lb1ELb0EPtN6thrust23THRUST_200600_302600_NS16discard_iteratorINS9_11use_defaultEEENS9_5minusItEEEE10hipError_tPvRmT2_T3_mT4_P12ihipStream_tbEUlT_E_NS1_11comp_targetILNS1_3genE2ELNS1_11target_archE906ELNS1_3gpuE6ELNS1_3repE0EEENS1_30default_config_static_selectorELNS0_4arch9wavefront6targetE1EEEvT1_
; %bb.0:
	s_load_dwordx4 s[0:3], s[4:5], 0x0
	s_load_dwordx2 s[12:13], s[4:5], 0x20
	s_load_dwordx4 s[8:11], s[4:5], 0x30
	s_mul_i32 s16, s6, 0x440
	s_mov_b32 s7, 0
	s_waitcnt lgkmcnt(0)
	s_lshl_b64 s[2:3], s[2:3], 1
	s_add_u32 s22, s0, s2
	s_addc_u32 s23, s1, s3
	s_mul_i32 s3, s13, 0xf0f0f0f1
	s_mul_hi_u32 s4, s12, 0xf0f0f0f1
	s_mul_hi_u32 s2, s13, 0xf0f0f0f1
	s_add_u32 s3, s3, s4
	s_mul_i32 s1, s12, 0xf0f0f0f0
	s_addc_u32 s2, s2, 0
	s_mul_hi_u32 s0, s12, 0xf0f0f0f0
	s_add_u32 s1, s1, s3
	s_addc_u32 s0, s0, 0
	s_add_u32 s0, s2, s0
	s_addc_u32 s1, 0, 0
	s_mul_i32 s3, s13, 0xf0f0f0f0
	s_mul_hi_u32 s2, s13, 0xf0f0f0f0
	s_add_u32 s0, s3, s0
	s_addc_u32 s1, s2, s1
	s_lshr_b64 s[2:3], s[0:1], 10
	s_lshr_b32 s0, s1, 10
	s_mulk_i32 s0, 0x440
	s_mul_hi_u32 s1, s2, 0x440
	s_add_i32 s1, s1, s0
	s_mul_i32 s0, s2, 0x440
	s_sub_u32 s0, s12, s0
	s_subb_u32 s1, s13, s1
	s_cmp_lg_u64 s[0:1], 0
	s_cselect_b64 s[0:1], -1, 0
	v_cndmask_b32_e64 v1, 0, 1, s[0:1]
	v_readfirstlane_b32 s0, v1
	s_add_u32 s14, s2, s0
	s_addc_u32 s15, s3, 0
	s_add_u32 s2, s10, s6
	s_addc_u32 s3, s11, 0
	s_add_u32 s4, s14, -1
	s_addc_u32 s5, s15, -1
	v_mov_b32_e32 v1, s4
	v_mov_b32_e32 v2, s5
	v_cmp_ge_u64_e64 s[0:1], s[2:3], v[1:2]
	s_mov_b64 s[18:19], -1
	s_and_b64 vcc, exec, s[0:1]
	s_cbranch_vccz .LBB855_36
; %bb.1:
	s_mul_i32 s13, s4, 0xfffffbc0
	s_mov_b32 s17, s7
	s_add_i32 s13, s13, s12
	s_lshl_b64 s[18:19], s[16:17], 1
	s_add_u32 s18, s22, s18
	v_mov_b32_e32 v1, 0
	s_addc_u32 s19, s23, s19
	v_cmp_gt_u32_e32 vcc, s13, v0
	v_mov_b32_e32 v2, v1
	v_mov_b32_e32 v3, v1
	;; [unrolled: 1-line block ×8, first 2 shown]
	s_and_saveexec_b64 s[20:21], vcc
	s_cbranch_execz .LBB855_3
; %bb.2:
	v_mov_b32_e32 v2, v1
	v_mov_b32_e32 v3, v1
	;; [unrolled: 1-line block ×8, first 2 shown]
	v_lshlrev_b32_e32 v1, 1, v0
	global_load_ushort v1, v1, s[18:19]
	s_waitcnt vmcnt(0)
	v_and_b32_e32 v1, 0xffff, v1
.LBB855_3:
	s_or_b64 exec, exec, s[20:21]
	v_or_b32_e32 v10, 64, v0
	v_cmp_gt_u32_e32 vcc, s13, v10
	s_and_saveexec_b64 s[20:21], vcc
	s_cbranch_execz .LBB855_5
; %bb.4:
	v_lshlrev_b32_e32 v10, 1, v0
	global_load_ushort v10, v10, s[18:19] offset:128
	s_mov_b32 s17, 0x5040100
	s_waitcnt vmcnt(0)
	v_perm_b32 v1, v10, v1, s17
.LBB855_5:
	s_or_b64 exec, exec, s[20:21]
	v_or_b32_e32 v10, 0x80, v0
	v_cmp_gt_u32_e32 vcc, s13, v10
	s_and_saveexec_b64 s[20:21], vcc
	s_cbranch_execz .LBB855_7
; %bb.6:
	v_lshlrev_b32_e32 v10, 1, v0
	global_load_ushort v10, v10, s[18:19] offset:256
	s_mov_b32 s17, 0xffff
	s_waitcnt vmcnt(0)
	v_bfi_b32 v2, s17, v10, v2
.LBB855_7:
	s_or_b64 exec, exec, s[20:21]
	v_or_b32_e32 v10, 0xc0, v0
	v_cmp_gt_u32_e32 vcc, s13, v10
	s_and_saveexec_b64 s[20:21], vcc
	s_cbranch_execz .LBB855_9
; %bb.8:
	v_lshlrev_b32_e32 v10, 1, v0
	global_load_ushort v10, v10, s[18:19] offset:384
	s_mov_b32 s17, 0x5040100
	s_waitcnt vmcnt(0)
	v_perm_b32 v2, v10, v2, s17
.LBB855_9:
	s_or_b64 exec, exec, s[20:21]
	v_or_b32_e32 v10, 0x100, v0
	v_cmp_gt_u32_e32 vcc, s13, v10
	s_and_saveexec_b64 s[20:21], vcc
	s_cbranch_execz .LBB855_11
; %bb.10:
	v_lshlrev_b32_e32 v10, 1, v0
	global_load_ushort v10, v10, s[18:19] offset:512
	s_mov_b32 s17, 0xffff
	s_waitcnt vmcnt(0)
	v_bfi_b32 v3, s17, v10, v3
.LBB855_11:
	;; [unrolled: 24-line block ×7, first 2 shown]
	s_or_b64 exec, exec, s[20:21]
	v_or_b32_e32 v10, 0x3c0, v0
	v_cmp_gt_u32_e32 vcc, s13, v10
	s_and_saveexec_b64 s[20:21], vcc
	s_cbranch_execz .LBB855_33
; %bb.32:
	v_lshlrev_b32_e32 v10, 1, v0
	global_load_ushort v10, v10, s[18:19] offset:1920
	s_mov_b32 s17, 0x5040100
	s_waitcnt vmcnt(0)
	v_perm_b32 v8, v10, v8, s17
.LBB855_33:
	s_or_b64 exec, exec, s[20:21]
	v_or_b32_e32 v10, 0x400, v0
	v_cmp_gt_u32_e32 vcc, s13, v10
	s_and_saveexec_b64 s[20:21], vcc
	s_cbranch_execz .LBB855_35
; %bb.34:
	v_lshlrev_b32_e32 v9, 1, v0
	global_load_ushort v9, v9, s[18:19] offset:2048
.LBB855_35:
	s_or_b64 exec, exec, s[20:21]
	v_lshlrev_b32_e32 v10, 1, v0
	s_mov_b64 s[18:19], 0
	ds_write_b16 v10, v1
	ds_write_b16_d16_hi v10, v1 offset:128
	ds_write_b16 v10, v2 offset:256
	ds_write_b16_d16_hi v10, v2 offset:384
	ds_write_b16 v10, v3 offset:512
	;; [unrolled: 2-line block ×7, first 2 shown]
	ds_write_b16_d16_hi v10, v8 offset:1920
	s_waitcnt vmcnt(0)
	ds_write_b16 v10, v9 offset:2048
	s_waitcnt lgkmcnt(0)
	; wave barrier
.LBB855_36:
	s_and_b64 vcc, exec, s[18:19]
	v_lshlrev_b32_e32 v25, 1, v0
	s_cbranch_vccz .LBB855_38
; %bb.37:
	s_mov_b32 s17, 0
	s_lshl_b64 s[16:17], s[16:17], 1
	s_add_u32 s16, s22, s16
	s_addc_u32 s17, s23, s17
	global_load_ushort v1, v25, s[16:17]
	global_load_ushort v2, v25, s[16:17] offset:128
	global_load_ushort v3, v25, s[16:17] offset:256
	;; [unrolled: 1-line block ×16, first 2 shown]
	s_waitcnt vmcnt(16)
	ds_write_b16 v25, v1
	s_waitcnt vmcnt(15)
	ds_write_b16 v25, v2 offset:128
	s_waitcnt vmcnt(14)
	ds_write_b16 v25, v3 offset:256
	s_waitcnt vmcnt(13)
	ds_write_b16 v25, v4 offset:384
	s_waitcnt vmcnt(12)
	ds_write_b16 v25, v5 offset:512
	s_waitcnt vmcnt(11)
	ds_write_b16 v25, v6 offset:640
	s_waitcnt vmcnt(10)
	ds_write_b16 v25, v7 offset:768
	s_waitcnt vmcnt(9)
	ds_write_b16 v25, v8 offset:896
	s_waitcnt vmcnt(8)
	ds_write_b16 v25, v9 offset:1024
	s_waitcnt vmcnt(7)
	ds_write_b16 v25, v10 offset:1152
	s_waitcnt vmcnt(6)
	ds_write_b16 v25, v11 offset:1280
	s_waitcnt vmcnt(5)
	ds_write_b16 v25, v12 offset:1408
	s_waitcnt vmcnt(4)
	ds_write_b16 v25, v13 offset:1536
	s_waitcnt vmcnt(3)
	ds_write_b16 v25, v14 offset:1664
	s_waitcnt vmcnt(2)
	ds_write_b16 v25, v15 offset:1792
	s_waitcnt vmcnt(1)
	ds_write_b16 v25, v16 offset:1920
	s_waitcnt vmcnt(0)
	ds_write_b16 v25, v17 offset:2048
	s_waitcnt lgkmcnt(0)
	; wave barrier
.LBB855_38:
	v_mul_u32_u24_e32 v17, 34, v0
	ds_read_b64 v[15:16], v17
	ds_read_b64 v[3:4], v17 offset:2
	ds_read_b64 v[9:10], v17 offset:8
	;; [unrolled: 1-line block ×7, first 2 shown]
	ds_read_u16 v26, v17 offset:32
	s_cmp_eq_u64 s[2:3], 0
	s_waitcnt lgkmcnt(0)
	; wave barrier
	s_cbranch_scc1 .LBB855_43
; %bb.39:
	s_lshl_b64 s[10:11], s[10:11], 1
	s_add_u32 s8, s8, s10
	s_addc_u32 s9, s9, s11
	s_lshl_b64 s[6:7], s[6:7], 1
	s_add_u32 s6, s8, s6
	s_addc_u32 s7, s9, s7
	v_mov_b32_e32 v17, 0
	global_load_ushort v27, v17, s[6:7] offset:-2
	s_cmp_eq_u64 s[2:3], s[4:5]
	s_cbranch_scc1 .LBB855_44
; %bb.40:
	v_cmp_ne_u32_e32 vcc, 0, v0
	s_waitcnt vmcnt(0)
	v_mov_b32_e32 v17, v27
	ds_write_b16 v25, v26
	s_waitcnt lgkmcnt(0)
	; wave barrier
	s_and_saveexec_b64 s[4:5], vcc
; %bb.41:
	v_add_u32_e32 v17, -2, v25
	ds_read_u16 v17, v17
; %bb.42:
	s_or_b64 exec, exec, s[4:5]
	s_waitcnt lgkmcnt(0)
	v_sub_u16_e32 v28, v15, v17
	s_mov_b64 s[4:5], 0
	s_branch .LBB855_45
.LBB855_43:
                                        ; implicit-def: $vgpr17_vgpr18
                                        ; implicit-def: $vgpr19_vgpr20
                                        ; implicit-def: $vgpr21_vgpr22
                                        ; implicit-def: $vgpr23_vgpr24
                                        ; implicit-def: $vgpr28
	s_branch .LBB855_50
.LBB855_44:
	s_mov_b64 s[4:5], -1
                                        ; implicit-def: $vgpr28
.LBB855_45:
	v_mov_b32_e32 v18, v14
	v_mov_b32_e32 v20, v12
	;; [unrolled: 1-line block ×4, first 2 shown]
	s_and_b64 vcc, exec, s[4:5]
	v_mov_b32_e32 v17, v13
	v_mov_b32_e32 v19, v11
	;; [unrolled: 1-line block ×4, first 2 shown]
	s_cbranch_vccz .LBB855_49
; %bb.46:
	v_mul_u32_u24_e32 v28, 17, v0
	v_cmp_ne_u32_e32 vcc, 0, v0
	ds_write_b16 v25, v26
	s_waitcnt lgkmcnt(0)
	; wave barrier
	s_and_saveexec_b64 s[4:5], vcc
	s_cbranch_execz .LBB855_48
; %bb.47:
	v_add_u32_e32 v17, -2, v25
	s_waitcnt vmcnt(0)
	ds_read_u16 v27, v17
.LBB855_48:
	s_or_b64 exec, exec, s[4:5]
	s_mulk_i32 s2, 0xfbc0
	s_add_i32 s6, s2, s12
	v_add_u32_e32 v17, 15, v28
	v_add_u32_e32 v18, 16, v28
	v_cmp_gt_u32_e32 vcc, s6, v17
	v_add_u32_e32 v19, 13, v28
	v_cndmask_b32_e32 v17, 0, v14, vcc
	v_lshrrev_b32_e32 v21, 16, v14
	v_cmp_gt_u32_e32 vcc, s6, v18
	v_add_u32_e32 v20, 14, v28
	v_cndmask_b32_e32 v18, 0, v21, vcc
	s_mov_b32 s7, 0x5040100
	v_cmp_gt_u32_e32 vcc, s6, v19
	v_perm_b32 v18, v18, v17, s7
	v_cndmask_b32_e32 v17, 0, v13, vcc
	v_lshrrev_b32_e32 v19, 16, v13
	v_cmp_gt_u32_e32 vcc, s6, v20
	v_cndmask_b32_e32 v19, 0, v19, vcc
	v_perm_b32 v17, v19, v17, s7
	v_add_u32_e32 v19, 11, v28
	v_add_u32_e32 v20, 12, v28
	v_cmp_gt_u32_e32 vcc, s6, v19
	v_add_u32_e32 v21, 9, v28
	v_cndmask_b32_e32 v19, 0, v12, vcc
	v_lshrrev_b32_e32 v23, 16, v12
	v_cmp_gt_u32_e32 vcc, s6, v20
	v_add_u32_e32 v22, 10, v28
	v_cndmask_b32_e32 v20, 0, v23, vcc
	v_cmp_gt_u32_e32 vcc, s6, v21
	v_perm_b32 v20, v20, v19, s7
	v_cndmask_b32_e32 v19, 0, v11, vcc
	v_lshrrev_b32_e32 v21, 16, v11
	v_cmp_gt_u32_e32 vcc, s6, v22
	v_cndmask_b32_e32 v21, 0, v21, vcc
	v_perm_b32 v19, v21, v19, s7
	v_add_u32_e32 v21, 7, v28
	v_add_u32_e32 v22, 8, v28
	v_cmp_gt_u32_e32 vcc, s6, v21
	v_add_u32_e32 v23, 5, v28
	v_cndmask_b32_e32 v21, 0, v10, vcc
	v_lshrrev_b32_e32 v29, 16, v10
	v_cmp_gt_u32_e32 vcc, s6, v22
	v_add_u32_e32 v24, 6, v28
	v_cndmask_b32_e32 v22, 0, v29, vcc
	v_cmp_gt_u32_e32 vcc, s6, v23
	v_perm_b32 v22, v22, v21, s7
	v_cndmask_b32_e32 v21, 0, v9, vcc
	v_lshrrev_b32_e32 v23, 16, v9
	v_cmp_gt_u32_e32 vcc, s6, v24
	v_cndmask_b32_e32 v23, 0, v23, vcc
	v_perm_b32 v21, v23, v21, s7
	v_add_u32_e32 v23, 3, v28
	v_add_u32_e32 v24, 4, v28
	;; [unrolled: 1-line block ×4, first 2 shown]
	v_cmp_gt_u32_e64 s[2:3], s6, v30
	v_cmp_gt_u32_e32 vcc, s6, v24
	v_cmp_gt_u32_e64 s[4:5], s6, v23
	v_mov_b32_e32 v30, 0
	v_cndmask_b32_e64 v23, 0, v16, s[4:5]
	v_cndmask_b32_sdwa v24, v30, v16, vcc dst_sel:DWORD dst_unused:UNUSED_PAD src0_sel:DWORD src1_sel:WORD_1
	v_cmp_gt_u32_e32 vcc, s6, v29
	v_perm_b32 v24, v24, v23, s7
	v_cndmask_b32_e32 v23, 0, v15, vcc
	s_mov_b64 vcc, s[2:3]
	v_cndmask_b32_sdwa v29, v30, v15, vcc dst_sel:DWORD dst_unused:UNUSED_PAD src0_sel:DWORD src1_sel:WORD_1
	v_cmp_gt_u32_e32 vcc, s6, v28
	s_waitcnt vmcnt(0) lgkmcnt(0)
	v_cndmask_b32_e32 v27, 0, v27, vcc
	v_perm_b32 v23, v29, v23, s7
	v_sub_u16_e32 v28, v15, v27
.LBB855_49:
	s_cbranch_execnz .LBB855_60
.LBB855_50:
	s_cmp_eq_u64 s[14:15], 1
	v_cmp_ne_u32_e32 vcc, 0, v0
	s_cbranch_scc1 .LBB855_55
; %bb.51:
	v_mov_b32_e32 v17, 0
	v_mov_b32_e32 v28, v15
	ds_write_b16 v25, v26
	s_waitcnt lgkmcnt(0)
	; wave barrier
	s_and_saveexec_b64 s[2:3], vcc
	s_cbranch_execz .LBB855_53
; %bb.52:
	v_add_u32_e32 v17, -2, v25
	ds_read_u16 v17, v17
	s_waitcnt lgkmcnt(0)
	v_sub_u16_e32 v28, v15, v17
	v_mov_b32_e32 v17, v0
.LBB855_53:
	s_or_b64 exec, exec, s[2:3]
	s_cbranch_execz .LBB855_56
; %bb.54:
	v_mov_b32_e32 v0, v17
	s_branch .LBB855_59
.LBB855_55:
                                        ; implicit-def: $vgpr28
                                        ; implicit-def: $vgpr17
.LBB855_56:
	v_mad_u32_u24 v17, v0, 17, 15
	v_mad_u32_u24 v19, v0, 17, 16
	v_cmp_gt_u32_e32 vcc, s12, v17
	v_mad_u32_u24 v20, v0, 17, 13
	v_cndmask_b32_e32 v17, 0, v14, vcc
	v_lshrrev_b32_e32 v14, 16, v14
	v_cmp_gt_u32_e32 vcc, s12, v19
	v_mad_u32_u24 v21, v0, 17, 14
	v_cndmask_b32_e32 v14, 0, v14, vcc
	s_mov_b32 s6, 0x5040100
	v_cmp_gt_u32_e32 vcc, s12, v20
	v_perm_b32 v14, v14, v17, s6
	v_cndmask_b32_e32 v17, 0, v13, vcc
	v_lshrrev_b32_e32 v13, 16, v13
	v_cmp_gt_u32_e32 vcc, s12, v21
	v_cndmask_b32_e32 v13, 0, v13, vcc
	v_perm_b32 v13, v13, v17, s6
	v_mad_u32_u24 v17, v0, 17, 11
	v_mad_u32_u24 v19, v0, 17, 12
	v_cmp_gt_u32_e32 vcc, s12, v17
	v_mad_u32_u24 v20, v0, 17, 9
	v_cndmask_b32_e32 v17, 0, v12, vcc
	v_lshrrev_b32_e32 v12, 16, v12
	v_cmp_gt_u32_e32 vcc, s12, v19
	v_mad_u32_u24 v21, v0, 17, 10
	v_cndmask_b32_e32 v12, 0, v12, vcc
	v_cmp_gt_u32_e32 vcc, s12, v20
	v_perm_b32 v12, v12, v17, s6
	v_cndmask_b32_e32 v17, 0, v11, vcc
	v_lshrrev_b32_e32 v11, 16, v11
	v_cmp_gt_u32_e32 vcc, s12, v21
	v_cndmask_b32_e32 v11, 0, v11, vcc
	v_perm_b32 v11, v11, v17, s6
	v_mad_u32_u24 v17, v0, 17, 7
	v_mad_u32_u24 v19, v0, 17, 8
	v_cmp_gt_u32_e32 vcc, s12, v17
	v_mad_u32_u24 v20, v0, 17, 5
	v_cndmask_b32_e32 v17, 0, v10, vcc
	v_lshrrev_b32_e32 v10, 16, v10
	v_cmp_gt_u32_e32 vcc, s12, v19
	v_mad_u32_u24 v21, v0, 17, 6
	v_cndmask_b32_e32 v10, 0, v10, vcc
	v_cmp_gt_u32_e32 vcc, s12, v20
	v_perm_b32 v10, v10, v17, s6
	v_cndmask_b32_e32 v17, 0, v9, vcc
	v_lshrrev_b32_e32 v9, 16, v9
	v_cmp_gt_u32_e32 vcc, s12, v21
	v_cndmask_b32_e32 v9, 0, v9, vcc
	v_perm_b32 v9, v9, v17, s6
	v_mad_u32_u24 v17, v0, 17, 3
	v_mad_u32_u24 v19, v0, 17, 4
	;; [unrolled: 1-line block ×4, first 2 shown]
	v_cmp_gt_u32_e32 vcc, s12, v19
	v_cmp_gt_u32_e64 s[4:5], s12, v17
	v_mov_b32_e32 v19, 0
	v_cmp_gt_u32_e64 s[2:3], s12, v21
	v_cndmask_b32_e64 v17, 0, v16, s[4:5]
	v_cndmask_b32_sdwa v16, v19, v16, vcc dst_sel:DWORD dst_unused:UNUSED_PAD src0_sel:DWORD src1_sel:WORD_1
	v_cmp_gt_u32_e32 vcc, s12, v20
	v_mul_u32_u24_e32 v18, 17, v0
	v_perm_b32 v17, v16, v17, s6
	v_cndmask_b32_e32 v16, 0, v15, vcc
	s_mov_b64 vcc, s[2:3]
	v_cndmask_b32_sdwa v19, v19, v15, vcc dst_sel:DWORD dst_unused:UNUSED_PAD src0_sel:DWORD src1_sel:WORD_1
	v_cmp_ne_u32_e32 vcc, 0, v0
	v_cmp_gt_u32_e64 s[2:3], s12, v18
	v_perm_b32 v16, v19, v16, s6
	s_and_b64 s[4:5], vcc, s[2:3]
	ds_write_b16 v25, v26
	s_waitcnt lgkmcnt(0)
	; wave barrier
	s_and_saveexec_b64 s[2:3], s[4:5]
	s_cbranch_execz .LBB855_58
; %bb.57:
	v_add_u32_e32 v18, -2, v25
	ds_read_u16 v18, v18
	s_waitcnt lgkmcnt(0)
	v_sub_u16_e32 v15, v15, v18
.LBB855_58:
	s_or_b64 exec, exec, s[2:3]
	v_mov_b32_e32 v28, v15
	v_mov_b32_e32 v15, v16
	;; [unrolled: 1-line block ×3, first 2 shown]
.LBB855_59:
	v_mov_b32_e32 v24, v16
	v_mov_b32_e32 v22, v10
	v_mov_b32_e32 v20, v12
	v_mov_b32_e32 v18, v14
	v_mov_b32_e32 v23, v15
	v_mov_b32_e32 v21, v9
	v_mov_b32_e32 v19, v11
	v_mov_b32_e32 v17, v13
.LBB855_60:
	v_mul_u32_u24_e32 v0, 34, v0
	s_mov_b64 s[2:3], -1
	s_and_b64 vcc, exec, s[0:1]
	v_pk_sub_i16 v4, v4, v24
	v_pk_sub_i16 v3, v3, v23
	;; [unrolled: 1-line block ×8, first 2 shown]
	; wave barrier
	ds_write_b16 v0, v28
	ds_write_b128 v0, v[3:6] offset:2
	ds_write_b128 v0, v[7:10] offset:18
	s_waitcnt lgkmcnt(0)
	s_cbranch_vccnz .LBB855_63
; %bb.61:
	s_andn2_b64 vcc, exec, s[2:3]
	s_cbranch_vccz .LBB855_64
.LBB855_62:
	s_endpgm
.LBB855_63:
	; wave barrier
	s_cbranch_execnz .LBB855_62
.LBB855_64:
	; wave barrier
	s_endpgm
	.section	.rodata,"a",@progbits
	.p2align	6, 0x0
	.amdhsa_kernel _ZN7rocprim17ROCPRIM_400000_NS6detail17trampoline_kernelINS0_14default_configENS1_35adjacent_difference_config_selectorILb1EtEEZNS1_24adjacent_difference_implIS3_Lb1ELb0EPtN6thrust23THRUST_200600_302600_NS16discard_iteratorINS9_11use_defaultEEENS9_5minusItEEEE10hipError_tPvRmT2_T3_mT4_P12ihipStream_tbEUlT_E_NS1_11comp_targetILNS1_3genE2ELNS1_11target_archE906ELNS1_3gpuE6ELNS1_3repE0EEENS1_30default_config_static_selectorELNS0_4arch9wavefront6targetE1EEEvT1_
		.amdhsa_group_segment_fixed_size 2176
		.amdhsa_private_segment_fixed_size 0
		.amdhsa_kernarg_size 64
		.amdhsa_user_sgpr_count 6
		.amdhsa_user_sgpr_private_segment_buffer 1
		.amdhsa_user_sgpr_dispatch_ptr 0
		.amdhsa_user_sgpr_queue_ptr 0
		.amdhsa_user_sgpr_kernarg_segment_ptr 1
		.amdhsa_user_sgpr_dispatch_id 0
		.amdhsa_user_sgpr_flat_scratch_init 0
		.amdhsa_user_sgpr_private_segment_size 0
		.amdhsa_uses_dynamic_stack 0
		.amdhsa_system_sgpr_private_segment_wavefront_offset 0
		.amdhsa_system_sgpr_workgroup_id_x 1
		.amdhsa_system_sgpr_workgroup_id_y 0
		.amdhsa_system_sgpr_workgroup_id_z 0
		.amdhsa_system_sgpr_workgroup_info 0
		.amdhsa_system_vgpr_workitem_id 0
		.amdhsa_next_free_vgpr 31
		.amdhsa_next_free_sgpr 61
		.amdhsa_reserve_vcc 1
		.amdhsa_reserve_flat_scratch 0
		.amdhsa_float_round_mode_32 0
		.amdhsa_float_round_mode_16_64 0
		.amdhsa_float_denorm_mode_32 3
		.amdhsa_float_denorm_mode_16_64 3
		.amdhsa_dx10_clamp 1
		.amdhsa_ieee_mode 1
		.amdhsa_fp16_overflow 0
		.amdhsa_exception_fp_ieee_invalid_op 0
		.amdhsa_exception_fp_denorm_src 0
		.amdhsa_exception_fp_ieee_div_zero 0
		.amdhsa_exception_fp_ieee_overflow 0
		.amdhsa_exception_fp_ieee_underflow 0
		.amdhsa_exception_fp_ieee_inexact 0
		.amdhsa_exception_int_div_zero 0
	.end_amdhsa_kernel
	.section	.text._ZN7rocprim17ROCPRIM_400000_NS6detail17trampoline_kernelINS0_14default_configENS1_35adjacent_difference_config_selectorILb1EtEEZNS1_24adjacent_difference_implIS3_Lb1ELb0EPtN6thrust23THRUST_200600_302600_NS16discard_iteratorINS9_11use_defaultEEENS9_5minusItEEEE10hipError_tPvRmT2_T3_mT4_P12ihipStream_tbEUlT_E_NS1_11comp_targetILNS1_3genE2ELNS1_11target_archE906ELNS1_3gpuE6ELNS1_3repE0EEENS1_30default_config_static_selectorELNS0_4arch9wavefront6targetE1EEEvT1_,"axG",@progbits,_ZN7rocprim17ROCPRIM_400000_NS6detail17trampoline_kernelINS0_14default_configENS1_35adjacent_difference_config_selectorILb1EtEEZNS1_24adjacent_difference_implIS3_Lb1ELb0EPtN6thrust23THRUST_200600_302600_NS16discard_iteratorINS9_11use_defaultEEENS9_5minusItEEEE10hipError_tPvRmT2_T3_mT4_P12ihipStream_tbEUlT_E_NS1_11comp_targetILNS1_3genE2ELNS1_11target_archE906ELNS1_3gpuE6ELNS1_3repE0EEENS1_30default_config_static_selectorELNS0_4arch9wavefront6targetE1EEEvT1_,comdat
.Lfunc_end855:
	.size	_ZN7rocprim17ROCPRIM_400000_NS6detail17trampoline_kernelINS0_14default_configENS1_35adjacent_difference_config_selectorILb1EtEEZNS1_24adjacent_difference_implIS3_Lb1ELb0EPtN6thrust23THRUST_200600_302600_NS16discard_iteratorINS9_11use_defaultEEENS9_5minusItEEEE10hipError_tPvRmT2_T3_mT4_P12ihipStream_tbEUlT_E_NS1_11comp_targetILNS1_3genE2ELNS1_11target_archE906ELNS1_3gpuE6ELNS1_3repE0EEENS1_30default_config_static_selectorELNS0_4arch9wavefront6targetE1EEEvT1_, .Lfunc_end855-_ZN7rocprim17ROCPRIM_400000_NS6detail17trampoline_kernelINS0_14default_configENS1_35adjacent_difference_config_selectorILb1EtEEZNS1_24adjacent_difference_implIS3_Lb1ELb0EPtN6thrust23THRUST_200600_302600_NS16discard_iteratorINS9_11use_defaultEEENS9_5minusItEEEE10hipError_tPvRmT2_T3_mT4_P12ihipStream_tbEUlT_E_NS1_11comp_targetILNS1_3genE2ELNS1_11target_archE906ELNS1_3gpuE6ELNS1_3repE0EEENS1_30default_config_static_selectorELNS0_4arch9wavefront6targetE1EEEvT1_
                                        ; -- End function
	.set _ZN7rocprim17ROCPRIM_400000_NS6detail17trampoline_kernelINS0_14default_configENS1_35adjacent_difference_config_selectorILb1EtEEZNS1_24adjacent_difference_implIS3_Lb1ELb0EPtN6thrust23THRUST_200600_302600_NS16discard_iteratorINS9_11use_defaultEEENS9_5minusItEEEE10hipError_tPvRmT2_T3_mT4_P12ihipStream_tbEUlT_E_NS1_11comp_targetILNS1_3genE2ELNS1_11target_archE906ELNS1_3gpuE6ELNS1_3repE0EEENS1_30default_config_static_selectorELNS0_4arch9wavefront6targetE1EEEvT1_.num_vgpr, 31
	.set _ZN7rocprim17ROCPRIM_400000_NS6detail17trampoline_kernelINS0_14default_configENS1_35adjacent_difference_config_selectorILb1EtEEZNS1_24adjacent_difference_implIS3_Lb1ELb0EPtN6thrust23THRUST_200600_302600_NS16discard_iteratorINS9_11use_defaultEEENS9_5minusItEEEE10hipError_tPvRmT2_T3_mT4_P12ihipStream_tbEUlT_E_NS1_11comp_targetILNS1_3genE2ELNS1_11target_archE906ELNS1_3gpuE6ELNS1_3repE0EEENS1_30default_config_static_selectorELNS0_4arch9wavefront6targetE1EEEvT1_.num_agpr, 0
	.set _ZN7rocprim17ROCPRIM_400000_NS6detail17trampoline_kernelINS0_14default_configENS1_35adjacent_difference_config_selectorILb1EtEEZNS1_24adjacent_difference_implIS3_Lb1ELb0EPtN6thrust23THRUST_200600_302600_NS16discard_iteratorINS9_11use_defaultEEENS9_5minusItEEEE10hipError_tPvRmT2_T3_mT4_P12ihipStream_tbEUlT_E_NS1_11comp_targetILNS1_3genE2ELNS1_11target_archE906ELNS1_3gpuE6ELNS1_3repE0EEENS1_30default_config_static_selectorELNS0_4arch9wavefront6targetE1EEEvT1_.numbered_sgpr, 24
	.set _ZN7rocprim17ROCPRIM_400000_NS6detail17trampoline_kernelINS0_14default_configENS1_35adjacent_difference_config_selectorILb1EtEEZNS1_24adjacent_difference_implIS3_Lb1ELb0EPtN6thrust23THRUST_200600_302600_NS16discard_iteratorINS9_11use_defaultEEENS9_5minusItEEEE10hipError_tPvRmT2_T3_mT4_P12ihipStream_tbEUlT_E_NS1_11comp_targetILNS1_3genE2ELNS1_11target_archE906ELNS1_3gpuE6ELNS1_3repE0EEENS1_30default_config_static_selectorELNS0_4arch9wavefront6targetE1EEEvT1_.num_named_barrier, 0
	.set _ZN7rocprim17ROCPRIM_400000_NS6detail17trampoline_kernelINS0_14default_configENS1_35adjacent_difference_config_selectorILb1EtEEZNS1_24adjacent_difference_implIS3_Lb1ELb0EPtN6thrust23THRUST_200600_302600_NS16discard_iteratorINS9_11use_defaultEEENS9_5minusItEEEE10hipError_tPvRmT2_T3_mT4_P12ihipStream_tbEUlT_E_NS1_11comp_targetILNS1_3genE2ELNS1_11target_archE906ELNS1_3gpuE6ELNS1_3repE0EEENS1_30default_config_static_selectorELNS0_4arch9wavefront6targetE1EEEvT1_.private_seg_size, 0
	.set _ZN7rocprim17ROCPRIM_400000_NS6detail17trampoline_kernelINS0_14default_configENS1_35adjacent_difference_config_selectorILb1EtEEZNS1_24adjacent_difference_implIS3_Lb1ELb0EPtN6thrust23THRUST_200600_302600_NS16discard_iteratorINS9_11use_defaultEEENS9_5minusItEEEE10hipError_tPvRmT2_T3_mT4_P12ihipStream_tbEUlT_E_NS1_11comp_targetILNS1_3genE2ELNS1_11target_archE906ELNS1_3gpuE6ELNS1_3repE0EEENS1_30default_config_static_selectorELNS0_4arch9wavefront6targetE1EEEvT1_.uses_vcc, 1
	.set _ZN7rocprim17ROCPRIM_400000_NS6detail17trampoline_kernelINS0_14default_configENS1_35adjacent_difference_config_selectorILb1EtEEZNS1_24adjacent_difference_implIS3_Lb1ELb0EPtN6thrust23THRUST_200600_302600_NS16discard_iteratorINS9_11use_defaultEEENS9_5minusItEEEE10hipError_tPvRmT2_T3_mT4_P12ihipStream_tbEUlT_E_NS1_11comp_targetILNS1_3genE2ELNS1_11target_archE906ELNS1_3gpuE6ELNS1_3repE0EEENS1_30default_config_static_selectorELNS0_4arch9wavefront6targetE1EEEvT1_.uses_flat_scratch, 0
	.set _ZN7rocprim17ROCPRIM_400000_NS6detail17trampoline_kernelINS0_14default_configENS1_35adjacent_difference_config_selectorILb1EtEEZNS1_24adjacent_difference_implIS3_Lb1ELb0EPtN6thrust23THRUST_200600_302600_NS16discard_iteratorINS9_11use_defaultEEENS9_5minusItEEEE10hipError_tPvRmT2_T3_mT4_P12ihipStream_tbEUlT_E_NS1_11comp_targetILNS1_3genE2ELNS1_11target_archE906ELNS1_3gpuE6ELNS1_3repE0EEENS1_30default_config_static_selectorELNS0_4arch9wavefront6targetE1EEEvT1_.has_dyn_sized_stack, 0
	.set _ZN7rocprim17ROCPRIM_400000_NS6detail17trampoline_kernelINS0_14default_configENS1_35adjacent_difference_config_selectorILb1EtEEZNS1_24adjacent_difference_implIS3_Lb1ELb0EPtN6thrust23THRUST_200600_302600_NS16discard_iteratorINS9_11use_defaultEEENS9_5minusItEEEE10hipError_tPvRmT2_T3_mT4_P12ihipStream_tbEUlT_E_NS1_11comp_targetILNS1_3genE2ELNS1_11target_archE906ELNS1_3gpuE6ELNS1_3repE0EEENS1_30default_config_static_selectorELNS0_4arch9wavefront6targetE1EEEvT1_.has_recursion, 0
	.set _ZN7rocprim17ROCPRIM_400000_NS6detail17trampoline_kernelINS0_14default_configENS1_35adjacent_difference_config_selectorILb1EtEEZNS1_24adjacent_difference_implIS3_Lb1ELb0EPtN6thrust23THRUST_200600_302600_NS16discard_iteratorINS9_11use_defaultEEENS9_5minusItEEEE10hipError_tPvRmT2_T3_mT4_P12ihipStream_tbEUlT_E_NS1_11comp_targetILNS1_3genE2ELNS1_11target_archE906ELNS1_3gpuE6ELNS1_3repE0EEENS1_30default_config_static_selectorELNS0_4arch9wavefront6targetE1EEEvT1_.has_indirect_call, 0
	.section	.AMDGPU.csdata,"",@progbits
; Kernel info:
; codeLenInByte = 3112
; TotalNumSgprs: 28
; NumVgprs: 31
; ScratchSize: 0
; MemoryBound: 0
; FloatMode: 240
; IeeeMode: 1
; LDSByteSize: 2176 bytes/workgroup (compile time only)
; SGPRBlocks: 8
; VGPRBlocks: 7
; NumSGPRsForWavesPerEU: 65
; NumVGPRsForWavesPerEU: 31
; Occupancy: 8
; WaveLimiterHint : 1
; COMPUTE_PGM_RSRC2:SCRATCH_EN: 0
; COMPUTE_PGM_RSRC2:USER_SGPR: 6
; COMPUTE_PGM_RSRC2:TRAP_HANDLER: 0
; COMPUTE_PGM_RSRC2:TGID_X_EN: 1
; COMPUTE_PGM_RSRC2:TGID_Y_EN: 0
; COMPUTE_PGM_RSRC2:TGID_Z_EN: 0
; COMPUTE_PGM_RSRC2:TIDIG_COMP_CNT: 0
	.section	.text._ZN7rocprim17ROCPRIM_400000_NS6detail17trampoline_kernelINS0_14default_configENS1_35adjacent_difference_config_selectorILb1EtEEZNS1_24adjacent_difference_implIS3_Lb1ELb0EPtN6thrust23THRUST_200600_302600_NS16discard_iteratorINS9_11use_defaultEEENS9_5minusItEEEE10hipError_tPvRmT2_T3_mT4_P12ihipStream_tbEUlT_E_NS1_11comp_targetILNS1_3genE9ELNS1_11target_archE1100ELNS1_3gpuE3ELNS1_3repE0EEENS1_30default_config_static_selectorELNS0_4arch9wavefront6targetE1EEEvT1_,"axG",@progbits,_ZN7rocprim17ROCPRIM_400000_NS6detail17trampoline_kernelINS0_14default_configENS1_35adjacent_difference_config_selectorILb1EtEEZNS1_24adjacent_difference_implIS3_Lb1ELb0EPtN6thrust23THRUST_200600_302600_NS16discard_iteratorINS9_11use_defaultEEENS9_5minusItEEEE10hipError_tPvRmT2_T3_mT4_P12ihipStream_tbEUlT_E_NS1_11comp_targetILNS1_3genE9ELNS1_11target_archE1100ELNS1_3gpuE3ELNS1_3repE0EEENS1_30default_config_static_selectorELNS0_4arch9wavefront6targetE1EEEvT1_,comdat
	.protected	_ZN7rocprim17ROCPRIM_400000_NS6detail17trampoline_kernelINS0_14default_configENS1_35adjacent_difference_config_selectorILb1EtEEZNS1_24adjacent_difference_implIS3_Lb1ELb0EPtN6thrust23THRUST_200600_302600_NS16discard_iteratorINS9_11use_defaultEEENS9_5minusItEEEE10hipError_tPvRmT2_T3_mT4_P12ihipStream_tbEUlT_E_NS1_11comp_targetILNS1_3genE9ELNS1_11target_archE1100ELNS1_3gpuE3ELNS1_3repE0EEENS1_30default_config_static_selectorELNS0_4arch9wavefront6targetE1EEEvT1_ ; -- Begin function _ZN7rocprim17ROCPRIM_400000_NS6detail17trampoline_kernelINS0_14default_configENS1_35adjacent_difference_config_selectorILb1EtEEZNS1_24adjacent_difference_implIS3_Lb1ELb0EPtN6thrust23THRUST_200600_302600_NS16discard_iteratorINS9_11use_defaultEEENS9_5minusItEEEE10hipError_tPvRmT2_T3_mT4_P12ihipStream_tbEUlT_E_NS1_11comp_targetILNS1_3genE9ELNS1_11target_archE1100ELNS1_3gpuE3ELNS1_3repE0EEENS1_30default_config_static_selectorELNS0_4arch9wavefront6targetE1EEEvT1_
	.globl	_ZN7rocprim17ROCPRIM_400000_NS6detail17trampoline_kernelINS0_14default_configENS1_35adjacent_difference_config_selectorILb1EtEEZNS1_24adjacent_difference_implIS3_Lb1ELb0EPtN6thrust23THRUST_200600_302600_NS16discard_iteratorINS9_11use_defaultEEENS9_5minusItEEEE10hipError_tPvRmT2_T3_mT4_P12ihipStream_tbEUlT_E_NS1_11comp_targetILNS1_3genE9ELNS1_11target_archE1100ELNS1_3gpuE3ELNS1_3repE0EEENS1_30default_config_static_selectorELNS0_4arch9wavefront6targetE1EEEvT1_
	.p2align	8
	.type	_ZN7rocprim17ROCPRIM_400000_NS6detail17trampoline_kernelINS0_14default_configENS1_35adjacent_difference_config_selectorILb1EtEEZNS1_24adjacent_difference_implIS3_Lb1ELb0EPtN6thrust23THRUST_200600_302600_NS16discard_iteratorINS9_11use_defaultEEENS9_5minusItEEEE10hipError_tPvRmT2_T3_mT4_P12ihipStream_tbEUlT_E_NS1_11comp_targetILNS1_3genE9ELNS1_11target_archE1100ELNS1_3gpuE3ELNS1_3repE0EEENS1_30default_config_static_selectorELNS0_4arch9wavefront6targetE1EEEvT1_,@function
_ZN7rocprim17ROCPRIM_400000_NS6detail17trampoline_kernelINS0_14default_configENS1_35adjacent_difference_config_selectorILb1EtEEZNS1_24adjacent_difference_implIS3_Lb1ELb0EPtN6thrust23THRUST_200600_302600_NS16discard_iteratorINS9_11use_defaultEEENS9_5minusItEEEE10hipError_tPvRmT2_T3_mT4_P12ihipStream_tbEUlT_E_NS1_11comp_targetILNS1_3genE9ELNS1_11target_archE1100ELNS1_3gpuE3ELNS1_3repE0EEENS1_30default_config_static_selectorELNS0_4arch9wavefront6targetE1EEEvT1_: ; @_ZN7rocprim17ROCPRIM_400000_NS6detail17trampoline_kernelINS0_14default_configENS1_35adjacent_difference_config_selectorILb1EtEEZNS1_24adjacent_difference_implIS3_Lb1ELb0EPtN6thrust23THRUST_200600_302600_NS16discard_iteratorINS9_11use_defaultEEENS9_5minusItEEEE10hipError_tPvRmT2_T3_mT4_P12ihipStream_tbEUlT_E_NS1_11comp_targetILNS1_3genE9ELNS1_11target_archE1100ELNS1_3gpuE3ELNS1_3repE0EEENS1_30default_config_static_selectorELNS0_4arch9wavefront6targetE1EEEvT1_
; %bb.0:
	.section	.rodata,"a",@progbits
	.p2align	6, 0x0
	.amdhsa_kernel _ZN7rocprim17ROCPRIM_400000_NS6detail17trampoline_kernelINS0_14default_configENS1_35adjacent_difference_config_selectorILb1EtEEZNS1_24adjacent_difference_implIS3_Lb1ELb0EPtN6thrust23THRUST_200600_302600_NS16discard_iteratorINS9_11use_defaultEEENS9_5minusItEEEE10hipError_tPvRmT2_T3_mT4_P12ihipStream_tbEUlT_E_NS1_11comp_targetILNS1_3genE9ELNS1_11target_archE1100ELNS1_3gpuE3ELNS1_3repE0EEENS1_30default_config_static_selectorELNS0_4arch9wavefront6targetE1EEEvT1_
		.amdhsa_group_segment_fixed_size 0
		.amdhsa_private_segment_fixed_size 0
		.amdhsa_kernarg_size 64
		.amdhsa_user_sgpr_count 6
		.amdhsa_user_sgpr_private_segment_buffer 1
		.amdhsa_user_sgpr_dispatch_ptr 0
		.amdhsa_user_sgpr_queue_ptr 0
		.amdhsa_user_sgpr_kernarg_segment_ptr 1
		.amdhsa_user_sgpr_dispatch_id 0
		.amdhsa_user_sgpr_flat_scratch_init 0
		.amdhsa_user_sgpr_private_segment_size 0
		.amdhsa_uses_dynamic_stack 0
		.amdhsa_system_sgpr_private_segment_wavefront_offset 0
		.amdhsa_system_sgpr_workgroup_id_x 1
		.amdhsa_system_sgpr_workgroup_id_y 0
		.amdhsa_system_sgpr_workgroup_id_z 0
		.amdhsa_system_sgpr_workgroup_info 0
		.amdhsa_system_vgpr_workitem_id 0
		.amdhsa_next_free_vgpr 1
		.amdhsa_next_free_sgpr 0
		.amdhsa_reserve_vcc 0
		.amdhsa_reserve_flat_scratch 0
		.amdhsa_float_round_mode_32 0
		.amdhsa_float_round_mode_16_64 0
		.amdhsa_float_denorm_mode_32 3
		.amdhsa_float_denorm_mode_16_64 3
		.amdhsa_dx10_clamp 1
		.amdhsa_ieee_mode 1
		.amdhsa_fp16_overflow 0
		.amdhsa_exception_fp_ieee_invalid_op 0
		.amdhsa_exception_fp_denorm_src 0
		.amdhsa_exception_fp_ieee_div_zero 0
		.amdhsa_exception_fp_ieee_overflow 0
		.amdhsa_exception_fp_ieee_underflow 0
		.amdhsa_exception_fp_ieee_inexact 0
		.amdhsa_exception_int_div_zero 0
	.end_amdhsa_kernel
	.section	.text._ZN7rocprim17ROCPRIM_400000_NS6detail17trampoline_kernelINS0_14default_configENS1_35adjacent_difference_config_selectorILb1EtEEZNS1_24adjacent_difference_implIS3_Lb1ELb0EPtN6thrust23THRUST_200600_302600_NS16discard_iteratorINS9_11use_defaultEEENS9_5minusItEEEE10hipError_tPvRmT2_T3_mT4_P12ihipStream_tbEUlT_E_NS1_11comp_targetILNS1_3genE9ELNS1_11target_archE1100ELNS1_3gpuE3ELNS1_3repE0EEENS1_30default_config_static_selectorELNS0_4arch9wavefront6targetE1EEEvT1_,"axG",@progbits,_ZN7rocprim17ROCPRIM_400000_NS6detail17trampoline_kernelINS0_14default_configENS1_35adjacent_difference_config_selectorILb1EtEEZNS1_24adjacent_difference_implIS3_Lb1ELb0EPtN6thrust23THRUST_200600_302600_NS16discard_iteratorINS9_11use_defaultEEENS9_5minusItEEEE10hipError_tPvRmT2_T3_mT4_P12ihipStream_tbEUlT_E_NS1_11comp_targetILNS1_3genE9ELNS1_11target_archE1100ELNS1_3gpuE3ELNS1_3repE0EEENS1_30default_config_static_selectorELNS0_4arch9wavefront6targetE1EEEvT1_,comdat
.Lfunc_end856:
	.size	_ZN7rocprim17ROCPRIM_400000_NS6detail17trampoline_kernelINS0_14default_configENS1_35adjacent_difference_config_selectorILb1EtEEZNS1_24adjacent_difference_implIS3_Lb1ELb0EPtN6thrust23THRUST_200600_302600_NS16discard_iteratorINS9_11use_defaultEEENS9_5minusItEEEE10hipError_tPvRmT2_T3_mT4_P12ihipStream_tbEUlT_E_NS1_11comp_targetILNS1_3genE9ELNS1_11target_archE1100ELNS1_3gpuE3ELNS1_3repE0EEENS1_30default_config_static_selectorELNS0_4arch9wavefront6targetE1EEEvT1_, .Lfunc_end856-_ZN7rocprim17ROCPRIM_400000_NS6detail17trampoline_kernelINS0_14default_configENS1_35adjacent_difference_config_selectorILb1EtEEZNS1_24adjacent_difference_implIS3_Lb1ELb0EPtN6thrust23THRUST_200600_302600_NS16discard_iteratorINS9_11use_defaultEEENS9_5minusItEEEE10hipError_tPvRmT2_T3_mT4_P12ihipStream_tbEUlT_E_NS1_11comp_targetILNS1_3genE9ELNS1_11target_archE1100ELNS1_3gpuE3ELNS1_3repE0EEENS1_30default_config_static_selectorELNS0_4arch9wavefront6targetE1EEEvT1_
                                        ; -- End function
	.set _ZN7rocprim17ROCPRIM_400000_NS6detail17trampoline_kernelINS0_14default_configENS1_35adjacent_difference_config_selectorILb1EtEEZNS1_24adjacent_difference_implIS3_Lb1ELb0EPtN6thrust23THRUST_200600_302600_NS16discard_iteratorINS9_11use_defaultEEENS9_5minusItEEEE10hipError_tPvRmT2_T3_mT4_P12ihipStream_tbEUlT_E_NS1_11comp_targetILNS1_3genE9ELNS1_11target_archE1100ELNS1_3gpuE3ELNS1_3repE0EEENS1_30default_config_static_selectorELNS0_4arch9wavefront6targetE1EEEvT1_.num_vgpr, 0
	.set _ZN7rocprim17ROCPRIM_400000_NS6detail17trampoline_kernelINS0_14default_configENS1_35adjacent_difference_config_selectorILb1EtEEZNS1_24adjacent_difference_implIS3_Lb1ELb0EPtN6thrust23THRUST_200600_302600_NS16discard_iteratorINS9_11use_defaultEEENS9_5minusItEEEE10hipError_tPvRmT2_T3_mT4_P12ihipStream_tbEUlT_E_NS1_11comp_targetILNS1_3genE9ELNS1_11target_archE1100ELNS1_3gpuE3ELNS1_3repE0EEENS1_30default_config_static_selectorELNS0_4arch9wavefront6targetE1EEEvT1_.num_agpr, 0
	.set _ZN7rocprim17ROCPRIM_400000_NS6detail17trampoline_kernelINS0_14default_configENS1_35adjacent_difference_config_selectorILb1EtEEZNS1_24adjacent_difference_implIS3_Lb1ELb0EPtN6thrust23THRUST_200600_302600_NS16discard_iteratorINS9_11use_defaultEEENS9_5minusItEEEE10hipError_tPvRmT2_T3_mT4_P12ihipStream_tbEUlT_E_NS1_11comp_targetILNS1_3genE9ELNS1_11target_archE1100ELNS1_3gpuE3ELNS1_3repE0EEENS1_30default_config_static_selectorELNS0_4arch9wavefront6targetE1EEEvT1_.numbered_sgpr, 0
	.set _ZN7rocprim17ROCPRIM_400000_NS6detail17trampoline_kernelINS0_14default_configENS1_35adjacent_difference_config_selectorILb1EtEEZNS1_24adjacent_difference_implIS3_Lb1ELb0EPtN6thrust23THRUST_200600_302600_NS16discard_iteratorINS9_11use_defaultEEENS9_5minusItEEEE10hipError_tPvRmT2_T3_mT4_P12ihipStream_tbEUlT_E_NS1_11comp_targetILNS1_3genE9ELNS1_11target_archE1100ELNS1_3gpuE3ELNS1_3repE0EEENS1_30default_config_static_selectorELNS0_4arch9wavefront6targetE1EEEvT1_.num_named_barrier, 0
	.set _ZN7rocprim17ROCPRIM_400000_NS6detail17trampoline_kernelINS0_14default_configENS1_35adjacent_difference_config_selectorILb1EtEEZNS1_24adjacent_difference_implIS3_Lb1ELb0EPtN6thrust23THRUST_200600_302600_NS16discard_iteratorINS9_11use_defaultEEENS9_5minusItEEEE10hipError_tPvRmT2_T3_mT4_P12ihipStream_tbEUlT_E_NS1_11comp_targetILNS1_3genE9ELNS1_11target_archE1100ELNS1_3gpuE3ELNS1_3repE0EEENS1_30default_config_static_selectorELNS0_4arch9wavefront6targetE1EEEvT1_.private_seg_size, 0
	.set _ZN7rocprim17ROCPRIM_400000_NS6detail17trampoline_kernelINS0_14default_configENS1_35adjacent_difference_config_selectorILb1EtEEZNS1_24adjacent_difference_implIS3_Lb1ELb0EPtN6thrust23THRUST_200600_302600_NS16discard_iteratorINS9_11use_defaultEEENS9_5minusItEEEE10hipError_tPvRmT2_T3_mT4_P12ihipStream_tbEUlT_E_NS1_11comp_targetILNS1_3genE9ELNS1_11target_archE1100ELNS1_3gpuE3ELNS1_3repE0EEENS1_30default_config_static_selectorELNS0_4arch9wavefront6targetE1EEEvT1_.uses_vcc, 0
	.set _ZN7rocprim17ROCPRIM_400000_NS6detail17trampoline_kernelINS0_14default_configENS1_35adjacent_difference_config_selectorILb1EtEEZNS1_24adjacent_difference_implIS3_Lb1ELb0EPtN6thrust23THRUST_200600_302600_NS16discard_iteratorINS9_11use_defaultEEENS9_5minusItEEEE10hipError_tPvRmT2_T3_mT4_P12ihipStream_tbEUlT_E_NS1_11comp_targetILNS1_3genE9ELNS1_11target_archE1100ELNS1_3gpuE3ELNS1_3repE0EEENS1_30default_config_static_selectorELNS0_4arch9wavefront6targetE1EEEvT1_.uses_flat_scratch, 0
	.set _ZN7rocprim17ROCPRIM_400000_NS6detail17trampoline_kernelINS0_14default_configENS1_35adjacent_difference_config_selectorILb1EtEEZNS1_24adjacent_difference_implIS3_Lb1ELb0EPtN6thrust23THRUST_200600_302600_NS16discard_iteratorINS9_11use_defaultEEENS9_5minusItEEEE10hipError_tPvRmT2_T3_mT4_P12ihipStream_tbEUlT_E_NS1_11comp_targetILNS1_3genE9ELNS1_11target_archE1100ELNS1_3gpuE3ELNS1_3repE0EEENS1_30default_config_static_selectorELNS0_4arch9wavefront6targetE1EEEvT1_.has_dyn_sized_stack, 0
	.set _ZN7rocprim17ROCPRIM_400000_NS6detail17trampoline_kernelINS0_14default_configENS1_35adjacent_difference_config_selectorILb1EtEEZNS1_24adjacent_difference_implIS3_Lb1ELb0EPtN6thrust23THRUST_200600_302600_NS16discard_iteratorINS9_11use_defaultEEENS9_5minusItEEEE10hipError_tPvRmT2_T3_mT4_P12ihipStream_tbEUlT_E_NS1_11comp_targetILNS1_3genE9ELNS1_11target_archE1100ELNS1_3gpuE3ELNS1_3repE0EEENS1_30default_config_static_selectorELNS0_4arch9wavefront6targetE1EEEvT1_.has_recursion, 0
	.set _ZN7rocprim17ROCPRIM_400000_NS6detail17trampoline_kernelINS0_14default_configENS1_35adjacent_difference_config_selectorILb1EtEEZNS1_24adjacent_difference_implIS3_Lb1ELb0EPtN6thrust23THRUST_200600_302600_NS16discard_iteratorINS9_11use_defaultEEENS9_5minusItEEEE10hipError_tPvRmT2_T3_mT4_P12ihipStream_tbEUlT_E_NS1_11comp_targetILNS1_3genE9ELNS1_11target_archE1100ELNS1_3gpuE3ELNS1_3repE0EEENS1_30default_config_static_selectorELNS0_4arch9wavefront6targetE1EEEvT1_.has_indirect_call, 0
	.section	.AMDGPU.csdata,"",@progbits
; Kernel info:
; codeLenInByte = 0
; TotalNumSgprs: 4
; NumVgprs: 0
; ScratchSize: 0
; MemoryBound: 0
; FloatMode: 240
; IeeeMode: 1
; LDSByteSize: 0 bytes/workgroup (compile time only)
; SGPRBlocks: 0
; VGPRBlocks: 0
; NumSGPRsForWavesPerEU: 4
; NumVGPRsForWavesPerEU: 1
; Occupancy: 10
; WaveLimiterHint : 0
; COMPUTE_PGM_RSRC2:SCRATCH_EN: 0
; COMPUTE_PGM_RSRC2:USER_SGPR: 6
; COMPUTE_PGM_RSRC2:TRAP_HANDLER: 0
; COMPUTE_PGM_RSRC2:TGID_X_EN: 1
; COMPUTE_PGM_RSRC2:TGID_Y_EN: 0
; COMPUTE_PGM_RSRC2:TGID_Z_EN: 0
; COMPUTE_PGM_RSRC2:TIDIG_COMP_CNT: 0
	.section	.text._ZN7rocprim17ROCPRIM_400000_NS6detail17trampoline_kernelINS0_14default_configENS1_35adjacent_difference_config_selectorILb1EtEEZNS1_24adjacent_difference_implIS3_Lb1ELb0EPtN6thrust23THRUST_200600_302600_NS16discard_iteratorINS9_11use_defaultEEENS9_5minusItEEEE10hipError_tPvRmT2_T3_mT4_P12ihipStream_tbEUlT_E_NS1_11comp_targetILNS1_3genE8ELNS1_11target_archE1030ELNS1_3gpuE2ELNS1_3repE0EEENS1_30default_config_static_selectorELNS0_4arch9wavefront6targetE1EEEvT1_,"axG",@progbits,_ZN7rocprim17ROCPRIM_400000_NS6detail17trampoline_kernelINS0_14default_configENS1_35adjacent_difference_config_selectorILb1EtEEZNS1_24adjacent_difference_implIS3_Lb1ELb0EPtN6thrust23THRUST_200600_302600_NS16discard_iteratorINS9_11use_defaultEEENS9_5minusItEEEE10hipError_tPvRmT2_T3_mT4_P12ihipStream_tbEUlT_E_NS1_11comp_targetILNS1_3genE8ELNS1_11target_archE1030ELNS1_3gpuE2ELNS1_3repE0EEENS1_30default_config_static_selectorELNS0_4arch9wavefront6targetE1EEEvT1_,comdat
	.protected	_ZN7rocprim17ROCPRIM_400000_NS6detail17trampoline_kernelINS0_14default_configENS1_35adjacent_difference_config_selectorILb1EtEEZNS1_24adjacent_difference_implIS3_Lb1ELb0EPtN6thrust23THRUST_200600_302600_NS16discard_iteratorINS9_11use_defaultEEENS9_5minusItEEEE10hipError_tPvRmT2_T3_mT4_P12ihipStream_tbEUlT_E_NS1_11comp_targetILNS1_3genE8ELNS1_11target_archE1030ELNS1_3gpuE2ELNS1_3repE0EEENS1_30default_config_static_selectorELNS0_4arch9wavefront6targetE1EEEvT1_ ; -- Begin function _ZN7rocprim17ROCPRIM_400000_NS6detail17trampoline_kernelINS0_14default_configENS1_35adjacent_difference_config_selectorILb1EtEEZNS1_24adjacent_difference_implIS3_Lb1ELb0EPtN6thrust23THRUST_200600_302600_NS16discard_iteratorINS9_11use_defaultEEENS9_5minusItEEEE10hipError_tPvRmT2_T3_mT4_P12ihipStream_tbEUlT_E_NS1_11comp_targetILNS1_3genE8ELNS1_11target_archE1030ELNS1_3gpuE2ELNS1_3repE0EEENS1_30default_config_static_selectorELNS0_4arch9wavefront6targetE1EEEvT1_
	.globl	_ZN7rocprim17ROCPRIM_400000_NS6detail17trampoline_kernelINS0_14default_configENS1_35adjacent_difference_config_selectorILb1EtEEZNS1_24adjacent_difference_implIS3_Lb1ELb0EPtN6thrust23THRUST_200600_302600_NS16discard_iteratorINS9_11use_defaultEEENS9_5minusItEEEE10hipError_tPvRmT2_T3_mT4_P12ihipStream_tbEUlT_E_NS1_11comp_targetILNS1_3genE8ELNS1_11target_archE1030ELNS1_3gpuE2ELNS1_3repE0EEENS1_30default_config_static_selectorELNS0_4arch9wavefront6targetE1EEEvT1_
	.p2align	8
	.type	_ZN7rocprim17ROCPRIM_400000_NS6detail17trampoline_kernelINS0_14default_configENS1_35adjacent_difference_config_selectorILb1EtEEZNS1_24adjacent_difference_implIS3_Lb1ELb0EPtN6thrust23THRUST_200600_302600_NS16discard_iteratorINS9_11use_defaultEEENS9_5minusItEEEE10hipError_tPvRmT2_T3_mT4_P12ihipStream_tbEUlT_E_NS1_11comp_targetILNS1_3genE8ELNS1_11target_archE1030ELNS1_3gpuE2ELNS1_3repE0EEENS1_30default_config_static_selectorELNS0_4arch9wavefront6targetE1EEEvT1_,@function
_ZN7rocprim17ROCPRIM_400000_NS6detail17trampoline_kernelINS0_14default_configENS1_35adjacent_difference_config_selectorILb1EtEEZNS1_24adjacent_difference_implIS3_Lb1ELb0EPtN6thrust23THRUST_200600_302600_NS16discard_iteratorINS9_11use_defaultEEENS9_5minusItEEEE10hipError_tPvRmT2_T3_mT4_P12ihipStream_tbEUlT_E_NS1_11comp_targetILNS1_3genE8ELNS1_11target_archE1030ELNS1_3gpuE2ELNS1_3repE0EEENS1_30default_config_static_selectorELNS0_4arch9wavefront6targetE1EEEvT1_: ; @_ZN7rocprim17ROCPRIM_400000_NS6detail17trampoline_kernelINS0_14default_configENS1_35adjacent_difference_config_selectorILb1EtEEZNS1_24adjacent_difference_implIS3_Lb1ELb0EPtN6thrust23THRUST_200600_302600_NS16discard_iteratorINS9_11use_defaultEEENS9_5minusItEEEE10hipError_tPvRmT2_T3_mT4_P12ihipStream_tbEUlT_E_NS1_11comp_targetILNS1_3genE8ELNS1_11target_archE1030ELNS1_3gpuE2ELNS1_3repE0EEENS1_30default_config_static_selectorELNS0_4arch9wavefront6targetE1EEEvT1_
; %bb.0:
	.section	.rodata,"a",@progbits
	.p2align	6, 0x0
	.amdhsa_kernel _ZN7rocprim17ROCPRIM_400000_NS6detail17trampoline_kernelINS0_14default_configENS1_35adjacent_difference_config_selectorILb1EtEEZNS1_24adjacent_difference_implIS3_Lb1ELb0EPtN6thrust23THRUST_200600_302600_NS16discard_iteratorINS9_11use_defaultEEENS9_5minusItEEEE10hipError_tPvRmT2_T3_mT4_P12ihipStream_tbEUlT_E_NS1_11comp_targetILNS1_3genE8ELNS1_11target_archE1030ELNS1_3gpuE2ELNS1_3repE0EEENS1_30default_config_static_selectorELNS0_4arch9wavefront6targetE1EEEvT1_
		.amdhsa_group_segment_fixed_size 0
		.amdhsa_private_segment_fixed_size 0
		.amdhsa_kernarg_size 64
		.amdhsa_user_sgpr_count 6
		.amdhsa_user_sgpr_private_segment_buffer 1
		.amdhsa_user_sgpr_dispatch_ptr 0
		.amdhsa_user_sgpr_queue_ptr 0
		.amdhsa_user_sgpr_kernarg_segment_ptr 1
		.amdhsa_user_sgpr_dispatch_id 0
		.amdhsa_user_sgpr_flat_scratch_init 0
		.amdhsa_user_sgpr_private_segment_size 0
		.amdhsa_uses_dynamic_stack 0
		.amdhsa_system_sgpr_private_segment_wavefront_offset 0
		.amdhsa_system_sgpr_workgroup_id_x 1
		.amdhsa_system_sgpr_workgroup_id_y 0
		.amdhsa_system_sgpr_workgroup_id_z 0
		.amdhsa_system_sgpr_workgroup_info 0
		.amdhsa_system_vgpr_workitem_id 0
		.amdhsa_next_free_vgpr 1
		.amdhsa_next_free_sgpr 0
		.amdhsa_reserve_vcc 0
		.amdhsa_reserve_flat_scratch 0
		.amdhsa_float_round_mode_32 0
		.amdhsa_float_round_mode_16_64 0
		.amdhsa_float_denorm_mode_32 3
		.amdhsa_float_denorm_mode_16_64 3
		.amdhsa_dx10_clamp 1
		.amdhsa_ieee_mode 1
		.amdhsa_fp16_overflow 0
		.amdhsa_exception_fp_ieee_invalid_op 0
		.amdhsa_exception_fp_denorm_src 0
		.amdhsa_exception_fp_ieee_div_zero 0
		.amdhsa_exception_fp_ieee_overflow 0
		.amdhsa_exception_fp_ieee_underflow 0
		.amdhsa_exception_fp_ieee_inexact 0
		.amdhsa_exception_int_div_zero 0
	.end_amdhsa_kernel
	.section	.text._ZN7rocprim17ROCPRIM_400000_NS6detail17trampoline_kernelINS0_14default_configENS1_35adjacent_difference_config_selectorILb1EtEEZNS1_24adjacent_difference_implIS3_Lb1ELb0EPtN6thrust23THRUST_200600_302600_NS16discard_iteratorINS9_11use_defaultEEENS9_5minusItEEEE10hipError_tPvRmT2_T3_mT4_P12ihipStream_tbEUlT_E_NS1_11comp_targetILNS1_3genE8ELNS1_11target_archE1030ELNS1_3gpuE2ELNS1_3repE0EEENS1_30default_config_static_selectorELNS0_4arch9wavefront6targetE1EEEvT1_,"axG",@progbits,_ZN7rocprim17ROCPRIM_400000_NS6detail17trampoline_kernelINS0_14default_configENS1_35adjacent_difference_config_selectorILb1EtEEZNS1_24adjacent_difference_implIS3_Lb1ELb0EPtN6thrust23THRUST_200600_302600_NS16discard_iteratorINS9_11use_defaultEEENS9_5minusItEEEE10hipError_tPvRmT2_T3_mT4_P12ihipStream_tbEUlT_E_NS1_11comp_targetILNS1_3genE8ELNS1_11target_archE1030ELNS1_3gpuE2ELNS1_3repE0EEENS1_30default_config_static_selectorELNS0_4arch9wavefront6targetE1EEEvT1_,comdat
.Lfunc_end857:
	.size	_ZN7rocprim17ROCPRIM_400000_NS6detail17trampoline_kernelINS0_14default_configENS1_35adjacent_difference_config_selectorILb1EtEEZNS1_24adjacent_difference_implIS3_Lb1ELb0EPtN6thrust23THRUST_200600_302600_NS16discard_iteratorINS9_11use_defaultEEENS9_5minusItEEEE10hipError_tPvRmT2_T3_mT4_P12ihipStream_tbEUlT_E_NS1_11comp_targetILNS1_3genE8ELNS1_11target_archE1030ELNS1_3gpuE2ELNS1_3repE0EEENS1_30default_config_static_selectorELNS0_4arch9wavefront6targetE1EEEvT1_, .Lfunc_end857-_ZN7rocprim17ROCPRIM_400000_NS6detail17trampoline_kernelINS0_14default_configENS1_35adjacent_difference_config_selectorILb1EtEEZNS1_24adjacent_difference_implIS3_Lb1ELb0EPtN6thrust23THRUST_200600_302600_NS16discard_iteratorINS9_11use_defaultEEENS9_5minusItEEEE10hipError_tPvRmT2_T3_mT4_P12ihipStream_tbEUlT_E_NS1_11comp_targetILNS1_3genE8ELNS1_11target_archE1030ELNS1_3gpuE2ELNS1_3repE0EEENS1_30default_config_static_selectorELNS0_4arch9wavefront6targetE1EEEvT1_
                                        ; -- End function
	.set _ZN7rocprim17ROCPRIM_400000_NS6detail17trampoline_kernelINS0_14default_configENS1_35adjacent_difference_config_selectorILb1EtEEZNS1_24adjacent_difference_implIS3_Lb1ELb0EPtN6thrust23THRUST_200600_302600_NS16discard_iteratorINS9_11use_defaultEEENS9_5minusItEEEE10hipError_tPvRmT2_T3_mT4_P12ihipStream_tbEUlT_E_NS1_11comp_targetILNS1_3genE8ELNS1_11target_archE1030ELNS1_3gpuE2ELNS1_3repE0EEENS1_30default_config_static_selectorELNS0_4arch9wavefront6targetE1EEEvT1_.num_vgpr, 0
	.set _ZN7rocprim17ROCPRIM_400000_NS6detail17trampoline_kernelINS0_14default_configENS1_35adjacent_difference_config_selectorILb1EtEEZNS1_24adjacent_difference_implIS3_Lb1ELb0EPtN6thrust23THRUST_200600_302600_NS16discard_iteratorINS9_11use_defaultEEENS9_5minusItEEEE10hipError_tPvRmT2_T3_mT4_P12ihipStream_tbEUlT_E_NS1_11comp_targetILNS1_3genE8ELNS1_11target_archE1030ELNS1_3gpuE2ELNS1_3repE0EEENS1_30default_config_static_selectorELNS0_4arch9wavefront6targetE1EEEvT1_.num_agpr, 0
	.set _ZN7rocprim17ROCPRIM_400000_NS6detail17trampoline_kernelINS0_14default_configENS1_35adjacent_difference_config_selectorILb1EtEEZNS1_24adjacent_difference_implIS3_Lb1ELb0EPtN6thrust23THRUST_200600_302600_NS16discard_iteratorINS9_11use_defaultEEENS9_5minusItEEEE10hipError_tPvRmT2_T3_mT4_P12ihipStream_tbEUlT_E_NS1_11comp_targetILNS1_3genE8ELNS1_11target_archE1030ELNS1_3gpuE2ELNS1_3repE0EEENS1_30default_config_static_selectorELNS0_4arch9wavefront6targetE1EEEvT1_.numbered_sgpr, 0
	.set _ZN7rocprim17ROCPRIM_400000_NS6detail17trampoline_kernelINS0_14default_configENS1_35adjacent_difference_config_selectorILb1EtEEZNS1_24adjacent_difference_implIS3_Lb1ELb0EPtN6thrust23THRUST_200600_302600_NS16discard_iteratorINS9_11use_defaultEEENS9_5minusItEEEE10hipError_tPvRmT2_T3_mT4_P12ihipStream_tbEUlT_E_NS1_11comp_targetILNS1_3genE8ELNS1_11target_archE1030ELNS1_3gpuE2ELNS1_3repE0EEENS1_30default_config_static_selectorELNS0_4arch9wavefront6targetE1EEEvT1_.num_named_barrier, 0
	.set _ZN7rocprim17ROCPRIM_400000_NS6detail17trampoline_kernelINS0_14default_configENS1_35adjacent_difference_config_selectorILb1EtEEZNS1_24adjacent_difference_implIS3_Lb1ELb0EPtN6thrust23THRUST_200600_302600_NS16discard_iteratorINS9_11use_defaultEEENS9_5minusItEEEE10hipError_tPvRmT2_T3_mT4_P12ihipStream_tbEUlT_E_NS1_11comp_targetILNS1_3genE8ELNS1_11target_archE1030ELNS1_3gpuE2ELNS1_3repE0EEENS1_30default_config_static_selectorELNS0_4arch9wavefront6targetE1EEEvT1_.private_seg_size, 0
	.set _ZN7rocprim17ROCPRIM_400000_NS6detail17trampoline_kernelINS0_14default_configENS1_35adjacent_difference_config_selectorILb1EtEEZNS1_24adjacent_difference_implIS3_Lb1ELb0EPtN6thrust23THRUST_200600_302600_NS16discard_iteratorINS9_11use_defaultEEENS9_5minusItEEEE10hipError_tPvRmT2_T3_mT4_P12ihipStream_tbEUlT_E_NS1_11comp_targetILNS1_3genE8ELNS1_11target_archE1030ELNS1_3gpuE2ELNS1_3repE0EEENS1_30default_config_static_selectorELNS0_4arch9wavefront6targetE1EEEvT1_.uses_vcc, 0
	.set _ZN7rocprim17ROCPRIM_400000_NS6detail17trampoline_kernelINS0_14default_configENS1_35adjacent_difference_config_selectorILb1EtEEZNS1_24adjacent_difference_implIS3_Lb1ELb0EPtN6thrust23THRUST_200600_302600_NS16discard_iteratorINS9_11use_defaultEEENS9_5minusItEEEE10hipError_tPvRmT2_T3_mT4_P12ihipStream_tbEUlT_E_NS1_11comp_targetILNS1_3genE8ELNS1_11target_archE1030ELNS1_3gpuE2ELNS1_3repE0EEENS1_30default_config_static_selectorELNS0_4arch9wavefront6targetE1EEEvT1_.uses_flat_scratch, 0
	.set _ZN7rocprim17ROCPRIM_400000_NS6detail17trampoline_kernelINS0_14default_configENS1_35adjacent_difference_config_selectorILb1EtEEZNS1_24adjacent_difference_implIS3_Lb1ELb0EPtN6thrust23THRUST_200600_302600_NS16discard_iteratorINS9_11use_defaultEEENS9_5minusItEEEE10hipError_tPvRmT2_T3_mT4_P12ihipStream_tbEUlT_E_NS1_11comp_targetILNS1_3genE8ELNS1_11target_archE1030ELNS1_3gpuE2ELNS1_3repE0EEENS1_30default_config_static_selectorELNS0_4arch9wavefront6targetE1EEEvT1_.has_dyn_sized_stack, 0
	.set _ZN7rocprim17ROCPRIM_400000_NS6detail17trampoline_kernelINS0_14default_configENS1_35adjacent_difference_config_selectorILb1EtEEZNS1_24adjacent_difference_implIS3_Lb1ELb0EPtN6thrust23THRUST_200600_302600_NS16discard_iteratorINS9_11use_defaultEEENS9_5minusItEEEE10hipError_tPvRmT2_T3_mT4_P12ihipStream_tbEUlT_E_NS1_11comp_targetILNS1_3genE8ELNS1_11target_archE1030ELNS1_3gpuE2ELNS1_3repE0EEENS1_30default_config_static_selectorELNS0_4arch9wavefront6targetE1EEEvT1_.has_recursion, 0
	.set _ZN7rocprim17ROCPRIM_400000_NS6detail17trampoline_kernelINS0_14default_configENS1_35adjacent_difference_config_selectorILb1EtEEZNS1_24adjacent_difference_implIS3_Lb1ELb0EPtN6thrust23THRUST_200600_302600_NS16discard_iteratorINS9_11use_defaultEEENS9_5minusItEEEE10hipError_tPvRmT2_T3_mT4_P12ihipStream_tbEUlT_E_NS1_11comp_targetILNS1_3genE8ELNS1_11target_archE1030ELNS1_3gpuE2ELNS1_3repE0EEENS1_30default_config_static_selectorELNS0_4arch9wavefront6targetE1EEEvT1_.has_indirect_call, 0
	.section	.AMDGPU.csdata,"",@progbits
; Kernel info:
; codeLenInByte = 0
; TotalNumSgprs: 4
; NumVgprs: 0
; ScratchSize: 0
; MemoryBound: 0
; FloatMode: 240
; IeeeMode: 1
; LDSByteSize: 0 bytes/workgroup (compile time only)
; SGPRBlocks: 0
; VGPRBlocks: 0
; NumSGPRsForWavesPerEU: 4
; NumVGPRsForWavesPerEU: 1
; Occupancy: 10
; WaveLimiterHint : 0
; COMPUTE_PGM_RSRC2:SCRATCH_EN: 0
; COMPUTE_PGM_RSRC2:USER_SGPR: 6
; COMPUTE_PGM_RSRC2:TRAP_HANDLER: 0
; COMPUTE_PGM_RSRC2:TGID_X_EN: 1
; COMPUTE_PGM_RSRC2:TGID_Y_EN: 0
; COMPUTE_PGM_RSRC2:TGID_Z_EN: 0
; COMPUTE_PGM_RSRC2:TIDIG_COMP_CNT: 0
	.section	.text._ZN7rocprim17ROCPRIM_400000_NS6detail17trampoline_kernelINS0_14default_configENS1_25transform_config_selectorIxLb0EEEZNS1_14transform_implILb0ES3_S5_NS0_18transform_iteratorINS0_17counting_iteratorImlEEZNS1_24adjacent_difference_implIS3_Lb1ELb0EPxN6thrust23THRUST_200600_302600_NS16discard_iteratorINSD_11use_defaultEEENSD_5minusIxEEEE10hipError_tPvRmT2_T3_mT4_P12ihipStream_tbEUlmE_xEESB_NS0_8identityIvEEEESJ_SM_SN_mSO_SQ_bEUlT_E_NS1_11comp_targetILNS1_3genE0ELNS1_11target_archE4294967295ELNS1_3gpuE0ELNS1_3repE0EEENS1_30default_config_static_selectorELNS0_4arch9wavefront6targetE1EEEvT1_,"axG",@progbits,_ZN7rocprim17ROCPRIM_400000_NS6detail17trampoline_kernelINS0_14default_configENS1_25transform_config_selectorIxLb0EEEZNS1_14transform_implILb0ES3_S5_NS0_18transform_iteratorINS0_17counting_iteratorImlEEZNS1_24adjacent_difference_implIS3_Lb1ELb0EPxN6thrust23THRUST_200600_302600_NS16discard_iteratorINSD_11use_defaultEEENSD_5minusIxEEEE10hipError_tPvRmT2_T3_mT4_P12ihipStream_tbEUlmE_xEESB_NS0_8identityIvEEEESJ_SM_SN_mSO_SQ_bEUlT_E_NS1_11comp_targetILNS1_3genE0ELNS1_11target_archE4294967295ELNS1_3gpuE0ELNS1_3repE0EEENS1_30default_config_static_selectorELNS0_4arch9wavefront6targetE1EEEvT1_,comdat
	.protected	_ZN7rocprim17ROCPRIM_400000_NS6detail17trampoline_kernelINS0_14default_configENS1_25transform_config_selectorIxLb0EEEZNS1_14transform_implILb0ES3_S5_NS0_18transform_iteratorINS0_17counting_iteratorImlEEZNS1_24adjacent_difference_implIS3_Lb1ELb0EPxN6thrust23THRUST_200600_302600_NS16discard_iteratorINSD_11use_defaultEEENSD_5minusIxEEEE10hipError_tPvRmT2_T3_mT4_P12ihipStream_tbEUlmE_xEESB_NS0_8identityIvEEEESJ_SM_SN_mSO_SQ_bEUlT_E_NS1_11comp_targetILNS1_3genE0ELNS1_11target_archE4294967295ELNS1_3gpuE0ELNS1_3repE0EEENS1_30default_config_static_selectorELNS0_4arch9wavefront6targetE1EEEvT1_ ; -- Begin function _ZN7rocprim17ROCPRIM_400000_NS6detail17trampoline_kernelINS0_14default_configENS1_25transform_config_selectorIxLb0EEEZNS1_14transform_implILb0ES3_S5_NS0_18transform_iteratorINS0_17counting_iteratorImlEEZNS1_24adjacent_difference_implIS3_Lb1ELb0EPxN6thrust23THRUST_200600_302600_NS16discard_iteratorINSD_11use_defaultEEENSD_5minusIxEEEE10hipError_tPvRmT2_T3_mT4_P12ihipStream_tbEUlmE_xEESB_NS0_8identityIvEEEESJ_SM_SN_mSO_SQ_bEUlT_E_NS1_11comp_targetILNS1_3genE0ELNS1_11target_archE4294967295ELNS1_3gpuE0ELNS1_3repE0EEENS1_30default_config_static_selectorELNS0_4arch9wavefront6targetE1EEEvT1_
	.globl	_ZN7rocprim17ROCPRIM_400000_NS6detail17trampoline_kernelINS0_14default_configENS1_25transform_config_selectorIxLb0EEEZNS1_14transform_implILb0ES3_S5_NS0_18transform_iteratorINS0_17counting_iteratorImlEEZNS1_24adjacent_difference_implIS3_Lb1ELb0EPxN6thrust23THRUST_200600_302600_NS16discard_iteratorINSD_11use_defaultEEENSD_5minusIxEEEE10hipError_tPvRmT2_T3_mT4_P12ihipStream_tbEUlmE_xEESB_NS0_8identityIvEEEESJ_SM_SN_mSO_SQ_bEUlT_E_NS1_11comp_targetILNS1_3genE0ELNS1_11target_archE4294967295ELNS1_3gpuE0ELNS1_3repE0EEENS1_30default_config_static_selectorELNS0_4arch9wavefront6targetE1EEEvT1_
	.p2align	8
	.type	_ZN7rocprim17ROCPRIM_400000_NS6detail17trampoline_kernelINS0_14default_configENS1_25transform_config_selectorIxLb0EEEZNS1_14transform_implILb0ES3_S5_NS0_18transform_iteratorINS0_17counting_iteratorImlEEZNS1_24adjacent_difference_implIS3_Lb1ELb0EPxN6thrust23THRUST_200600_302600_NS16discard_iteratorINSD_11use_defaultEEENSD_5minusIxEEEE10hipError_tPvRmT2_T3_mT4_P12ihipStream_tbEUlmE_xEESB_NS0_8identityIvEEEESJ_SM_SN_mSO_SQ_bEUlT_E_NS1_11comp_targetILNS1_3genE0ELNS1_11target_archE4294967295ELNS1_3gpuE0ELNS1_3repE0EEENS1_30default_config_static_selectorELNS0_4arch9wavefront6targetE1EEEvT1_,@function
_ZN7rocprim17ROCPRIM_400000_NS6detail17trampoline_kernelINS0_14default_configENS1_25transform_config_selectorIxLb0EEEZNS1_14transform_implILb0ES3_S5_NS0_18transform_iteratorINS0_17counting_iteratorImlEEZNS1_24adjacent_difference_implIS3_Lb1ELb0EPxN6thrust23THRUST_200600_302600_NS16discard_iteratorINSD_11use_defaultEEENSD_5minusIxEEEE10hipError_tPvRmT2_T3_mT4_P12ihipStream_tbEUlmE_xEESB_NS0_8identityIvEEEESJ_SM_SN_mSO_SQ_bEUlT_E_NS1_11comp_targetILNS1_3genE0ELNS1_11target_archE4294967295ELNS1_3gpuE0ELNS1_3repE0EEENS1_30default_config_static_selectorELNS0_4arch9wavefront6targetE1EEEvT1_: ; @_ZN7rocprim17ROCPRIM_400000_NS6detail17trampoline_kernelINS0_14default_configENS1_25transform_config_selectorIxLb0EEEZNS1_14transform_implILb0ES3_S5_NS0_18transform_iteratorINS0_17counting_iteratorImlEEZNS1_24adjacent_difference_implIS3_Lb1ELb0EPxN6thrust23THRUST_200600_302600_NS16discard_iteratorINSD_11use_defaultEEENSD_5minusIxEEEE10hipError_tPvRmT2_T3_mT4_P12ihipStream_tbEUlmE_xEESB_NS0_8identityIvEEEESJ_SM_SN_mSO_SQ_bEUlT_E_NS1_11comp_targetILNS1_3genE0ELNS1_11target_archE4294967295ELNS1_3gpuE0ELNS1_3repE0EEENS1_30default_config_static_selectorELNS0_4arch9wavefront6targetE1EEEvT1_
; %bb.0:
	.section	.rodata,"a",@progbits
	.p2align	6, 0x0
	.amdhsa_kernel _ZN7rocprim17ROCPRIM_400000_NS6detail17trampoline_kernelINS0_14default_configENS1_25transform_config_selectorIxLb0EEEZNS1_14transform_implILb0ES3_S5_NS0_18transform_iteratorINS0_17counting_iteratorImlEEZNS1_24adjacent_difference_implIS3_Lb1ELb0EPxN6thrust23THRUST_200600_302600_NS16discard_iteratorINSD_11use_defaultEEENSD_5minusIxEEEE10hipError_tPvRmT2_T3_mT4_P12ihipStream_tbEUlmE_xEESB_NS0_8identityIvEEEESJ_SM_SN_mSO_SQ_bEUlT_E_NS1_11comp_targetILNS1_3genE0ELNS1_11target_archE4294967295ELNS1_3gpuE0ELNS1_3repE0EEENS1_30default_config_static_selectorELNS0_4arch9wavefront6targetE1EEEvT1_
		.amdhsa_group_segment_fixed_size 0
		.amdhsa_private_segment_fixed_size 0
		.amdhsa_kernarg_size 56
		.amdhsa_user_sgpr_count 6
		.amdhsa_user_sgpr_private_segment_buffer 1
		.amdhsa_user_sgpr_dispatch_ptr 0
		.amdhsa_user_sgpr_queue_ptr 0
		.amdhsa_user_sgpr_kernarg_segment_ptr 1
		.amdhsa_user_sgpr_dispatch_id 0
		.amdhsa_user_sgpr_flat_scratch_init 0
		.amdhsa_user_sgpr_private_segment_size 0
		.amdhsa_uses_dynamic_stack 0
		.amdhsa_system_sgpr_private_segment_wavefront_offset 0
		.amdhsa_system_sgpr_workgroup_id_x 1
		.amdhsa_system_sgpr_workgroup_id_y 0
		.amdhsa_system_sgpr_workgroup_id_z 0
		.amdhsa_system_sgpr_workgroup_info 0
		.amdhsa_system_vgpr_workitem_id 0
		.amdhsa_next_free_vgpr 1
		.amdhsa_next_free_sgpr 0
		.amdhsa_reserve_vcc 0
		.amdhsa_reserve_flat_scratch 0
		.amdhsa_float_round_mode_32 0
		.amdhsa_float_round_mode_16_64 0
		.amdhsa_float_denorm_mode_32 3
		.amdhsa_float_denorm_mode_16_64 3
		.amdhsa_dx10_clamp 1
		.amdhsa_ieee_mode 1
		.amdhsa_fp16_overflow 0
		.amdhsa_exception_fp_ieee_invalid_op 0
		.amdhsa_exception_fp_denorm_src 0
		.amdhsa_exception_fp_ieee_div_zero 0
		.amdhsa_exception_fp_ieee_overflow 0
		.amdhsa_exception_fp_ieee_underflow 0
		.amdhsa_exception_fp_ieee_inexact 0
		.amdhsa_exception_int_div_zero 0
	.end_amdhsa_kernel
	.section	.text._ZN7rocprim17ROCPRIM_400000_NS6detail17trampoline_kernelINS0_14default_configENS1_25transform_config_selectorIxLb0EEEZNS1_14transform_implILb0ES3_S5_NS0_18transform_iteratorINS0_17counting_iteratorImlEEZNS1_24adjacent_difference_implIS3_Lb1ELb0EPxN6thrust23THRUST_200600_302600_NS16discard_iteratorINSD_11use_defaultEEENSD_5minusIxEEEE10hipError_tPvRmT2_T3_mT4_P12ihipStream_tbEUlmE_xEESB_NS0_8identityIvEEEESJ_SM_SN_mSO_SQ_bEUlT_E_NS1_11comp_targetILNS1_3genE0ELNS1_11target_archE4294967295ELNS1_3gpuE0ELNS1_3repE0EEENS1_30default_config_static_selectorELNS0_4arch9wavefront6targetE1EEEvT1_,"axG",@progbits,_ZN7rocprim17ROCPRIM_400000_NS6detail17trampoline_kernelINS0_14default_configENS1_25transform_config_selectorIxLb0EEEZNS1_14transform_implILb0ES3_S5_NS0_18transform_iteratorINS0_17counting_iteratorImlEEZNS1_24adjacent_difference_implIS3_Lb1ELb0EPxN6thrust23THRUST_200600_302600_NS16discard_iteratorINSD_11use_defaultEEENSD_5minusIxEEEE10hipError_tPvRmT2_T3_mT4_P12ihipStream_tbEUlmE_xEESB_NS0_8identityIvEEEESJ_SM_SN_mSO_SQ_bEUlT_E_NS1_11comp_targetILNS1_3genE0ELNS1_11target_archE4294967295ELNS1_3gpuE0ELNS1_3repE0EEENS1_30default_config_static_selectorELNS0_4arch9wavefront6targetE1EEEvT1_,comdat
.Lfunc_end858:
	.size	_ZN7rocprim17ROCPRIM_400000_NS6detail17trampoline_kernelINS0_14default_configENS1_25transform_config_selectorIxLb0EEEZNS1_14transform_implILb0ES3_S5_NS0_18transform_iteratorINS0_17counting_iteratorImlEEZNS1_24adjacent_difference_implIS3_Lb1ELb0EPxN6thrust23THRUST_200600_302600_NS16discard_iteratorINSD_11use_defaultEEENSD_5minusIxEEEE10hipError_tPvRmT2_T3_mT4_P12ihipStream_tbEUlmE_xEESB_NS0_8identityIvEEEESJ_SM_SN_mSO_SQ_bEUlT_E_NS1_11comp_targetILNS1_3genE0ELNS1_11target_archE4294967295ELNS1_3gpuE0ELNS1_3repE0EEENS1_30default_config_static_selectorELNS0_4arch9wavefront6targetE1EEEvT1_, .Lfunc_end858-_ZN7rocprim17ROCPRIM_400000_NS6detail17trampoline_kernelINS0_14default_configENS1_25transform_config_selectorIxLb0EEEZNS1_14transform_implILb0ES3_S5_NS0_18transform_iteratorINS0_17counting_iteratorImlEEZNS1_24adjacent_difference_implIS3_Lb1ELb0EPxN6thrust23THRUST_200600_302600_NS16discard_iteratorINSD_11use_defaultEEENSD_5minusIxEEEE10hipError_tPvRmT2_T3_mT4_P12ihipStream_tbEUlmE_xEESB_NS0_8identityIvEEEESJ_SM_SN_mSO_SQ_bEUlT_E_NS1_11comp_targetILNS1_3genE0ELNS1_11target_archE4294967295ELNS1_3gpuE0ELNS1_3repE0EEENS1_30default_config_static_selectorELNS0_4arch9wavefront6targetE1EEEvT1_
                                        ; -- End function
	.set _ZN7rocprim17ROCPRIM_400000_NS6detail17trampoline_kernelINS0_14default_configENS1_25transform_config_selectorIxLb0EEEZNS1_14transform_implILb0ES3_S5_NS0_18transform_iteratorINS0_17counting_iteratorImlEEZNS1_24adjacent_difference_implIS3_Lb1ELb0EPxN6thrust23THRUST_200600_302600_NS16discard_iteratorINSD_11use_defaultEEENSD_5minusIxEEEE10hipError_tPvRmT2_T3_mT4_P12ihipStream_tbEUlmE_xEESB_NS0_8identityIvEEEESJ_SM_SN_mSO_SQ_bEUlT_E_NS1_11comp_targetILNS1_3genE0ELNS1_11target_archE4294967295ELNS1_3gpuE0ELNS1_3repE0EEENS1_30default_config_static_selectorELNS0_4arch9wavefront6targetE1EEEvT1_.num_vgpr, 0
	.set _ZN7rocprim17ROCPRIM_400000_NS6detail17trampoline_kernelINS0_14default_configENS1_25transform_config_selectorIxLb0EEEZNS1_14transform_implILb0ES3_S5_NS0_18transform_iteratorINS0_17counting_iteratorImlEEZNS1_24adjacent_difference_implIS3_Lb1ELb0EPxN6thrust23THRUST_200600_302600_NS16discard_iteratorINSD_11use_defaultEEENSD_5minusIxEEEE10hipError_tPvRmT2_T3_mT4_P12ihipStream_tbEUlmE_xEESB_NS0_8identityIvEEEESJ_SM_SN_mSO_SQ_bEUlT_E_NS1_11comp_targetILNS1_3genE0ELNS1_11target_archE4294967295ELNS1_3gpuE0ELNS1_3repE0EEENS1_30default_config_static_selectorELNS0_4arch9wavefront6targetE1EEEvT1_.num_agpr, 0
	.set _ZN7rocprim17ROCPRIM_400000_NS6detail17trampoline_kernelINS0_14default_configENS1_25transform_config_selectorIxLb0EEEZNS1_14transform_implILb0ES3_S5_NS0_18transform_iteratorINS0_17counting_iteratorImlEEZNS1_24adjacent_difference_implIS3_Lb1ELb0EPxN6thrust23THRUST_200600_302600_NS16discard_iteratorINSD_11use_defaultEEENSD_5minusIxEEEE10hipError_tPvRmT2_T3_mT4_P12ihipStream_tbEUlmE_xEESB_NS0_8identityIvEEEESJ_SM_SN_mSO_SQ_bEUlT_E_NS1_11comp_targetILNS1_3genE0ELNS1_11target_archE4294967295ELNS1_3gpuE0ELNS1_3repE0EEENS1_30default_config_static_selectorELNS0_4arch9wavefront6targetE1EEEvT1_.numbered_sgpr, 0
	.set _ZN7rocprim17ROCPRIM_400000_NS6detail17trampoline_kernelINS0_14default_configENS1_25transform_config_selectorIxLb0EEEZNS1_14transform_implILb0ES3_S5_NS0_18transform_iteratorINS0_17counting_iteratorImlEEZNS1_24adjacent_difference_implIS3_Lb1ELb0EPxN6thrust23THRUST_200600_302600_NS16discard_iteratorINSD_11use_defaultEEENSD_5minusIxEEEE10hipError_tPvRmT2_T3_mT4_P12ihipStream_tbEUlmE_xEESB_NS0_8identityIvEEEESJ_SM_SN_mSO_SQ_bEUlT_E_NS1_11comp_targetILNS1_3genE0ELNS1_11target_archE4294967295ELNS1_3gpuE0ELNS1_3repE0EEENS1_30default_config_static_selectorELNS0_4arch9wavefront6targetE1EEEvT1_.num_named_barrier, 0
	.set _ZN7rocprim17ROCPRIM_400000_NS6detail17trampoline_kernelINS0_14default_configENS1_25transform_config_selectorIxLb0EEEZNS1_14transform_implILb0ES3_S5_NS0_18transform_iteratorINS0_17counting_iteratorImlEEZNS1_24adjacent_difference_implIS3_Lb1ELb0EPxN6thrust23THRUST_200600_302600_NS16discard_iteratorINSD_11use_defaultEEENSD_5minusIxEEEE10hipError_tPvRmT2_T3_mT4_P12ihipStream_tbEUlmE_xEESB_NS0_8identityIvEEEESJ_SM_SN_mSO_SQ_bEUlT_E_NS1_11comp_targetILNS1_3genE0ELNS1_11target_archE4294967295ELNS1_3gpuE0ELNS1_3repE0EEENS1_30default_config_static_selectorELNS0_4arch9wavefront6targetE1EEEvT1_.private_seg_size, 0
	.set _ZN7rocprim17ROCPRIM_400000_NS6detail17trampoline_kernelINS0_14default_configENS1_25transform_config_selectorIxLb0EEEZNS1_14transform_implILb0ES3_S5_NS0_18transform_iteratorINS0_17counting_iteratorImlEEZNS1_24adjacent_difference_implIS3_Lb1ELb0EPxN6thrust23THRUST_200600_302600_NS16discard_iteratorINSD_11use_defaultEEENSD_5minusIxEEEE10hipError_tPvRmT2_T3_mT4_P12ihipStream_tbEUlmE_xEESB_NS0_8identityIvEEEESJ_SM_SN_mSO_SQ_bEUlT_E_NS1_11comp_targetILNS1_3genE0ELNS1_11target_archE4294967295ELNS1_3gpuE0ELNS1_3repE0EEENS1_30default_config_static_selectorELNS0_4arch9wavefront6targetE1EEEvT1_.uses_vcc, 0
	.set _ZN7rocprim17ROCPRIM_400000_NS6detail17trampoline_kernelINS0_14default_configENS1_25transform_config_selectorIxLb0EEEZNS1_14transform_implILb0ES3_S5_NS0_18transform_iteratorINS0_17counting_iteratorImlEEZNS1_24adjacent_difference_implIS3_Lb1ELb0EPxN6thrust23THRUST_200600_302600_NS16discard_iteratorINSD_11use_defaultEEENSD_5minusIxEEEE10hipError_tPvRmT2_T3_mT4_P12ihipStream_tbEUlmE_xEESB_NS0_8identityIvEEEESJ_SM_SN_mSO_SQ_bEUlT_E_NS1_11comp_targetILNS1_3genE0ELNS1_11target_archE4294967295ELNS1_3gpuE0ELNS1_3repE0EEENS1_30default_config_static_selectorELNS0_4arch9wavefront6targetE1EEEvT1_.uses_flat_scratch, 0
	.set _ZN7rocprim17ROCPRIM_400000_NS6detail17trampoline_kernelINS0_14default_configENS1_25transform_config_selectorIxLb0EEEZNS1_14transform_implILb0ES3_S5_NS0_18transform_iteratorINS0_17counting_iteratorImlEEZNS1_24adjacent_difference_implIS3_Lb1ELb0EPxN6thrust23THRUST_200600_302600_NS16discard_iteratorINSD_11use_defaultEEENSD_5minusIxEEEE10hipError_tPvRmT2_T3_mT4_P12ihipStream_tbEUlmE_xEESB_NS0_8identityIvEEEESJ_SM_SN_mSO_SQ_bEUlT_E_NS1_11comp_targetILNS1_3genE0ELNS1_11target_archE4294967295ELNS1_3gpuE0ELNS1_3repE0EEENS1_30default_config_static_selectorELNS0_4arch9wavefront6targetE1EEEvT1_.has_dyn_sized_stack, 0
	.set _ZN7rocprim17ROCPRIM_400000_NS6detail17trampoline_kernelINS0_14default_configENS1_25transform_config_selectorIxLb0EEEZNS1_14transform_implILb0ES3_S5_NS0_18transform_iteratorINS0_17counting_iteratorImlEEZNS1_24adjacent_difference_implIS3_Lb1ELb0EPxN6thrust23THRUST_200600_302600_NS16discard_iteratorINSD_11use_defaultEEENSD_5minusIxEEEE10hipError_tPvRmT2_T3_mT4_P12ihipStream_tbEUlmE_xEESB_NS0_8identityIvEEEESJ_SM_SN_mSO_SQ_bEUlT_E_NS1_11comp_targetILNS1_3genE0ELNS1_11target_archE4294967295ELNS1_3gpuE0ELNS1_3repE0EEENS1_30default_config_static_selectorELNS0_4arch9wavefront6targetE1EEEvT1_.has_recursion, 0
	.set _ZN7rocprim17ROCPRIM_400000_NS6detail17trampoline_kernelINS0_14default_configENS1_25transform_config_selectorIxLb0EEEZNS1_14transform_implILb0ES3_S5_NS0_18transform_iteratorINS0_17counting_iteratorImlEEZNS1_24adjacent_difference_implIS3_Lb1ELb0EPxN6thrust23THRUST_200600_302600_NS16discard_iteratorINSD_11use_defaultEEENSD_5minusIxEEEE10hipError_tPvRmT2_T3_mT4_P12ihipStream_tbEUlmE_xEESB_NS0_8identityIvEEEESJ_SM_SN_mSO_SQ_bEUlT_E_NS1_11comp_targetILNS1_3genE0ELNS1_11target_archE4294967295ELNS1_3gpuE0ELNS1_3repE0EEENS1_30default_config_static_selectorELNS0_4arch9wavefront6targetE1EEEvT1_.has_indirect_call, 0
	.section	.AMDGPU.csdata,"",@progbits
; Kernel info:
; codeLenInByte = 0
; TotalNumSgprs: 4
; NumVgprs: 0
; ScratchSize: 0
; MemoryBound: 0
; FloatMode: 240
; IeeeMode: 1
; LDSByteSize: 0 bytes/workgroup (compile time only)
; SGPRBlocks: 0
; VGPRBlocks: 0
; NumSGPRsForWavesPerEU: 4
; NumVGPRsForWavesPerEU: 1
; Occupancy: 10
; WaveLimiterHint : 0
; COMPUTE_PGM_RSRC2:SCRATCH_EN: 0
; COMPUTE_PGM_RSRC2:USER_SGPR: 6
; COMPUTE_PGM_RSRC2:TRAP_HANDLER: 0
; COMPUTE_PGM_RSRC2:TGID_X_EN: 1
; COMPUTE_PGM_RSRC2:TGID_Y_EN: 0
; COMPUTE_PGM_RSRC2:TGID_Z_EN: 0
; COMPUTE_PGM_RSRC2:TIDIG_COMP_CNT: 0
	.section	.text._ZN7rocprim17ROCPRIM_400000_NS6detail17trampoline_kernelINS0_14default_configENS1_25transform_config_selectorIxLb0EEEZNS1_14transform_implILb0ES3_S5_NS0_18transform_iteratorINS0_17counting_iteratorImlEEZNS1_24adjacent_difference_implIS3_Lb1ELb0EPxN6thrust23THRUST_200600_302600_NS16discard_iteratorINSD_11use_defaultEEENSD_5minusIxEEEE10hipError_tPvRmT2_T3_mT4_P12ihipStream_tbEUlmE_xEESB_NS0_8identityIvEEEESJ_SM_SN_mSO_SQ_bEUlT_E_NS1_11comp_targetILNS1_3genE5ELNS1_11target_archE942ELNS1_3gpuE9ELNS1_3repE0EEENS1_30default_config_static_selectorELNS0_4arch9wavefront6targetE1EEEvT1_,"axG",@progbits,_ZN7rocprim17ROCPRIM_400000_NS6detail17trampoline_kernelINS0_14default_configENS1_25transform_config_selectorIxLb0EEEZNS1_14transform_implILb0ES3_S5_NS0_18transform_iteratorINS0_17counting_iteratorImlEEZNS1_24adjacent_difference_implIS3_Lb1ELb0EPxN6thrust23THRUST_200600_302600_NS16discard_iteratorINSD_11use_defaultEEENSD_5minusIxEEEE10hipError_tPvRmT2_T3_mT4_P12ihipStream_tbEUlmE_xEESB_NS0_8identityIvEEEESJ_SM_SN_mSO_SQ_bEUlT_E_NS1_11comp_targetILNS1_3genE5ELNS1_11target_archE942ELNS1_3gpuE9ELNS1_3repE0EEENS1_30default_config_static_selectorELNS0_4arch9wavefront6targetE1EEEvT1_,comdat
	.protected	_ZN7rocprim17ROCPRIM_400000_NS6detail17trampoline_kernelINS0_14default_configENS1_25transform_config_selectorIxLb0EEEZNS1_14transform_implILb0ES3_S5_NS0_18transform_iteratorINS0_17counting_iteratorImlEEZNS1_24adjacent_difference_implIS3_Lb1ELb0EPxN6thrust23THRUST_200600_302600_NS16discard_iteratorINSD_11use_defaultEEENSD_5minusIxEEEE10hipError_tPvRmT2_T3_mT4_P12ihipStream_tbEUlmE_xEESB_NS0_8identityIvEEEESJ_SM_SN_mSO_SQ_bEUlT_E_NS1_11comp_targetILNS1_3genE5ELNS1_11target_archE942ELNS1_3gpuE9ELNS1_3repE0EEENS1_30default_config_static_selectorELNS0_4arch9wavefront6targetE1EEEvT1_ ; -- Begin function _ZN7rocprim17ROCPRIM_400000_NS6detail17trampoline_kernelINS0_14default_configENS1_25transform_config_selectorIxLb0EEEZNS1_14transform_implILb0ES3_S5_NS0_18transform_iteratorINS0_17counting_iteratorImlEEZNS1_24adjacent_difference_implIS3_Lb1ELb0EPxN6thrust23THRUST_200600_302600_NS16discard_iteratorINSD_11use_defaultEEENSD_5minusIxEEEE10hipError_tPvRmT2_T3_mT4_P12ihipStream_tbEUlmE_xEESB_NS0_8identityIvEEEESJ_SM_SN_mSO_SQ_bEUlT_E_NS1_11comp_targetILNS1_3genE5ELNS1_11target_archE942ELNS1_3gpuE9ELNS1_3repE0EEENS1_30default_config_static_selectorELNS0_4arch9wavefront6targetE1EEEvT1_
	.globl	_ZN7rocprim17ROCPRIM_400000_NS6detail17trampoline_kernelINS0_14default_configENS1_25transform_config_selectorIxLb0EEEZNS1_14transform_implILb0ES3_S5_NS0_18transform_iteratorINS0_17counting_iteratorImlEEZNS1_24adjacent_difference_implIS3_Lb1ELb0EPxN6thrust23THRUST_200600_302600_NS16discard_iteratorINSD_11use_defaultEEENSD_5minusIxEEEE10hipError_tPvRmT2_T3_mT4_P12ihipStream_tbEUlmE_xEESB_NS0_8identityIvEEEESJ_SM_SN_mSO_SQ_bEUlT_E_NS1_11comp_targetILNS1_3genE5ELNS1_11target_archE942ELNS1_3gpuE9ELNS1_3repE0EEENS1_30default_config_static_selectorELNS0_4arch9wavefront6targetE1EEEvT1_
	.p2align	8
	.type	_ZN7rocprim17ROCPRIM_400000_NS6detail17trampoline_kernelINS0_14default_configENS1_25transform_config_selectorIxLb0EEEZNS1_14transform_implILb0ES3_S5_NS0_18transform_iteratorINS0_17counting_iteratorImlEEZNS1_24adjacent_difference_implIS3_Lb1ELb0EPxN6thrust23THRUST_200600_302600_NS16discard_iteratorINSD_11use_defaultEEENSD_5minusIxEEEE10hipError_tPvRmT2_T3_mT4_P12ihipStream_tbEUlmE_xEESB_NS0_8identityIvEEEESJ_SM_SN_mSO_SQ_bEUlT_E_NS1_11comp_targetILNS1_3genE5ELNS1_11target_archE942ELNS1_3gpuE9ELNS1_3repE0EEENS1_30default_config_static_selectorELNS0_4arch9wavefront6targetE1EEEvT1_,@function
_ZN7rocprim17ROCPRIM_400000_NS6detail17trampoline_kernelINS0_14default_configENS1_25transform_config_selectorIxLb0EEEZNS1_14transform_implILb0ES3_S5_NS0_18transform_iteratorINS0_17counting_iteratorImlEEZNS1_24adjacent_difference_implIS3_Lb1ELb0EPxN6thrust23THRUST_200600_302600_NS16discard_iteratorINSD_11use_defaultEEENSD_5minusIxEEEE10hipError_tPvRmT2_T3_mT4_P12ihipStream_tbEUlmE_xEESB_NS0_8identityIvEEEESJ_SM_SN_mSO_SQ_bEUlT_E_NS1_11comp_targetILNS1_3genE5ELNS1_11target_archE942ELNS1_3gpuE9ELNS1_3repE0EEENS1_30default_config_static_selectorELNS0_4arch9wavefront6targetE1EEEvT1_: ; @_ZN7rocprim17ROCPRIM_400000_NS6detail17trampoline_kernelINS0_14default_configENS1_25transform_config_selectorIxLb0EEEZNS1_14transform_implILb0ES3_S5_NS0_18transform_iteratorINS0_17counting_iteratorImlEEZNS1_24adjacent_difference_implIS3_Lb1ELb0EPxN6thrust23THRUST_200600_302600_NS16discard_iteratorINSD_11use_defaultEEENSD_5minusIxEEEE10hipError_tPvRmT2_T3_mT4_P12ihipStream_tbEUlmE_xEESB_NS0_8identityIvEEEESJ_SM_SN_mSO_SQ_bEUlT_E_NS1_11comp_targetILNS1_3genE5ELNS1_11target_archE942ELNS1_3gpuE9ELNS1_3repE0EEENS1_30default_config_static_selectorELNS0_4arch9wavefront6targetE1EEEvT1_
; %bb.0:
	.section	.rodata,"a",@progbits
	.p2align	6, 0x0
	.amdhsa_kernel _ZN7rocprim17ROCPRIM_400000_NS6detail17trampoline_kernelINS0_14default_configENS1_25transform_config_selectorIxLb0EEEZNS1_14transform_implILb0ES3_S5_NS0_18transform_iteratorINS0_17counting_iteratorImlEEZNS1_24adjacent_difference_implIS3_Lb1ELb0EPxN6thrust23THRUST_200600_302600_NS16discard_iteratorINSD_11use_defaultEEENSD_5minusIxEEEE10hipError_tPvRmT2_T3_mT4_P12ihipStream_tbEUlmE_xEESB_NS0_8identityIvEEEESJ_SM_SN_mSO_SQ_bEUlT_E_NS1_11comp_targetILNS1_3genE5ELNS1_11target_archE942ELNS1_3gpuE9ELNS1_3repE0EEENS1_30default_config_static_selectorELNS0_4arch9wavefront6targetE1EEEvT1_
		.amdhsa_group_segment_fixed_size 0
		.amdhsa_private_segment_fixed_size 0
		.amdhsa_kernarg_size 56
		.amdhsa_user_sgpr_count 6
		.amdhsa_user_sgpr_private_segment_buffer 1
		.amdhsa_user_sgpr_dispatch_ptr 0
		.amdhsa_user_sgpr_queue_ptr 0
		.amdhsa_user_sgpr_kernarg_segment_ptr 1
		.amdhsa_user_sgpr_dispatch_id 0
		.amdhsa_user_sgpr_flat_scratch_init 0
		.amdhsa_user_sgpr_private_segment_size 0
		.amdhsa_uses_dynamic_stack 0
		.amdhsa_system_sgpr_private_segment_wavefront_offset 0
		.amdhsa_system_sgpr_workgroup_id_x 1
		.amdhsa_system_sgpr_workgroup_id_y 0
		.amdhsa_system_sgpr_workgroup_id_z 0
		.amdhsa_system_sgpr_workgroup_info 0
		.amdhsa_system_vgpr_workitem_id 0
		.amdhsa_next_free_vgpr 1
		.amdhsa_next_free_sgpr 0
		.amdhsa_reserve_vcc 0
		.amdhsa_reserve_flat_scratch 0
		.amdhsa_float_round_mode_32 0
		.amdhsa_float_round_mode_16_64 0
		.amdhsa_float_denorm_mode_32 3
		.amdhsa_float_denorm_mode_16_64 3
		.amdhsa_dx10_clamp 1
		.amdhsa_ieee_mode 1
		.amdhsa_fp16_overflow 0
		.amdhsa_exception_fp_ieee_invalid_op 0
		.amdhsa_exception_fp_denorm_src 0
		.amdhsa_exception_fp_ieee_div_zero 0
		.amdhsa_exception_fp_ieee_overflow 0
		.amdhsa_exception_fp_ieee_underflow 0
		.amdhsa_exception_fp_ieee_inexact 0
		.amdhsa_exception_int_div_zero 0
	.end_amdhsa_kernel
	.section	.text._ZN7rocprim17ROCPRIM_400000_NS6detail17trampoline_kernelINS0_14default_configENS1_25transform_config_selectorIxLb0EEEZNS1_14transform_implILb0ES3_S5_NS0_18transform_iteratorINS0_17counting_iteratorImlEEZNS1_24adjacent_difference_implIS3_Lb1ELb0EPxN6thrust23THRUST_200600_302600_NS16discard_iteratorINSD_11use_defaultEEENSD_5minusIxEEEE10hipError_tPvRmT2_T3_mT4_P12ihipStream_tbEUlmE_xEESB_NS0_8identityIvEEEESJ_SM_SN_mSO_SQ_bEUlT_E_NS1_11comp_targetILNS1_3genE5ELNS1_11target_archE942ELNS1_3gpuE9ELNS1_3repE0EEENS1_30default_config_static_selectorELNS0_4arch9wavefront6targetE1EEEvT1_,"axG",@progbits,_ZN7rocprim17ROCPRIM_400000_NS6detail17trampoline_kernelINS0_14default_configENS1_25transform_config_selectorIxLb0EEEZNS1_14transform_implILb0ES3_S5_NS0_18transform_iteratorINS0_17counting_iteratorImlEEZNS1_24adjacent_difference_implIS3_Lb1ELb0EPxN6thrust23THRUST_200600_302600_NS16discard_iteratorINSD_11use_defaultEEENSD_5minusIxEEEE10hipError_tPvRmT2_T3_mT4_P12ihipStream_tbEUlmE_xEESB_NS0_8identityIvEEEESJ_SM_SN_mSO_SQ_bEUlT_E_NS1_11comp_targetILNS1_3genE5ELNS1_11target_archE942ELNS1_3gpuE9ELNS1_3repE0EEENS1_30default_config_static_selectorELNS0_4arch9wavefront6targetE1EEEvT1_,comdat
.Lfunc_end859:
	.size	_ZN7rocprim17ROCPRIM_400000_NS6detail17trampoline_kernelINS0_14default_configENS1_25transform_config_selectorIxLb0EEEZNS1_14transform_implILb0ES3_S5_NS0_18transform_iteratorINS0_17counting_iteratorImlEEZNS1_24adjacent_difference_implIS3_Lb1ELb0EPxN6thrust23THRUST_200600_302600_NS16discard_iteratorINSD_11use_defaultEEENSD_5minusIxEEEE10hipError_tPvRmT2_T3_mT4_P12ihipStream_tbEUlmE_xEESB_NS0_8identityIvEEEESJ_SM_SN_mSO_SQ_bEUlT_E_NS1_11comp_targetILNS1_3genE5ELNS1_11target_archE942ELNS1_3gpuE9ELNS1_3repE0EEENS1_30default_config_static_selectorELNS0_4arch9wavefront6targetE1EEEvT1_, .Lfunc_end859-_ZN7rocprim17ROCPRIM_400000_NS6detail17trampoline_kernelINS0_14default_configENS1_25transform_config_selectorIxLb0EEEZNS1_14transform_implILb0ES3_S5_NS0_18transform_iteratorINS0_17counting_iteratorImlEEZNS1_24adjacent_difference_implIS3_Lb1ELb0EPxN6thrust23THRUST_200600_302600_NS16discard_iteratorINSD_11use_defaultEEENSD_5minusIxEEEE10hipError_tPvRmT2_T3_mT4_P12ihipStream_tbEUlmE_xEESB_NS0_8identityIvEEEESJ_SM_SN_mSO_SQ_bEUlT_E_NS1_11comp_targetILNS1_3genE5ELNS1_11target_archE942ELNS1_3gpuE9ELNS1_3repE0EEENS1_30default_config_static_selectorELNS0_4arch9wavefront6targetE1EEEvT1_
                                        ; -- End function
	.set _ZN7rocprim17ROCPRIM_400000_NS6detail17trampoline_kernelINS0_14default_configENS1_25transform_config_selectorIxLb0EEEZNS1_14transform_implILb0ES3_S5_NS0_18transform_iteratorINS0_17counting_iteratorImlEEZNS1_24adjacent_difference_implIS3_Lb1ELb0EPxN6thrust23THRUST_200600_302600_NS16discard_iteratorINSD_11use_defaultEEENSD_5minusIxEEEE10hipError_tPvRmT2_T3_mT4_P12ihipStream_tbEUlmE_xEESB_NS0_8identityIvEEEESJ_SM_SN_mSO_SQ_bEUlT_E_NS1_11comp_targetILNS1_3genE5ELNS1_11target_archE942ELNS1_3gpuE9ELNS1_3repE0EEENS1_30default_config_static_selectorELNS0_4arch9wavefront6targetE1EEEvT1_.num_vgpr, 0
	.set _ZN7rocprim17ROCPRIM_400000_NS6detail17trampoline_kernelINS0_14default_configENS1_25transform_config_selectorIxLb0EEEZNS1_14transform_implILb0ES3_S5_NS0_18transform_iteratorINS0_17counting_iteratorImlEEZNS1_24adjacent_difference_implIS3_Lb1ELb0EPxN6thrust23THRUST_200600_302600_NS16discard_iteratorINSD_11use_defaultEEENSD_5minusIxEEEE10hipError_tPvRmT2_T3_mT4_P12ihipStream_tbEUlmE_xEESB_NS0_8identityIvEEEESJ_SM_SN_mSO_SQ_bEUlT_E_NS1_11comp_targetILNS1_3genE5ELNS1_11target_archE942ELNS1_3gpuE9ELNS1_3repE0EEENS1_30default_config_static_selectorELNS0_4arch9wavefront6targetE1EEEvT1_.num_agpr, 0
	.set _ZN7rocprim17ROCPRIM_400000_NS6detail17trampoline_kernelINS0_14default_configENS1_25transform_config_selectorIxLb0EEEZNS1_14transform_implILb0ES3_S5_NS0_18transform_iteratorINS0_17counting_iteratorImlEEZNS1_24adjacent_difference_implIS3_Lb1ELb0EPxN6thrust23THRUST_200600_302600_NS16discard_iteratorINSD_11use_defaultEEENSD_5minusIxEEEE10hipError_tPvRmT2_T3_mT4_P12ihipStream_tbEUlmE_xEESB_NS0_8identityIvEEEESJ_SM_SN_mSO_SQ_bEUlT_E_NS1_11comp_targetILNS1_3genE5ELNS1_11target_archE942ELNS1_3gpuE9ELNS1_3repE0EEENS1_30default_config_static_selectorELNS0_4arch9wavefront6targetE1EEEvT1_.numbered_sgpr, 0
	.set _ZN7rocprim17ROCPRIM_400000_NS6detail17trampoline_kernelINS0_14default_configENS1_25transform_config_selectorIxLb0EEEZNS1_14transform_implILb0ES3_S5_NS0_18transform_iteratorINS0_17counting_iteratorImlEEZNS1_24adjacent_difference_implIS3_Lb1ELb0EPxN6thrust23THRUST_200600_302600_NS16discard_iteratorINSD_11use_defaultEEENSD_5minusIxEEEE10hipError_tPvRmT2_T3_mT4_P12ihipStream_tbEUlmE_xEESB_NS0_8identityIvEEEESJ_SM_SN_mSO_SQ_bEUlT_E_NS1_11comp_targetILNS1_3genE5ELNS1_11target_archE942ELNS1_3gpuE9ELNS1_3repE0EEENS1_30default_config_static_selectorELNS0_4arch9wavefront6targetE1EEEvT1_.num_named_barrier, 0
	.set _ZN7rocprim17ROCPRIM_400000_NS6detail17trampoline_kernelINS0_14default_configENS1_25transform_config_selectorIxLb0EEEZNS1_14transform_implILb0ES3_S5_NS0_18transform_iteratorINS0_17counting_iteratorImlEEZNS1_24adjacent_difference_implIS3_Lb1ELb0EPxN6thrust23THRUST_200600_302600_NS16discard_iteratorINSD_11use_defaultEEENSD_5minusIxEEEE10hipError_tPvRmT2_T3_mT4_P12ihipStream_tbEUlmE_xEESB_NS0_8identityIvEEEESJ_SM_SN_mSO_SQ_bEUlT_E_NS1_11comp_targetILNS1_3genE5ELNS1_11target_archE942ELNS1_3gpuE9ELNS1_3repE0EEENS1_30default_config_static_selectorELNS0_4arch9wavefront6targetE1EEEvT1_.private_seg_size, 0
	.set _ZN7rocprim17ROCPRIM_400000_NS6detail17trampoline_kernelINS0_14default_configENS1_25transform_config_selectorIxLb0EEEZNS1_14transform_implILb0ES3_S5_NS0_18transform_iteratorINS0_17counting_iteratorImlEEZNS1_24adjacent_difference_implIS3_Lb1ELb0EPxN6thrust23THRUST_200600_302600_NS16discard_iteratorINSD_11use_defaultEEENSD_5minusIxEEEE10hipError_tPvRmT2_T3_mT4_P12ihipStream_tbEUlmE_xEESB_NS0_8identityIvEEEESJ_SM_SN_mSO_SQ_bEUlT_E_NS1_11comp_targetILNS1_3genE5ELNS1_11target_archE942ELNS1_3gpuE9ELNS1_3repE0EEENS1_30default_config_static_selectorELNS0_4arch9wavefront6targetE1EEEvT1_.uses_vcc, 0
	.set _ZN7rocprim17ROCPRIM_400000_NS6detail17trampoline_kernelINS0_14default_configENS1_25transform_config_selectorIxLb0EEEZNS1_14transform_implILb0ES3_S5_NS0_18transform_iteratorINS0_17counting_iteratorImlEEZNS1_24adjacent_difference_implIS3_Lb1ELb0EPxN6thrust23THRUST_200600_302600_NS16discard_iteratorINSD_11use_defaultEEENSD_5minusIxEEEE10hipError_tPvRmT2_T3_mT4_P12ihipStream_tbEUlmE_xEESB_NS0_8identityIvEEEESJ_SM_SN_mSO_SQ_bEUlT_E_NS1_11comp_targetILNS1_3genE5ELNS1_11target_archE942ELNS1_3gpuE9ELNS1_3repE0EEENS1_30default_config_static_selectorELNS0_4arch9wavefront6targetE1EEEvT1_.uses_flat_scratch, 0
	.set _ZN7rocprim17ROCPRIM_400000_NS6detail17trampoline_kernelINS0_14default_configENS1_25transform_config_selectorIxLb0EEEZNS1_14transform_implILb0ES3_S5_NS0_18transform_iteratorINS0_17counting_iteratorImlEEZNS1_24adjacent_difference_implIS3_Lb1ELb0EPxN6thrust23THRUST_200600_302600_NS16discard_iteratorINSD_11use_defaultEEENSD_5minusIxEEEE10hipError_tPvRmT2_T3_mT4_P12ihipStream_tbEUlmE_xEESB_NS0_8identityIvEEEESJ_SM_SN_mSO_SQ_bEUlT_E_NS1_11comp_targetILNS1_3genE5ELNS1_11target_archE942ELNS1_3gpuE9ELNS1_3repE0EEENS1_30default_config_static_selectorELNS0_4arch9wavefront6targetE1EEEvT1_.has_dyn_sized_stack, 0
	.set _ZN7rocprim17ROCPRIM_400000_NS6detail17trampoline_kernelINS0_14default_configENS1_25transform_config_selectorIxLb0EEEZNS1_14transform_implILb0ES3_S5_NS0_18transform_iteratorINS0_17counting_iteratorImlEEZNS1_24adjacent_difference_implIS3_Lb1ELb0EPxN6thrust23THRUST_200600_302600_NS16discard_iteratorINSD_11use_defaultEEENSD_5minusIxEEEE10hipError_tPvRmT2_T3_mT4_P12ihipStream_tbEUlmE_xEESB_NS0_8identityIvEEEESJ_SM_SN_mSO_SQ_bEUlT_E_NS1_11comp_targetILNS1_3genE5ELNS1_11target_archE942ELNS1_3gpuE9ELNS1_3repE0EEENS1_30default_config_static_selectorELNS0_4arch9wavefront6targetE1EEEvT1_.has_recursion, 0
	.set _ZN7rocprim17ROCPRIM_400000_NS6detail17trampoline_kernelINS0_14default_configENS1_25transform_config_selectorIxLb0EEEZNS1_14transform_implILb0ES3_S5_NS0_18transform_iteratorINS0_17counting_iteratorImlEEZNS1_24adjacent_difference_implIS3_Lb1ELb0EPxN6thrust23THRUST_200600_302600_NS16discard_iteratorINSD_11use_defaultEEENSD_5minusIxEEEE10hipError_tPvRmT2_T3_mT4_P12ihipStream_tbEUlmE_xEESB_NS0_8identityIvEEEESJ_SM_SN_mSO_SQ_bEUlT_E_NS1_11comp_targetILNS1_3genE5ELNS1_11target_archE942ELNS1_3gpuE9ELNS1_3repE0EEENS1_30default_config_static_selectorELNS0_4arch9wavefront6targetE1EEEvT1_.has_indirect_call, 0
	.section	.AMDGPU.csdata,"",@progbits
; Kernel info:
; codeLenInByte = 0
; TotalNumSgprs: 4
; NumVgprs: 0
; ScratchSize: 0
; MemoryBound: 0
; FloatMode: 240
; IeeeMode: 1
; LDSByteSize: 0 bytes/workgroup (compile time only)
; SGPRBlocks: 0
; VGPRBlocks: 0
; NumSGPRsForWavesPerEU: 4
; NumVGPRsForWavesPerEU: 1
; Occupancy: 10
; WaveLimiterHint : 0
; COMPUTE_PGM_RSRC2:SCRATCH_EN: 0
; COMPUTE_PGM_RSRC2:USER_SGPR: 6
; COMPUTE_PGM_RSRC2:TRAP_HANDLER: 0
; COMPUTE_PGM_RSRC2:TGID_X_EN: 1
; COMPUTE_PGM_RSRC2:TGID_Y_EN: 0
; COMPUTE_PGM_RSRC2:TGID_Z_EN: 0
; COMPUTE_PGM_RSRC2:TIDIG_COMP_CNT: 0
	.section	.text._ZN7rocprim17ROCPRIM_400000_NS6detail17trampoline_kernelINS0_14default_configENS1_25transform_config_selectorIxLb0EEEZNS1_14transform_implILb0ES3_S5_NS0_18transform_iteratorINS0_17counting_iteratorImlEEZNS1_24adjacent_difference_implIS3_Lb1ELb0EPxN6thrust23THRUST_200600_302600_NS16discard_iteratorINSD_11use_defaultEEENSD_5minusIxEEEE10hipError_tPvRmT2_T3_mT4_P12ihipStream_tbEUlmE_xEESB_NS0_8identityIvEEEESJ_SM_SN_mSO_SQ_bEUlT_E_NS1_11comp_targetILNS1_3genE4ELNS1_11target_archE910ELNS1_3gpuE8ELNS1_3repE0EEENS1_30default_config_static_selectorELNS0_4arch9wavefront6targetE1EEEvT1_,"axG",@progbits,_ZN7rocprim17ROCPRIM_400000_NS6detail17trampoline_kernelINS0_14default_configENS1_25transform_config_selectorIxLb0EEEZNS1_14transform_implILb0ES3_S5_NS0_18transform_iteratorINS0_17counting_iteratorImlEEZNS1_24adjacent_difference_implIS3_Lb1ELb0EPxN6thrust23THRUST_200600_302600_NS16discard_iteratorINSD_11use_defaultEEENSD_5minusIxEEEE10hipError_tPvRmT2_T3_mT4_P12ihipStream_tbEUlmE_xEESB_NS0_8identityIvEEEESJ_SM_SN_mSO_SQ_bEUlT_E_NS1_11comp_targetILNS1_3genE4ELNS1_11target_archE910ELNS1_3gpuE8ELNS1_3repE0EEENS1_30default_config_static_selectorELNS0_4arch9wavefront6targetE1EEEvT1_,comdat
	.protected	_ZN7rocprim17ROCPRIM_400000_NS6detail17trampoline_kernelINS0_14default_configENS1_25transform_config_selectorIxLb0EEEZNS1_14transform_implILb0ES3_S5_NS0_18transform_iteratorINS0_17counting_iteratorImlEEZNS1_24adjacent_difference_implIS3_Lb1ELb0EPxN6thrust23THRUST_200600_302600_NS16discard_iteratorINSD_11use_defaultEEENSD_5minusIxEEEE10hipError_tPvRmT2_T3_mT4_P12ihipStream_tbEUlmE_xEESB_NS0_8identityIvEEEESJ_SM_SN_mSO_SQ_bEUlT_E_NS1_11comp_targetILNS1_3genE4ELNS1_11target_archE910ELNS1_3gpuE8ELNS1_3repE0EEENS1_30default_config_static_selectorELNS0_4arch9wavefront6targetE1EEEvT1_ ; -- Begin function _ZN7rocprim17ROCPRIM_400000_NS6detail17trampoline_kernelINS0_14default_configENS1_25transform_config_selectorIxLb0EEEZNS1_14transform_implILb0ES3_S5_NS0_18transform_iteratorINS0_17counting_iteratorImlEEZNS1_24adjacent_difference_implIS3_Lb1ELb0EPxN6thrust23THRUST_200600_302600_NS16discard_iteratorINSD_11use_defaultEEENSD_5minusIxEEEE10hipError_tPvRmT2_T3_mT4_P12ihipStream_tbEUlmE_xEESB_NS0_8identityIvEEEESJ_SM_SN_mSO_SQ_bEUlT_E_NS1_11comp_targetILNS1_3genE4ELNS1_11target_archE910ELNS1_3gpuE8ELNS1_3repE0EEENS1_30default_config_static_selectorELNS0_4arch9wavefront6targetE1EEEvT1_
	.globl	_ZN7rocprim17ROCPRIM_400000_NS6detail17trampoline_kernelINS0_14default_configENS1_25transform_config_selectorIxLb0EEEZNS1_14transform_implILb0ES3_S5_NS0_18transform_iteratorINS0_17counting_iteratorImlEEZNS1_24adjacent_difference_implIS3_Lb1ELb0EPxN6thrust23THRUST_200600_302600_NS16discard_iteratorINSD_11use_defaultEEENSD_5minusIxEEEE10hipError_tPvRmT2_T3_mT4_P12ihipStream_tbEUlmE_xEESB_NS0_8identityIvEEEESJ_SM_SN_mSO_SQ_bEUlT_E_NS1_11comp_targetILNS1_3genE4ELNS1_11target_archE910ELNS1_3gpuE8ELNS1_3repE0EEENS1_30default_config_static_selectorELNS0_4arch9wavefront6targetE1EEEvT1_
	.p2align	8
	.type	_ZN7rocprim17ROCPRIM_400000_NS6detail17trampoline_kernelINS0_14default_configENS1_25transform_config_selectorIxLb0EEEZNS1_14transform_implILb0ES3_S5_NS0_18transform_iteratorINS0_17counting_iteratorImlEEZNS1_24adjacent_difference_implIS3_Lb1ELb0EPxN6thrust23THRUST_200600_302600_NS16discard_iteratorINSD_11use_defaultEEENSD_5minusIxEEEE10hipError_tPvRmT2_T3_mT4_P12ihipStream_tbEUlmE_xEESB_NS0_8identityIvEEEESJ_SM_SN_mSO_SQ_bEUlT_E_NS1_11comp_targetILNS1_3genE4ELNS1_11target_archE910ELNS1_3gpuE8ELNS1_3repE0EEENS1_30default_config_static_selectorELNS0_4arch9wavefront6targetE1EEEvT1_,@function
_ZN7rocprim17ROCPRIM_400000_NS6detail17trampoline_kernelINS0_14default_configENS1_25transform_config_selectorIxLb0EEEZNS1_14transform_implILb0ES3_S5_NS0_18transform_iteratorINS0_17counting_iteratorImlEEZNS1_24adjacent_difference_implIS3_Lb1ELb0EPxN6thrust23THRUST_200600_302600_NS16discard_iteratorINSD_11use_defaultEEENSD_5minusIxEEEE10hipError_tPvRmT2_T3_mT4_P12ihipStream_tbEUlmE_xEESB_NS0_8identityIvEEEESJ_SM_SN_mSO_SQ_bEUlT_E_NS1_11comp_targetILNS1_3genE4ELNS1_11target_archE910ELNS1_3gpuE8ELNS1_3repE0EEENS1_30default_config_static_selectorELNS0_4arch9wavefront6targetE1EEEvT1_: ; @_ZN7rocprim17ROCPRIM_400000_NS6detail17trampoline_kernelINS0_14default_configENS1_25transform_config_selectorIxLb0EEEZNS1_14transform_implILb0ES3_S5_NS0_18transform_iteratorINS0_17counting_iteratorImlEEZNS1_24adjacent_difference_implIS3_Lb1ELb0EPxN6thrust23THRUST_200600_302600_NS16discard_iteratorINSD_11use_defaultEEENSD_5minusIxEEEE10hipError_tPvRmT2_T3_mT4_P12ihipStream_tbEUlmE_xEESB_NS0_8identityIvEEEESJ_SM_SN_mSO_SQ_bEUlT_E_NS1_11comp_targetILNS1_3genE4ELNS1_11target_archE910ELNS1_3gpuE8ELNS1_3repE0EEENS1_30default_config_static_selectorELNS0_4arch9wavefront6targetE1EEEvT1_
; %bb.0:
	.section	.rodata,"a",@progbits
	.p2align	6, 0x0
	.amdhsa_kernel _ZN7rocprim17ROCPRIM_400000_NS6detail17trampoline_kernelINS0_14default_configENS1_25transform_config_selectorIxLb0EEEZNS1_14transform_implILb0ES3_S5_NS0_18transform_iteratorINS0_17counting_iteratorImlEEZNS1_24adjacent_difference_implIS3_Lb1ELb0EPxN6thrust23THRUST_200600_302600_NS16discard_iteratorINSD_11use_defaultEEENSD_5minusIxEEEE10hipError_tPvRmT2_T3_mT4_P12ihipStream_tbEUlmE_xEESB_NS0_8identityIvEEEESJ_SM_SN_mSO_SQ_bEUlT_E_NS1_11comp_targetILNS1_3genE4ELNS1_11target_archE910ELNS1_3gpuE8ELNS1_3repE0EEENS1_30default_config_static_selectorELNS0_4arch9wavefront6targetE1EEEvT1_
		.amdhsa_group_segment_fixed_size 0
		.amdhsa_private_segment_fixed_size 0
		.amdhsa_kernarg_size 56
		.amdhsa_user_sgpr_count 6
		.amdhsa_user_sgpr_private_segment_buffer 1
		.amdhsa_user_sgpr_dispatch_ptr 0
		.amdhsa_user_sgpr_queue_ptr 0
		.amdhsa_user_sgpr_kernarg_segment_ptr 1
		.amdhsa_user_sgpr_dispatch_id 0
		.amdhsa_user_sgpr_flat_scratch_init 0
		.amdhsa_user_sgpr_private_segment_size 0
		.amdhsa_uses_dynamic_stack 0
		.amdhsa_system_sgpr_private_segment_wavefront_offset 0
		.amdhsa_system_sgpr_workgroup_id_x 1
		.amdhsa_system_sgpr_workgroup_id_y 0
		.amdhsa_system_sgpr_workgroup_id_z 0
		.amdhsa_system_sgpr_workgroup_info 0
		.amdhsa_system_vgpr_workitem_id 0
		.amdhsa_next_free_vgpr 1
		.amdhsa_next_free_sgpr 0
		.amdhsa_reserve_vcc 0
		.amdhsa_reserve_flat_scratch 0
		.amdhsa_float_round_mode_32 0
		.amdhsa_float_round_mode_16_64 0
		.amdhsa_float_denorm_mode_32 3
		.amdhsa_float_denorm_mode_16_64 3
		.amdhsa_dx10_clamp 1
		.amdhsa_ieee_mode 1
		.amdhsa_fp16_overflow 0
		.amdhsa_exception_fp_ieee_invalid_op 0
		.amdhsa_exception_fp_denorm_src 0
		.amdhsa_exception_fp_ieee_div_zero 0
		.amdhsa_exception_fp_ieee_overflow 0
		.amdhsa_exception_fp_ieee_underflow 0
		.amdhsa_exception_fp_ieee_inexact 0
		.amdhsa_exception_int_div_zero 0
	.end_amdhsa_kernel
	.section	.text._ZN7rocprim17ROCPRIM_400000_NS6detail17trampoline_kernelINS0_14default_configENS1_25transform_config_selectorIxLb0EEEZNS1_14transform_implILb0ES3_S5_NS0_18transform_iteratorINS0_17counting_iteratorImlEEZNS1_24adjacent_difference_implIS3_Lb1ELb0EPxN6thrust23THRUST_200600_302600_NS16discard_iteratorINSD_11use_defaultEEENSD_5minusIxEEEE10hipError_tPvRmT2_T3_mT4_P12ihipStream_tbEUlmE_xEESB_NS0_8identityIvEEEESJ_SM_SN_mSO_SQ_bEUlT_E_NS1_11comp_targetILNS1_3genE4ELNS1_11target_archE910ELNS1_3gpuE8ELNS1_3repE0EEENS1_30default_config_static_selectorELNS0_4arch9wavefront6targetE1EEEvT1_,"axG",@progbits,_ZN7rocprim17ROCPRIM_400000_NS6detail17trampoline_kernelINS0_14default_configENS1_25transform_config_selectorIxLb0EEEZNS1_14transform_implILb0ES3_S5_NS0_18transform_iteratorINS0_17counting_iteratorImlEEZNS1_24adjacent_difference_implIS3_Lb1ELb0EPxN6thrust23THRUST_200600_302600_NS16discard_iteratorINSD_11use_defaultEEENSD_5minusIxEEEE10hipError_tPvRmT2_T3_mT4_P12ihipStream_tbEUlmE_xEESB_NS0_8identityIvEEEESJ_SM_SN_mSO_SQ_bEUlT_E_NS1_11comp_targetILNS1_3genE4ELNS1_11target_archE910ELNS1_3gpuE8ELNS1_3repE0EEENS1_30default_config_static_selectorELNS0_4arch9wavefront6targetE1EEEvT1_,comdat
.Lfunc_end860:
	.size	_ZN7rocprim17ROCPRIM_400000_NS6detail17trampoline_kernelINS0_14default_configENS1_25transform_config_selectorIxLb0EEEZNS1_14transform_implILb0ES3_S5_NS0_18transform_iteratorINS0_17counting_iteratorImlEEZNS1_24adjacent_difference_implIS3_Lb1ELb0EPxN6thrust23THRUST_200600_302600_NS16discard_iteratorINSD_11use_defaultEEENSD_5minusIxEEEE10hipError_tPvRmT2_T3_mT4_P12ihipStream_tbEUlmE_xEESB_NS0_8identityIvEEEESJ_SM_SN_mSO_SQ_bEUlT_E_NS1_11comp_targetILNS1_3genE4ELNS1_11target_archE910ELNS1_3gpuE8ELNS1_3repE0EEENS1_30default_config_static_selectorELNS0_4arch9wavefront6targetE1EEEvT1_, .Lfunc_end860-_ZN7rocprim17ROCPRIM_400000_NS6detail17trampoline_kernelINS0_14default_configENS1_25transform_config_selectorIxLb0EEEZNS1_14transform_implILb0ES3_S5_NS0_18transform_iteratorINS0_17counting_iteratorImlEEZNS1_24adjacent_difference_implIS3_Lb1ELb0EPxN6thrust23THRUST_200600_302600_NS16discard_iteratorINSD_11use_defaultEEENSD_5minusIxEEEE10hipError_tPvRmT2_T3_mT4_P12ihipStream_tbEUlmE_xEESB_NS0_8identityIvEEEESJ_SM_SN_mSO_SQ_bEUlT_E_NS1_11comp_targetILNS1_3genE4ELNS1_11target_archE910ELNS1_3gpuE8ELNS1_3repE0EEENS1_30default_config_static_selectorELNS0_4arch9wavefront6targetE1EEEvT1_
                                        ; -- End function
	.set _ZN7rocprim17ROCPRIM_400000_NS6detail17trampoline_kernelINS0_14default_configENS1_25transform_config_selectorIxLb0EEEZNS1_14transform_implILb0ES3_S5_NS0_18transform_iteratorINS0_17counting_iteratorImlEEZNS1_24adjacent_difference_implIS3_Lb1ELb0EPxN6thrust23THRUST_200600_302600_NS16discard_iteratorINSD_11use_defaultEEENSD_5minusIxEEEE10hipError_tPvRmT2_T3_mT4_P12ihipStream_tbEUlmE_xEESB_NS0_8identityIvEEEESJ_SM_SN_mSO_SQ_bEUlT_E_NS1_11comp_targetILNS1_3genE4ELNS1_11target_archE910ELNS1_3gpuE8ELNS1_3repE0EEENS1_30default_config_static_selectorELNS0_4arch9wavefront6targetE1EEEvT1_.num_vgpr, 0
	.set _ZN7rocprim17ROCPRIM_400000_NS6detail17trampoline_kernelINS0_14default_configENS1_25transform_config_selectorIxLb0EEEZNS1_14transform_implILb0ES3_S5_NS0_18transform_iteratorINS0_17counting_iteratorImlEEZNS1_24adjacent_difference_implIS3_Lb1ELb0EPxN6thrust23THRUST_200600_302600_NS16discard_iteratorINSD_11use_defaultEEENSD_5minusIxEEEE10hipError_tPvRmT2_T3_mT4_P12ihipStream_tbEUlmE_xEESB_NS0_8identityIvEEEESJ_SM_SN_mSO_SQ_bEUlT_E_NS1_11comp_targetILNS1_3genE4ELNS1_11target_archE910ELNS1_3gpuE8ELNS1_3repE0EEENS1_30default_config_static_selectorELNS0_4arch9wavefront6targetE1EEEvT1_.num_agpr, 0
	.set _ZN7rocprim17ROCPRIM_400000_NS6detail17trampoline_kernelINS0_14default_configENS1_25transform_config_selectorIxLb0EEEZNS1_14transform_implILb0ES3_S5_NS0_18transform_iteratorINS0_17counting_iteratorImlEEZNS1_24adjacent_difference_implIS3_Lb1ELb0EPxN6thrust23THRUST_200600_302600_NS16discard_iteratorINSD_11use_defaultEEENSD_5minusIxEEEE10hipError_tPvRmT2_T3_mT4_P12ihipStream_tbEUlmE_xEESB_NS0_8identityIvEEEESJ_SM_SN_mSO_SQ_bEUlT_E_NS1_11comp_targetILNS1_3genE4ELNS1_11target_archE910ELNS1_3gpuE8ELNS1_3repE0EEENS1_30default_config_static_selectorELNS0_4arch9wavefront6targetE1EEEvT1_.numbered_sgpr, 0
	.set _ZN7rocprim17ROCPRIM_400000_NS6detail17trampoline_kernelINS0_14default_configENS1_25transform_config_selectorIxLb0EEEZNS1_14transform_implILb0ES3_S5_NS0_18transform_iteratorINS0_17counting_iteratorImlEEZNS1_24adjacent_difference_implIS3_Lb1ELb0EPxN6thrust23THRUST_200600_302600_NS16discard_iteratorINSD_11use_defaultEEENSD_5minusIxEEEE10hipError_tPvRmT2_T3_mT4_P12ihipStream_tbEUlmE_xEESB_NS0_8identityIvEEEESJ_SM_SN_mSO_SQ_bEUlT_E_NS1_11comp_targetILNS1_3genE4ELNS1_11target_archE910ELNS1_3gpuE8ELNS1_3repE0EEENS1_30default_config_static_selectorELNS0_4arch9wavefront6targetE1EEEvT1_.num_named_barrier, 0
	.set _ZN7rocprim17ROCPRIM_400000_NS6detail17trampoline_kernelINS0_14default_configENS1_25transform_config_selectorIxLb0EEEZNS1_14transform_implILb0ES3_S5_NS0_18transform_iteratorINS0_17counting_iteratorImlEEZNS1_24adjacent_difference_implIS3_Lb1ELb0EPxN6thrust23THRUST_200600_302600_NS16discard_iteratorINSD_11use_defaultEEENSD_5minusIxEEEE10hipError_tPvRmT2_T3_mT4_P12ihipStream_tbEUlmE_xEESB_NS0_8identityIvEEEESJ_SM_SN_mSO_SQ_bEUlT_E_NS1_11comp_targetILNS1_3genE4ELNS1_11target_archE910ELNS1_3gpuE8ELNS1_3repE0EEENS1_30default_config_static_selectorELNS0_4arch9wavefront6targetE1EEEvT1_.private_seg_size, 0
	.set _ZN7rocprim17ROCPRIM_400000_NS6detail17trampoline_kernelINS0_14default_configENS1_25transform_config_selectorIxLb0EEEZNS1_14transform_implILb0ES3_S5_NS0_18transform_iteratorINS0_17counting_iteratorImlEEZNS1_24adjacent_difference_implIS3_Lb1ELb0EPxN6thrust23THRUST_200600_302600_NS16discard_iteratorINSD_11use_defaultEEENSD_5minusIxEEEE10hipError_tPvRmT2_T3_mT4_P12ihipStream_tbEUlmE_xEESB_NS0_8identityIvEEEESJ_SM_SN_mSO_SQ_bEUlT_E_NS1_11comp_targetILNS1_3genE4ELNS1_11target_archE910ELNS1_3gpuE8ELNS1_3repE0EEENS1_30default_config_static_selectorELNS0_4arch9wavefront6targetE1EEEvT1_.uses_vcc, 0
	.set _ZN7rocprim17ROCPRIM_400000_NS6detail17trampoline_kernelINS0_14default_configENS1_25transform_config_selectorIxLb0EEEZNS1_14transform_implILb0ES3_S5_NS0_18transform_iteratorINS0_17counting_iteratorImlEEZNS1_24adjacent_difference_implIS3_Lb1ELb0EPxN6thrust23THRUST_200600_302600_NS16discard_iteratorINSD_11use_defaultEEENSD_5minusIxEEEE10hipError_tPvRmT2_T3_mT4_P12ihipStream_tbEUlmE_xEESB_NS0_8identityIvEEEESJ_SM_SN_mSO_SQ_bEUlT_E_NS1_11comp_targetILNS1_3genE4ELNS1_11target_archE910ELNS1_3gpuE8ELNS1_3repE0EEENS1_30default_config_static_selectorELNS0_4arch9wavefront6targetE1EEEvT1_.uses_flat_scratch, 0
	.set _ZN7rocprim17ROCPRIM_400000_NS6detail17trampoline_kernelINS0_14default_configENS1_25transform_config_selectorIxLb0EEEZNS1_14transform_implILb0ES3_S5_NS0_18transform_iteratorINS0_17counting_iteratorImlEEZNS1_24adjacent_difference_implIS3_Lb1ELb0EPxN6thrust23THRUST_200600_302600_NS16discard_iteratorINSD_11use_defaultEEENSD_5minusIxEEEE10hipError_tPvRmT2_T3_mT4_P12ihipStream_tbEUlmE_xEESB_NS0_8identityIvEEEESJ_SM_SN_mSO_SQ_bEUlT_E_NS1_11comp_targetILNS1_3genE4ELNS1_11target_archE910ELNS1_3gpuE8ELNS1_3repE0EEENS1_30default_config_static_selectorELNS0_4arch9wavefront6targetE1EEEvT1_.has_dyn_sized_stack, 0
	.set _ZN7rocprim17ROCPRIM_400000_NS6detail17trampoline_kernelINS0_14default_configENS1_25transform_config_selectorIxLb0EEEZNS1_14transform_implILb0ES3_S5_NS0_18transform_iteratorINS0_17counting_iteratorImlEEZNS1_24adjacent_difference_implIS3_Lb1ELb0EPxN6thrust23THRUST_200600_302600_NS16discard_iteratorINSD_11use_defaultEEENSD_5minusIxEEEE10hipError_tPvRmT2_T3_mT4_P12ihipStream_tbEUlmE_xEESB_NS0_8identityIvEEEESJ_SM_SN_mSO_SQ_bEUlT_E_NS1_11comp_targetILNS1_3genE4ELNS1_11target_archE910ELNS1_3gpuE8ELNS1_3repE0EEENS1_30default_config_static_selectorELNS0_4arch9wavefront6targetE1EEEvT1_.has_recursion, 0
	.set _ZN7rocprim17ROCPRIM_400000_NS6detail17trampoline_kernelINS0_14default_configENS1_25transform_config_selectorIxLb0EEEZNS1_14transform_implILb0ES3_S5_NS0_18transform_iteratorINS0_17counting_iteratorImlEEZNS1_24adjacent_difference_implIS3_Lb1ELb0EPxN6thrust23THRUST_200600_302600_NS16discard_iteratorINSD_11use_defaultEEENSD_5minusIxEEEE10hipError_tPvRmT2_T3_mT4_P12ihipStream_tbEUlmE_xEESB_NS0_8identityIvEEEESJ_SM_SN_mSO_SQ_bEUlT_E_NS1_11comp_targetILNS1_3genE4ELNS1_11target_archE910ELNS1_3gpuE8ELNS1_3repE0EEENS1_30default_config_static_selectorELNS0_4arch9wavefront6targetE1EEEvT1_.has_indirect_call, 0
	.section	.AMDGPU.csdata,"",@progbits
; Kernel info:
; codeLenInByte = 0
; TotalNumSgprs: 4
; NumVgprs: 0
; ScratchSize: 0
; MemoryBound: 0
; FloatMode: 240
; IeeeMode: 1
; LDSByteSize: 0 bytes/workgroup (compile time only)
; SGPRBlocks: 0
; VGPRBlocks: 0
; NumSGPRsForWavesPerEU: 4
; NumVGPRsForWavesPerEU: 1
; Occupancy: 10
; WaveLimiterHint : 0
; COMPUTE_PGM_RSRC2:SCRATCH_EN: 0
; COMPUTE_PGM_RSRC2:USER_SGPR: 6
; COMPUTE_PGM_RSRC2:TRAP_HANDLER: 0
; COMPUTE_PGM_RSRC2:TGID_X_EN: 1
; COMPUTE_PGM_RSRC2:TGID_Y_EN: 0
; COMPUTE_PGM_RSRC2:TGID_Z_EN: 0
; COMPUTE_PGM_RSRC2:TIDIG_COMP_CNT: 0
	.section	.text._ZN7rocprim17ROCPRIM_400000_NS6detail17trampoline_kernelINS0_14default_configENS1_25transform_config_selectorIxLb0EEEZNS1_14transform_implILb0ES3_S5_NS0_18transform_iteratorINS0_17counting_iteratorImlEEZNS1_24adjacent_difference_implIS3_Lb1ELb0EPxN6thrust23THRUST_200600_302600_NS16discard_iteratorINSD_11use_defaultEEENSD_5minusIxEEEE10hipError_tPvRmT2_T3_mT4_P12ihipStream_tbEUlmE_xEESB_NS0_8identityIvEEEESJ_SM_SN_mSO_SQ_bEUlT_E_NS1_11comp_targetILNS1_3genE3ELNS1_11target_archE908ELNS1_3gpuE7ELNS1_3repE0EEENS1_30default_config_static_selectorELNS0_4arch9wavefront6targetE1EEEvT1_,"axG",@progbits,_ZN7rocprim17ROCPRIM_400000_NS6detail17trampoline_kernelINS0_14default_configENS1_25transform_config_selectorIxLb0EEEZNS1_14transform_implILb0ES3_S5_NS0_18transform_iteratorINS0_17counting_iteratorImlEEZNS1_24adjacent_difference_implIS3_Lb1ELb0EPxN6thrust23THRUST_200600_302600_NS16discard_iteratorINSD_11use_defaultEEENSD_5minusIxEEEE10hipError_tPvRmT2_T3_mT4_P12ihipStream_tbEUlmE_xEESB_NS0_8identityIvEEEESJ_SM_SN_mSO_SQ_bEUlT_E_NS1_11comp_targetILNS1_3genE3ELNS1_11target_archE908ELNS1_3gpuE7ELNS1_3repE0EEENS1_30default_config_static_selectorELNS0_4arch9wavefront6targetE1EEEvT1_,comdat
	.protected	_ZN7rocprim17ROCPRIM_400000_NS6detail17trampoline_kernelINS0_14default_configENS1_25transform_config_selectorIxLb0EEEZNS1_14transform_implILb0ES3_S5_NS0_18transform_iteratorINS0_17counting_iteratorImlEEZNS1_24adjacent_difference_implIS3_Lb1ELb0EPxN6thrust23THRUST_200600_302600_NS16discard_iteratorINSD_11use_defaultEEENSD_5minusIxEEEE10hipError_tPvRmT2_T3_mT4_P12ihipStream_tbEUlmE_xEESB_NS0_8identityIvEEEESJ_SM_SN_mSO_SQ_bEUlT_E_NS1_11comp_targetILNS1_3genE3ELNS1_11target_archE908ELNS1_3gpuE7ELNS1_3repE0EEENS1_30default_config_static_selectorELNS0_4arch9wavefront6targetE1EEEvT1_ ; -- Begin function _ZN7rocprim17ROCPRIM_400000_NS6detail17trampoline_kernelINS0_14default_configENS1_25transform_config_selectorIxLb0EEEZNS1_14transform_implILb0ES3_S5_NS0_18transform_iteratorINS0_17counting_iteratorImlEEZNS1_24adjacent_difference_implIS3_Lb1ELb0EPxN6thrust23THRUST_200600_302600_NS16discard_iteratorINSD_11use_defaultEEENSD_5minusIxEEEE10hipError_tPvRmT2_T3_mT4_P12ihipStream_tbEUlmE_xEESB_NS0_8identityIvEEEESJ_SM_SN_mSO_SQ_bEUlT_E_NS1_11comp_targetILNS1_3genE3ELNS1_11target_archE908ELNS1_3gpuE7ELNS1_3repE0EEENS1_30default_config_static_selectorELNS0_4arch9wavefront6targetE1EEEvT1_
	.globl	_ZN7rocprim17ROCPRIM_400000_NS6detail17trampoline_kernelINS0_14default_configENS1_25transform_config_selectorIxLb0EEEZNS1_14transform_implILb0ES3_S5_NS0_18transform_iteratorINS0_17counting_iteratorImlEEZNS1_24adjacent_difference_implIS3_Lb1ELb0EPxN6thrust23THRUST_200600_302600_NS16discard_iteratorINSD_11use_defaultEEENSD_5minusIxEEEE10hipError_tPvRmT2_T3_mT4_P12ihipStream_tbEUlmE_xEESB_NS0_8identityIvEEEESJ_SM_SN_mSO_SQ_bEUlT_E_NS1_11comp_targetILNS1_3genE3ELNS1_11target_archE908ELNS1_3gpuE7ELNS1_3repE0EEENS1_30default_config_static_selectorELNS0_4arch9wavefront6targetE1EEEvT1_
	.p2align	8
	.type	_ZN7rocprim17ROCPRIM_400000_NS6detail17trampoline_kernelINS0_14default_configENS1_25transform_config_selectorIxLb0EEEZNS1_14transform_implILb0ES3_S5_NS0_18transform_iteratorINS0_17counting_iteratorImlEEZNS1_24adjacent_difference_implIS3_Lb1ELb0EPxN6thrust23THRUST_200600_302600_NS16discard_iteratorINSD_11use_defaultEEENSD_5minusIxEEEE10hipError_tPvRmT2_T3_mT4_P12ihipStream_tbEUlmE_xEESB_NS0_8identityIvEEEESJ_SM_SN_mSO_SQ_bEUlT_E_NS1_11comp_targetILNS1_3genE3ELNS1_11target_archE908ELNS1_3gpuE7ELNS1_3repE0EEENS1_30default_config_static_selectorELNS0_4arch9wavefront6targetE1EEEvT1_,@function
_ZN7rocprim17ROCPRIM_400000_NS6detail17trampoline_kernelINS0_14default_configENS1_25transform_config_selectorIxLb0EEEZNS1_14transform_implILb0ES3_S5_NS0_18transform_iteratorINS0_17counting_iteratorImlEEZNS1_24adjacent_difference_implIS3_Lb1ELb0EPxN6thrust23THRUST_200600_302600_NS16discard_iteratorINSD_11use_defaultEEENSD_5minusIxEEEE10hipError_tPvRmT2_T3_mT4_P12ihipStream_tbEUlmE_xEESB_NS0_8identityIvEEEESJ_SM_SN_mSO_SQ_bEUlT_E_NS1_11comp_targetILNS1_3genE3ELNS1_11target_archE908ELNS1_3gpuE7ELNS1_3repE0EEENS1_30default_config_static_selectorELNS0_4arch9wavefront6targetE1EEEvT1_: ; @_ZN7rocprim17ROCPRIM_400000_NS6detail17trampoline_kernelINS0_14default_configENS1_25transform_config_selectorIxLb0EEEZNS1_14transform_implILb0ES3_S5_NS0_18transform_iteratorINS0_17counting_iteratorImlEEZNS1_24adjacent_difference_implIS3_Lb1ELb0EPxN6thrust23THRUST_200600_302600_NS16discard_iteratorINSD_11use_defaultEEENSD_5minusIxEEEE10hipError_tPvRmT2_T3_mT4_P12ihipStream_tbEUlmE_xEESB_NS0_8identityIvEEEESJ_SM_SN_mSO_SQ_bEUlT_E_NS1_11comp_targetILNS1_3genE3ELNS1_11target_archE908ELNS1_3gpuE7ELNS1_3repE0EEENS1_30default_config_static_selectorELNS0_4arch9wavefront6targetE1EEEvT1_
; %bb.0:
	.section	.rodata,"a",@progbits
	.p2align	6, 0x0
	.amdhsa_kernel _ZN7rocprim17ROCPRIM_400000_NS6detail17trampoline_kernelINS0_14default_configENS1_25transform_config_selectorIxLb0EEEZNS1_14transform_implILb0ES3_S5_NS0_18transform_iteratorINS0_17counting_iteratorImlEEZNS1_24adjacent_difference_implIS3_Lb1ELb0EPxN6thrust23THRUST_200600_302600_NS16discard_iteratorINSD_11use_defaultEEENSD_5minusIxEEEE10hipError_tPvRmT2_T3_mT4_P12ihipStream_tbEUlmE_xEESB_NS0_8identityIvEEEESJ_SM_SN_mSO_SQ_bEUlT_E_NS1_11comp_targetILNS1_3genE3ELNS1_11target_archE908ELNS1_3gpuE7ELNS1_3repE0EEENS1_30default_config_static_selectorELNS0_4arch9wavefront6targetE1EEEvT1_
		.amdhsa_group_segment_fixed_size 0
		.amdhsa_private_segment_fixed_size 0
		.amdhsa_kernarg_size 56
		.amdhsa_user_sgpr_count 6
		.amdhsa_user_sgpr_private_segment_buffer 1
		.amdhsa_user_sgpr_dispatch_ptr 0
		.amdhsa_user_sgpr_queue_ptr 0
		.amdhsa_user_sgpr_kernarg_segment_ptr 1
		.amdhsa_user_sgpr_dispatch_id 0
		.amdhsa_user_sgpr_flat_scratch_init 0
		.amdhsa_user_sgpr_private_segment_size 0
		.amdhsa_uses_dynamic_stack 0
		.amdhsa_system_sgpr_private_segment_wavefront_offset 0
		.amdhsa_system_sgpr_workgroup_id_x 1
		.amdhsa_system_sgpr_workgroup_id_y 0
		.amdhsa_system_sgpr_workgroup_id_z 0
		.amdhsa_system_sgpr_workgroup_info 0
		.amdhsa_system_vgpr_workitem_id 0
		.amdhsa_next_free_vgpr 1
		.amdhsa_next_free_sgpr 0
		.amdhsa_reserve_vcc 0
		.amdhsa_reserve_flat_scratch 0
		.amdhsa_float_round_mode_32 0
		.amdhsa_float_round_mode_16_64 0
		.amdhsa_float_denorm_mode_32 3
		.amdhsa_float_denorm_mode_16_64 3
		.amdhsa_dx10_clamp 1
		.amdhsa_ieee_mode 1
		.amdhsa_fp16_overflow 0
		.amdhsa_exception_fp_ieee_invalid_op 0
		.amdhsa_exception_fp_denorm_src 0
		.amdhsa_exception_fp_ieee_div_zero 0
		.amdhsa_exception_fp_ieee_overflow 0
		.amdhsa_exception_fp_ieee_underflow 0
		.amdhsa_exception_fp_ieee_inexact 0
		.amdhsa_exception_int_div_zero 0
	.end_amdhsa_kernel
	.section	.text._ZN7rocprim17ROCPRIM_400000_NS6detail17trampoline_kernelINS0_14default_configENS1_25transform_config_selectorIxLb0EEEZNS1_14transform_implILb0ES3_S5_NS0_18transform_iteratorINS0_17counting_iteratorImlEEZNS1_24adjacent_difference_implIS3_Lb1ELb0EPxN6thrust23THRUST_200600_302600_NS16discard_iteratorINSD_11use_defaultEEENSD_5minusIxEEEE10hipError_tPvRmT2_T3_mT4_P12ihipStream_tbEUlmE_xEESB_NS0_8identityIvEEEESJ_SM_SN_mSO_SQ_bEUlT_E_NS1_11comp_targetILNS1_3genE3ELNS1_11target_archE908ELNS1_3gpuE7ELNS1_3repE0EEENS1_30default_config_static_selectorELNS0_4arch9wavefront6targetE1EEEvT1_,"axG",@progbits,_ZN7rocprim17ROCPRIM_400000_NS6detail17trampoline_kernelINS0_14default_configENS1_25transform_config_selectorIxLb0EEEZNS1_14transform_implILb0ES3_S5_NS0_18transform_iteratorINS0_17counting_iteratorImlEEZNS1_24adjacent_difference_implIS3_Lb1ELb0EPxN6thrust23THRUST_200600_302600_NS16discard_iteratorINSD_11use_defaultEEENSD_5minusIxEEEE10hipError_tPvRmT2_T3_mT4_P12ihipStream_tbEUlmE_xEESB_NS0_8identityIvEEEESJ_SM_SN_mSO_SQ_bEUlT_E_NS1_11comp_targetILNS1_3genE3ELNS1_11target_archE908ELNS1_3gpuE7ELNS1_3repE0EEENS1_30default_config_static_selectorELNS0_4arch9wavefront6targetE1EEEvT1_,comdat
.Lfunc_end861:
	.size	_ZN7rocprim17ROCPRIM_400000_NS6detail17trampoline_kernelINS0_14default_configENS1_25transform_config_selectorIxLb0EEEZNS1_14transform_implILb0ES3_S5_NS0_18transform_iteratorINS0_17counting_iteratorImlEEZNS1_24adjacent_difference_implIS3_Lb1ELb0EPxN6thrust23THRUST_200600_302600_NS16discard_iteratorINSD_11use_defaultEEENSD_5minusIxEEEE10hipError_tPvRmT2_T3_mT4_P12ihipStream_tbEUlmE_xEESB_NS0_8identityIvEEEESJ_SM_SN_mSO_SQ_bEUlT_E_NS1_11comp_targetILNS1_3genE3ELNS1_11target_archE908ELNS1_3gpuE7ELNS1_3repE0EEENS1_30default_config_static_selectorELNS0_4arch9wavefront6targetE1EEEvT1_, .Lfunc_end861-_ZN7rocprim17ROCPRIM_400000_NS6detail17trampoline_kernelINS0_14default_configENS1_25transform_config_selectorIxLb0EEEZNS1_14transform_implILb0ES3_S5_NS0_18transform_iteratorINS0_17counting_iteratorImlEEZNS1_24adjacent_difference_implIS3_Lb1ELb0EPxN6thrust23THRUST_200600_302600_NS16discard_iteratorINSD_11use_defaultEEENSD_5minusIxEEEE10hipError_tPvRmT2_T3_mT4_P12ihipStream_tbEUlmE_xEESB_NS0_8identityIvEEEESJ_SM_SN_mSO_SQ_bEUlT_E_NS1_11comp_targetILNS1_3genE3ELNS1_11target_archE908ELNS1_3gpuE7ELNS1_3repE0EEENS1_30default_config_static_selectorELNS0_4arch9wavefront6targetE1EEEvT1_
                                        ; -- End function
	.set _ZN7rocprim17ROCPRIM_400000_NS6detail17trampoline_kernelINS0_14default_configENS1_25transform_config_selectorIxLb0EEEZNS1_14transform_implILb0ES3_S5_NS0_18transform_iteratorINS0_17counting_iteratorImlEEZNS1_24adjacent_difference_implIS3_Lb1ELb0EPxN6thrust23THRUST_200600_302600_NS16discard_iteratorINSD_11use_defaultEEENSD_5minusIxEEEE10hipError_tPvRmT2_T3_mT4_P12ihipStream_tbEUlmE_xEESB_NS0_8identityIvEEEESJ_SM_SN_mSO_SQ_bEUlT_E_NS1_11comp_targetILNS1_3genE3ELNS1_11target_archE908ELNS1_3gpuE7ELNS1_3repE0EEENS1_30default_config_static_selectorELNS0_4arch9wavefront6targetE1EEEvT1_.num_vgpr, 0
	.set _ZN7rocprim17ROCPRIM_400000_NS6detail17trampoline_kernelINS0_14default_configENS1_25transform_config_selectorIxLb0EEEZNS1_14transform_implILb0ES3_S5_NS0_18transform_iteratorINS0_17counting_iteratorImlEEZNS1_24adjacent_difference_implIS3_Lb1ELb0EPxN6thrust23THRUST_200600_302600_NS16discard_iteratorINSD_11use_defaultEEENSD_5minusIxEEEE10hipError_tPvRmT2_T3_mT4_P12ihipStream_tbEUlmE_xEESB_NS0_8identityIvEEEESJ_SM_SN_mSO_SQ_bEUlT_E_NS1_11comp_targetILNS1_3genE3ELNS1_11target_archE908ELNS1_3gpuE7ELNS1_3repE0EEENS1_30default_config_static_selectorELNS0_4arch9wavefront6targetE1EEEvT1_.num_agpr, 0
	.set _ZN7rocprim17ROCPRIM_400000_NS6detail17trampoline_kernelINS0_14default_configENS1_25transform_config_selectorIxLb0EEEZNS1_14transform_implILb0ES3_S5_NS0_18transform_iteratorINS0_17counting_iteratorImlEEZNS1_24adjacent_difference_implIS3_Lb1ELb0EPxN6thrust23THRUST_200600_302600_NS16discard_iteratorINSD_11use_defaultEEENSD_5minusIxEEEE10hipError_tPvRmT2_T3_mT4_P12ihipStream_tbEUlmE_xEESB_NS0_8identityIvEEEESJ_SM_SN_mSO_SQ_bEUlT_E_NS1_11comp_targetILNS1_3genE3ELNS1_11target_archE908ELNS1_3gpuE7ELNS1_3repE0EEENS1_30default_config_static_selectorELNS0_4arch9wavefront6targetE1EEEvT1_.numbered_sgpr, 0
	.set _ZN7rocprim17ROCPRIM_400000_NS6detail17trampoline_kernelINS0_14default_configENS1_25transform_config_selectorIxLb0EEEZNS1_14transform_implILb0ES3_S5_NS0_18transform_iteratorINS0_17counting_iteratorImlEEZNS1_24adjacent_difference_implIS3_Lb1ELb0EPxN6thrust23THRUST_200600_302600_NS16discard_iteratorINSD_11use_defaultEEENSD_5minusIxEEEE10hipError_tPvRmT2_T3_mT4_P12ihipStream_tbEUlmE_xEESB_NS0_8identityIvEEEESJ_SM_SN_mSO_SQ_bEUlT_E_NS1_11comp_targetILNS1_3genE3ELNS1_11target_archE908ELNS1_3gpuE7ELNS1_3repE0EEENS1_30default_config_static_selectorELNS0_4arch9wavefront6targetE1EEEvT1_.num_named_barrier, 0
	.set _ZN7rocprim17ROCPRIM_400000_NS6detail17trampoline_kernelINS0_14default_configENS1_25transform_config_selectorIxLb0EEEZNS1_14transform_implILb0ES3_S5_NS0_18transform_iteratorINS0_17counting_iteratorImlEEZNS1_24adjacent_difference_implIS3_Lb1ELb0EPxN6thrust23THRUST_200600_302600_NS16discard_iteratorINSD_11use_defaultEEENSD_5minusIxEEEE10hipError_tPvRmT2_T3_mT4_P12ihipStream_tbEUlmE_xEESB_NS0_8identityIvEEEESJ_SM_SN_mSO_SQ_bEUlT_E_NS1_11comp_targetILNS1_3genE3ELNS1_11target_archE908ELNS1_3gpuE7ELNS1_3repE0EEENS1_30default_config_static_selectorELNS0_4arch9wavefront6targetE1EEEvT1_.private_seg_size, 0
	.set _ZN7rocprim17ROCPRIM_400000_NS6detail17trampoline_kernelINS0_14default_configENS1_25transform_config_selectorIxLb0EEEZNS1_14transform_implILb0ES3_S5_NS0_18transform_iteratorINS0_17counting_iteratorImlEEZNS1_24adjacent_difference_implIS3_Lb1ELb0EPxN6thrust23THRUST_200600_302600_NS16discard_iteratorINSD_11use_defaultEEENSD_5minusIxEEEE10hipError_tPvRmT2_T3_mT4_P12ihipStream_tbEUlmE_xEESB_NS0_8identityIvEEEESJ_SM_SN_mSO_SQ_bEUlT_E_NS1_11comp_targetILNS1_3genE3ELNS1_11target_archE908ELNS1_3gpuE7ELNS1_3repE0EEENS1_30default_config_static_selectorELNS0_4arch9wavefront6targetE1EEEvT1_.uses_vcc, 0
	.set _ZN7rocprim17ROCPRIM_400000_NS6detail17trampoline_kernelINS0_14default_configENS1_25transform_config_selectorIxLb0EEEZNS1_14transform_implILb0ES3_S5_NS0_18transform_iteratorINS0_17counting_iteratorImlEEZNS1_24adjacent_difference_implIS3_Lb1ELb0EPxN6thrust23THRUST_200600_302600_NS16discard_iteratorINSD_11use_defaultEEENSD_5minusIxEEEE10hipError_tPvRmT2_T3_mT4_P12ihipStream_tbEUlmE_xEESB_NS0_8identityIvEEEESJ_SM_SN_mSO_SQ_bEUlT_E_NS1_11comp_targetILNS1_3genE3ELNS1_11target_archE908ELNS1_3gpuE7ELNS1_3repE0EEENS1_30default_config_static_selectorELNS0_4arch9wavefront6targetE1EEEvT1_.uses_flat_scratch, 0
	.set _ZN7rocprim17ROCPRIM_400000_NS6detail17trampoline_kernelINS0_14default_configENS1_25transform_config_selectorIxLb0EEEZNS1_14transform_implILb0ES3_S5_NS0_18transform_iteratorINS0_17counting_iteratorImlEEZNS1_24adjacent_difference_implIS3_Lb1ELb0EPxN6thrust23THRUST_200600_302600_NS16discard_iteratorINSD_11use_defaultEEENSD_5minusIxEEEE10hipError_tPvRmT2_T3_mT4_P12ihipStream_tbEUlmE_xEESB_NS0_8identityIvEEEESJ_SM_SN_mSO_SQ_bEUlT_E_NS1_11comp_targetILNS1_3genE3ELNS1_11target_archE908ELNS1_3gpuE7ELNS1_3repE0EEENS1_30default_config_static_selectorELNS0_4arch9wavefront6targetE1EEEvT1_.has_dyn_sized_stack, 0
	.set _ZN7rocprim17ROCPRIM_400000_NS6detail17trampoline_kernelINS0_14default_configENS1_25transform_config_selectorIxLb0EEEZNS1_14transform_implILb0ES3_S5_NS0_18transform_iteratorINS0_17counting_iteratorImlEEZNS1_24adjacent_difference_implIS3_Lb1ELb0EPxN6thrust23THRUST_200600_302600_NS16discard_iteratorINSD_11use_defaultEEENSD_5minusIxEEEE10hipError_tPvRmT2_T3_mT4_P12ihipStream_tbEUlmE_xEESB_NS0_8identityIvEEEESJ_SM_SN_mSO_SQ_bEUlT_E_NS1_11comp_targetILNS1_3genE3ELNS1_11target_archE908ELNS1_3gpuE7ELNS1_3repE0EEENS1_30default_config_static_selectorELNS0_4arch9wavefront6targetE1EEEvT1_.has_recursion, 0
	.set _ZN7rocprim17ROCPRIM_400000_NS6detail17trampoline_kernelINS0_14default_configENS1_25transform_config_selectorIxLb0EEEZNS1_14transform_implILb0ES3_S5_NS0_18transform_iteratorINS0_17counting_iteratorImlEEZNS1_24adjacent_difference_implIS3_Lb1ELb0EPxN6thrust23THRUST_200600_302600_NS16discard_iteratorINSD_11use_defaultEEENSD_5minusIxEEEE10hipError_tPvRmT2_T3_mT4_P12ihipStream_tbEUlmE_xEESB_NS0_8identityIvEEEESJ_SM_SN_mSO_SQ_bEUlT_E_NS1_11comp_targetILNS1_3genE3ELNS1_11target_archE908ELNS1_3gpuE7ELNS1_3repE0EEENS1_30default_config_static_selectorELNS0_4arch9wavefront6targetE1EEEvT1_.has_indirect_call, 0
	.section	.AMDGPU.csdata,"",@progbits
; Kernel info:
; codeLenInByte = 0
; TotalNumSgprs: 4
; NumVgprs: 0
; ScratchSize: 0
; MemoryBound: 0
; FloatMode: 240
; IeeeMode: 1
; LDSByteSize: 0 bytes/workgroup (compile time only)
; SGPRBlocks: 0
; VGPRBlocks: 0
; NumSGPRsForWavesPerEU: 4
; NumVGPRsForWavesPerEU: 1
; Occupancy: 10
; WaveLimiterHint : 0
; COMPUTE_PGM_RSRC2:SCRATCH_EN: 0
; COMPUTE_PGM_RSRC2:USER_SGPR: 6
; COMPUTE_PGM_RSRC2:TRAP_HANDLER: 0
; COMPUTE_PGM_RSRC2:TGID_X_EN: 1
; COMPUTE_PGM_RSRC2:TGID_Y_EN: 0
; COMPUTE_PGM_RSRC2:TGID_Z_EN: 0
; COMPUTE_PGM_RSRC2:TIDIG_COMP_CNT: 0
	.section	.text._ZN7rocprim17ROCPRIM_400000_NS6detail17trampoline_kernelINS0_14default_configENS1_25transform_config_selectorIxLb0EEEZNS1_14transform_implILb0ES3_S5_NS0_18transform_iteratorINS0_17counting_iteratorImlEEZNS1_24adjacent_difference_implIS3_Lb1ELb0EPxN6thrust23THRUST_200600_302600_NS16discard_iteratorINSD_11use_defaultEEENSD_5minusIxEEEE10hipError_tPvRmT2_T3_mT4_P12ihipStream_tbEUlmE_xEESB_NS0_8identityIvEEEESJ_SM_SN_mSO_SQ_bEUlT_E_NS1_11comp_targetILNS1_3genE2ELNS1_11target_archE906ELNS1_3gpuE6ELNS1_3repE0EEENS1_30default_config_static_selectorELNS0_4arch9wavefront6targetE1EEEvT1_,"axG",@progbits,_ZN7rocprim17ROCPRIM_400000_NS6detail17trampoline_kernelINS0_14default_configENS1_25transform_config_selectorIxLb0EEEZNS1_14transform_implILb0ES3_S5_NS0_18transform_iteratorINS0_17counting_iteratorImlEEZNS1_24adjacent_difference_implIS3_Lb1ELb0EPxN6thrust23THRUST_200600_302600_NS16discard_iteratorINSD_11use_defaultEEENSD_5minusIxEEEE10hipError_tPvRmT2_T3_mT4_P12ihipStream_tbEUlmE_xEESB_NS0_8identityIvEEEESJ_SM_SN_mSO_SQ_bEUlT_E_NS1_11comp_targetILNS1_3genE2ELNS1_11target_archE906ELNS1_3gpuE6ELNS1_3repE0EEENS1_30default_config_static_selectorELNS0_4arch9wavefront6targetE1EEEvT1_,comdat
	.protected	_ZN7rocprim17ROCPRIM_400000_NS6detail17trampoline_kernelINS0_14default_configENS1_25transform_config_selectorIxLb0EEEZNS1_14transform_implILb0ES3_S5_NS0_18transform_iteratorINS0_17counting_iteratorImlEEZNS1_24adjacent_difference_implIS3_Lb1ELb0EPxN6thrust23THRUST_200600_302600_NS16discard_iteratorINSD_11use_defaultEEENSD_5minusIxEEEE10hipError_tPvRmT2_T3_mT4_P12ihipStream_tbEUlmE_xEESB_NS0_8identityIvEEEESJ_SM_SN_mSO_SQ_bEUlT_E_NS1_11comp_targetILNS1_3genE2ELNS1_11target_archE906ELNS1_3gpuE6ELNS1_3repE0EEENS1_30default_config_static_selectorELNS0_4arch9wavefront6targetE1EEEvT1_ ; -- Begin function _ZN7rocprim17ROCPRIM_400000_NS6detail17trampoline_kernelINS0_14default_configENS1_25transform_config_selectorIxLb0EEEZNS1_14transform_implILb0ES3_S5_NS0_18transform_iteratorINS0_17counting_iteratorImlEEZNS1_24adjacent_difference_implIS3_Lb1ELb0EPxN6thrust23THRUST_200600_302600_NS16discard_iteratorINSD_11use_defaultEEENSD_5minusIxEEEE10hipError_tPvRmT2_T3_mT4_P12ihipStream_tbEUlmE_xEESB_NS0_8identityIvEEEESJ_SM_SN_mSO_SQ_bEUlT_E_NS1_11comp_targetILNS1_3genE2ELNS1_11target_archE906ELNS1_3gpuE6ELNS1_3repE0EEENS1_30default_config_static_selectorELNS0_4arch9wavefront6targetE1EEEvT1_
	.globl	_ZN7rocprim17ROCPRIM_400000_NS6detail17trampoline_kernelINS0_14default_configENS1_25transform_config_selectorIxLb0EEEZNS1_14transform_implILb0ES3_S5_NS0_18transform_iteratorINS0_17counting_iteratorImlEEZNS1_24adjacent_difference_implIS3_Lb1ELb0EPxN6thrust23THRUST_200600_302600_NS16discard_iteratorINSD_11use_defaultEEENSD_5minusIxEEEE10hipError_tPvRmT2_T3_mT4_P12ihipStream_tbEUlmE_xEESB_NS0_8identityIvEEEESJ_SM_SN_mSO_SQ_bEUlT_E_NS1_11comp_targetILNS1_3genE2ELNS1_11target_archE906ELNS1_3gpuE6ELNS1_3repE0EEENS1_30default_config_static_selectorELNS0_4arch9wavefront6targetE1EEEvT1_
	.p2align	8
	.type	_ZN7rocprim17ROCPRIM_400000_NS6detail17trampoline_kernelINS0_14default_configENS1_25transform_config_selectorIxLb0EEEZNS1_14transform_implILb0ES3_S5_NS0_18transform_iteratorINS0_17counting_iteratorImlEEZNS1_24adjacent_difference_implIS3_Lb1ELb0EPxN6thrust23THRUST_200600_302600_NS16discard_iteratorINSD_11use_defaultEEENSD_5minusIxEEEE10hipError_tPvRmT2_T3_mT4_P12ihipStream_tbEUlmE_xEESB_NS0_8identityIvEEEESJ_SM_SN_mSO_SQ_bEUlT_E_NS1_11comp_targetILNS1_3genE2ELNS1_11target_archE906ELNS1_3gpuE6ELNS1_3repE0EEENS1_30default_config_static_selectorELNS0_4arch9wavefront6targetE1EEEvT1_,@function
_ZN7rocprim17ROCPRIM_400000_NS6detail17trampoline_kernelINS0_14default_configENS1_25transform_config_selectorIxLb0EEEZNS1_14transform_implILb0ES3_S5_NS0_18transform_iteratorINS0_17counting_iteratorImlEEZNS1_24adjacent_difference_implIS3_Lb1ELb0EPxN6thrust23THRUST_200600_302600_NS16discard_iteratorINSD_11use_defaultEEENSD_5minusIxEEEE10hipError_tPvRmT2_T3_mT4_P12ihipStream_tbEUlmE_xEESB_NS0_8identityIvEEEESJ_SM_SN_mSO_SQ_bEUlT_E_NS1_11comp_targetILNS1_3genE2ELNS1_11target_archE906ELNS1_3gpuE6ELNS1_3repE0EEENS1_30default_config_static_selectorELNS0_4arch9wavefront6targetE1EEEvT1_: ; @_ZN7rocprim17ROCPRIM_400000_NS6detail17trampoline_kernelINS0_14default_configENS1_25transform_config_selectorIxLb0EEEZNS1_14transform_implILb0ES3_S5_NS0_18transform_iteratorINS0_17counting_iteratorImlEEZNS1_24adjacent_difference_implIS3_Lb1ELb0EPxN6thrust23THRUST_200600_302600_NS16discard_iteratorINSD_11use_defaultEEENSD_5minusIxEEEE10hipError_tPvRmT2_T3_mT4_P12ihipStream_tbEUlmE_xEESB_NS0_8identityIvEEEESJ_SM_SN_mSO_SQ_bEUlT_E_NS1_11comp_targetILNS1_3genE2ELNS1_11target_archE906ELNS1_3gpuE6ELNS1_3repE0EEENS1_30default_config_static_selectorELNS0_4arch9wavefront6targetE1EEEvT1_
; %bb.0:
	s_load_dword s1, s[4:5], 0x38
	s_load_dword s7, s[4:5], 0x20
	s_lshl_b32 s0, s6, 9
	s_waitcnt lgkmcnt(0)
	s_add_i32 s1, s1, -1
	s_cmp_lg_u32 s6, s1
	s_cselect_b64 s[2:3], -1, 0
	s_sub_i32 s1, s7, s0
	v_cmp_gt_u32_e32 vcc, s1, v0
	s_or_b64 s[2:3], s[2:3], vcc
	s_and_saveexec_b64 s[6:7], s[2:3]
	s_cbranch_execz .LBB862_2
; %bb.1:
	s_load_dwordx2 s[2:3], s[4:5], 0x18
	s_load_dwordx2 s[6:7], s[4:5], 0x28
	s_load_dwordx4 s[8:11], s[4:5], 0x0
	s_load_dword s1, s[4:5], 0x10
	s_waitcnt lgkmcnt(0)
	s_lshl_b64 s[4:5], s[2:3], 3
	s_add_u32 s4, s6, s4
	s_addc_u32 s5, s7, s5
	s_add_u32 s2, s8, s2
	s_addc_u32 s3, s9, s3
	;; [unrolled: 2-line block ×3, first 2 shown]
	v_mov_b32_e32 v1, s3
	v_add_co_u32_e32 v2, vcc, s2, v0
	v_addc_co_u32_e32 v3, vcc, 0, v1, vcc
	v_mad_u64_u32 v[1:2], s[2:3], v2, s1, 0
	v_mad_u64_u32 v[2:3], s[2:3], v3, s1, v[2:3]
	v_mov_b32_e32 v3, s11
	s_mov_b32 s1, 0
	v_lshlrev_b64 v[1:2], 3, v[1:2]
	s_lshl_b64 s[0:1], s[0:1], 3
	v_add_co_u32_e32 v1, vcc, s10, v1
	v_addc_co_u32_e32 v2, vcc, v3, v2, vcc
	global_load_dwordx2 v[2:3], v[1:2], off
	v_mov_b32_e32 v1, 0
	s_add_u32 s0, s4, s0
	v_lshlrev_b64 v[0:1], 3, v[0:1]
	s_addc_u32 s1, s5, s1
	v_mov_b32_e32 v4, s1
	v_add_co_u32_e32 v0, vcc, s0, v0
	v_addc_co_u32_e32 v1, vcc, v4, v1, vcc
	s_waitcnt vmcnt(0)
	global_store_dwordx2 v[0:1], v[2:3], off
.LBB862_2:
	s_endpgm
	.section	.rodata,"a",@progbits
	.p2align	6, 0x0
	.amdhsa_kernel _ZN7rocprim17ROCPRIM_400000_NS6detail17trampoline_kernelINS0_14default_configENS1_25transform_config_selectorIxLb0EEEZNS1_14transform_implILb0ES3_S5_NS0_18transform_iteratorINS0_17counting_iteratorImlEEZNS1_24adjacent_difference_implIS3_Lb1ELb0EPxN6thrust23THRUST_200600_302600_NS16discard_iteratorINSD_11use_defaultEEENSD_5minusIxEEEE10hipError_tPvRmT2_T3_mT4_P12ihipStream_tbEUlmE_xEESB_NS0_8identityIvEEEESJ_SM_SN_mSO_SQ_bEUlT_E_NS1_11comp_targetILNS1_3genE2ELNS1_11target_archE906ELNS1_3gpuE6ELNS1_3repE0EEENS1_30default_config_static_selectorELNS0_4arch9wavefront6targetE1EEEvT1_
		.amdhsa_group_segment_fixed_size 0
		.amdhsa_private_segment_fixed_size 0
		.amdhsa_kernarg_size 312
		.amdhsa_user_sgpr_count 6
		.amdhsa_user_sgpr_private_segment_buffer 1
		.amdhsa_user_sgpr_dispatch_ptr 0
		.amdhsa_user_sgpr_queue_ptr 0
		.amdhsa_user_sgpr_kernarg_segment_ptr 1
		.amdhsa_user_sgpr_dispatch_id 0
		.amdhsa_user_sgpr_flat_scratch_init 0
		.amdhsa_user_sgpr_private_segment_size 0
		.amdhsa_uses_dynamic_stack 0
		.amdhsa_system_sgpr_private_segment_wavefront_offset 0
		.amdhsa_system_sgpr_workgroup_id_x 1
		.amdhsa_system_sgpr_workgroup_id_y 0
		.amdhsa_system_sgpr_workgroup_id_z 0
		.amdhsa_system_sgpr_workgroup_info 0
		.amdhsa_system_vgpr_workitem_id 0
		.amdhsa_next_free_vgpr 5
		.amdhsa_next_free_sgpr 12
		.amdhsa_reserve_vcc 1
		.amdhsa_reserve_flat_scratch 0
		.amdhsa_float_round_mode_32 0
		.amdhsa_float_round_mode_16_64 0
		.amdhsa_float_denorm_mode_32 3
		.amdhsa_float_denorm_mode_16_64 3
		.amdhsa_dx10_clamp 1
		.amdhsa_ieee_mode 1
		.amdhsa_fp16_overflow 0
		.amdhsa_exception_fp_ieee_invalid_op 0
		.amdhsa_exception_fp_denorm_src 0
		.amdhsa_exception_fp_ieee_div_zero 0
		.amdhsa_exception_fp_ieee_overflow 0
		.amdhsa_exception_fp_ieee_underflow 0
		.amdhsa_exception_fp_ieee_inexact 0
		.amdhsa_exception_int_div_zero 0
	.end_amdhsa_kernel
	.section	.text._ZN7rocprim17ROCPRIM_400000_NS6detail17trampoline_kernelINS0_14default_configENS1_25transform_config_selectorIxLb0EEEZNS1_14transform_implILb0ES3_S5_NS0_18transform_iteratorINS0_17counting_iteratorImlEEZNS1_24adjacent_difference_implIS3_Lb1ELb0EPxN6thrust23THRUST_200600_302600_NS16discard_iteratorINSD_11use_defaultEEENSD_5minusIxEEEE10hipError_tPvRmT2_T3_mT4_P12ihipStream_tbEUlmE_xEESB_NS0_8identityIvEEEESJ_SM_SN_mSO_SQ_bEUlT_E_NS1_11comp_targetILNS1_3genE2ELNS1_11target_archE906ELNS1_3gpuE6ELNS1_3repE0EEENS1_30default_config_static_selectorELNS0_4arch9wavefront6targetE1EEEvT1_,"axG",@progbits,_ZN7rocprim17ROCPRIM_400000_NS6detail17trampoline_kernelINS0_14default_configENS1_25transform_config_selectorIxLb0EEEZNS1_14transform_implILb0ES3_S5_NS0_18transform_iteratorINS0_17counting_iteratorImlEEZNS1_24adjacent_difference_implIS3_Lb1ELb0EPxN6thrust23THRUST_200600_302600_NS16discard_iteratorINSD_11use_defaultEEENSD_5minusIxEEEE10hipError_tPvRmT2_T3_mT4_P12ihipStream_tbEUlmE_xEESB_NS0_8identityIvEEEESJ_SM_SN_mSO_SQ_bEUlT_E_NS1_11comp_targetILNS1_3genE2ELNS1_11target_archE906ELNS1_3gpuE6ELNS1_3repE0EEENS1_30default_config_static_selectorELNS0_4arch9wavefront6targetE1EEEvT1_,comdat
.Lfunc_end862:
	.size	_ZN7rocprim17ROCPRIM_400000_NS6detail17trampoline_kernelINS0_14default_configENS1_25transform_config_selectorIxLb0EEEZNS1_14transform_implILb0ES3_S5_NS0_18transform_iteratorINS0_17counting_iteratorImlEEZNS1_24adjacent_difference_implIS3_Lb1ELb0EPxN6thrust23THRUST_200600_302600_NS16discard_iteratorINSD_11use_defaultEEENSD_5minusIxEEEE10hipError_tPvRmT2_T3_mT4_P12ihipStream_tbEUlmE_xEESB_NS0_8identityIvEEEESJ_SM_SN_mSO_SQ_bEUlT_E_NS1_11comp_targetILNS1_3genE2ELNS1_11target_archE906ELNS1_3gpuE6ELNS1_3repE0EEENS1_30default_config_static_selectorELNS0_4arch9wavefront6targetE1EEEvT1_, .Lfunc_end862-_ZN7rocprim17ROCPRIM_400000_NS6detail17trampoline_kernelINS0_14default_configENS1_25transform_config_selectorIxLb0EEEZNS1_14transform_implILb0ES3_S5_NS0_18transform_iteratorINS0_17counting_iteratorImlEEZNS1_24adjacent_difference_implIS3_Lb1ELb0EPxN6thrust23THRUST_200600_302600_NS16discard_iteratorINSD_11use_defaultEEENSD_5minusIxEEEE10hipError_tPvRmT2_T3_mT4_P12ihipStream_tbEUlmE_xEESB_NS0_8identityIvEEEESJ_SM_SN_mSO_SQ_bEUlT_E_NS1_11comp_targetILNS1_3genE2ELNS1_11target_archE906ELNS1_3gpuE6ELNS1_3repE0EEENS1_30default_config_static_selectorELNS0_4arch9wavefront6targetE1EEEvT1_
                                        ; -- End function
	.set _ZN7rocprim17ROCPRIM_400000_NS6detail17trampoline_kernelINS0_14default_configENS1_25transform_config_selectorIxLb0EEEZNS1_14transform_implILb0ES3_S5_NS0_18transform_iteratorINS0_17counting_iteratorImlEEZNS1_24adjacent_difference_implIS3_Lb1ELb0EPxN6thrust23THRUST_200600_302600_NS16discard_iteratorINSD_11use_defaultEEENSD_5minusIxEEEE10hipError_tPvRmT2_T3_mT4_P12ihipStream_tbEUlmE_xEESB_NS0_8identityIvEEEESJ_SM_SN_mSO_SQ_bEUlT_E_NS1_11comp_targetILNS1_3genE2ELNS1_11target_archE906ELNS1_3gpuE6ELNS1_3repE0EEENS1_30default_config_static_selectorELNS0_4arch9wavefront6targetE1EEEvT1_.num_vgpr, 5
	.set _ZN7rocprim17ROCPRIM_400000_NS6detail17trampoline_kernelINS0_14default_configENS1_25transform_config_selectorIxLb0EEEZNS1_14transform_implILb0ES3_S5_NS0_18transform_iteratorINS0_17counting_iteratorImlEEZNS1_24adjacent_difference_implIS3_Lb1ELb0EPxN6thrust23THRUST_200600_302600_NS16discard_iteratorINSD_11use_defaultEEENSD_5minusIxEEEE10hipError_tPvRmT2_T3_mT4_P12ihipStream_tbEUlmE_xEESB_NS0_8identityIvEEEESJ_SM_SN_mSO_SQ_bEUlT_E_NS1_11comp_targetILNS1_3genE2ELNS1_11target_archE906ELNS1_3gpuE6ELNS1_3repE0EEENS1_30default_config_static_selectorELNS0_4arch9wavefront6targetE1EEEvT1_.num_agpr, 0
	.set _ZN7rocprim17ROCPRIM_400000_NS6detail17trampoline_kernelINS0_14default_configENS1_25transform_config_selectorIxLb0EEEZNS1_14transform_implILb0ES3_S5_NS0_18transform_iteratorINS0_17counting_iteratorImlEEZNS1_24adjacent_difference_implIS3_Lb1ELb0EPxN6thrust23THRUST_200600_302600_NS16discard_iteratorINSD_11use_defaultEEENSD_5minusIxEEEE10hipError_tPvRmT2_T3_mT4_P12ihipStream_tbEUlmE_xEESB_NS0_8identityIvEEEESJ_SM_SN_mSO_SQ_bEUlT_E_NS1_11comp_targetILNS1_3genE2ELNS1_11target_archE906ELNS1_3gpuE6ELNS1_3repE0EEENS1_30default_config_static_selectorELNS0_4arch9wavefront6targetE1EEEvT1_.numbered_sgpr, 12
	.set _ZN7rocprim17ROCPRIM_400000_NS6detail17trampoline_kernelINS0_14default_configENS1_25transform_config_selectorIxLb0EEEZNS1_14transform_implILb0ES3_S5_NS0_18transform_iteratorINS0_17counting_iteratorImlEEZNS1_24adjacent_difference_implIS3_Lb1ELb0EPxN6thrust23THRUST_200600_302600_NS16discard_iteratorINSD_11use_defaultEEENSD_5minusIxEEEE10hipError_tPvRmT2_T3_mT4_P12ihipStream_tbEUlmE_xEESB_NS0_8identityIvEEEESJ_SM_SN_mSO_SQ_bEUlT_E_NS1_11comp_targetILNS1_3genE2ELNS1_11target_archE906ELNS1_3gpuE6ELNS1_3repE0EEENS1_30default_config_static_selectorELNS0_4arch9wavefront6targetE1EEEvT1_.num_named_barrier, 0
	.set _ZN7rocprim17ROCPRIM_400000_NS6detail17trampoline_kernelINS0_14default_configENS1_25transform_config_selectorIxLb0EEEZNS1_14transform_implILb0ES3_S5_NS0_18transform_iteratorINS0_17counting_iteratorImlEEZNS1_24adjacent_difference_implIS3_Lb1ELb0EPxN6thrust23THRUST_200600_302600_NS16discard_iteratorINSD_11use_defaultEEENSD_5minusIxEEEE10hipError_tPvRmT2_T3_mT4_P12ihipStream_tbEUlmE_xEESB_NS0_8identityIvEEEESJ_SM_SN_mSO_SQ_bEUlT_E_NS1_11comp_targetILNS1_3genE2ELNS1_11target_archE906ELNS1_3gpuE6ELNS1_3repE0EEENS1_30default_config_static_selectorELNS0_4arch9wavefront6targetE1EEEvT1_.private_seg_size, 0
	.set _ZN7rocprim17ROCPRIM_400000_NS6detail17trampoline_kernelINS0_14default_configENS1_25transform_config_selectorIxLb0EEEZNS1_14transform_implILb0ES3_S5_NS0_18transform_iteratorINS0_17counting_iteratorImlEEZNS1_24adjacent_difference_implIS3_Lb1ELb0EPxN6thrust23THRUST_200600_302600_NS16discard_iteratorINSD_11use_defaultEEENSD_5minusIxEEEE10hipError_tPvRmT2_T3_mT4_P12ihipStream_tbEUlmE_xEESB_NS0_8identityIvEEEESJ_SM_SN_mSO_SQ_bEUlT_E_NS1_11comp_targetILNS1_3genE2ELNS1_11target_archE906ELNS1_3gpuE6ELNS1_3repE0EEENS1_30default_config_static_selectorELNS0_4arch9wavefront6targetE1EEEvT1_.uses_vcc, 1
	.set _ZN7rocprim17ROCPRIM_400000_NS6detail17trampoline_kernelINS0_14default_configENS1_25transform_config_selectorIxLb0EEEZNS1_14transform_implILb0ES3_S5_NS0_18transform_iteratorINS0_17counting_iteratorImlEEZNS1_24adjacent_difference_implIS3_Lb1ELb0EPxN6thrust23THRUST_200600_302600_NS16discard_iteratorINSD_11use_defaultEEENSD_5minusIxEEEE10hipError_tPvRmT2_T3_mT4_P12ihipStream_tbEUlmE_xEESB_NS0_8identityIvEEEESJ_SM_SN_mSO_SQ_bEUlT_E_NS1_11comp_targetILNS1_3genE2ELNS1_11target_archE906ELNS1_3gpuE6ELNS1_3repE0EEENS1_30default_config_static_selectorELNS0_4arch9wavefront6targetE1EEEvT1_.uses_flat_scratch, 0
	.set _ZN7rocprim17ROCPRIM_400000_NS6detail17trampoline_kernelINS0_14default_configENS1_25transform_config_selectorIxLb0EEEZNS1_14transform_implILb0ES3_S5_NS0_18transform_iteratorINS0_17counting_iteratorImlEEZNS1_24adjacent_difference_implIS3_Lb1ELb0EPxN6thrust23THRUST_200600_302600_NS16discard_iteratorINSD_11use_defaultEEENSD_5minusIxEEEE10hipError_tPvRmT2_T3_mT4_P12ihipStream_tbEUlmE_xEESB_NS0_8identityIvEEEESJ_SM_SN_mSO_SQ_bEUlT_E_NS1_11comp_targetILNS1_3genE2ELNS1_11target_archE906ELNS1_3gpuE6ELNS1_3repE0EEENS1_30default_config_static_selectorELNS0_4arch9wavefront6targetE1EEEvT1_.has_dyn_sized_stack, 0
	.set _ZN7rocprim17ROCPRIM_400000_NS6detail17trampoline_kernelINS0_14default_configENS1_25transform_config_selectorIxLb0EEEZNS1_14transform_implILb0ES3_S5_NS0_18transform_iteratorINS0_17counting_iteratorImlEEZNS1_24adjacent_difference_implIS3_Lb1ELb0EPxN6thrust23THRUST_200600_302600_NS16discard_iteratorINSD_11use_defaultEEENSD_5minusIxEEEE10hipError_tPvRmT2_T3_mT4_P12ihipStream_tbEUlmE_xEESB_NS0_8identityIvEEEESJ_SM_SN_mSO_SQ_bEUlT_E_NS1_11comp_targetILNS1_3genE2ELNS1_11target_archE906ELNS1_3gpuE6ELNS1_3repE0EEENS1_30default_config_static_selectorELNS0_4arch9wavefront6targetE1EEEvT1_.has_recursion, 0
	.set _ZN7rocprim17ROCPRIM_400000_NS6detail17trampoline_kernelINS0_14default_configENS1_25transform_config_selectorIxLb0EEEZNS1_14transform_implILb0ES3_S5_NS0_18transform_iteratorINS0_17counting_iteratorImlEEZNS1_24adjacent_difference_implIS3_Lb1ELb0EPxN6thrust23THRUST_200600_302600_NS16discard_iteratorINSD_11use_defaultEEENSD_5minusIxEEEE10hipError_tPvRmT2_T3_mT4_P12ihipStream_tbEUlmE_xEESB_NS0_8identityIvEEEESJ_SM_SN_mSO_SQ_bEUlT_E_NS1_11comp_targetILNS1_3genE2ELNS1_11target_archE906ELNS1_3gpuE6ELNS1_3repE0EEENS1_30default_config_static_selectorELNS0_4arch9wavefront6targetE1EEEvT1_.has_indirect_call, 0
	.section	.AMDGPU.csdata,"",@progbits
; Kernel info:
; codeLenInByte = 232
; TotalNumSgprs: 16
; NumVgprs: 5
; ScratchSize: 0
; MemoryBound: 0
; FloatMode: 240
; IeeeMode: 1
; LDSByteSize: 0 bytes/workgroup (compile time only)
; SGPRBlocks: 1
; VGPRBlocks: 1
; NumSGPRsForWavesPerEU: 16
; NumVGPRsForWavesPerEU: 5
; Occupancy: 10
; WaveLimiterHint : 0
; COMPUTE_PGM_RSRC2:SCRATCH_EN: 0
; COMPUTE_PGM_RSRC2:USER_SGPR: 6
; COMPUTE_PGM_RSRC2:TRAP_HANDLER: 0
; COMPUTE_PGM_RSRC2:TGID_X_EN: 1
; COMPUTE_PGM_RSRC2:TGID_Y_EN: 0
; COMPUTE_PGM_RSRC2:TGID_Z_EN: 0
; COMPUTE_PGM_RSRC2:TIDIG_COMP_CNT: 0
	.section	.text._ZN7rocprim17ROCPRIM_400000_NS6detail17trampoline_kernelINS0_14default_configENS1_25transform_config_selectorIxLb0EEEZNS1_14transform_implILb0ES3_S5_NS0_18transform_iteratorINS0_17counting_iteratorImlEEZNS1_24adjacent_difference_implIS3_Lb1ELb0EPxN6thrust23THRUST_200600_302600_NS16discard_iteratorINSD_11use_defaultEEENSD_5minusIxEEEE10hipError_tPvRmT2_T3_mT4_P12ihipStream_tbEUlmE_xEESB_NS0_8identityIvEEEESJ_SM_SN_mSO_SQ_bEUlT_E_NS1_11comp_targetILNS1_3genE10ELNS1_11target_archE1201ELNS1_3gpuE5ELNS1_3repE0EEENS1_30default_config_static_selectorELNS0_4arch9wavefront6targetE1EEEvT1_,"axG",@progbits,_ZN7rocprim17ROCPRIM_400000_NS6detail17trampoline_kernelINS0_14default_configENS1_25transform_config_selectorIxLb0EEEZNS1_14transform_implILb0ES3_S5_NS0_18transform_iteratorINS0_17counting_iteratorImlEEZNS1_24adjacent_difference_implIS3_Lb1ELb0EPxN6thrust23THRUST_200600_302600_NS16discard_iteratorINSD_11use_defaultEEENSD_5minusIxEEEE10hipError_tPvRmT2_T3_mT4_P12ihipStream_tbEUlmE_xEESB_NS0_8identityIvEEEESJ_SM_SN_mSO_SQ_bEUlT_E_NS1_11comp_targetILNS1_3genE10ELNS1_11target_archE1201ELNS1_3gpuE5ELNS1_3repE0EEENS1_30default_config_static_selectorELNS0_4arch9wavefront6targetE1EEEvT1_,comdat
	.protected	_ZN7rocprim17ROCPRIM_400000_NS6detail17trampoline_kernelINS0_14default_configENS1_25transform_config_selectorIxLb0EEEZNS1_14transform_implILb0ES3_S5_NS0_18transform_iteratorINS0_17counting_iteratorImlEEZNS1_24adjacent_difference_implIS3_Lb1ELb0EPxN6thrust23THRUST_200600_302600_NS16discard_iteratorINSD_11use_defaultEEENSD_5minusIxEEEE10hipError_tPvRmT2_T3_mT4_P12ihipStream_tbEUlmE_xEESB_NS0_8identityIvEEEESJ_SM_SN_mSO_SQ_bEUlT_E_NS1_11comp_targetILNS1_3genE10ELNS1_11target_archE1201ELNS1_3gpuE5ELNS1_3repE0EEENS1_30default_config_static_selectorELNS0_4arch9wavefront6targetE1EEEvT1_ ; -- Begin function _ZN7rocprim17ROCPRIM_400000_NS6detail17trampoline_kernelINS0_14default_configENS1_25transform_config_selectorIxLb0EEEZNS1_14transform_implILb0ES3_S5_NS0_18transform_iteratorINS0_17counting_iteratorImlEEZNS1_24adjacent_difference_implIS3_Lb1ELb0EPxN6thrust23THRUST_200600_302600_NS16discard_iteratorINSD_11use_defaultEEENSD_5minusIxEEEE10hipError_tPvRmT2_T3_mT4_P12ihipStream_tbEUlmE_xEESB_NS0_8identityIvEEEESJ_SM_SN_mSO_SQ_bEUlT_E_NS1_11comp_targetILNS1_3genE10ELNS1_11target_archE1201ELNS1_3gpuE5ELNS1_3repE0EEENS1_30default_config_static_selectorELNS0_4arch9wavefront6targetE1EEEvT1_
	.globl	_ZN7rocprim17ROCPRIM_400000_NS6detail17trampoline_kernelINS0_14default_configENS1_25transform_config_selectorIxLb0EEEZNS1_14transform_implILb0ES3_S5_NS0_18transform_iteratorINS0_17counting_iteratorImlEEZNS1_24adjacent_difference_implIS3_Lb1ELb0EPxN6thrust23THRUST_200600_302600_NS16discard_iteratorINSD_11use_defaultEEENSD_5minusIxEEEE10hipError_tPvRmT2_T3_mT4_P12ihipStream_tbEUlmE_xEESB_NS0_8identityIvEEEESJ_SM_SN_mSO_SQ_bEUlT_E_NS1_11comp_targetILNS1_3genE10ELNS1_11target_archE1201ELNS1_3gpuE5ELNS1_3repE0EEENS1_30default_config_static_selectorELNS0_4arch9wavefront6targetE1EEEvT1_
	.p2align	8
	.type	_ZN7rocprim17ROCPRIM_400000_NS6detail17trampoline_kernelINS0_14default_configENS1_25transform_config_selectorIxLb0EEEZNS1_14transform_implILb0ES3_S5_NS0_18transform_iteratorINS0_17counting_iteratorImlEEZNS1_24adjacent_difference_implIS3_Lb1ELb0EPxN6thrust23THRUST_200600_302600_NS16discard_iteratorINSD_11use_defaultEEENSD_5minusIxEEEE10hipError_tPvRmT2_T3_mT4_P12ihipStream_tbEUlmE_xEESB_NS0_8identityIvEEEESJ_SM_SN_mSO_SQ_bEUlT_E_NS1_11comp_targetILNS1_3genE10ELNS1_11target_archE1201ELNS1_3gpuE5ELNS1_3repE0EEENS1_30default_config_static_selectorELNS0_4arch9wavefront6targetE1EEEvT1_,@function
_ZN7rocprim17ROCPRIM_400000_NS6detail17trampoline_kernelINS0_14default_configENS1_25transform_config_selectorIxLb0EEEZNS1_14transform_implILb0ES3_S5_NS0_18transform_iteratorINS0_17counting_iteratorImlEEZNS1_24adjacent_difference_implIS3_Lb1ELb0EPxN6thrust23THRUST_200600_302600_NS16discard_iteratorINSD_11use_defaultEEENSD_5minusIxEEEE10hipError_tPvRmT2_T3_mT4_P12ihipStream_tbEUlmE_xEESB_NS0_8identityIvEEEESJ_SM_SN_mSO_SQ_bEUlT_E_NS1_11comp_targetILNS1_3genE10ELNS1_11target_archE1201ELNS1_3gpuE5ELNS1_3repE0EEENS1_30default_config_static_selectorELNS0_4arch9wavefront6targetE1EEEvT1_: ; @_ZN7rocprim17ROCPRIM_400000_NS6detail17trampoline_kernelINS0_14default_configENS1_25transform_config_selectorIxLb0EEEZNS1_14transform_implILb0ES3_S5_NS0_18transform_iteratorINS0_17counting_iteratorImlEEZNS1_24adjacent_difference_implIS3_Lb1ELb0EPxN6thrust23THRUST_200600_302600_NS16discard_iteratorINSD_11use_defaultEEENSD_5minusIxEEEE10hipError_tPvRmT2_T3_mT4_P12ihipStream_tbEUlmE_xEESB_NS0_8identityIvEEEESJ_SM_SN_mSO_SQ_bEUlT_E_NS1_11comp_targetILNS1_3genE10ELNS1_11target_archE1201ELNS1_3gpuE5ELNS1_3repE0EEENS1_30default_config_static_selectorELNS0_4arch9wavefront6targetE1EEEvT1_
; %bb.0:
	.section	.rodata,"a",@progbits
	.p2align	6, 0x0
	.amdhsa_kernel _ZN7rocprim17ROCPRIM_400000_NS6detail17trampoline_kernelINS0_14default_configENS1_25transform_config_selectorIxLb0EEEZNS1_14transform_implILb0ES3_S5_NS0_18transform_iteratorINS0_17counting_iteratorImlEEZNS1_24adjacent_difference_implIS3_Lb1ELb0EPxN6thrust23THRUST_200600_302600_NS16discard_iteratorINSD_11use_defaultEEENSD_5minusIxEEEE10hipError_tPvRmT2_T3_mT4_P12ihipStream_tbEUlmE_xEESB_NS0_8identityIvEEEESJ_SM_SN_mSO_SQ_bEUlT_E_NS1_11comp_targetILNS1_3genE10ELNS1_11target_archE1201ELNS1_3gpuE5ELNS1_3repE0EEENS1_30default_config_static_selectorELNS0_4arch9wavefront6targetE1EEEvT1_
		.amdhsa_group_segment_fixed_size 0
		.amdhsa_private_segment_fixed_size 0
		.amdhsa_kernarg_size 56
		.amdhsa_user_sgpr_count 6
		.amdhsa_user_sgpr_private_segment_buffer 1
		.amdhsa_user_sgpr_dispatch_ptr 0
		.amdhsa_user_sgpr_queue_ptr 0
		.amdhsa_user_sgpr_kernarg_segment_ptr 1
		.amdhsa_user_sgpr_dispatch_id 0
		.amdhsa_user_sgpr_flat_scratch_init 0
		.amdhsa_user_sgpr_private_segment_size 0
		.amdhsa_uses_dynamic_stack 0
		.amdhsa_system_sgpr_private_segment_wavefront_offset 0
		.amdhsa_system_sgpr_workgroup_id_x 1
		.amdhsa_system_sgpr_workgroup_id_y 0
		.amdhsa_system_sgpr_workgroup_id_z 0
		.amdhsa_system_sgpr_workgroup_info 0
		.amdhsa_system_vgpr_workitem_id 0
		.amdhsa_next_free_vgpr 1
		.amdhsa_next_free_sgpr 0
		.amdhsa_reserve_vcc 0
		.amdhsa_reserve_flat_scratch 0
		.amdhsa_float_round_mode_32 0
		.amdhsa_float_round_mode_16_64 0
		.amdhsa_float_denorm_mode_32 3
		.amdhsa_float_denorm_mode_16_64 3
		.amdhsa_dx10_clamp 1
		.amdhsa_ieee_mode 1
		.amdhsa_fp16_overflow 0
		.amdhsa_exception_fp_ieee_invalid_op 0
		.amdhsa_exception_fp_denorm_src 0
		.amdhsa_exception_fp_ieee_div_zero 0
		.amdhsa_exception_fp_ieee_overflow 0
		.amdhsa_exception_fp_ieee_underflow 0
		.amdhsa_exception_fp_ieee_inexact 0
		.amdhsa_exception_int_div_zero 0
	.end_amdhsa_kernel
	.section	.text._ZN7rocprim17ROCPRIM_400000_NS6detail17trampoline_kernelINS0_14default_configENS1_25transform_config_selectorIxLb0EEEZNS1_14transform_implILb0ES3_S5_NS0_18transform_iteratorINS0_17counting_iteratorImlEEZNS1_24adjacent_difference_implIS3_Lb1ELb0EPxN6thrust23THRUST_200600_302600_NS16discard_iteratorINSD_11use_defaultEEENSD_5minusIxEEEE10hipError_tPvRmT2_T3_mT4_P12ihipStream_tbEUlmE_xEESB_NS0_8identityIvEEEESJ_SM_SN_mSO_SQ_bEUlT_E_NS1_11comp_targetILNS1_3genE10ELNS1_11target_archE1201ELNS1_3gpuE5ELNS1_3repE0EEENS1_30default_config_static_selectorELNS0_4arch9wavefront6targetE1EEEvT1_,"axG",@progbits,_ZN7rocprim17ROCPRIM_400000_NS6detail17trampoline_kernelINS0_14default_configENS1_25transform_config_selectorIxLb0EEEZNS1_14transform_implILb0ES3_S5_NS0_18transform_iteratorINS0_17counting_iteratorImlEEZNS1_24adjacent_difference_implIS3_Lb1ELb0EPxN6thrust23THRUST_200600_302600_NS16discard_iteratorINSD_11use_defaultEEENSD_5minusIxEEEE10hipError_tPvRmT2_T3_mT4_P12ihipStream_tbEUlmE_xEESB_NS0_8identityIvEEEESJ_SM_SN_mSO_SQ_bEUlT_E_NS1_11comp_targetILNS1_3genE10ELNS1_11target_archE1201ELNS1_3gpuE5ELNS1_3repE0EEENS1_30default_config_static_selectorELNS0_4arch9wavefront6targetE1EEEvT1_,comdat
.Lfunc_end863:
	.size	_ZN7rocprim17ROCPRIM_400000_NS6detail17trampoline_kernelINS0_14default_configENS1_25transform_config_selectorIxLb0EEEZNS1_14transform_implILb0ES3_S5_NS0_18transform_iteratorINS0_17counting_iteratorImlEEZNS1_24adjacent_difference_implIS3_Lb1ELb0EPxN6thrust23THRUST_200600_302600_NS16discard_iteratorINSD_11use_defaultEEENSD_5minusIxEEEE10hipError_tPvRmT2_T3_mT4_P12ihipStream_tbEUlmE_xEESB_NS0_8identityIvEEEESJ_SM_SN_mSO_SQ_bEUlT_E_NS1_11comp_targetILNS1_3genE10ELNS1_11target_archE1201ELNS1_3gpuE5ELNS1_3repE0EEENS1_30default_config_static_selectorELNS0_4arch9wavefront6targetE1EEEvT1_, .Lfunc_end863-_ZN7rocprim17ROCPRIM_400000_NS6detail17trampoline_kernelINS0_14default_configENS1_25transform_config_selectorIxLb0EEEZNS1_14transform_implILb0ES3_S5_NS0_18transform_iteratorINS0_17counting_iteratorImlEEZNS1_24adjacent_difference_implIS3_Lb1ELb0EPxN6thrust23THRUST_200600_302600_NS16discard_iteratorINSD_11use_defaultEEENSD_5minusIxEEEE10hipError_tPvRmT2_T3_mT4_P12ihipStream_tbEUlmE_xEESB_NS0_8identityIvEEEESJ_SM_SN_mSO_SQ_bEUlT_E_NS1_11comp_targetILNS1_3genE10ELNS1_11target_archE1201ELNS1_3gpuE5ELNS1_3repE0EEENS1_30default_config_static_selectorELNS0_4arch9wavefront6targetE1EEEvT1_
                                        ; -- End function
	.set _ZN7rocprim17ROCPRIM_400000_NS6detail17trampoline_kernelINS0_14default_configENS1_25transform_config_selectorIxLb0EEEZNS1_14transform_implILb0ES3_S5_NS0_18transform_iteratorINS0_17counting_iteratorImlEEZNS1_24adjacent_difference_implIS3_Lb1ELb0EPxN6thrust23THRUST_200600_302600_NS16discard_iteratorINSD_11use_defaultEEENSD_5minusIxEEEE10hipError_tPvRmT2_T3_mT4_P12ihipStream_tbEUlmE_xEESB_NS0_8identityIvEEEESJ_SM_SN_mSO_SQ_bEUlT_E_NS1_11comp_targetILNS1_3genE10ELNS1_11target_archE1201ELNS1_3gpuE5ELNS1_3repE0EEENS1_30default_config_static_selectorELNS0_4arch9wavefront6targetE1EEEvT1_.num_vgpr, 0
	.set _ZN7rocprim17ROCPRIM_400000_NS6detail17trampoline_kernelINS0_14default_configENS1_25transform_config_selectorIxLb0EEEZNS1_14transform_implILb0ES3_S5_NS0_18transform_iteratorINS0_17counting_iteratorImlEEZNS1_24adjacent_difference_implIS3_Lb1ELb0EPxN6thrust23THRUST_200600_302600_NS16discard_iteratorINSD_11use_defaultEEENSD_5minusIxEEEE10hipError_tPvRmT2_T3_mT4_P12ihipStream_tbEUlmE_xEESB_NS0_8identityIvEEEESJ_SM_SN_mSO_SQ_bEUlT_E_NS1_11comp_targetILNS1_3genE10ELNS1_11target_archE1201ELNS1_3gpuE5ELNS1_3repE0EEENS1_30default_config_static_selectorELNS0_4arch9wavefront6targetE1EEEvT1_.num_agpr, 0
	.set _ZN7rocprim17ROCPRIM_400000_NS6detail17trampoline_kernelINS0_14default_configENS1_25transform_config_selectorIxLb0EEEZNS1_14transform_implILb0ES3_S5_NS0_18transform_iteratorINS0_17counting_iteratorImlEEZNS1_24adjacent_difference_implIS3_Lb1ELb0EPxN6thrust23THRUST_200600_302600_NS16discard_iteratorINSD_11use_defaultEEENSD_5minusIxEEEE10hipError_tPvRmT2_T3_mT4_P12ihipStream_tbEUlmE_xEESB_NS0_8identityIvEEEESJ_SM_SN_mSO_SQ_bEUlT_E_NS1_11comp_targetILNS1_3genE10ELNS1_11target_archE1201ELNS1_3gpuE5ELNS1_3repE0EEENS1_30default_config_static_selectorELNS0_4arch9wavefront6targetE1EEEvT1_.numbered_sgpr, 0
	.set _ZN7rocprim17ROCPRIM_400000_NS6detail17trampoline_kernelINS0_14default_configENS1_25transform_config_selectorIxLb0EEEZNS1_14transform_implILb0ES3_S5_NS0_18transform_iteratorINS0_17counting_iteratorImlEEZNS1_24adjacent_difference_implIS3_Lb1ELb0EPxN6thrust23THRUST_200600_302600_NS16discard_iteratorINSD_11use_defaultEEENSD_5minusIxEEEE10hipError_tPvRmT2_T3_mT4_P12ihipStream_tbEUlmE_xEESB_NS0_8identityIvEEEESJ_SM_SN_mSO_SQ_bEUlT_E_NS1_11comp_targetILNS1_3genE10ELNS1_11target_archE1201ELNS1_3gpuE5ELNS1_3repE0EEENS1_30default_config_static_selectorELNS0_4arch9wavefront6targetE1EEEvT1_.num_named_barrier, 0
	.set _ZN7rocprim17ROCPRIM_400000_NS6detail17trampoline_kernelINS0_14default_configENS1_25transform_config_selectorIxLb0EEEZNS1_14transform_implILb0ES3_S5_NS0_18transform_iteratorINS0_17counting_iteratorImlEEZNS1_24adjacent_difference_implIS3_Lb1ELb0EPxN6thrust23THRUST_200600_302600_NS16discard_iteratorINSD_11use_defaultEEENSD_5minusIxEEEE10hipError_tPvRmT2_T3_mT4_P12ihipStream_tbEUlmE_xEESB_NS0_8identityIvEEEESJ_SM_SN_mSO_SQ_bEUlT_E_NS1_11comp_targetILNS1_3genE10ELNS1_11target_archE1201ELNS1_3gpuE5ELNS1_3repE0EEENS1_30default_config_static_selectorELNS0_4arch9wavefront6targetE1EEEvT1_.private_seg_size, 0
	.set _ZN7rocprim17ROCPRIM_400000_NS6detail17trampoline_kernelINS0_14default_configENS1_25transform_config_selectorIxLb0EEEZNS1_14transform_implILb0ES3_S5_NS0_18transform_iteratorINS0_17counting_iteratorImlEEZNS1_24adjacent_difference_implIS3_Lb1ELb0EPxN6thrust23THRUST_200600_302600_NS16discard_iteratorINSD_11use_defaultEEENSD_5minusIxEEEE10hipError_tPvRmT2_T3_mT4_P12ihipStream_tbEUlmE_xEESB_NS0_8identityIvEEEESJ_SM_SN_mSO_SQ_bEUlT_E_NS1_11comp_targetILNS1_3genE10ELNS1_11target_archE1201ELNS1_3gpuE5ELNS1_3repE0EEENS1_30default_config_static_selectorELNS0_4arch9wavefront6targetE1EEEvT1_.uses_vcc, 0
	.set _ZN7rocprim17ROCPRIM_400000_NS6detail17trampoline_kernelINS0_14default_configENS1_25transform_config_selectorIxLb0EEEZNS1_14transform_implILb0ES3_S5_NS0_18transform_iteratorINS0_17counting_iteratorImlEEZNS1_24adjacent_difference_implIS3_Lb1ELb0EPxN6thrust23THRUST_200600_302600_NS16discard_iteratorINSD_11use_defaultEEENSD_5minusIxEEEE10hipError_tPvRmT2_T3_mT4_P12ihipStream_tbEUlmE_xEESB_NS0_8identityIvEEEESJ_SM_SN_mSO_SQ_bEUlT_E_NS1_11comp_targetILNS1_3genE10ELNS1_11target_archE1201ELNS1_3gpuE5ELNS1_3repE0EEENS1_30default_config_static_selectorELNS0_4arch9wavefront6targetE1EEEvT1_.uses_flat_scratch, 0
	.set _ZN7rocprim17ROCPRIM_400000_NS6detail17trampoline_kernelINS0_14default_configENS1_25transform_config_selectorIxLb0EEEZNS1_14transform_implILb0ES3_S5_NS0_18transform_iteratorINS0_17counting_iteratorImlEEZNS1_24adjacent_difference_implIS3_Lb1ELb0EPxN6thrust23THRUST_200600_302600_NS16discard_iteratorINSD_11use_defaultEEENSD_5minusIxEEEE10hipError_tPvRmT2_T3_mT4_P12ihipStream_tbEUlmE_xEESB_NS0_8identityIvEEEESJ_SM_SN_mSO_SQ_bEUlT_E_NS1_11comp_targetILNS1_3genE10ELNS1_11target_archE1201ELNS1_3gpuE5ELNS1_3repE0EEENS1_30default_config_static_selectorELNS0_4arch9wavefront6targetE1EEEvT1_.has_dyn_sized_stack, 0
	.set _ZN7rocprim17ROCPRIM_400000_NS6detail17trampoline_kernelINS0_14default_configENS1_25transform_config_selectorIxLb0EEEZNS1_14transform_implILb0ES3_S5_NS0_18transform_iteratorINS0_17counting_iteratorImlEEZNS1_24adjacent_difference_implIS3_Lb1ELb0EPxN6thrust23THRUST_200600_302600_NS16discard_iteratorINSD_11use_defaultEEENSD_5minusIxEEEE10hipError_tPvRmT2_T3_mT4_P12ihipStream_tbEUlmE_xEESB_NS0_8identityIvEEEESJ_SM_SN_mSO_SQ_bEUlT_E_NS1_11comp_targetILNS1_3genE10ELNS1_11target_archE1201ELNS1_3gpuE5ELNS1_3repE0EEENS1_30default_config_static_selectorELNS0_4arch9wavefront6targetE1EEEvT1_.has_recursion, 0
	.set _ZN7rocprim17ROCPRIM_400000_NS6detail17trampoline_kernelINS0_14default_configENS1_25transform_config_selectorIxLb0EEEZNS1_14transform_implILb0ES3_S5_NS0_18transform_iteratorINS0_17counting_iteratorImlEEZNS1_24adjacent_difference_implIS3_Lb1ELb0EPxN6thrust23THRUST_200600_302600_NS16discard_iteratorINSD_11use_defaultEEENSD_5minusIxEEEE10hipError_tPvRmT2_T3_mT4_P12ihipStream_tbEUlmE_xEESB_NS0_8identityIvEEEESJ_SM_SN_mSO_SQ_bEUlT_E_NS1_11comp_targetILNS1_3genE10ELNS1_11target_archE1201ELNS1_3gpuE5ELNS1_3repE0EEENS1_30default_config_static_selectorELNS0_4arch9wavefront6targetE1EEEvT1_.has_indirect_call, 0
	.section	.AMDGPU.csdata,"",@progbits
; Kernel info:
; codeLenInByte = 0
; TotalNumSgprs: 4
; NumVgprs: 0
; ScratchSize: 0
; MemoryBound: 0
; FloatMode: 240
; IeeeMode: 1
; LDSByteSize: 0 bytes/workgroup (compile time only)
; SGPRBlocks: 0
; VGPRBlocks: 0
; NumSGPRsForWavesPerEU: 4
; NumVGPRsForWavesPerEU: 1
; Occupancy: 10
; WaveLimiterHint : 0
; COMPUTE_PGM_RSRC2:SCRATCH_EN: 0
; COMPUTE_PGM_RSRC2:USER_SGPR: 6
; COMPUTE_PGM_RSRC2:TRAP_HANDLER: 0
; COMPUTE_PGM_RSRC2:TGID_X_EN: 1
; COMPUTE_PGM_RSRC2:TGID_Y_EN: 0
; COMPUTE_PGM_RSRC2:TGID_Z_EN: 0
; COMPUTE_PGM_RSRC2:TIDIG_COMP_CNT: 0
	.section	.text._ZN7rocprim17ROCPRIM_400000_NS6detail17trampoline_kernelINS0_14default_configENS1_25transform_config_selectorIxLb0EEEZNS1_14transform_implILb0ES3_S5_NS0_18transform_iteratorINS0_17counting_iteratorImlEEZNS1_24adjacent_difference_implIS3_Lb1ELb0EPxN6thrust23THRUST_200600_302600_NS16discard_iteratorINSD_11use_defaultEEENSD_5minusIxEEEE10hipError_tPvRmT2_T3_mT4_P12ihipStream_tbEUlmE_xEESB_NS0_8identityIvEEEESJ_SM_SN_mSO_SQ_bEUlT_E_NS1_11comp_targetILNS1_3genE10ELNS1_11target_archE1200ELNS1_3gpuE4ELNS1_3repE0EEENS1_30default_config_static_selectorELNS0_4arch9wavefront6targetE1EEEvT1_,"axG",@progbits,_ZN7rocprim17ROCPRIM_400000_NS6detail17trampoline_kernelINS0_14default_configENS1_25transform_config_selectorIxLb0EEEZNS1_14transform_implILb0ES3_S5_NS0_18transform_iteratorINS0_17counting_iteratorImlEEZNS1_24adjacent_difference_implIS3_Lb1ELb0EPxN6thrust23THRUST_200600_302600_NS16discard_iteratorINSD_11use_defaultEEENSD_5minusIxEEEE10hipError_tPvRmT2_T3_mT4_P12ihipStream_tbEUlmE_xEESB_NS0_8identityIvEEEESJ_SM_SN_mSO_SQ_bEUlT_E_NS1_11comp_targetILNS1_3genE10ELNS1_11target_archE1200ELNS1_3gpuE4ELNS1_3repE0EEENS1_30default_config_static_selectorELNS0_4arch9wavefront6targetE1EEEvT1_,comdat
	.protected	_ZN7rocprim17ROCPRIM_400000_NS6detail17trampoline_kernelINS0_14default_configENS1_25transform_config_selectorIxLb0EEEZNS1_14transform_implILb0ES3_S5_NS0_18transform_iteratorINS0_17counting_iteratorImlEEZNS1_24adjacent_difference_implIS3_Lb1ELb0EPxN6thrust23THRUST_200600_302600_NS16discard_iteratorINSD_11use_defaultEEENSD_5minusIxEEEE10hipError_tPvRmT2_T3_mT4_P12ihipStream_tbEUlmE_xEESB_NS0_8identityIvEEEESJ_SM_SN_mSO_SQ_bEUlT_E_NS1_11comp_targetILNS1_3genE10ELNS1_11target_archE1200ELNS1_3gpuE4ELNS1_3repE0EEENS1_30default_config_static_selectorELNS0_4arch9wavefront6targetE1EEEvT1_ ; -- Begin function _ZN7rocprim17ROCPRIM_400000_NS6detail17trampoline_kernelINS0_14default_configENS1_25transform_config_selectorIxLb0EEEZNS1_14transform_implILb0ES3_S5_NS0_18transform_iteratorINS0_17counting_iteratorImlEEZNS1_24adjacent_difference_implIS3_Lb1ELb0EPxN6thrust23THRUST_200600_302600_NS16discard_iteratorINSD_11use_defaultEEENSD_5minusIxEEEE10hipError_tPvRmT2_T3_mT4_P12ihipStream_tbEUlmE_xEESB_NS0_8identityIvEEEESJ_SM_SN_mSO_SQ_bEUlT_E_NS1_11comp_targetILNS1_3genE10ELNS1_11target_archE1200ELNS1_3gpuE4ELNS1_3repE0EEENS1_30default_config_static_selectorELNS0_4arch9wavefront6targetE1EEEvT1_
	.globl	_ZN7rocprim17ROCPRIM_400000_NS6detail17trampoline_kernelINS0_14default_configENS1_25transform_config_selectorIxLb0EEEZNS1_14transform_implILb0ES3_S5_NS0_18transform_iteratorINS0_17counting_iteratorImlEEZNS1_24adjacent_difference_implIS3_Lb1ELb0EPxN6thrust23THRUST_200600_302600_NS16discard_iteratorINSD_11use_defaultEEENSD_5minusIxEEEE10hipError_tPvRmT2_T3_mT4_P12ihipStream_tbEUlmE_xEESB_NS0_8identityIvEEEESJ_SM_SN_mSO_SQ_bEUlT_E_NS1_11comp_targetILNS1_3genE10ELNS1_11target_archE1200ELNS1_3gpuE4ELNS1_3repE0EEENS1_30default_config_static_selectorELNS0_4arch9wavefront6targetE1EEEvT1_
	.p2align	8
	.type	_ZN7rocprim17ROCPRIM_400000_NS6detail17trampoline_kernelINS0_14default_configENS1_25transform_config_selectorIxLb0EEEZNS1_14transform_implILb0ES3_S5_NS0_18transform_iteratorINS0_17counting_iteratorImlEEZNS1_24adjacent_difference_implIS3_Lb1ELb0EPxN6thrust23THRUST_200600_302600_NS16discard_iteratorINSD_11use_defaultEEENSD_5minusIxEEEE10hipError_tPvRmT2_T3_mT4_P12ihipStream_tbEUlmE_xEESB_NS0_8identityIvEEEESJ_SM_SN_mSO_SQ_bEUlT_E_NS1_11comp_targetILNS1_3genE10ELNS1_11target_archE1200ELNS1_3gpuE4ELNS1_3repE0EEENS1_30default_config_static_selectorELNS0_4arch9wavefront6targetE1EEEvT1_,@function
_ZN7rocprim17ROCPRIM_400000_NS6detail17trampoline_kernelINS0_14default_configENS1_25transform_config_selectorIxLb0EEEZNS1_14transform_implILb0ES3_S5_NS0_18transform_iteratorINS0_17counting_iteratorImlEEZNS1_24adjacent_difference_implIS3_Lb1ELb0EPxN6thrust23THRUST_200600_302600_NS16discard_iteratorINSD_11use_defaultEEENSD_5minusIxEEEE10hipError_tPvRmT2_T3_mT4_P12ihipStream_tbEUlmE_xEESB_NS0_8identityIvEEEESJ_SM_SN_mSO_SQ_bEUlT_E_NS1_11comp_targetILNS1_3genE10ELNS1_11target_archE1200ELNS1_3gpuE4ELNS1_3repE0EEENS1_30default_config_static_selectorELNS0_4arch9wavefront6targetE1EEEvT1_: ; @_ZN7rocprim17ROCPRIM_400000_NS6detail17trampoline_kernelINS0_14default_configENS1_25transform_config_selectorIxLb0EEEZNS1_14transform_implILb0ES3_S5_NS0_18transform_iteratorINS0_17counting_iteratorImlEEZNS1_24adjacent_difference_implIS3_Lb1ELb0EPxN6thrust23THRUST_200600_302600_NS16discard_iteratorINSD_11use_defaultEEENSD_5minusIxEEEE10hipError_tPvRmT2_T3_mT4_P12ihipStream_tbEUlmE_xEESB_NS0_8identityIvEEEESJ_SM_SN_mSO_SQ_bEUlT_E_NS1_11comp_targetILNS1_3genE10ELNS1_11target_archE1200ELNS1_3gpuE4ELNS1_3repE0EEENS1_30default_config_static_selectorELNS0_4arch9wavefront6targetE1EEEvT1_
; %bb.0:
	.section	.rodata,"a",@progbits
	.p2align	6, 0x0
	.amdhsa_kernel _ZN7rocprim17ROCPRIM_400000_NS6detail17trampoline_kernelINS0_14default_configENS1_25transform_config_selectorIxLb0EEEZNS1_14transform_implILb0ES3_S5_NS0_18transform_iteratorINS0_17counting_iteratorImlEEZNS1_24adjacent_difference_implIS3_Lb1ELb0EPxN6thrust23THRUST_200600_302600_NS16discard_iteratorINSD_11use_defaultEEENSD_5minusIxEEEE10hipError_tPvRmT2_T3_mT4_P12ihipStream_tbEUlmE_xEESB_NS0_8identityIvEEEESJ_SM_SN_mSO_SQ_bEUlT_E_NS1_11comp_targetILNS1_3genE10ELNS1_11target_archE1200ELNS1_3gpuE4ELNS1_3repE0EEENS1_30default_config_static_selectorELNS0_4arch9wavefront6targetE1EEEvT1_
		.amdhsa_group_segment_fixed_size 0
		.amdhsa_private_segment_fixed_size 0
		.amdhsa_kernarg_size 56
		.amdhsa_user_sgpr_count 6
		.amdhsa_user_sgpr_private_segment_buffer 1
		.amdhsa_user_sgpr_dispatch_ptr 0
		.amdhsa_user_sgpr_queue_ptr 0
		.amdhsa_user_sgpr_kernarg_segment_ptr 1
		.amdhsa_user_sgpr_dispatch_id 0
		.amdhsa_user_sgpr_flat_scratch_init 0
		.amdhsa_user_sgpr_private_segment_size 0
		.amdhsa_uses_dynamic_stack 0
		.amdhsa_system_sgpr_private_segment_wavefront_offset 0
		.amdhsa_system_sgpr_workgroup_id_x 1
		.amdhsa_system_sgpr_workgroup_id_y 0
		.amdhsa_system_sgpr_workgroup_id_z 0
		.amdhsa_system_sgpr_workgroup_info 0
		.amdhsa_system_vgpr_workitem_id 0
		.amdhsa_next_free_vgpr 1
		.amdhsa_next_free_sgpr 0
		.amdhsa_reserve_vcc 0
		.amdhsa_reserve_flat_scratch 0
		.amdhsa_float_round_mode_32 0
		.amdhsa_float_round_mode_16_64 0
		.amdhsa_float_denorm_mode_32 3
		.amdhsa_float_denorm_mode_16_64 3
		.amdhsa_dx10_clamp 1
		.amdhsa_ieee_mode 1
		.amdhsa_fp16_overflow 0
		.amdhsa_exception_fp_ieee_invalid_op 0
		.amdhsa_exception_fp_denorm_src 0
		.amdhsa_exception_fp_ieee_div_zero 0
		.amdhsa_exception_fp_ieee_overflow 0
		.amdhsa_exception_fp_ieee_underflow 0
		.amdhsa_exception_fp_ieee_inexact 0
		.amdhsa_exception_int_div_zero 0
	.end_amdhsa_kernel
	.section	.text._ZN7rocprim17ROCPRIM_400000_NS6detail17trampoline_kernelINS0_14default_configENS1_25transform_config_selectorIxLb0EEEZNS1_14transform_implILb0ES3_S5_NS0_18transform_iteratorINS0_17counting_iteratorImlEEZNS1_24adjacent_difference_implIS3_Lb1ELb0EPxN6thrust23THRUST_200600_302600_NS16discard_iteratorINSD_11use_defaultEEENSD_5minusIxEEEE10hipError_tPvRmT2_T3_mT4_P12ihipStream_tbEUlmE_xEESB_NS0_8identityIvEEEESJ_SM_SN_mSO_SQ_bEUlT_E_NS1_11comp_targetILNS1_3genE10ELNS1_11target_archE1200ELNS1_3gpuE4ELNS1_3repE0EEENS1_30default_config_static_selectorELNS0_4arch9wavefront6targetE1EEEvT1_,"axG",@progbits,_ZN7rocprim17ROCPRIM_400000_NS6detail17trampoline_kernelINS0_14default_configENS1_25transform_config_selectorIxLb0EEEZNS1_14transform_implILb0ES3_S5_NS0_18transform_iteratorINS0_17counting_iteratorImlEEZNS1_24adjacent_difference_implIS3_Lb1ELb0EPxN6thrust23THRUST_200600_302600_NS16discard_iteratorINSD_11use_defaultEEENSD_5minusIxEEEE10hipError_tPvRmT2_T3_mT4_P12ihipStream_tbEUlmE_xEESB_NS0_8identityIvEEEESJ_SM_SN_mSO_SQ_bEUlT_E_NS1_11comp_targetILNS1_3genE10ELNS1_11target_archE1200ELNS1_3gpuE4ELNS1_3repE0EEENS1_30default_config_static_selectorELNS0_4arch9wavefront6targetE1EEEvT1_,comdat
.Lfunc_end864:
	.size	_ZN7rocprim17ROCPRIM_400000_NS6detail17trampoline_kernelINS0_14default_configENS1_25transform_config_selectorIxLb0EEEZNS1_14transform_implILb0ES3_S5_NS0_18transform_iteratorINS0_17counting_iteratorImlEEZNS1_24adjacent_difference_implIS3_Lb1ELb0EPxN6thrust23THRUST_200600_302600_NS16discard_iteratorINSD_11use_defaultEEENSD_5minusIxEEEE10hipError_tPvRmT2_T3_mT4_P12ihipStream_tbEUlmE_xEESB_NS0_8identityIvEEEESJ_SM_SN_mSO_SQ_bEUlT_E_NS1_11comp_targetILNS1_3genE10ELNS1_11target_archE1200ELNS1_3gpuE4ELNS1_3repE0EEENS1_30default_config_static_selectorELNS0_4arch9wavefront6targetE1EEEvT1_, .Lfunc_end864-_ZN7rocprim17ROCPRIM_400000_NS6detail17trampoline_kernelINS0_14default_configENS1_25transform_config_selectorIxLb0EEEZNS1_14transform_implILb0ES3_S5_NS0_18transform_iteratorINS0_17counting_iteratorImlEEZNS1_24adjacent_difference_implIS3_Lb1ELb0EPxN6thrust23THRUST_200600_302600_NS16discard_iteratorINSD_11use_defaultEEENSD_5minusIxEEEE10hipError_tPvRmT2_T3_mT4_P12ihipStream_tbEUlmE_xEESB_NS0_8identityIvEEEESJ_SM_SN_mSO_SQ_bEUlT_E_NS1_11comp_targetILNS1_3genE10ELNS1_11target_archE1200ELNS1_3gpuE4ELNS1_3repE0EEENS1_30default_config_static_selectorELNS0_4arch9wavefront6targetE1EEEvT1_
                                        ; -- End function
	.set _ZN7rocprim17ROCPRIM_400000_NS6detail17trampoline_kernelINS0_14default_configENS1_25transform_config_selectorIxLb0EEEZNS1_14transform_implILb0ES3_S5_NS0_18transform_iteratorINS0_17counting_iteratorImlEEZNS1_24adjacent_difference_implIS3_Lb1ELb0EPxN6thrust23THRUST_200600_302600_NS16discard_iteratorINSD_11use_defaultEEENSD_5minusIxEEEE10hipError_tPvRmT2_T3_mT4_P12ihipStream_tbEUlmE_xEESB_NS0_8identityIvEEEESJ_SM_SN_mSO_SQ_bEUlT_E_NS1_11comp_targetILNS1_3genE10ELNS1_11target_archE1200ELNS1_3gpuE4ELNS1_3repE0EEENS1_30default_config_static_selectorELNS0_4arch9wavefront6targetE1EEEvT1_.num_vgpr, 0
	.set _ZN7rocprim17ROCPRIM_400000_NS6detail17trampoline_kernelINS0_14default_configENS1_25transform_config_selectorIxLb0EEEZNS1_14transform_implILb0ES3_S5_NS0_18transform_iteratorINS0_17counting_iteratorImlEEZNS1_24adjacent_difference_implIS3_Lb1ELb0EPxN6thrust23THRUST_200600_302600_NS16discard_iteratorINSD_11use_defaultEEENSD_5minusIxEEEE10hipError_tPvRmT2_T3_mT4_P12ihipStream_tbEUlmE_xEESB_NS0_8identityIvEEEESJ_SM_SN_mSO_SQ_bEUlT_E_NS1_11comp_targetILNS1_3genE10ELNS1_11target_archE1200ELNS1_3gpuE4ELNS1_3repE0EEENS1_30default_config_static_selectorELNS0_4arch9wavefront6targetE1EEEvT1_.num_agpr, 0
	.set _ZN7rocprim17ROCPRIM_400000_NS6detail17trampoline_kernelINS0_14default_configENS1_25transform_config_selectorIxLb0EEEZNS1_14transform_implILb0ES3_S5_NS0_18transform_iteratorINS0_17counting_iteratorImlEEZNS1_24adjacent_difference_implIS3_Lb1ELb0EPxN6thrust23THRUST_200600_302600_NS16discard_iteratorINSD_11use_defaultEEENSD_5minusIxEEEE10hipError_tPvRmT2_T3_mT4_P12ihipStream_tbEUlmE_xEESB_NS0_8identityIvEEEESJ_SM_SN_mSO_SQ_bEUlT_E_NS1_11comp_targetILNS1_3genE10ELNS1_11target_archE1200ELNS1_3gpuE4ELNS1_3repE0EEENS1_30default_config_static_selectorELNS0_4arch9wavefront6targetE1EEEvT1_.numbered_sgpr, 0
	.set _ZN7rocprim17ROCPRIM_400000_NS6detail17trampoline_kernelINS0_14default_configENS1_25transform_config_selectorIxLb0EEEZNS1_14transform_implILb0ES3_S5_NS0_18transform_iteratorINS0_17counting_iteratorImlEEZNS1_24adjacent_difference_implIS3_Lb1ELb0EPxN6thrust23THRUST_200600_302600_NS16discard_iteratorINSD_11use_defaultEEENSD_5minusIxEEEE10hipError_tPvRmT2_T3_mT4_P12ihipStream_tbEUlmE_xEESB_NS0_8identityIvEEEESJ_SM_SN_mSO_SQ_bEUlT_E_NS1_11comp_targetILNS1_3genE10ELNS1_11target_archE1200ELNS1_3gpuE4ELNS1_3repE0EEENS1_30default_config_static_selectorELNS0_4arch9wavefront6targetE1EEEvT1_.num_named_barrier, 0
	.set _ZN7rocprim17ROCPRIM_400000_NS6detail17trampoline_kernelINS0_14default_configENS1_25transform_config_selectorIxLb0EEEZNS1_14transform_implILb0ES3_S5_NS0_18transform_iteratorINS0_17counting_iteratorImlEEZNS1_24adjacent_difference_implIS3_Lb1ELb0EPxN6thrust23THRUST_200600_302600_NS16discard_iteratorINSD_11use_defaultEEENSD_5minusIxEEEE10hipError_tPvRmT2_T3_mT4_P12ihipStream_tbEUlmE_xEESB_NS0_8identityIvEEEESJ_SM_SN_mSO_SQ_bEUlT_E_NS1_11comp_targetILNS1_3genE10ELNS1_11target_archE1200ELNS1_3gpuE4ELNS1_3repE0EEENS1_30default_config_static_selectorELNS0_4arch9wavefront6targetE1EEEvT1_.private_seg_size, 0
	.set _ZN7rocprim17ROCPRIM_400000_NS6detail17trampoline_kernelINS0_14default_configENS1_25transform_config_selectorIxLb0EEEZNS1_14transform_implILb0ES3_S5_NS0_18transform_iteratorINS0_17counting_iteratorImlEEZNS1_24adjacent_difference_implIS3_Lb1ELb0EPxN6thrust23THRUST_200600_302600_NS16discard_iteratorINSD_11use_defaultEEENSD_5minusIxEEEE10hipError_tPvRmT2_T3_mT4_P12ihipStream_tbEUlmE_xEESB_NS0_8identityIvEEEESJ_SM_SN_mSO_SQ_bEUlT_E_NS1_11comp_targetILNS1_3genE10ELNS1_11target_archE1200ELNS1_3gpuE4ELNS1_3repE0EEENS1_30default_config_static_selectorELNS0_4arch9wavefront6targetE1EEEvT1_.uses_vcc, 0
	.set _ZN7rocprim17ROCPRIM_400000_NS6detail17trampoline_kernelINS0_14default_configENS1_25transform_config_selectorIxLb0EEEZNS1_14transform_implILb0ES3_S5_NS0_18transform_iteratorINS0_17counting_iteratorImlEEZNS1_24adjacent_difference_implIS3_Lb1ELb0EPxN6thrust23THRUST_200600_302600_NS16discard_iteratorINSD_11use_defaultEEENSD_5minusIxEEEE10hipError_tPvRmT2_T3_mT4_P12ihipStream_tbEUlmE_xEESB_NS0_8identityIvEEEESJ_SM_SN_mSO_SQ_bEUlT_E_NS1_11comp_targetILNS1_3genE10ELNS1_11target_archE1200ELNS1_3gpuE4ELNS1_3repE0EEENS1_30default_config_static_selectorELNS0_4arch9wavefront6targetE1EEEvT1_.uses_flat_scratch, 0
	.set _ZN7rocprim17ROCPRIM_400000_NS6detail17trampoline_kernelINS0_14default_configENS1_25transform_config_selectorIxLb0EEEZNS1_14transform_implILb0ES3_S5_NS0_18transform_iteratorINS0_17counting_iteratorImlEEZNS1_24adjacent_difference_implIS3_Lb1ELb0EPxN6thrust23THRUST_200600_302600_NS16discard_iteratorINSD_11use_defaultEEENSD_5minusIxEEEE10hipError_tPvRmT2_T3_mT4_P12ihipStream_tbEUlmE_xEESB_NS0_8identityIvEEEESJ_SM_SN_mSO_SQ_bEUlT_E_NS1_11comp_targetILNS1_3genE10ELNS1_11target_archE1200ELNS1_3gpuE4ELNS1_3repE0EEENS1_30default_config_static_selectorELNS0_4arch9wavefront6targetE1EEEvT1_.has_dyn_sized_stack, 0
	.set _ZN7rocprim17ROCPRIM_400000_NS6detail17trampoline_kernelINS0_14default_configENS1_25transform_config_selectorIxLb0EEEZNS1_14transform_implILb0ES3_S5_NS0_18transform_iteratorINS0_17counting_iteratorImlEEZNS1_24adjacent_difference_implIS3_Lb1ELb0EPxN6thrust23THRUST_200600_302600_NS16discard_iteratorINSD_11use_defaultEEENSD_5minusIxEEEE10hipError_tPvRmT2_T3_mT4_P12ihipStream_tbEUlmE_xEESB_NS0_8identityIvEEEESJ_SM_SN_mSO_SQ_bEUlT_E_NS1_11comp_targetILNS1_3genE10ELNS1_11target_archE1200ELNS1_3gpuE4ELNS1_3repE0EEENS1_30default_config_static_selectorELNS0_4arch9wavefront6targetE1EEEvT1_.has_recursion, 0
	.set _ZN7rocprim17ROCPRIM_400000_NS6detail17trampoline_kernelINS0_14default_configENS1_25transform_config_selectorIxLb0EEEZNS1_14transform_implILb0ES3_S5_NS0_18transform_iteratorINS0_17counting_iteratorImlEEZNS1_24adjacent_difference_implIS3_Lb1ELb0EPxN6thrust23THRUST_200600_302600_NS16discard_iteratorINSD_11use_defaultEEENSD_5minusIxEEEE10hipError_tPvRmT2_T3_mT4_P12ihipStream_tbEUlmE_xEESB_NS0_8identityIvEEEESJ_SM_SN_mSO_SQ_bEUlT_E_NS1_11comp_targetILNS1_3genE10ELNS1_11target_archE1200ELNS1_3gpuE4ELNS1_3repE0EEENS1_30default_config_static_selectorELNS0_4arch9wavefront6targetE1EEEvT1_.has_indirect_call, 0
	.section	.AMDGPU.csdata,"",@progbits
; Kernel info:
; codeLenInByte = 0
; TotalNumSgprs: 4
; NumVgprs: 0
; ScratchSize: 0
; MemoryBound: 0
; FloatMode: 240
; IeeeMode: 1
; LDSByteSize: 0 bytes/workgroup (compile time only)
; SGPRBlocks: 0
; VGPRBlocks: 0
; NumSGPRsForWavesPerEU: 4
; NumVGPRsForWavesPerEU: 1
; Occupancy: 10
; WaveLimiterHint : 0
; COMPUTE_PGM_RSRC2:SCRATCH_EN: 0
; COMPUTE_PGM_RSRC2:USER_SGPR: 6
; COMPUTE_PGM_RSRC2:TRAP_HANDLER: 0
; COMPUTE_PGM_RSRC2:TGID_X_EN: 1
; COMPUTE_PGM_RSRC2:TGID_Y_EN: 0
; COMPUTE_PGM_RSRC2:TGID_Z_EN: 0
; COMPUTE_PGM_RSRC2:TIDIG_COMP_CNT: 0
	.section	.text._ZN7rocprim17ROCPRIM_400000_NS6detail17trampoline_kernelINS0_14default_configENS1_25transform_config_selectorIxLb0EEEZNS1_14transform_implILb0ES3_S5_NS0_18transform_iteratorINS0_17counting_iteratorImlEEZNS1_24adjacent_difference_implIS3_Lb1ELb0EPxN6thrust23THRUST_200600_302600_NS16discard_iteratorINSD_11use_defaultEEENSD_5minusIxEEEE10hipError_tPvRmT2_T3_mT4_P12ihipStream_tbEUlmE_xEESB_NS0_8identityIvEEEESJ_SM_SN_mSO_SQ_bEUlT_E_NS1_11comp_targetILNS1_3genE9ELNS1_11target_archE1100ELNS1_3gpuE3ELNS1_3repE0EEENS1_30default_config_static_selectorELNS0_4arch9wavefront6targetE1EEEvT1_,"axG",@progbits,_ZN7rocprim17ROCPRIM_400000_NS6detail17trampoline_kernelINS0_14default_configENS1_25transform_config_selectorIxLb0EEEZNS1_14transform_implILb0ES3_S5_NS0_18transform_iteratorINS0_17counting_iteratorImlEEZNS1_24adjacent_difference_implIS3_Lb1ELb0EPxN6thrust23THRUST_200600_302600_NS16discard_iteratorINSD_11use_defaultEEENSD_5minusIxEEEE10hipError_tPvRmT2_T3_mT4_P12ihipStream_tbEUlmE_xEESB_NS0_8identityIvEEEESJ_SM_SN_mSO_SQ_bEUlT_E_NS1_11comp_targetILNS1_3genE9ELNS1_11target_archE1100ELNS1_3gpuE3ELNS1_3repE0EEENS1_30default_config_static_selectorELNS0_4arch9wavefront6targetE1EEEvT1_,comdat
	.protected	_ZN7rocprim17ROCPRIM_400000_NS6detail17trampoline_kernelINS0_14default_configENS1_25transform_config_selectorIxLb0EEEZNS1_14transform_implILb0ES3_S5_NS0_18transform_iteratorINS0_17counting_iteratorImlEEZNS1_24adjacent_difference_implIS3_Lb1ELb0EPxN6thrust23THRUST_200600_302600_NS16discard_iteratorINSD_11use_defaultEEENSD_5minusIxEEEE10hipError_tPvRmT2_T3_mT4_P12ihipStream_tbEUlmE_xEESB_NS0_8identityIvEEEESJ_SM_SN_mSO_SQ_bEUlT_E_NS1_11comp_targetILNS1_3genE9ELNS1_11target_archE1100ELNS1_3gpuE3ELNS1_3repE0EEENS1_30default_config_static_selectorELNS0_4arch9wavefront6targetE1EEEvT1_ ; -- Begin function _ZN7rocprim17ROCPRIM_400000_NS6detail17trampoline_kernelINS0_14default_configENS1_25transform_config_selectorIxLb0EEEZNS1_14transform_implILb0ES3_S5_NS0_18transform_iteratorINS0_17counting_iteratorImlEEZNS1_24adjacent_difference_implIS3_Lb1ELb0EPxN6thrust23THRUST_200600_302600_NS16discard_iteratorINSD_11use_defaultEEENSD_5minusIxEEEE10hipError_tPvRmT2_T3_mT4_P12ihipStream_tbEUlmE_xEESB_NS0_8identityIvEEEESJ_SM_SN_mSO_SQ_bEUlT_E_NS1_11comp_targetILNS1_3genE9ELNS1_11target_archE1100ELNS1_3gpuE3ELNS1_3repE0EEENS1_30default_config_static_selectorELNS0_4arch9wavefront6targetE1EEEvT1_
	.globl	_ZN7rocprim17ROCPRIM_400000_NS6detail17trampoline_kernelINS0_14default_configENS1_25transform_config_selectorIxLb0EEEZNS1_14transform_implILb0ES3_S5_NS0_18transform_iteratorINS0_17counting_iteratorImlEEZNS1_24adjacent_difference_implIS3_Lb1ELb0EPxN6thrust23THRUST_200600_302600_NS16discard_iteratorINSD_11use_defaultEEENSD_5minusIxEEEE10hipError_tPvRmT2_T3_mT4_P12ihipStream_tbEUlmE_xEESB_NS0_8identityIvEEEESJ_SM_SN_mSO_SQ_bEUlT_E_NS1_11comp_targetILNS1_3genE9ELNS1_11target_archE1100ELNS1_3gpuE3ELNS1_3repE0EEENS1_30default_config_static_selectorELNS0_4arch9wavefront6targetE1EEEvT1_
	.p2align	8
	.type	_ZN7rocprim17ROCPRIM_400000_NS6detail17trampoline_kernelINS0_14default_configENS1_25transform_config_selectorIxLb0EEEZNS1_14transform_implILb0ES3_S5_NS0_18transform_iteratorINS0_17counting_iteratorImlEEZNS1_24adjacent_difference_implIS3_Lb1ELb0EPxN6thrust23THRUST_200600_302600_NS16discard_iteratorINSD_11use_defaultEEENSD_5minusIxEEEE10hipError_tPvRmT2_T3_mT4_P12ihipStream_tbEUlmE_xEESB_NS0_8identityIvEEEESJ_SM_SN_mSO_SQ_bEUlT_E_NS1_11comp_targetILNS1_3genE9ELNS1_11target_archE1100ELNS1_3gpuE3ELNS1_3repE0EEENS1_30default_config_static_selectorELNS0_4arch9wavefront6targetE1EEEvT1_,@function
_ZN7rocprim17ROCPRIM_400000_NS6detail17trampoline_kernelINS0_14default_configENS1_25transform_config_selectorIxLb0EEEZNS1_14transform_implILb0ES3_S5_NS0_18transform_iteratorINS0_17counting_iteratorImlEEZNS1_24adjacent_difference_implIS3_Lb1ELb0EPxN6thrust23THRUST_200600_302600_NS16discard_iteratorINSD_11use_defaultEEENSD_5minusIxEEEE10hipError_tPvRmT2_T3_mT4_P12ihipStream_tbEUlmE_xEESB_NS0_8identityIvEEEESJ_SM_SN_mSO_SQ_bEUlT_E_NS1_11comp_targetILNS1_3genE9ELNS1_11target_archE1100ELNS1_3gpuE3ELNS1_3repE0EEENS1_30default_config_static_selectorELNS0_4arch9wavefront6targetE1EEEvT1_: ; @_ZN7rocprim17ROCPRIM_400000_NS6detail17trampoline_kernelINS0_14default_configENS1_25transform_config_selectorIxLb0EEEZNS1_14transform_implILb0ES3_S5_NS0_18transform_iteratorINS0_17counting_iteratorImlEEZNS1_24adjacent_difference_implIS3_Lb1ELb0EPxN6thrust23THRUST_200600_302600_NS16discard_iteratorINSD_11use_defaultEEENSD_5minusIxEEEE10hipError_tPvRmT2_T3_mT4_P12ihipStream_tbEUlmE_xEESB_NS0_8identityIvEEEESJ_SM_SN_mSO_SQ_bEUlT_E_NS1_11comp_targetILNS1_3genE9ELNS1_11target_archE1100ELNS1_3gpuE3ELNS1_3repE0EEENS1_30default_config_static_selectorELNS0_4arch9wavefront6targetE1EEEvT1_
; %bb.0:
	.section	.rodata,"a",@progbits
	.p2align	6, 0x0
	.amdhsa_kernel _ZN7rocprim17ROCPRIM_400000_NS6detail17trampoline_kernelINS0_14default_configENS1_25transform_config_selectorIxLb0EEEZNS1_14transform_implILb0ES3_S5_NS0_18transform_iteratorINS0_17counting_iteratorImlEEZNS1_24adjacent_difference_implIS3_Lb1ELb0EPxN6thrust23THRUST_200600_302600_NS16discard_iteratorINSD_11use_defaultEEENSD_5minusIxEEEE10hipError_tPvRmT2_T3_mT4_P12ihipStream_tbEUlmE_xEESB_NS0_8identityIvEEEESJ_SM_SN_mSO_SQ_bEUlT_E_NS1_11comp_targetILNS1_3genE9ELNS1_11target_archE1100ELNS1_3gpuE3ELNS1_3repE0EEENS1_30default_config_static_selectorELNS0_4arch9wavefront6targetE1EEEvT1_
		.amdhsa_group_segment_fixed_size 0
		.amdhsa_private_segment_fixed_size 0
		.amdhsa_kernarg_size 56
		.amdhsa_user_sgpr_count 6
		.amdhsa_user_sgpr_private_segment_buffer 1
		.amdhsa_user_sgpr_dispatch_ptr 0
		.amdhsa_user_sgpr_queue_ptr 0
		.amdhsa_user_sgpr_kernarg_segment_ptr 1
		.amdhsa_user_sgpr_dispatch_id 0
		.amdhsa_user_sgpr_flat_scratch_init 0
		.amdhsa_user_sgpr_private_segment_size 0
		.amdhsa_uses_dynamic_stack 0
		.amdhsa_system_sgpr_private_segment_wavefront_offset 0
		.amdhsa_system_sgpr_workgroup_id_x 1
		.amdhsa_system_sgpr_workgroup_id_y 0
		.amdhsa_system_sgpr_workgroup_id_z 0
		.amdhsa_system_sgpr_workgroup_info 0
		.amdhsa_system_vgpr_workitem_id 0
		.amdhsa_next_free_vgpr 1
		.amdhsa_next_free_sgpr 0
		.amdhsa_reserve_vcc 0
		.amdhsa_reserve_flat_scratch 0
		.amdhsa_float_round_mode_32 0
		.amdhsa_float_round_mode_16_64 0
		.amdhsa_float_denorm_mode_32 3
		.amdhsa_float_denorm_mode_16_64 3
		.amdhsa_dx10_clamp 1
		.amdhsa_ieee_mode 1
		.amdhsa_fp16_overflow 0
		.amdhsa_exception_fp_ieee_invalid_op 0
		.amdhsa_exception_fp_denorm_src 0
		.amdhsa_exception_fp_ieee_div_zero 0
		.amdhsa_exception_fp_ieee_overflow 0
		.amdhsa_exception_fp_ieee_underflow 0
		.amdhsa_exception_fp_ieee_inexact 0
		.amdhsa_exception_int_div_zero 0
	.end_amdhsa_kernel
	.section	.text._ZN7rocprim17ROCPRIM_400000_NS6detail17trampoline_kernelINS0_14default_configENS1_25transform_config_selectorIxLb0EEEZNS1_14transform_implILb0ES3_S5_NS0_18transform_iteratorINS0_17counting_iteratorImlEEZNS1_24adjacent_difference_implIS3_Lb1ELb0EPxN6thrust23THRUST_200600_302600_NS16discard_iteratorINSD_11use_defaultEEENSD_5minusIxEEEE10hipError_tPvRmT2_T3_mT4_P12ihipStream_tbEUlmE_xEESB_NS0_8identityIvEEEESJ_SM_SN_mSO_SQ_bEUlT_E_NS1_11comp_targetILNS1_3genE9ELNS1_11target_archE1100ELNS1_3gpuE3ELNS1_3repE0EEENS1_30default_config_static_selectorELNS0_4arch9wavefront6targetE1EEEvT1_,"axG",@progbits,_ZN7rocprim17ROCPRIM_400000_NS6detail17trampoline_kernelINS0_14default_configENS1_25transform_config_selectorIxLb0EEEZNS1_14transform_implILb0ES3_S5_NS0_18transform_iteratorINS0_17counting_iteratorImlEEZNS1_24adjacent_difference_implIS3_Lb1ELb0EPxN6thrust23THRUST_200600_302600_NS16discard_iteratorINSD_11use_defaultEEENSD_5minusIxEEEE10hipError_tPvRmT2_T3_mT4_P12ihipStream_tbEUlmE_xEESB_NS0_8identityIvEEEESJ_SM_SN_mSO_SQ_bEUlT_E_NS1_11comp_targetILNS1_3genE9ELNS1_11target_archE1100ELNS1_3gpuE3ELNS1_3repE0EEENS1_30default_config_static_selectorELNS0_4arch9wavefront6targetE1EEEvT1_,comdat
.Lfunc_end865:
	.size	_ZN7rocprim17ROCPRIM_400000_NS6detail17trampoline_kernelINS0_14default_configENS1_25transform_config_selectorIxLb0EEEZNS1_14transform_implILb0ES3_S5_NS0_18transform_iteratorINS0_17counting_iteratorImlEEZNS1_24adjacent_difference_implIS3_Lb1ELb0EPxN6thrust23THRUST_200600_302600_NS16discard_iteratorINSD_11use_defaultEEENSD_5minusIxEEEE10hipError_tPvRmT2_T3_mT4_P12ihipStream_tbEUlmE_xEESB_NS0_8identityIvEEEESJ_SM_SN_mSO_SQ_bEUlT_E_NS1_11comp_targetILNS1_3genE9ELNS1_11target_archE1100ELNS1_3gpuE3ELNS1_3repE0EEENS1_30default_config_static_selectorELNS0_4arch9wavefront6targetE1EEEvT1_, .Lfunc_end865-_ZN7rocprim17ROCPRIM_400000_NS6detail17trampoline_kernelINS0_14default_configENS1_25transform_config_selectorIxLb0EEEZNS1_14transform_implILb0ES3_S5_NS0_18transform_iteratorINS0_17counting_iteratorImlEEZNS1_24adjacent_difference_implIS3_Lb1ELb0EPxN6thrust23THRUST_200600_302600_NS16discard_iteratorINSD_11use_defaultEEENSD_5minusIxEEEE10hipError_tPvRmT2_T3_mT4_P12ihipStream_tbEUlmE_xEESB_NS0_8identityIvEEEESJ_SM_SN_mSO_SQ_bEUlT_E_NS1_11comp_targetILNS1_3genE9ELNS1_11target_archE1100ELNS1_3gpuE3ELNS1_3repE0EEENS1_30default_config_static_selectorELNS0_4arch9wavefront6targetE1EEEvT1_
                                        ; -- End function
	.set _ZN7rocprim17ROCPRIM_400000_NS6detail17trampoline_kernelINS0_14default_configENS1_25transform_config_selectorIxLb0EEEZNS1_14transform_implILb0ES3_S5_NS0_18transform_iteratorINS0_17counting_iteratorImlEEZNS1_24adjacent_difference_implIS3_Lb1ELb0EPxN6thrust23THRUST_200600_302600_NS16discard_iteratorINSD_11use_defaultEEENSD_5minusIxEEEE10hipError_tPvRmT2_T3_mT4_P12ihipStream_tbEUlmE_xEESB_NS0_8identityIvEEEESJ_SM_SN_mSO_SQ_bEUlT_E_NS1_11comp_targetILNS1_3genE9ELNS1_11target_archE1100ELNS1_3gpuE3ELNS1_3repE0EEENS1_30default_config_static_selectorELNS0_4arch9wavefront6targetE1EEEvT1_.num_vgpr, 0
	.set _ZN7rocprim17ROCPRIM_400000_NS6detail17trampoline_kernelINS0_14default_configENS1_25transform_config_selectorIxLb0EEEZNS1_14transform_implILb0ES3_S5_NS0_18transform_iteratorINS0_17counting_iteratorImlEEZNS1_24adjacent_difference_implIS3_Lb1ELb0EPxN6thrust23THRUST_200600_302600_NS16discard_iteratorINSD_11use_defaultEEENSD_5minusIxEEEE10hipError_tPvRmT2_T3_mT4_P12ihipStream_tbEUlmE_xEESB_NS0_8identityIvEEEESJ_SM_SN_mSO_SQ_bEUlT_E_NS1_11comp_targetILNS1_3genE9ELNS1_11target_archE1100ELNS1_3gpuE3ELNS1_3repE0EEENS1_30default_config_static_selectorELNS0_4arch9wavefront6targetE1EEEvT1_.num_agpr, 0
	.set _ZN7rocprim17ROCPRIM_400000_NS6detail17trampoline_kernelINS0_14default_configENS1_25transform_config_selectorIxLb0EEEZNS1_14transform_implILb0ES3_S5_NS0_18transform_iteratorINS0_17counting_iteratorImlEEZNS1_24adjacent_difference_implIS3_Lb1ELb0EPxN6thrust23THRUST_200600_302600_NS16discard_iteratorINSD_11use_defaultEEENSD_5minusIxEEEE10hipError_tPvRmT2_T3_mT4_P12ihipStream_tbEUlmE_xEESB_NS0_8identityIvEEEESJ_SM_SN_mSO_SQ_bEUlT_E_NS1_11comp_targetILNS1_3genE9ELNS1_11target_archE1100ELNS1_3gpuE3ELNS1_3repE0EEENS1_30default_config_static_selectorELNS0_4arch9wavefront6targetE1EEEvT1_.numbered_sgpr, 0
	.set _ZN7rocprim17ROCPRIM_400000_NS6detail17trampoline_kernelINS0_14default_configENS1_25transform_config_selectorIxLb0EEEZNS1_14transform_implILb0ES3_S5_NS0_18transform_iteratorINS0_17counting_iteratorImlEEZNS1_24adjacent_difference_implIS3_Lb1ELb0EPxN6thrust23THRUST_200600_302600_NS16discard_iteratorINSD_11use_defaultEEENSD_5minusIxEEEE10hipError_tPvRmT2_T3_mT4_P12ihipStream_tbEUlmE_xEESB_NS0_8identityIvEEEESJ_SM_SN_mSO_SQ_bEUlT_E_NS1_11comp_targetILNS1_3genE9ELNS1_11target_archE1100ELNS1_3gpuE3ELNS1_3repE0EEENS1_30default_config_static_selectorELNS0_4arch9wavefront6targetE1EEEvT1_.num_named_barrier, 0
	.set _ZN7rocprim17ROCPRIM_400000_NS6detail17trampoline_kernelINS0_14default_configENS1_25transform_config_selectorIxLb0EEEZNS1_14transform_implILb0ES3_S5_NS0_18transform_iteratorINS0_17counting_iteratorImlEEZNS1_24adjacent_difference_implIS3_Lb1ELb0EPxN6thrust23THRUST_200600_302600_NS16discard_iteratorINSD_11use_defaultEEENSD_5minusIxEEEE10hipError_tPvRmT2_T3_mT4_P12ihipStream_tbEUlmE_xEESB_NS0_8identityIvEEEESJ_SM_SN_mSO_SQ_bEUlT_E_NS1_11comp_targetILNS1_3genE9ELNS1_11target_archE1100ELNS1_3gpuE3ELNS1_3repE0EEENS1_30default_config_static_selectorELNS0_4arch9wavefront6targetE1EEEvT1_.private_seg_size, 0
	.set _ZN7rocprim17ROCPRIM_400000_NS6detail17trampoline_kernelINS0_14default_configENS1_25transform_config_selectorIxLb0EEEZNS1_14transform_implILb0ES3_S5_NS0_18transform_iteratorINS0_17counting_iteratorImlEEZNS1_24adjacent_difference_implIS3_Lb1ELb0EPxN6thrust23THRUST_200600_302600_NS16discard_iteratorINSD_11use_defaultEEENSD_5minusIxEEEE10hipError_tPvRmT2_T3_mT4_P12ihipStream_tbEUlmE_xEESB_NS0_8identityIvEEEESJ_SM_SN_mSO_SQ_bEUlT_E_NS1_11comp_targetILNS1_3genE9ELNS1_11target_archE1100ELNS1_3gpuE3ELNS1_3repE0EEENS1_30default_config_static_selectorELNS0_4arch9wavefront6targetE1EEEvT1_.uses_vcc, 0
	.set _ZN7rocprim17ROCPRIM_400000_NS6detail17trampoline_kernelINS0_14default_configENS1_25transform_config_selectorIxLb0EEEZNS1_14transform_implILb0ES3_S5_NS0_18transform_iteratorINS0_17counting_iteratorImlEEZNS1_24adjacent_difference_implIS3_Lb1ELb0EPxN6thrust23THRUST_200600_302600_NS16discard_iteratorINSD_11use_defaultEEENSD_5minusIxEEEE10hipError_tPvRmT2_T3_mT4_P12ihipStream_tbEUlmE_xEESB_NS0_8identityIvEEEESJ_SM_SN_mSO_SQ_bEUlT_E_NS1_11comp_targetILNS1_3genE9ELNS1_11target_archE1100ELNS1_3gpuE3ELNS1_3repE0EEENS1_30default_config_static_selectorELNS0_4arch9wavefront6targetE1EEEvT1_.uses_flat_scratch, 0
	.set _ZN7rocprim17ROCPRIM_400000_NS6detail17trampoline_kernelINS0_14default_configENS1_25transform_config_selectorIxLb0EEEZNS1_14transform_implILb0ES3_S5_NS0_18transform_iteratorINS0_17counting_iteratorImlEEZNS1_24adjacent_difference_implIS3_Lb1ELb0EPxN6thrust23THRUST_200600_302600_NS16discard_iteratorINSD_11use_defaultEEENSD_5minusIxEEEE10hipError_tPvRmT2_T3_mT4_P12ihipStream_tbEUlmE_xEESB_NS0_8identityIvEEEESJ_SM_SN_mSO_SQ_bEUlT_E_NS1_11comp_targetILNS1_3genE9ELNS1_11target_archE1100ELNS1_3gpuE3ELNS1_3repE0EEENS1_30default_config_static_selectorELNS0_4arch9wavefront6targetE1EEEvT1_.has_dyn_sized_stack, 0
	.set _ZN7rocprim17ROCPRIM_400000_NS6detail17trampoline_kernelINS0_14default_configENS1_25transform_config_selectorIxLb0EEEZNS1_14transform_implILb0ES3_S5_NS0_18transform_iteratorINS0_17counting_iteratorImlEEZNS1_24adjacent_difference_implIS3_Lb1ELb0EPxN6thrust23THRUST_200600_302600_NS16discard_iteratorINSD_11use_defaultEEENSD_5minusIxEEEE10hipError_tPvRmT2_T3_mT4_P12ihipStream_tbEUlmE_xEESB_NS0_8identityIvEEEESJ_SM_SN_mSO_SQ_bEUlT_E_NS1_11comp_targetILNS1_3genE9ELNS1_11target_archE1100ELNS1_3gpuE3ELNS1_3repE0EEENS1_30default_config_static_selectorELNS0_4arch9wavefront6targetE1EEEvT1_.has_recursion, 0
	.set _ZN7rocprim17ROCPRIM_400000_NS6detail17trampoline_kernelINS0_14default_configENS1_25transform_config_selectorIxLb0EEEZNS1_14transform_implILb0ES3_S5_NS0_18transform_iteratorINS0_17counting_iteratorImlEEZNS1_24adjacent_difference_implIS3_Lb1ELb0EPxN6thrust23THRUST_200600_302600_NS16discard_iteratorINSD_11use_defaultEEENSD_5minusIxEEEE10hipError_tPvRmT2_T3_mT4_P12ihipStream_tbEUlmE_xEESB_NS0_8identityIvEEEESJ_SM_SN_mSO_SQ_bEUlT_E_NS1_11comp_targetILNS1_3genE9ELNS1_11target_archE1100ELNS1_3gpuE3ELNS1_3repE0EEENS1_30default_config_static_selectorELNS0_4arch9wavefront6targetE1EEEvT1_.has_indirect_call, 0
	.section	.AMDGPU.csdata,"",@progbits
; Kernel info:
; codeLenInByte = 0
; TotalNumSgprs: 4
; NumVgprs: 0
; ScratchSize: 0
; MemoryBound: 0
; FloatMode: 240
; IeeeMode: 1
; LDSByteSize: 0 bytes/workgroup (compile time only)
; SGPRBlocks: 0
; VGPRBlocks: 0
; NumSGPRsForWavesPerEU: 4
; NumVGPRsForWavesPerEU: 1
; Occupancy: 10
; WaveLimiterHint : 0
; COMPUTE_PGM_RSRC2:SCRATCH_EN: 0
; COMPUTE_PGM_RSRC2:USER_SGPR: 6
; COMPUTE_PGM_RSRC2:TRAP_HANDLER: 0
; COMPUTE_PGM_RSRC2:TGID_X_EN: 1
; COMPUTE_PGM_RSRC2:TGID_Y_EN: 0
; COMPUTE_PGM_RSRC2:TGID_Z_EN: 0
; COMPUTE_PGM_RSRC2:TIDIG_COMP_CNT: 0
	.section	.text._ZN7rocprim17ROCPRIM_400000_NS6detail17trampoline_kernelINS0_14default_configENS1_25transform_config_selectorIxLb0EEEZNS1_14transform_implILb0ES3_S5_NS0_18transform_iteratorINS0_17counting_iteratorImlEEZNS1_24adjacent_difference_implIS3_Lb1ELb0EPxN6thrust23THRUST_200600_302600_NS16discard_iteratorINSD_11use_defaultEEENSD_5minusIxEEEE10hipError_tPvRmT2_T3_mT4_P12ihipStream_tbEUlmE_xEESB_NS0_8identityIvEEEESJ_SM_SN_mSO_SQ_bEUlT_E_NS1_11comp_targetILNS1_3genE8ELNS1_11target_archE1030ELNS1_3gpuE2ELNS1_3repE0EEENS1_30default_config_static_selectorELNS0_4arch9wavefront6targetE1EEEvT1_,"axG",@progbits,_ZN7rocprim17ROCPRIM_400000_NS6detail17trampoline_kernelINS0_14default_configENS1_25transform_config_selectorIxLb0EEEZNS1_14transform_implILb0ES3_S5_NS0_18transform_iteratorINS0_17counting_iteratorImlEEZNS1_24adjacent_difference_implIS3_Lb1ELb0EPxN6thrust23THRUST_200600_302600_NS16discard_iteratorINSD_11use_defaultEEENSD_5minusIxEEEE10hipError_tPvRmT2_T3_mT4_P12ihipStream_tbEUlmE_xEESB_NS0_8identityIvEEEESJ_SM_SN_mSO_SQ_bEUlT_E_NS1_11comp_targetILNS1_3genE8ELNS1_11target_archE1030ELNS1_3gpuE2ELNS1_3repE0EEENS1_30default_config_static_selectorELNS0_4arch9wavefront6targetE1EEEvT1_,comdat
	.protected	_ZN7rocprim17ROCPRIM_400000_NS6detail17trampoline_kernelINS0_14default_configENS1_25transform_config_selectorIxLb0EEEZNS1_14transform_implILb0ES3_S5_NS0_18transform_iteratorINS0_17counting_iteratorImlEEZNS1_24adjacent_difference_implIS3_Lb1ELb0EPxN6thrust23THRUST_200600_302600_NS16discard_iteratorINSD_11use_defaultEEENSD_5minusIxEEEE10hipError_tPvRmT2_T3_mT4_P12ihipStream_tbEUlmE_xEESB_NS0_8identityIvEEEESJ_SM_SN_mSO_SQ_bEUlT_E_NS1_11comp_targetILNS1_3genE8ELNS1_11target_archE1030ELNS1_3gpuE2ELNS1_3repE0EEENS1_30default_config_static_selectorELNS0_4arch9wavefront6targetE1EEEvT1_ ; -- Begin function _ZN7rocprim17ROCPRIM_400000_NS6detail17trampoline_kernelINS0_14default_configENS1_25transform_config_selectorIxLb0EEEZNS1_14transform_implILb0ES3_S5_NS0_18transform_iteratorINS0_17counting_iteratorImlEEZNS1_24adjacent_difference_implIS3_Lb1ELb0EPxN6thrust23THRUST_200600_302600_NS16discard_iteratorINSD_11use_defaultEEENSD_5minusIxEEEE10hipError_tPvRmT2_T3_mT4_P12ihipStream_tbEUlmE_xEESB_NS0_8identityIvEEEESJ_SM_SN_mSO_SQ_bEUlT_E_NS1_11comp_targetILNS1_3genE8ELNS1_11target_archE1030ELNS1_3gpuE2ELNS1_3repE0EEENS1_30default_config_static_selectorELNS0_4arch9wavefront6targetE1EEEvT1_
	.globl	_ZN7rocprim17ROCPRIM_400000_NS6detail17trampoline_kernelINS0_14default_configENS1_25transform_config_selectorIxLb0EEEZNS1_14transform_implILb0ES3_S5_NS0_18transform_iteratorINS0_17counting_iteratorImlEEZNS1_24adjacent_difference_implIS3_Lb1ELb0EPxN6thrust23THRUST_200600_302600_NS16discard_iteratorINSD_11use_defaultEEENSD_5minusIxEEEE10hipError_tPvRmT2_T3_mT4_P12ihipStream_tbEUlmE_xEESB_NS0_8identityIvEEEESJ_SM_SN_mSO_SQ_bEUlT_E_NS1_11comp_targetILNS1_3genE8ELNS1_11target_archE1030ELNS1_3gpuE2ELNS1_3repE0EEENS1_30default_config_static_selectorELNS0_4arch9wavefront6targetE1EEEvT1_
	.p2align	8
	.type	_ZN7rocprim17ROCPRIM_400000_NS6detail17trampoline_kernelINS0_14default_configENS1_25transform_config_selectorIxLb0EEEZNS1_14transform_implILb0ES3_S5_NS0_18transform_iteratorINS0_17counting_iteratorImlEEZNS1_24adjacent_difference_implIS3_Lb1ELb0EPxN6thrust23THRUST_200600_302600_NS16discard_iteratorINSD_11use_defaultEEENSD_5minusIxEEEE10hipError_tPvRmT2_T3_mT4_P12ihipStream_tbEUlmE_xEESB_NS0_8identityIvEEEESJ_SM_SN_mSO_SQ_bEUlT_E_NS1_11comp_targetILNS1_3genE8ELNS1_11target_archE1030ELNS1_3gpuE2ELNS1_3repE0EEENS1_30default_config_static_selectorELNS0_4arch9wavefront6targetE1EEEvT1_,@function
_ZN7rocprim17ROCPRIM_400000_NS6detail17trampoline_kernelINS0_14default_configENS1_25transform_config_selectorIxLb0EEEZNS1_14transform_implILb0ES3_S5_NS0_18transform_iteratorINS0_17counting_iteratorImlEEZNS1_24adjacent_difference_implIS3_Lb1ELb0EPxN6thrust23THRUST_200600_302600_NS16discard_iteratorINSD_11use_defaultEEENSD_5minusIxEEEE10hipError_tPvRmT2_T3_mT4_P12ihipStream_tbEUlmE_xEESB_NS0_8identityIvEEEESJ_SM_SN_mSO_SQ_bEUlT_E_NS1_11comp_targetILNS1_3genE8ELNS1_11target_archE1030ELNS1_3gpuE2ELNS1_3repE0EEENS1_30default_config_static_selectorELNS0_4arch9wavefront6targetE1EEEvT1_: ; @_ZN7rocprim17ROCPRIM_400000_NS6detail17trampoline_kernelINS0_14default_configENS1_25transform_config_selectorIxLb0EEEZNS1_14transform_implILb0ES3_S5_NS0_18transform_iteratorINS0_17counting_iteratorImlEEZNS1_24adjacent_difference_implIS3_Lb1ELb0EPxN6thrust23THRUST_200600_302600_NS16discard_iteratorINSD_11use_defaultEEENSD_5minusIxEEEE10hipError_tPvRmT2_T3_mT4_P12ihipStream_tbEUlmE_xEESB_NS0_8identityIvEEEESJ_SM_SN_mSO_SQ_bEUlT_E_NS1_11comp_targetILNS1_3genE8ELNS1_11target_archE1030ELNS1_3gpuE2ELNS1_3repE0EEENS1_30default_config_static_selectorELNS0_4arch9wavefront6targetE1EEEvT1_
; %bb.0:
	.section	.rodata,"a",@progbits
	.p2align	6, 0x0
	.amdhsa_kernel _ZN7rocprim17ROCPRIM_400000_NS6detail17trampoline_kernelINS0_14default_configENS1_25transform_config_selectorIxLb0EEEZNS1_14transform_implILb0ES3_S5_NS0_18transform_iteratorINS0_17counting_iteratorImlEEZNS1_24adjacent_difference_implIS3_Lb1ELb0EPxN6thrust23THRUST_200600_302600_NS16discard_iteratorINSD_11use_defaultEEENSD_5minusIxEEEE10hipError_tPvRmT2_T3_mT4_P12ihipStream_tbEUlmE_xEESB_NS0_8identityIvEEEESJ_SM_SN_mSO_SQ_bEUlT_E_NS1_11comp_targetILNS1_3genE8ELNS1_11target_archE1030ELNS1_3gpuE2ELNS1_3repE0EEENS1_30default_config_static_selectorELNS0_4arch9wavefront6targetE1EEEvT1_
		.amdhsa_group_segment_fixed_size 0
		.amdhsa_private_segment_fixed_size 0
		.amdhsa_kernarg_size 56
		.amdhsa_user_sgpr_count 6
		.amdhsa_user_sgpr_private_segment_buffer 1
		.amdhsa_user_sgpr_dispatch_ptr 0
		.amdhsa_user_sgpr_queue_ptr 0
		.amdhsa_user_sgpr_kernarg_segment_ptr 1
		.amdhsa_user_sgpr_dispatch_id 0
		.amdhsa_user_sgpr_flat_scratch_init 0
		.amdhsa_user_sgpr_private_segment_size 0
		.amdhsa_uses_dynamic_stack 0
		.amdhsa_system_sgpr_private_segment_wavefront_offset 0
		.amdhsa_system_sgpr_workgroup_id_x 1
		.amdhsa_system_sgpr_workgroup_id_y 0
		.amdhsa_system_sgpr_workgroup_id_z 0
		.amdhsa_system_sgpr_workgroup_info 0
		.amdhsa_system_vgpr_workitem_id 0
		.amdhsa_next_free_vgpr 1
		.amdhsa_next_free_sgpr 0
		.amdhsa_reserve_vcc 0
		.amdhsa_reserve_flat_scratch 0
		.amdhsa_float_round_mode_32 0
		.amdhsa_float_round_mode_16_64 0
		.amdhsa_float_denorm_mode_32 3
		.amdhsa_float_denorm_mode_16_64 3
		.amdhsa_dx10_clamp 1
		.amdhsa_ieee_mode 1
		.amdhsa_fp16_overflow 0
		.amdhsa_exception_fp_ieee_invalid_op 0
		.amdhsa_exception_fp_denorm_src 0
		.amdhsa_exception_fp_ieee_div_zero 0
		.amdhsa_exception_fp_ieee_overflow 0
		.amdhsa_exception_fp_ieee_underflow 0
		.amdhsa_exception_fp_ieee_inexact 0
		.amdhsa_exception_int_div_zero 0
	.end_amdhsa_kernel
	.section	.text._ZN7rocprim17ROCPRIM_400000_NS6detail17trampoline_kernelINS0_14default_configENS1_25transform_config_selectorIxLb0EEEZNS1_14transform_implILb0ES3_S5_NS0_18transform_iteratorINS0_17counting_iteratorImlEEZNS1_24adjacent_difference_implIS3_Lb1ELb0EPxN6thrust23THRUST_200600_302600_NS16discard_iteratorINSD_11use_defaultEEENSD_5minusIxEEEE10hipError_tPvRmT2_T3_mT4_P12ihipStream_tbEUlmE_xEESB_NS0_8identityIvEEEESJ_SM_SN_mSO_SQ_bEUlT_E_NS1_11comp_targetILNS1_3genE8ELNS1_11target_archE1030ELNS1_3gpuE2ELNS1_3repE0EEENS1_30default_config_static_selectorELNS0_4arch9wavefront6targetE1EEEvT1_,"axG",@progbits,_ZN7rocprim17ROCPRIM_400000_NS6detail17trampoline_kernelINS0_14default_configENS1_25transform_config_selectorIxLb0EEEZNS1_14transform_implILb0ES3_S5_NS0_18transform_iteratorINS0_17counting_iteratorImlEEZNS1_24adjacent_difference_implIS3_Lb1ELb0EPxN6thrust23THRUST_200600_302600_NS16discard_iteratorINSD_11use_defaultEEENSD_5minusIxEEEE10hipError_tPvRmT2_T3_mT4_P12ihipStream_tbEUlmE_xEESB_NS0_8identityIvEEEESJ_SM_SN_mSO_SQ_bEUlT_E_NS1_11comp_targetILNS1_3genE8ELNS1_11target_archE1030ELNS1_3gpuE2ELNS1_3repE0EEENS1_30default_config_static_selectorELNS0_4arch9wavefront6targetE1EEEvT1_,comdat
.Lfunc_end866:
	.size	_ZN7rocprim17ROCPRIM_400000_NS6detail17trampoline_kernelINS0_14default_configENS1_25transform_config_selectorIxLb0EEEZNS1_14transform_implILb0ES3_S5_NS0_18transform_iteratorINS0_17counting_iteratorImlEEZNS1_24adjacent_difference_implIS3_Lb1ELb0EPxN6thrust23THRUST_200600_302600_NS16discard_iteratorINSD_11use_defaultEEENSD_5minusIxEEEE10hipError_tPvRmT2_T3_mT4_P12ihipStream_tbEUlmE_xEESB_NS0_8identityIvEEEESJ_SM_SN_mSO_SQ_bEUlT_E_NS1_11comp_targetILNS1_3genE8ELNS1_11target_archE1030ELNS1_3gpuE2ELNS1_3repE0EEENS1_30default_config_static_selectorELNS0_4arch9wavefront6targetE1EEEvT1_, .Lfunc_end866-_ZN7rocprim17ROCPRIM_400000_NS6detail17trampoline_kernelINS0_14default_configENS1_25transform_config_selectorIxLb0EEEZNS1_14transform_implILb0ES3_S5_NS0_18transform_iteratorINS0_17counting_iteratorImlEEZNS1_24adjacent_difference_implIS3_Lb1ELb0EPxN6thrust23THRUST_200600_302600_NS16discard_iteratorINSD_11use_defaultEEENSD_5minusIxEEEE10hipError_tPvRmT2_T3_mT4_P12ihipStream_tbEUlmE_xEESB_NS0_8identityIvEEEESJ_SM_SN_mSO_SQ_bEUlT_E_NS1_11comp_targetILNS1_3genE8ELNS1_11target_archE1030ELNS1_3gpuE2ELNS1_3repE0EEENS1_30default_config_static_selectorELNS0_4arch9wavefront6targetE1EEEvT1_
                                        ; -- End function
	.set _ZN7rocprim17ROCPRIM_400000_NS6detail17trampoline_kernelINS0_14default_configENS1_25transform_config_selectorIxLb0EEEZNS1_14transform_implILb0ES3_S5_NS0_18transform_iteratorINS0_17counting_iteratorImlEEZNS1_24adjacent_difference_implIS3_Lb1ELb0EPxN6thrust23THRUST_200600_302600_NS16discard_iteratorINSD_11use_defaultEEENSD_5minusIxEEEE10hipError_tPvRmT2_T3_mT4_P12ihipStream_tbEUlmE_xEESB_NS0_8identityIvEEEESJ_SM_SN_mSO_SQ_bEUlT_E_NS1_11comp_targetILNS1_3genE8ELNS1_11target_archE1030ELNS1_3gpuE2ELNS1_3repE0EEENS1_30default_config_static_selectorELNS0_4arch9wavefront6targetE1EEEvT1_.num_vgpr, 0
	.set _ZN7rocprim17ROCPRIM_400000_NS6detail17trampoline_kernelINS0_14default_configENS1_25transform_config_selectorIxLb0EEEZNS1_14transform_implILb0ES3_S5_NS0_18transform_iteratorINS0_17counting_iteratorImlEEZNS1_24adjacent_difference_implIS3_Lb1ELb0EPxN6thrust23THRUST_200600_302600_NS16discard_iteratorINSD_11use_defaultEEENSD_5minusIxEEEE10hipError_tPvRmT2_T3_mT4_P12ihipStream_tbEUlmE_xEESB_NS0_8identityIvEEEESJ_SM_SN_mSO_SQ_bEUlT_E_NS1_11comp_targetILNS1_3genE8ELNS1_11target_archE1030ELNS1_3gpuE2ELNS1_3repE0EEENS1_30default_config_static_selectorELNS0_4arch9wavefront6targetE1EEEvT1_.num_agpr, 0
	.set _ZN7rocprim17ROCPRIM_400000_NS6detail17trampoline_kernelINS0_14default_configENS1_25transform_config_selectorIxLb0EEEZNS1_14transform_implILb0ES3_S5_NS0_18transform_iteratorINS0_17counting_iteratorImlEEZNS1_24adjacent_difference_implIS3_Lb1ELb0EPxN6thrust23THRUST_200600_302600_NS16discard_iteratorINSD_11use_defaultEEENSD_5minusIxEEEE10hipError_tPvRmT2_T3_mT4_P12ihipStream_tbEUlmE_xEESB_NS0_8identityIvEEEESJ_SM_SN_mSO_SQ_bEUlT_E_NS1_11comp_targetILNS1_3genE8ELNS1_11target_archE1030ELNS1_3gpuE2ELNS1_3repE0EEENS1_30default_config_static_selectorELNS0_4arch9wavefront6targetE1EEEvT1_.numbered_sgpr, 0
	.set _ZN7rocprim17ROCPRIM_400000_NS6detail17trampoline_kernelINS0_14default_configENS1_25transform_config_selectorIxLb0EEEZNS1_14transform_implILb0ES3_S5_NS0_18transform_iteratorINS0_17counting_iteratorImlEEZNS1_24adjacent_difference_implIS3_Lb1ELb0EPxN6thrust23THRUST_200600_302600_NS16discard_iteratorINSD_11use_defaultEEENSD_5minusIxEEEE10hipError_tPvRmT2_T3_mT4_P12ihipStream_tbEUlmE_xEESB_NS0_8identityIvEEEESJ_SM_SN_mSO_SQ_bEUlT_E_NS1_11comp_targetILNS1_3genE8ELNS1_11target_archE1030ELNS1_3gpuE2ELNS1_3repE0EEENS1_30default_config_static_selectorELNS0_4arch9wavefront6targetE1EEEvT1_.num_named_barrier, 0
	.set _ZN7rocprim17ROCPRIM_400000_NS6detail17trampoline_kernelINS0_14default_configENS1_25transform_config_selectorIxLb0EEEZNS1_14transform_implILb0ES3_S5_NS0_18transform_iteratorINS0_17counting_iteratorImlEEZNS1_24adjacent_difference_implIS3_Lb1ELb0EPxN6thrust23THRUST_200600_302600_NS16discard_iteratorINSD_11use_defaultEEENSD_5minusIxEEEE10hipError_tPvRmT2_T3_mT4_P12ihipStream_tbEUlmE_xEESB_NS0_8identityIvEEEESJ_SM_SN_mSO_SQ_bEUlT_E_NS1_11comp_targetILNS1_3genE8ELNS1_11target_archE1030ELNS1_3gpuE2ELNS1_3repE0EEENS1_30default_config_static_selectorELNS0_4arch9wavefront6targetE1EEEvT1_.private_seg_size, 0
	.set _ZN7rocprim17ROCPRIM_400000_NS6detail17trampoline_kernelINS0_14default_configENS1_25transform_config_selectorIxLb0EEEZNS1_14transform_implILb0ES3_S5_NS0_18transform_iteratorINS0_17counting_iteratorImlEEZNS1_24adjacent_difference_implIS3_Lb1ELb0EPxN6thrust23THRUST_200600_302600_NS16discard_iteratorINSD_11use_defaultEEENSD_5minusIxEEEE10hipError_tPvRmT2_T3_mT4_P12ihipStream_tbEUlmE_xEESB_NS0_8identityIvEEEESJ_SM_SN_mSO_SQ_bEUlT_E_NS1_11comp_targetILNS1_3genE8ELNS1_11target_archE1030ELNS1_3gpuE2ELNS1_3repE0EEENS1_30default_config_static_selectorELNS0_4arch9wavefront6targetE1EEEvT1_.uses_vcc, 0
	.set _ZN7rocprim17ROCPRIM_400000_NS6detail17trampoline_kernelINS0_14default_configENS1_25transform_config_selectorIxLb0EEEZNS1_14transform_implILb0ES3_S5_NS0_18transform_iteratorINS0_17counting_iteratorImlEEZNS1_24adjacent_difference_implIS3_Lb1ELb0EPxN6thrust23THRUST_200600_302600_NS16discard_iteratorINSD_11use_defaultEEENSD_5minusIxEEEE10hipError_tPvRmT2_T3_mT4_P12ihipStream_tbEUlmE_xEESB_NS0_8identityIvEEEESJ_SM_SN_mSO_SQ_bEUlT_E_NS1_11comp_targetILNS1_3genE8ELNS1_11target_archE1030ELNS1_3gpuE2ELNS1_3repE0EEENS1_30default_config_static_selectorELNS0_4arch9wavefront6targetE1EEEvT1_.uses_flat_scratch, 0
	.set _ZN7rocprim17ROCPRIM_400000_NS6detail17trampoline_kernelINS0_14default_configENS1_25transform_config_selectorIxLb0EEEZNS1_14transform_implILb0ES3_S5_NS0_18transform_iteratorINS0_17counting_iteratorImlEEZNS1_24adjacent_difference_implIS3_Lb1ELb0EPxN6thrust23THRUST_200600_302600_NS16discard_iteratorINSD_11use_defaultEEENSD_5minusIxEEEE10hipError_tPvRmT2_T3_mT4_P12ihipStream_tbEUlmE_xEESB_NS0_8identityIvEEEESJ_SM_SN_mSO_SQ_bEUlT_E_NS1_11comp_targetILNS1_3genE8ELNS1_11target_archE1030ELNS1_3gpuE2ELNS1_3repE0EEENS1_30default_config_static_selectorELNS0_4arch9wavefront6targetE1EEEvT1_.has_dyn_sized_stack, 0
	.set _ZN7rocprim17ROCPRIM_400000_NS6detail17trampoline_kernelINS0_14default_configENS1_25transform_config_selectorIxLb0EEEZNS1_14transform_implILb0ES3_S5_NS0_18transform_iteratorINS0_17counting_iteratorImlEEZNS1_24adjacent_difference_implIS3_Lb1ELb0EPxN6thrust23THRUST_200600_302600_NS16discard_iteratorINSD_11use_defaultEEENSD_5minusIxEEEE10hipError_tPvRmT2_T3_mT4_P12ihipStream_tbEUlmE_xEESB_NS0_8identityIvEEEESJ_SM_SN_mSO_SQ_bEUlT_E_NS1_11comp_targetILNS1_3genE8ELNS1_11target_archE1030ELNS1_3gpuE2ELNS1_3repE0EEENS1_30default_config_static_selectorELNS0_4arch9wavefront6targetE1EEEvT1_.has_recursion, 0
	.set _ZN7rocprim17ROCPRIM_400000_NS6detail17trampoline_kernelINS0_14default_configENS1_25transform_config_selectorIxLb0EEEZNS1_14transform_implILb0ES3_S5_NS0_18transform_iteratorINS0_17counting_iteratorImlEEZNS1_24adjacent_difference_implIS3_Lb1ELb0EPxN6thrust23THRUST_200600_302600_NS16discard_iteratorINSD_11use_defaultEEENSD_5minusIxEEEE10hipError_tPvRmT2_T3_mT4_P12ihipStream_tbEUlmE_xEESB_NS0_8identityIvEEEESJ_SM_SN_mSO_SQ_bEUlT_E_NS1_11comp_targetILNS1_3genE8ELNS1_11target_archE1030ELNS1_3gpuE2ELNS1_3repE0EEENS1_30default_config_static_selectorELNS0_4arch9wavefront6targetE1EEEvT1_.has_indirect_call, 0
	.section	.AMDGPU.csdata,"",@progbits
; Kernel info:
; codeLenInByte = 0
; TotalNumSgprs: 4
; NumVgprs: 0
; ScratchSize: 0
; MemoryBound: 0
; FloatMode: 240
; IeeeMode: 1
; LDSByteSize: 0 bytes/workgroup (compile time only)
; SGPRBlocks: 0
; VGPRBlocks: 0
; NumSGPRsForWavesPerEU: 4
; NumVGPRsForWavesPerEU: 1
; Occupancy: 10
; WaveLimiterHint : 0
; COMPUTE_PGM_RSRC2:SCRATCH_EN: 0
; COMPUTE_PGM_RSRC2:USER_SGPR: 6
; COMPUTE_PGM_RSRC2:TRAP_HANDLER: 0
; COMPUTE_PGM_RSRC2:TGID_X_EN: 1
; COMPUTE_PGM_RSRC2:TGID_Y_EN: 0
; COMPUTE_PGM_RSRC2:TGID_Z_EN: 0
; COMPUTE_PGM_RSRC2:TIDIG_COMP_CNT: 0
	.section	.text._ZN7rocprim17ROCPRIM_400000_NS6detail17trampoline_kernelINS0_14default_configENS1_35adjacent_difference_config_selectorILb1ExEEZNS1_24adjacent_difference_implIS3_Lb1ELb0EPxN6thrust23THRUST_200600_302600_NS16discard_iteratorINS9_11use_defaultEEENS9_5minusIxEEEE10hipError_tPvRmT2_T3_mT4_P12ihipStream_tbEUlT_E_NS1_11comp_targetILNS1_3genE0ELNS1_11target_archE4294967295ELNS1_3gpuE0ELNS1_3repE0EEENS1_30default_config_static_selectorELNS0_4arch9wavefront6targetE1EEEvT1_,"axG",@progbits,_ZN7rocprim17ROCPRIM_400000_NS6detail17trampoline_kernelINS0_14default_configENS1_35adjacent_difference_config_selectorILb1ExEEZNS1_24adjacent_difference_implIS3_Lb1ELb0EPxN6thrust23THRUST_200600_302600_NS16discard_iteratorINS9_11use_defaultEEENS9_5minusIxEEEE10hipError_tPvRmT2_T3_mT4_P12ihipStream_tbEUlT_E_NS1_11comp_targetILNS1_3genE0ELNS1_11target_archE4294967295ELNS1_3gpuE0ELNS1_3repE0EEENS1_30default_config_static_selectorELNS0_4arch9wavefront6targetE1EEEvT1_,comdat
	.protected	_ZN7rocprim17ROCPRIM_400000_NS6detail17trampoline_kernelINS0_14default_configENS1_35adjacent_difference_config_selectorILb1ExEEZNS1_24adjacent_difference_implIS3_Lb1ELb0EPxN6thrust23THRUST_200600_302600_NS16discard_iteratorINS9_11use_defaultEEENS9_5minusIxEEEE10hipError_tPvRmT2_T3_mT4_P12ihipStream_tbEUlT_E_NS1_11comp_targetILNS1_3genE0ELNS1_11target_archE4294967295ELNS1_3gpuE0ELNS1_3repE0EEENS1_30default_config_static_selectorELNS0_4arch9wavefront6targetE1EEEvT1_ ; -- Begin function _ZN7rocprim17ROCPRIM_400000_NS6detail17trampoline_kernelINS0_14default_configENS1_35adjacent_difference_config_selectorILb1ExEEZNS1_24adjacent_difference_implIS3_Lb1ELb0EPxN6thrust23THRUST_200600_302600_NS16discard_iteratorINS9_11use_defaultEEENS9_5minusIxEEEE10hipError_tPvRmT2_T3_mT4_P12ihipStream_tbEUlT_E_NS1_11comp_targetILNS1_3genE0ELNS1_11target_archE4294967295ELNS1_3gpuE0ELNS1_3repE0EEENS1_30default_config_static_selectorELNS0_4arch9wavefront6targetE1EEEvT1_
	.globl	_ZN7rocprim17ROCPRIM_400000_NS6detail17trampoline_kernelINS0_14default_configENS1_35adjacent_difference_config_selectorILb1ExEEZNS1_24adjacent_difference_implIS3_Lb1ELb0EPxN6thrust23THRUST_200600_302600_NS16discard_iteratorINS9_11use_defaultEEENS9_5minusIxEEEE10hipError_tPvRmT2_T3_mT4_P12ihipStream_tbEUlT_E_NS1_11comp_targetILNS1_3genE0ELNS1_11target_archE4294967295ELNS1_3gpuE0ELNS1_3repE0EEENS1_30default_config_static_selectorELNS0_4arch9wavefront6targetE1EEEvT1_
	.p2align	8
	.type	_ZN7rocprim17ROCPRIM_400000_NS6detail17trampoline_kernelINS0_14default_configENS1_35adjacent_difference_config_selectorILb1ExEEZNS1_24adjacent_difference_implIS3_Lb1ELb0EPxN6thrust23THRUST_200600_302600_NS16discard_iteratorINS9_11use_defaultEEENS9_5minusIxEEEE10hipError_tPvRmT2_T3_mT4_P12ihipStream_tbEUlT_E_NS1_11comp_targetILNS1_3genE0ELNS1_11target_archE4294967295ELNS1_3gpuE0ELNS1_3repE0EEENS1_30default_config_static_selectorELNS0_4arch9wavefront6targetE1EEEvT1_,@function
_ZN7rocprim17ROCPRIM_400000_NS6detail17trampoline_kernelINS0_14default_configENS1_35adjacent_difference_config_selectorILb1ExEEZNS1_24adjacent_difference_implIS3_Lb1ELb0EPxN6thrust23THRUST_200600_302600_NS16discard_iteratorINS9_11use_defaultEEENS9_5minusIxEEEE10hipError_tPvRmT2_T3_mT4_P12ihipStream_tbEUlT_E_NS1_11comp_targetILNS1_3genE0ELNS1_11target_archE4294967295ELNS1_3gpuE0ELNS1_3repE0EEENS1_30default_config_static_selectorELNS0_4arch9wavefront6targetE1EEEvT1_: ; @_ZN7rocprim17ROCPRIM_400000_NS6detail17trampoline_kernelINS0_14default_configENS1_35adjacent_difference_config_selectorILb1ExEEZNS1_24adjacent_difference_implIS3_Lb1ELb0EPxN6thrust23THRUST_200600_302600_NS16discard_iteratorINS9_11use_defaultEEENS9_5minusIxEEEE10hipError_tPvRmT2_T3_mT4_P12ihipStream_tbEUlT_E_NS1_11comp_targetILNS1_3genE0ELNS1_11target_archE4294967295ELNS1_3gpuE0ELNS1_3repE0EEENS1_30default_config_static_selectorELNS0_4arch9wavefront6targetE1EEEvT1_
; %bb.0:
	.section	.rodata,"a",@progbits
	.p2align	6, 0x0
	.amdhsa_kernel _ZN7rocprim17ROCPRIM_400000_NS6detail17trampoline_kernelINS0_14default_configENS1_35adjacent_difference_config_selectorILb1ExEEZNS1_24adjacent_difference_implIS3_Lb1ELb0EPxN6thrust23THRUST_200600_302600_NS16discard_iteratorINS9_11use_defaultEEENS9_5minusIxEEEE10hipError_tPvRmT2_T3_mT4_P12ihipStream_tbEUlT_E_NS1_11comp_targetILNS1_3genE0ELNS1_11target_archE4294967295ELNS1_3gpuE0ELNS1_3repE0EEENS1_30default_config_static_selectorELNS0_4arch9wavefront6targetE1EEEvT1_
		.amdhsa_group_segment_fixed_size 0
		.amdhsa_private_segment_fixed_size 0
		.amdhsa_kernarg_size 64
		.amdhsa_user_sgpr_count 6
		.amdhsa_user_sgpr_private_segment_buffer 1
		.amdhsa_user_sgpr_dispatch_ptr 0
		.amdhsa_user_sgpr_queue_ptr 0
		.amdhsa_user_sgpr_kernarg_segment_ptr 1
		.amdhsa_user_sgpr_dispatch_id 0
		.amdhsa_user_sgpr_flat_scratch_init 0
		.amdhsa_user_sgpr_private_segment_size 0
		.amdhsa_uses_dynamic_stack 0
		.amdhsa_system_sgpr_private_segment_wavefront_offset 0
		.amdhsa_system_sgpr_workgroup_id_x 1
		.amdhsa_system_sgpr_workgroup_id_y 0
		.amdhsa_system_sgpr_workgroup_id_z 0
		.amdhsa_system_sgpr_workgroup_info 0
		.amdhsa_system_vgpr_workitem_id 0
		.amdhsa_next_free_vgpr 1
		.amdhsa_next_free_sgpr 0
		.amdhsa_reserve_vcc 0
		.amdhsa_reserve_flat_scratch 0
		.amdhsa_float_round_mode_32 0
		.amdhsa_float_round_mode_16_64 0
		.amdhsa_float_denorm_mode_32 3
		.amdhsa_float_denorm_mode_16_64 3
		.amdhsa_dx10_clamp 1
		.amdhsa_ieee_mode 1
		.amdhsa_fp16_overflow 0
		.amdhsa_exception_fp_ieee_invalid_op 0
		.amdhsa_exception_fp_denorm_src 0
		.amdhsa_exception_fp_ieee_div_zero 0
		.amdhsa_exception_fp_ieee_overflow 0
		.amdhsa_exception_fp_ieee_underflow 0
		.amdhsa_exception_fp_ieee_inexact 0
		.amdhsa_exception_int_div_zero 0
	.end_amdhsa_kernel
	.section	.text._ZN7rocprim17ROCPRIM_400000_NS6detail17trampoline_kernelINS0_14default_configENS1_35adjacent_difference_config_selectorILb1ExEEZNS1_24adjacent_difference_implIS3_Lb1ELb0EPxN6thrust23THRUST_200600_302600_NS16discard_iteratorINS9_11use_defaultEEENS9_5minusIxEEEE10hipError_tPvRmT2_T3_mT4_P12ihipStream_tbEUlT_E_NS1_11comp_targetILNS1_3genE0ELNS1_11target_archE4294967295ELNS1_3gpuE0ELNS1_3repE0EEENS1_30default_config_static_selectorELNS0_4arch9wavefront6targetE1EEEvT1_,"axG",@progbits,_ZN7rocprim17ROCPRIM_400000_NS6detail17trampoline_kernelINS0_14default_configENS1_35adjacent_difference_config_selectorILb1ExEEZNS1_24adjacent_difference_implIS3_Lb1ELb0EPxN6thrust23THRUST_200600_302600_NS16discard_iteratorINS9_11use_defaultEEENS9_5minusIxEEEE10hipError_tPvRmT2_T3_mT4_P12ihipStream_tbEUlT_E_NS1_11comp_targetILNS1_3genE0ELNS1_11target_archE4294967295ELNS1_3gpuE0ELNS1_3repE0EEENS1_30default_config_static_selectorELNS0_4arch9wavefront6targetE1EEEvT1_,comdat
.Lfunc_end867:
	.size	_ZN7rocprim17ROCPRIM_400000_NS6detail17trampoline_kernelINS0_14default_configENS1_35adjacent_difference_config_selectorILb1ExEEZNS1_24adjacent_difference_implIS3_Lb1ELb0EPxN6thrust23THRUST_200600_302600_NS16discard_iteratorINS9_11use_defaultEEENS9_5minusIxEEEE10hipError_tPvRmT2_T3_mT4_P12ihipStream_tbEUlT_E_NS1_11comp_targetILNS1_3genE0ELNS1_11target_archE4294967295ELNS1_3gpuE0ELNS1_3repE0EEENS1_30default_config_static_selectorELNS0_4arch9wavefront6targetE1EEEvT1_, .Lfunc_end867-_ZN7rocprim17ROCPRIM_400000_NS6detail17trampoline_kernelINS0_14default_configENS1_35adjacent_difference_config_selectorILb1ExEEZNS1_24adjacent_difference_implIS3_Lb1ELb0EPxN6thrust23THRUST_200600_302600_NS16discard_iteratorINS9_11use_defaultEEENS9_5minusIxEEEE10hipError_tPvRmT2_T3_mT4_P12ihipStream_tbEUlT_E_NS1_11comp_targetILNS1_3genE0ELNS1_11target_archE4294967295ELNS1_3gpuE0ELNS1_3repE0EEENS1_30default_config_static_selectorELNS0_4arch9wavefront6targetE1EEEvT1_
                                        ; -- End function
	.set _ZN7rocprim17ROCPRIM_400000_NS6detail17trampoline_kernelINS0_14default_configENS1_35adjacent_difference_config_selectorILb1ExEEZNS1_24adjacent_difference_implIS3_Lb1ELb0EPxN6thrust23THRUST_200600_302600_NS16discard_iteratorINS9_11use_defaultEEENS9_5minusIxEEEE10hipError_tPvRmT2_T3_mT4_P12ihipStream_tbEUlT_E_NS1_11comp_targetILNS1_3genE0ELNS1_11target_archE4294967295ELNS1_3gpuE0ELNS1_3repE0EEENS1_30default_config_static_selectorELNS0_4arch9wavefront6targetE1EEEvT1_.num_vgpr, 0
	.set _ZN7rocprim17ROCPRIM_400000_NS6detail17trampoline_kernelINS0_14default_configENS1_35adjacent_difference_config_selectorILb1ExEEZNS1_24adjacent_difference_implIS3_Lb1ELb0EPxN6thrust23THRUST_200600_302600_NS16discard_iteratorINS9_11use_defaultEEENS9_5minusIxEEEE10hipError_tPvRmT2_T3_mT4_P12ihipStream_tbEUlT_E_NS1_11comp_targetILNS1_3genE0ELNS1_11target_archE4294967295ELNS1_3gpuE0ELNS1_3repE0EEENS1_30default_config_static_selectorELNS0_4arch9wavefront6targetE1EEEvT1_.num_agpr, 0
	.set _ZN7rocprim17ROCPRIM_400000_NS6detail17trampoline_kernelINS0_14default_configENS1_35adjacent_difference_config_selectorILb1ExEEZNS1_24adjacent_difference_implIS3_Lb1ELb0EPxN6thrust23THRUST_200600_302600_NS16discard_iteratorINS9_11use_defaultEEENS9_5minusIxEEEE10hipError_tPvRmT2_T3_mT4_P12ihipStream_tbEUlT_E_NS1_11comp_targetILNS1_3genE0ELNS1_11target_archE4294967295ELNS1_3gpuE0ELNS1_3repE0EEENS1_30default_config_static_selectorELNS0_4arch9wavefront6targetE1EEEvT1_.numbered_sgpr, 0
	.set _ZN7rocprim17ROCPRIM_400000_NS6detail17trampoline_kernelINS0_14default_configENS1_35adjacent_difference_config_selectorILb1ExEEZNS1_24adjacent_difference_implIS3_Lb1ELb0EPxN6thrust23THRUST_200600_302600_NS16discard_iteratorINS9_11use_defaultEEENS9_5minusIxEEEE10hipError_tPvRmT2_T3_mT4_P12ihipStream_tbEUlT_E_NS1_11comp_targetILNS1_3genE0ELNS1_11target_archE4294967295ELNS1_3gpuE0ELNS1_3repE0EEENS1_30default_config_static_selectorELNS0_4arch9wavefront6targetE1EEEvT1_.num_named_barrier, 0
	.set _ZN7rocprim17ROCPRIM_400000_NS6detail17trampoline_kernelINS0_14default_configENS1_35adjacent_difference_config_selectorILb1ExEEZNS1_24adjacent_difference_implIS3_Lb1ELb0EPxN6thrust23THRUST_200600_302600_NS16discard_iteratorINS9_11use_defaultEEENS9_5minusIxEEEE10hipError_tPvRmT2_T3_mT4_P12ihipStream_tbEUlT_E_NS1_11comp_targetILNS1_3genE0ELNS1_11target_archE4294967295ELNS1_3gpuE0ELNS1_3repE0EEENS1_30default_config_static_selectorELNS0_4arch9wavefront6targetE1EEEvT1_.private_seg_size, 0
	.set _ZN7rocprim17ROCPRIM_400000_NS6detail17trampoline_kernelINS0_14default_configENS1_35adjacent_difference_config_selectorILb1ExEEZNS1_24adjacent_difference_implIS3_Lb1ELb0EPxN6thrust23THRUST_200600_302600_NS16discard_iteratorINS9_11use_defaultEEENS9_5minusIxEEEE10hipError_tPvRmT2_T3_mT4_P12ihipStream_tbEUlT_E_NS1_11comp_targetILNS1_3genE0ELNS1_11target_archE4294967295ELNS1_3gpuE0ELNS1_3repE0EEENS1_30default_config_static_selectorELNS0_4arch9wavefront6targetE1EEEvT1_.uses_vcc, 0
	.set _ZN7rocprim17ROCPRIM_400000_NS6detail17trampoline_kernelINS0_14default_configENS1_35adjacent_difference_config_selectorILb1ExEEZNS1_24adjacent_difference_implIS3_Lb1ELb0EPxN6thrust23THRUST_200600_302600_NS16discard_iteratorINS9_11use_defaultEEENS9_5minusIxEEEE10hipError_tPvRmT2_T3_mT4_P12ihipStream_tbEUlT_E_NS1_11comp_targetILNS1_3genE0ELNS1_11target_archE4294967295ELNS1_3gpuE0ELNS1_3repE0EEENS1_30default_config_static_selectorELNS0_4arch9wavefront6targetE1EEEvT1_.uses_flat_scratch, 0
	.set _ZN7rocprim17ROCPRIM_400000_NS6detail17trampoline_kernelINS0_14default_configENS1_35adjacent_difference_config_selectorILb1ExEEZNS1_24adjacent_difference_implIS3_Lb1ELb0EPxN6thrust23THRUST_200600_302600_NS16discard_iteratorINS9_11use_defaultEEENS9_5minusIxEEEE10hipError_tPvRmT2_T3_mT4_P12ihipStream_tbEUlT_E_NS1_11comp_targetILNS1_3genE0ELNS1_11target_archE4294967295ELNS1_3gpuE0ELNS1_3repE0EEENS1_30default_config_static_selectorELNS0_4arch9wavefront6targetE1EEEvT1_.has_dyn_sized_stack, 0
	.set _ZN7rocprim17ROCPRIM_400000_NS6detail17trampoline_kernelINS0_14default_configENS1_35adjacent_difference_config_selectorILb1ExEEZNS1_24adjacent_difference_implIS3_Lb1ELb0EPxN6thrust23THRUST_200600_302600_NS16discard_iteratorINS9_11use_defaultEEENS9_5minusIxEEEE10hipError_tPvRmT2_T3_mT4_P12ihipStream_tbEUlT_E_NS1_11comp_targetILNS1_3genE0ELNS1_11target_archE4294967295ELNS1_3gpuE0ELNS1_3repE0EEENS1_30default_config_static_selectorELNS0_4arch9wavefront6targetE1EEEvT1_.has_recursion, 0
	.set _ZN7rocprim17ROCPRIM_400000_NS6detail17trampoline_kernelINS0_14default_configENS1_35adjacent_difference_config_selectorILb1ExEEZNS1_24adjacent_difference_implIS3_Lb1ELb0EPxN6thrust23THRUST_200600_302600_NS16discard_iteratorINS9_11use_defaultEEENS9_5minusIxEEEE10hipError_tPvRmT2_T3_mT4_P12ihipStream_tbEUlT_E_NS1_11comp_targetILNS1_3genE0ELNS1_11target_archE4294967295ELNS1_3gpuE0ELNS1_3repE0EEENS1_30default_config_static_selectorELNS0_4arch9wavefront6targetE1EEEvT1_.has_indirect_call, 0
	.section	.AMDGPU.csdata,"",@progbits
; Kernel info:
; codeLenInByte = 0
; TotalNumSgprs: 4
; NumVgprs: 0
; ScratchSize: 0
; MemoryBound: 0
; FloatMode: 240
; IeeeMode: 1
; LDSByteSize: 0 bytes/workgroup (compile time only)
; SGPRBlocks: 0
; VGPRBlocks: 0
; NumSGPRsForWavesPerEU: 4
; NumVGPRsForWavesPerEU: 1
; Occupancy: 10
; WaveLimiterHint : 0
; COMPUTE_PGM_RSRC2:SCRATCH_EN: 0
; COMPUTE_PGM_RSRC2:USER_SGPR: 6
; COMPUTE_PGM_RSRC2:TRAP_HANDLER: 0
; COMPUTE_PGM_RSRC2:TGID_X_EN: 1
; COMPUTE_PGM_RSRC2:TGID_Y_EN: 0
; COMPUTE_PGM_RSRC2:TGID_Z_EN: 0
; COMPUTE_PGM_RSRC2:TIDIG_COMP_CNT: 0
	.section	.text._ZN7rocprim17ROCPRIM_400000_NS6detail17trampoline_kernelINS0_14default_configENS1_35adjacent_difference_config_selectorILb1ExEEZNS1_24adjacent_difference_implIS3_Lb1ELb0EPxN6thrust23THRUST_200600_302600_NS16discard_iteratorINS9_11use_defaultEEENS9_5minusIxEEEE10hipError_tPvRmT2_T3_mT4_P12ihipStream_tbEUlT_E_NS1_11comp_targetILNS1_3genE10ELNS1_11target_archE1201ELNS1_3gpuE5ELNS1_3repE0EEENS1_30default_config_static_selectorELNS0_4arch9wavefront6targetE1EEEvT1_,"axG",@progbits,_ZN7rocprim17ROCPRIM_400000_NS6detail17trampoline_kernelINS0_14default_configENS1_35adjacent_difference_config_selectorILb1ExEEZNS1_24adjacent_difference_implIS3_Lb1ELb0EPxN6thrust23THRUST_200600_302600_NS16discard_iteratorINS9_11use_defaultEEENS9_5minusIxEEEE10hipError_tPvRmT2_T3_mT4_P12ihipStream_tbEUlT_E_NS1_11comp_targetILNS1_3genE10ELNS1_11target_archE1201ELNS1_3gpuE5ELNS1_3repE0EEENS1_30default_config_static_selectorELNS0_4arch9wavefront6targetE1EEEvT1_,comdat
	.protected	_ZN7rocprim17ROCPRIM_400000_NS6detail17trampoline_kernelINS0_14default_configENS1_35adjacent_difference_config_selectorILb1ExEEZNS1_24adjacent_difference_implIS3_Lb1ELb0EPxN6thrust23THRUST_200600_302600_NS16discard_iteratorINS9_11use_defaultEEENS9_5minusIxEEEE10hipError_tPvRmT2_T3_mT4_P12ihipStream_tbEUlT_E_NS1_11comp_targetILNS1_3genE10ELNS1_11target_archE1201ELNS1_3gpuE5ELNS1_3repE0EEENS1_30default_config_static_selectorELNS0_4arch9wavefront6targetE1EEEvT1_ ; -- Begin function _ZN7rocprim17ROCPRIM_400000_NS6detail17trampoline_kernelINS0_14default_configENS1_35adjacent_difference_config_selectorILb1ExEEZNS1_24adjacent_difference_implIS3_Lb1ELb0EPxN6thrust23THRUST_200600_302600_NS16discard_iteratorINS9_11use_defaultEEENS9_5minusIxEEEE10hipError_tPvRmT2_T3_mT4_P12ihipStream_tbEUlT_E_NS1_11comp_targetILNS1_3genE10ELNS1_11target_archE1201ELNS1_3gpuE5ELNS1_3repE0EEENS1_30default_config_static_selectorELNS0_4arch9wavefront6targetE1EEEvT1_
	.globl	_ZN7rocprim17ROCPRIM_400000_NS6detail17trampoline_kernelINS0_14default_configENS1_35adjacent_difference_config_selectorILb1ExEEZNS1_24adjacent_difference_implIS3_Lb1ELb0EPxN6thrust23THRUST_200600_302600_NS16discard_iteratorINS9_11use_defaultEEENS9_5minusIxEEEE10hipError_tPvRmT2_T3_mT4_P12ihipStream_tbEUlT_E_NS1_11comp_targetILNS1_3genE10ELNS1_11target_archE1201ELNS1_3gpuE5ELNS1_3repE0EEENS1_30default_config_static_selectorELNS0_4arch9wavefront6targetE1EEEvT1_
	.p2align	8
	.type	_ZN7rocprim17ROCPRIM_400000_NS6detail17trampoline_kernelINS0_14default_configENS1_35adjacent_difference_config_selectorILb1ExEEZNS1_24adjacent_difference_implIS3_Lb1ELb0EPxN6thrust23THRUST_200600_302600_NS16discard_iteratorINS9_11use_defaultEEENS9_5minusIxEEEE10hipError_tPvRmT2_T3_mT4_P12ihipStream_tbEUlT_E_NS1_11comp_targetILNS1_3genE10ELNS1_11target_archE1201ELNS1_3gpuE5ELNS1_3repE0EEENS1_30default_config_static_selectorELNS0_4arch9wavefront6targetE1EEEvT1_,@function
_ZN7rocprim17ROCPRIM_400000_NS6detail17trampoline_kernelINS0_14default_configENS1_35adjacent_difference_config_selectorILb1ExEEZNS1_24adjacent_difference_implIS3_Lb1ELb0EPxN6thrust23THRUST_200600_302600_NS16discard_iteratorINS9_11use_defaultEEENS9_5minusIxEEEE10hipError_tPvRmT2_T3_mT4_P12ihipStream_tbEUlT_E_NS1_11comp_targetILNS1_3genE10ELNS1_11target_archE1201ELNS1_3gpuE5ELNS1_3repE0EEENS1_30default_config_static_selectorELNS0_4arch9wavefront6targetE1EEEvT1_: ; @_ZN7rocprim17ROCPRIM_400000_NS6detail17trampoline_kernelINS0_14default_configENS1_35adjacent_difference_config_selectorILb1ExEEZNS1_24adjacent_difference_implIS3_Lb1ELb0EPxN6thrust23THRUST_200600_302600_NS16discard_iteratorINS9_11use_defaultEEENS9_5minusIxEEEE10hipError_tPvRmT2_T3_mT4_P12ihipStream_tbEUlT_E_NS1_11comp_targetILNS1_3genE10ELNS1_11target_archE1201ELNS1_3gpuE5ELNS1_3repE0EEENS1_30default_config_static_selectorELNS0_4arch9wavefront6targetE1EEEvT1_
; %bb.0:
	.section	.rodata,"a",@progbits
	.p2align	6, 0x0
	.amdhsa_kernel _ZN7rocprim17ROCPRIM_400000_NS6detail17trampoline_kernelINS0_14default_configENS1_35adjacent_difference_config_selectorILb1ExEEZNS1_24adjacent_difference_implIS3_Lb1ELb0EPxN6thrust23THRUST_200600_302600_NS16discard_iteratorINS9_11use_defaultEEENS9_5minusIxEEEE10hipError_tPvRmT2_T3_mT4_P12ihipStream_tbEUlT_E_NS1_11comp_targetILNS1_3genE10ELNS1_11target_archE1201ELNS1_3gpuE5ELNS1_3repE0EEENS1_30default_config_static_selectorELNS0_4arch9wavefront6targetE1EEEvT1_
		.amdhsa_group_segment_fixed_size 0
		.amdhsa_private_segment_fixed_size 0
		.amdhsa_kernarg_size 64
		.amdhsa_user_sgpr_count 6
		.amdhsa_user_sgpr_private_segment_buffer 1
		.amdhsa_user_sgpr_dispatch_ptr 0
		.amdhsa_user_sgpr_queue_ptr 0
		.amdhsa_user_sgpr_kernarg_segment_ptr 1
		.amdhsa_user_sgpr_dispatch_id 0
		.amdhsa_user_sgpr_flat_scratch_init 0
		.amdhsa_user_sgpr_private_segment_size 0
		.amdhsa_uses_dynamic_stack 0
		.amdhsa_system_sgpr_private_segment_wavefront_offset 0
		.amdhsa_system_sgpr_workgroup_id_x 1
		.amdhsa_system_sgpr_workgroup_id_y 0
		.amdhsa_system_sgpr_workgroup_id_z 0
		.amdhsa_system_sgpr_workgroup_info 0
		.amdhsa_system_vgpr_workitem_id 0
		.amdhsa_next_free_vgpr 1
		.amdhsa_next_free_sgpr 0
		.amdhsa_reserve_vcc 0
		.amdhsa_reserve_flat_scratch 0
		.amdhsa_float_round_mode_32 0
		.amdhsa_float_round_mode_16_64 0
		.amdhsa_float_denorm_mode_32 3
		.amdhsa_float_denorm_mode_16_64 3
		.amdhsa_dx10_clamp 1
		.amdhsa_ieee_mode 1
		.amdhsa_fp16_overflow 0
		.amdhsa_exception_fp_ieee_invalid_op 0
		.amdhsa_exception_fp_denorm_src 0
		.amdhsa_exception_fp_ieee_div_zero 0
		.amdhsa_exception_fp_ieee_overflow 0
		.amdhsa_exception_fp_ieee_underflow 0
		.amdhsa_exception_fp_ieee_inexact 0
		.amdhsa_exception_int_div_zero 0
	.end_amdhsa_kernel
	.section	.text._ZN7rocprim17ROCPRIM_400000_NS6detail17trampoline_kernelINS0_14default_configENS1_35adjacent_difference_config_selectorILb1ExEEZNS1_24adjacent_difference_implIS3_Lb1ELb0EPxN6thrust23THRUST_200600_302600_NS16discard_iteratorINS9_11use_defaultEEENS9_5minusIxEEEE10hipError_tPvRmT2_T3_mT4_P12ihipStream_tbEUlT_E_NS1_11comp_targetILNS1_3genE10ELNS1_11target_archE1201ELNS1_3gpuE5ELNS1_3repE0EEENS1_30default_config_static_selectorELNS0_4arch9wavefront6targetE1EEEvT1_,"axG",@progbits,_ZN7rocprim17ROCPRIM_400000_NS6detail17trampoline_kernelINS0_14default_configENS1_35adjacent_difference_config_selectorILb1ExEEZNS1_24adjacent_difference_implIS3_Lb1ELb0EPxN6thrust23THRUST_200600_302600_NS16discard_iteratorINS9_11use_defaultEEENS9_5minusIxEEEE10hipError_tPvRmT2_T3_mT4_P12ihipStream_tbEUlT_E_NS1_11comp_targetILNS1_3genE10ELNS1_11target_archE1201ELNS1_3gpuE5ELNS1_3repE0EEENS1_30default_config_static_selectorELNS0_4arch9wavefront6targetE1EEEvT1_,comdat
.Lfunc_end868:
	.size	_ZN7rocprim17ROCPRIM_400000_NS6detail17trampoline_kernelINS0_14default_configENS1_35adjacent_difference_config_selectorILb1ExEEZNS1_24adjacent_difference_implIS3_Lb1ELb0EPxN6thrust23THRUST_200600_302600_NS16discard_iteratorINS9_11use_defaultEEENS9_5minusIxEEEE10hipError_tPvRmT2_T3_mT4_P12ihipStream_tbEUlT_E_NS1_11comp_targetILNS1_3genE10ELNS1_11target_archE1201ELNS1_3gpuE5ELNS1_3repE0EEENS1_30default_config_static_selectorELNS0_4arch9wavefront6targetE1EEEvT1_, .Lfunc_end868-_ZN7rocprim17ROCPRIM_400000_NS6detail17trampoline_kernelINS0_14default_configENS1_35adjacent_difference_config_selectorILb1ExEEZNS1_24adjacent_difference_implIS3_Lb1ELb0EPxN6thrust23THRUST_200600_302600_NS16discard_iteratorINS9_11use_defaultEEENS9_5minusIxEEEE10hipError_tPvRmT2_T3_mT4_P12ihipStream_tbEUlT_E_NS1_11comp_targetILNS1_3genE10ELNS1_11target_archE1201ELNS1_3gpuE5ELNS1_3repE0EEENS1_30default_config_static_selectorELNS0_4arch9wavefront6targetE1EEEvT1_
                                        ; -- End function
	.set _ZN7rocprim17ROCPRIM_400000_NS6detail17trampoline_kernelINS0_14default_configENS1_35adjacent_difference_config_selectorILb1ExEEZNS1_24adjacent_difference_implIS3_Lb1ELb0EPxN6thrust23THRUST_200600_302600_NS16discard_iteratorINS9_11use_defaultEEENS9_5minusIxEEEE10hipError_tPvRmT2_T3_mT4_P12ihipStream_tbEUlT_E_NS1_11comp_targetILNS1_3genE10ELNS1_11target_archE1201ELNS1_3gpuE5ELNS1_3repE0EEENS1_30default_config_static_selectorELNS0_4arch9wavefront6targetE1EEEvT1_.num_vgpr, 0
	.set _ZN7rocprim17ROCPRIM_400000_NS6detail17trampoline_kernelINS0_14default_configENS1_35adjacent_difference_config_selectorILb1ExEEZNS1_24adjacent_difference_implIS3_Lb1ELb0EPxN6thrust23THRUST_200600_302600_NS16discard_iteratorINS9_11use_defaultEEENS9_5minusIxEEEE10hipError_tPvRmT2_T3_mT4_P12ihipStream_tbEUlT_E_NS1_11comp_targetILNS1_3genE10ELNS1_11target_archE1201ELNS1_3gpuE5ELNS1_3repE0EEENS1_30default_config_static_selectorELNS0_4arch9wavefront6targetE1EEEvT1_.num_agpr, 0
	.set _ZN7rocprim17ROCPRIM_400000_NS6detail17trampoline_kernelINS0_14default_configENS1_35adjacent_difference_config_selectorILb1ExEEZNS1_24adjacent_difference_implIS3_Lb1ELb0EPxN6thrust23THRUST_200600_302600_NS16discard_iteratorINS9_11use_defaultEEENS9_5minusIxEEEE10hipError_tPvRmT2_T3_mT4_P12ihipStream_tbEUlT_E_NS1_11comp_targetILNS1_3genE10ELNS1_11target_archE1201ELNS1_3gpuE5ELNS1_3repE0EEENS1_30default_config_static_selectorELNS0_4arch9wavefront6targetE1EEEvT1_.numbered_sgpr, 0
	.set _ZN7rocprim17ROCPRIM_400000_NS6detail17trampoline_kernelINS0_14default_configENS1_35adjacent_difference_config_selectorILb1ExEEZNS1_24adjacent_difference_implIS3_Lb1ELb0EPxN6thrust23THRUST_200600_302600_NS16discard_iteratorINS9_11use_defaultEEENS9_5minusIxEEEE10hipError_tPvRmT2_T3_mT4_P12ihipStream_tbEUlT_E_NS1_11comp_targetILNS1_3genE10ELNS1_11target_archE1201ELNS1_3gpuE5ELNS1_3repE0EEENS1_30default_config_static_selectorELNS0_4arch9wavefront6targetE1EEEvT1_.num_named_barrier, 0
	.set _ZN7rocprim17ROCPRIM_400000_NS6detail17trampoline_kernelINS0_14default_configENS1_35adjacent_difference_config_selectorILb1ExEEZNS1_24adjacent_difference_implIS3_Lb1ELb0EPxN6thrust23THRUST_200600_302600_NS16discard_iteratorINS9_11use_defaultEEENS9_5minusIxEEEE10hipError_tPvRmT2_T3_mT4_P12ihipStream_tbEUlT_E_NS1_11comp_targetILNS1_3genE10ELNS1_11target_archE1201ELNS1_3gpuE5ELNS1_3repE0EEENS1_30default_config_static_selectorELNS0_4arch9wavefront6targetE1EEEvT1_.private_seg_size, 0
	.set _ZN7rocprim17ROCPRIM_400000_NS6detail17trampoline_kernelINS0_14default_configENS1_35adjacent_difference_config_selectorILb1ExEEZNS1_24adjacent_difference_implIS3_Lb1ELb0EPxN6thrust23THRUST_200600_302600_NS16discard_iteratorINS9_11use_defaultEEENS9_5minusIxEEEE10hipError_tPvRmT2_T3_mT4_P12ihipStream_tbEUlT_E_NS1_11comp_targetILNS1_3genE10ELNS1_11target_archE1201ELNS1_3gpuE5ELNS1_3repE0EEENS1_30default_config_static_selectorELNS0_4arch9wavefront6targetE1EEEvT1_.uses_vcc, 0
	.set _ZN7rocprim17ROCPRIM_400000_NS6detail17trampoline_kernelINS0_14default_configENS1_35adjacent_difference_config_selectorILb1ExEEZNS1_24adjacent_difference_implIS3_Lb1ELb0EPxN6thrust23THRUST_200600_302600_NS16discard_iteratorINS9_11use_defaultEEENS9_5minusIxEEEE10hipError_tPvRmT2_T3_mT4_P12ihipStream_tbEUlT_E_NS1_11comp_targetILNS1_3genE10ELNS1_11target_archE1201ELNS1_3gpuE5ELNS1_3repE0EEENS1_30default_config_static_selectorELNS0_4arch9wavefront6targetE1EEEvT1_.uses_flat_scratch, 0
	.set _ZN7rocprim17ROCPRIM_400000_NS6detail17trampoline_kernelINS0_14default_configENS1_35adjacent_difference_config_selectorILb1ExEEZNS1_24adjacent_difference_implIS3_Lb1ELb0EPxN6thrust23THRUST_200600_302600_NS16discard_iteratorINS9_11use_defaultEEENS9_5minusIxEEEE10hipError_tPvRmT2_T3_mT4_P12ihipStream_tbEUlT_E_NS1_11comp_targetILNS1_3genE10ELNS1_11target_archE1201ELNS1_3gpuE5ELNS1_3repE0EEENS1_30default_config_static_selectorELNS0_4arch9wavefront6targetE1EEEvT1_.has_dyn_sized_stack, 0
	.set _ZN7rocprim17ROCPRIM_400000_NS6detail17trampoline_kernelINS0_14default_configENS1_35adjacent_difference_config_selectorILb1ExEEZNS1_24adjacent_difference_implIS3_Lb1ELb0EPxN6thrust23THRUST_200600_302600_NS16discard_iteratorINS9_11use_defaultEEENS9_5minusIxEEEE10hipError_tPvRmT2_T3_mT4_P12ihipStream_tbEUlT_E_NS1_11comp_targetILNS1_3genE10ELNS1_11target_archE1201ELNS1_3gpuE5ELNS1_3repE0EEENS1_30default_config_static_selectorELNS0_4arch9wavefront6targetE1EEEvT1_.has_recursion, 0
	.set _ZN7rocprim17ROCPRIM_400000_NS6detail17trampoline_kernelINS0_14default_configENS1_35adjacent_difference_config_selectorILb1ExEEZNS1_24adjacent_difference_implIS3_Lb1ELb0EPxN6thrust23THRUST_200600_302600_NS16discard_iteratorINS9_11use_defaultEEENS9_5minusIxEEEE10hipError_tPvRmT2_T3_mT4_P12ihipStream_tbEUlT_E_NS1_11comp_targetILNS1_3genE10ELNS1_11target_archE1201ELNS1_3gpuE5ELNS1_3repE0EEENS1_30default_config_static_selectorELNS0_4arch9wavefront6targetE1EEEvT1_.has_indirect_call, 0
	.section	.AMDGPU.csdata,"",@progbits
; Kernel info:
; codeLenInByte = 0
; TotalNumSgprs: 4
; NumVgprs: 0
; ScratchSize: 0
; MemoryBound: 0
; FloatMode: 240
; IeeeMode: 1
; LDSByteSize: 0 bytes/workgroup (compile time only)
; SGPRBlocks: 0
; VGPRBlocks: 0
; NumSGPRsForWavesPerEU: 4
; NumVGPRsForWavesPerEU: 1
; Occupancy: 10
; WaveLimiterHint : 0
; COMPUTE_PGM_RSRC2:SCRATCH_EN: 0
; COMPUTE_PGM_RSRC2:USER_SGPR: 6
; COMPUTE_PGM_RSRC2:TRAP_HANDLER: 0
; COMPUTE_PGM_RSRC2:TGID_X_EN: 1
; COMPUTE_PGM_RSRC2:TGID_Y_EN: 0
; COMPUTE_PGM_RSRC2:TGID_Z_EN: 0
; COMPUTE_PGM_RSRC2:TIDIG_COMP_CNT: 0
	.section	.text._ZN7rocprim17ROCPRIM_400000_NS6detail17trampoline_kernelINS0_14default_configENS1_35adjacent_difference_config_selectorILb1ExEEZNS1_24adjacent_difference_implIS3_Lb1ELb0EPxN6thrust23THRUST_200600_302600_NS16discard_iteratorINS9_11use_defaultEEENS9_5minusIxEEEE10hipError_tPvRmT2_T3_mT4_P12ihipStream_tbEUlT_E_NS1_11comp_targetILNS1_3genE5ELNS1_11target_archE942ELNS1_3gpuE9ELNS1_3repE0EEENS1_30default_config_static_selectorELNS0_4arch9wavefront6targetE1EEEvT1_,"axG",@progbits,_ZN7rocprim17ROCPRIM_400000_NS6detail17trampoline_kernelINS0_14default_configENS1_35adjacent_difference_config_selectorILb1ExEEZNS1_24adjacent_difference_implIS3_Lb1ELb0EPxN6thrust23THRUST_200600_302600_NS16discard_iteratorINS9_11use_defaultEEENS9_5minusIxEEEE10hipError_tPvRmT2_T3_mT4_P12ihipStream_tbEUlT_E_NS1_11comp_targetILNS1_3genE5ELNS1_11target_archE942ELNS1_3gpuE9ELNS1_3repE0EEENS1_30default_config_static_selectorELNS0_4arch9wavefront6targetE1EEEvT1_,comdat
	.protected	_ZN7rocprim17ROCPRIM_400000_NS6detail17trampoline_kernelINS0_14default_configENS1_35adjacent_difference_config_selectorILb1ExEEZNS1_24adjacent_difference_implIS3_Lb1ELb0EPxN6thrust23THRUST_200600_302600_NS16discard_iteratorINS9_11use_defaultEEENS9_5minusIxEEEE10hipError_tPvRmT2_T3_mT4_P12ihipStream_tbEUlT_E_NS1_11comp_targetILNS1_3genE5ELNS1_11target_archE942ELNS1_3gpuE9ELNS1_3repE0EEENS1_30default_config_static_selectorELNS0_4arch9wavefront6targetE1EEEvT1_ ; -- Begin function _ZN7rocprim17ROCPRIM_400000_NS6detail17trampoline_kernelINS0_14default_configENS1_35adjacent_difference_config_selectorILb1ExEEZNS1_24adjacent_difference_implIS3_Lb1ELb0EPxN6thrust23THRUST_200600_302600_NS16discard_iteratorINS9_11use_defaultEEENS9_5minusIxEEEE10hipError_tPvRmT2_T3_mT4_P12ihipStream_tbEUlT_E_NS1_11comp_targetILNS1_3genE5ELNS1_11target_archE942ELNS1_3gpuE9ELNS1_3repE0EEENS1_30default_config_static_selectorELNS0_4arch9wavefront6targetE1EEEvT1_
	.globl	_ZN7rocprim17ROCPRIM_400000_NS6detail17trampoline_kernelINS0_14default_configENS1_35adjacent_difference_config_selectorILb1ExEEZNS1_24adjacent_difference_implIS3_Lb1ELb0EPxN6thrust23THRUST_200600_302600_NS16discard_iteratorINS9_11use_defaultEEENS9_5minusIxEEEE10hipError_tPvRmT2_T3_mT4_P12ihipStream_tbEUlT_E_NS1_11comp_targetILNS1_3genE5ELNS1_11target_archE942ELNS1_3gpuE9ELNS1_3repE0EEENS1_30default_config_static_selectorELNS0_4arch9wavefront6targetE1EEEvT1_
	.p2align	8
	.type	_ZN7rocprim17ROCPRIM_400000_NS6detail17trampoline_kernelINS0_14default_configENS1_35adjacent_difference_config_selectorILb1ExEEZNS1_24adjacent_difference_implIS3_Lb1ELb0EPxN6thrust23THRUST_200600_302600_NS16discard_iteratorINS9_11use_defaultEEENS9_5minusIxEEEE10hipError_tPvRmT2_T3_mT4_P12ihipStream_tbEUlT_E_NS1_11comp_targetILNS1_3genE5ELNS1_11target_archE942ELNS1_3gpuE9ELNS1_3repE0EEENS1_30default_config_static_selectorELNS0_4arch9wavefront6targetE1EEEvT1_,@function
_ZN7rocprim17ROCPRIM_400000_NS6detail17trampoline_kernelINS0_14default_configENS1_35adjacent_difference_config_selectorILb1ExEEZNS1_24adjacent_difference_implIS3_Lb1ELb0EPxN6thrust23THRUST_200600_302600_NS16discard_iteratorINS9_11use_defaultEEENS9_5minusIxEEEE10hipError_tPvRmT2_T3_mT4_P12ihipStream_tbEUlT_E_NS1_11comp_targetILNS1_3genE5ELNS1_11target_archE942ELNS1_3gpuE9ELNS1_3repE0EEENS1_30default_config_static_selectorELNS0_4arch9wavefront6targetE1EEEvT1_: ; @_ZN7rocprim17ROCPRIM_400000_NS6detail17trampoline_kernelINS0_14default_configENS1_35adjacent_difference_config_selectorILb1ExEEZNS1_24adjacent_difference_implIS3_Lb1ELb0EPxN6thrust23THRUST_200600_302600_NS16discard_iteratorINS9_11use_defaultEEENS9_5minusIxEEEE10hipError_tPvRmT2_T3_mT4_P12ihipStream_tbEUlT_E_NS1_11comp_targetILNS1_3genE5ELNS1_11target_archE942ELNS1_3gpuE9ELNS1_3repE0EEENS1_30default_config_static_selectorELNS0_4arch9wavefront6targetE1EEEvT1_
; %bb.0:
	.section	.rodata,"a",@progbits
	.p2align	6, 0x0
	.amdhsa_kernel _ZN7rocprim17ROCPRIM_400000_NS6detail17trampoline_kernelINS0_14default_configENS1_35adjacent_difference_config_selectorILb1ExEEZNS1_24adjacent_difference_implIS3_Lb1ELb0EPxN6thrust23THRUST_200600_302600_NS16discard_iteratorINS9_11use_defaultEEENS9_5minusIxEEEE10hipError_tPvRmT2_T3_mT4_P12ihipStream_tbEUlT_E_NS1_11comp_targetILNS1_3genE5ELNS1_11target_archE942ELNS1_3gpuE9ELNS1_3repE0EEENS1_30default_config_static_selectorELNS0_4arch9wavefront6targetE1EEEvT1_
		.amdhsa_group_segment_fixed_size 0
		.amdhsa_private_segment_fixed_size 0
		.amdhsa_kernarg_size 64
		.amdhsa_user_sgpr_count 6
		.amdhsa_user_sgpr_private_segment_buffer 1
		.amdhsa_user_sgpr_dispatch_ptr 0
		.amdhsa_user_sgpr_queue_ptr 0
		.amdhsa_user_sgpr_kernarg_segment_ptr 1
		.amdhsa_user_sgpr_dispatch_id 0
		.amdhsa_user_sgpr_flat_scratch_init 0
		.amdhsa_user_sgpr_private_segment_size 0
		.amdhsa_uses_dynamic_stack 0
		.amdhsa_system_sgpr_private_segment_wavefront_offset 0
		.amdhsa_system_sgpr_workgroup_id_x 1
		.amdhsa_system_sgpr_workgroup_id_y 0
		.amdhsa_system_sgpr_workgroup_id_z 0
		.amdhsa_system_sgpr_workgroup_info 0
		.amdhsa_system_vgpr_workitem_id 0
		.amdhsa_next_free_vgpr 1
		.amdhsa_next_free_sgpr 0
		.amdhsa_reserve_vcc 0
		.amdhsa_reserve_flat_scratch 0
		.amdhsa_float_round_mode_32 0
		.amdhsa_float_round_mode_16_64 0
		.amdhsa_float_denorm_mode_32 3
		.amdhsa_float_denorm_mode_16_64 3
		.amdhsa_dx10_clamp 1
		.amdhsa_ieee_mode 1
		.amdhsa_fp16_overflow 0
		.amdhsa_exception_fp_ieee_invalid_op 0
		.amdhsa_exception_fp_denorm_src 0
		.amdhsa_exception_fp_ieee_div_zero 0
		.amdhsa_exception_fp_ieee_overflow 0
		.amdhsa_exception_fp_ieee_underflow 0
		.amdhsa_exception_fp_ieee_inexact 0
		.amdhsa_exception_int_div_zero 0
	.end_amdhsa_kernel
	.section	.text._ZN7rocprim17ROCPRIM_400000_NS6detail17trampoline_kernelINS0_14default_configENS1_35adjacent_difference_config_selectorILb1ExEEZNS1_24adjacent_difference_implIS3_Lb1ELb0EPxN6thrust23THRUST_200600_302600_NS16discard_iteratorINS9_11use_defaultEEENS9_5minusIxEEEE10hipError_tPvRmT2_T3_mT4_P12ihipStream_tbEUlT_E_NS1_11comp_targetILNS1_3genE5ELNS1_11target_archE942ELNS1_3gpuE9ELNS1_3repE0EEENS1_30default_config_static_selectorELNS0_4arch9wavefront6targetE1EEEvT1_,"axG",@progbits,_ZN7rocprim17ROCPRIM_400000_NS6detail17trampoline_kernelINS0_14default_configENS1_35adjacent_difference_config_selectorILb1ExEEZNS1_24adjacent_difference_implIS3_Lb1ELb0EPxN6thrust23THRUST_200600_302600_NS16discard_iteratorINS9_11use_defaultEEENS9_5minusIxEEEE10hipError_tPvRmT2_T3_mT4_P12ihipStream_tbEUlT_E_NS1_11comp_targetILNS1_3genE5ELNS1_11target_archE942ELNS1_3gpuE9ELNS1_3repE0EEENS1_30default_config_static_selectorELNS0_4arch9wavefront6targetE1EEEvT1_,comdat
.Lfunc_end869:
	.size	_ZN7rocprim17ROCPRIM_400000_NS6detail17trampoline_kernelINS0_14default_configENS1_35adjacent_difference_config_selectorILb1ExEEZNS1_24adjacent_difference_implIS3_Lb1ELb0EPxN6thrust23THRUST_200600_302600_NS16discard_iteratorINS9_11use_defaultEEENS9_5minusIxEEEE10hipError_tPvRmT2_T3_mT4_P12ihipStream_tbEUlT_E_NS1_11comp_targetILNS1_3genE5ELNS1_11target_archE942ELNS1_3gpuE9ELNS1_3repE0EEENS1_30default_config_static_selectorELNS0_4arch9wavefront6targetE1EEEvT1_, .Lfunc_end869-_ZN7rocprim17ROCPRIM_400000_NS6detail17trampoline_kernelINS0_14default_configENS1_35adjacent_difference_config_selectorILb1ExEEZNS1_24adjacent_difference_implIS3_Lb1ELb0EPxN6thrust23THRUST_200600_302600_NS16discard_iteratorINS9_11use_defaultEEENS9_5minusIxEEEE10hipError_tPvRmT2_T3_mT4_P12ihipStream_tbEUlT_E_NS1_11comp_targetILNS1_3genE5ELNS1_11target_archE942ELNS1_3gpuE9ELNS1_3repE0EEENS1_30default_config_static_selectorELNS0_4arch9wavefront6targetE1EEEvT1_
                                        ; -- End function
	.set _ZN7rocprim17ROCPRIM_400000_NS6detail17trampoline_kernelINS0_14default_configENS1_35adjacent_difference_config_selectorILb1ExEEZNS1_24adjacent_difference_implIS3_Lb1ELb0EPxN6thrust23THRUST_200600_302600_NS16discard_iteratorINS9_11use_defaultEEENS9_5minusIxEEEE10hipError_tPvRmT2_T3_mT4_P12ihipStream_tbEUlT_E_NS1_11comp_targetILNS1_3genE5ELNS1_11target_archE942ELNS1_3gpuE9ELNS1_3repE0EEENS1_30default_config_static_selectorELNS0_4arch9wavefront6targetE1EEEvT1_.num_vgpr, 0
	.set _ZN7rocprim17ROCPRIM_400000_NS6detail17trampoline_kernelINS0_14default_configENS1_35adjacent_difference_config_selectorILb1ExEEZNS1_24adjacent_difference_implIS3_Lb1ELb0EPxN6thrust23THRUST_200600_302600_NS16discard_iteratorINS9_11use_defaultEEENS9_5minusIxEEEE10hipError_tPvRmT2_T3_mT4_P12ihipStream_tbEUlT_E_NS1_11comp_targetILNS1_3genE5ELNS1_11target_archE942ELNS1_3gpuE9ELNS1_3repE0EEENS1_30default_config_static_selectorELNS0_4arch9wavefront6targetE1EEEvT1_.num_agpr, 0
	.set _ZN7rocprim17ROCPRIM_400000_NS6detail17trampoline_kernelINS0_14default_configENS1_35adjacent_difference_config_selectorILb1ExEEZNS1_24adjacent_difference_implIS3_Lb1ELb0EPxN6thrust23THRUST_200600_302600_NS16discard_iteratorINS9_11use_defaultEEENS9_5minusIxEEEE10hipError_tPvRmT2_T3_mT4_P12ihipStream_tbEUlT_E_NS1_11comp_targetILNS1_3genE5ELNS1_11target_archE942ELNS1_3gpuE9ELNS1_3repE0EEENS1_30default_config_static_selectorELNS0_4arch9wavefront6targetE1EEEvT1_.numbered_sgpr, 0
	.set _ZN7rocprim17ROCPRIM_400000_NS6detail17trampoline_kernelINS0_14default_configENS1_35adjacent_difference_config_selectorILb1ExEEZNS1_24adjacent_difference_implIS3_Lb1ELb0EPxN6thrust23THRUST_200600_302600_NS16discard_iteratorINS9_11use_defaultEEENS9_5minusIxEEEE10hipError_tPvRmT2_T3_mT4_P12ihipStream_tbEUlT_E_NS1_11comp_targetILNS1_3genE5ELNS1_11target_archE942ELNS1_3gpuE9ELNS1_3repE0EEENS1_30default_config_static_selectorELNS0_4arch9wavefront6targetE1EEEvT1_.num_named_barrier, 0
	.set _ZN7rocprim17ROCPRIM_400000_NS6detail17trampoline_kernelINS0_14default_configENS1_35adjacent_difference_config_selectorILb1ExEEZNS1_24adjacent_difference_implIS3_Lb1ELb0EPxN6thrust23THRUST_200600_302600_NS16discard_iteratorINS9_11use_defaultEEENS9_5minusIxEEEE10hipError_tPvRmT2_T3_mT4_P12ihipStream_tbEUlT_E_NS1_11comp_targetILNS1_3genE5ELNS1_11target_archE942ELNS1_3gpuE9ELNS1_3repE0EEENS1_30default_config_static_selectorELNS0_4arch9wavefront6targetE1EEEvT1_.private_seg_size, 0
	.set _ZN7rocprim17ROCPRIM_400000_NS6detail17trampoline_kernelINS0_14default_configENS1_35adjacent_difference_config_selectorILb1ExEEZNS1_24adjacent_difference_implIS3_Lb1ELb0EPxN6thrust23THRUST_200600_302600_NS16discard_iteratorINS9_11use_defaultEEENS9_5minusIxEEEE10hipError_tPvRmT2_T3_mT4_P12ihipStream_tbEUlT_E_NS1_11comp_targetILNS1_3genE5ELNS1_11target_archE942ELNS1_3gpuE9ELNS1_3repE0EEENS1_30default_config_static_selectorELNS0_4arch9wavefront6targetE1EEEvT1_.uses_vcc, 0
	.set _ZN7rocprim17ROCPRIM_400000_NS6detail17trampoline_kernelINS0_14default_configENS1_35adjacent_difference_config_selectorILb1ExEEZNS1_24adjacent_difference_implIS3_Lb1ELb0EPxN6thrust23THRUST_200600_302600_NS16discard_iteratorINS9_11use_defaultEEENS9_5minusIxEEEE10hipError_tPvRmT2_T3_mT4_P12ihipStream_tbEUlT_E_NS1_11comp_targetILNS1_3genE5ELNS1_11target_archE942ELNS1_3gpuE9ELNS1_3repE0EEENS1_30default_config_static_selectorELNS0_4arch9wavefront6targetE1EEEvT1_.uses_flat_scratch, 0
	.set _ZN7rocprim17ROCPRIM_400000_NS6detail17trampoline_kernelINS0_14default_configENS1_35adjacent_difference_config_selectorILb1ExEEZNS1_24adjacent_difference_implIS3_Lb1ELb0EPxN6thrust23THRUST_200600_302600_NS16discard_iteratorINS9_11use_defaultEEENS9_5minusIxEEEE10hipError_tPvRmT2_T3_mT4_P12ihipStream_tbEUlT_E_NS1_11comp_targetILNS1_3genE5ELNS1_11target_archE942ELNS1_3gpuE9ELNS1_3repE0EEENS1_30default_config_static_selectorELNS0_4arch9wavefront6targetE1EEEvT1_.has_dyn_sized_stack, 0
	.set _ZN7rocprim17ROCPRIM_400000_NS6detail17trampoline_kernelINS0_14default_configENS1_35adjacent_difference_config_selectorILb1ExEEZNS1_24adjacent_difference_implIS3_Lb1ELb0EPxN6thrust23THRUST_200600_302600_NS16discard_iteratorINS9_11use_defaultEEENS9_5minusIxEEEE10hipError_tPvRmT2_T3_mT4_P12ihipStream_tbEUlT_E_NS1_11comp_targetILNS1_3genE5ELNS1_11target_archE942ELNS1_3gpuE9ELNS1_3repE0EEENS1_30default_config_static_selectorELNS0_4arch9wavefront6targetE1EEEvT1_.has_recursion, 0
	.set _ZN7rocprim17ROCPRIM_400000_NS6detail17trampoline_kernelINS0_14default_configENS1_35adjacent_difference_config_selectorILb1ExEEZNS1_24adjacent_difference_implIS3_Lb1ELb0EPxN6thrust23THRUST_200600_302600_NS16discard_iteratorINS9_11use_defaultEEENS9_5minusIxEEEE10hipError_tPvRmT2_T3_mT4_P12ihipStream_tbEUlT_E_NS1_11comp_targetILNS1_3genE5ELNS1_11target_archE942ELNS1_3gpuE9ELNS1_3repE0EEENS1_30default_config_static_selectorELNS0_4arch9wavefront6targetE1EEEvT1_.has_indirect_call, 0
	.section	.AMDGPU.csdata,"",@progbits
; Kernel info:
; codeLenInByte = 0
; TotalNumSgprs: 4
; NumVgprs: 0
; ScratchSize: 0
; MemoryBound: 0
; FloatMode: 240
; IeeeMode: 1
; LDSByteSize: 0 bytes/workgroup (compile time only)
; SGPRBlocks: 0
; VGPRBlocks: 0
; NumSGPRsForWavesPerEU: 4
; NumVGPRsForWavesPerEU: 1
; Occupancy: 10
; WaveLimiterHint : 0
; COMPUTE_PGM_RSRC2:SCRATCH_EN: 0
; COMPUTE_PGM_RSRC2:USER_SGPR: 6
; COMPUTE_PGM_RSRC2:TRAP_HANDLER: 0
; COMPUTE_PGM_RSRC2:TGID_X_EN: 1
; COMPUTE_PGM_RSRC2:TGID_Y_EN: 0
; COMPUTE_PGM_RSRC2:TGID_Z_EN: 0
; COMPUTE_PGM_RSRC2:TIDIG_COMP_CNT: 0
	.section	.text._ZN7rocprim17ROCPRIM_400000_NS6detail17trampoline_kernelINS0_14default_configENS1_35adjacent_difference_config_selectorILb1ExEEZNS1_24adjacent_difference_implIS3_Lb1ELb0EPxN6thrust23THRUST_200600_302600_NS16discard_iteratorINS9_11use_defaultEEENS9_5minusIxEEEE10hipError_tPvRmT2_T3_mT4_P12ihipStream_tbEUlT_E_NS1_11comp_targetILNS1_3genE4ELNS1_11target_archE910ELNS1_3gpuE8ELNS1_3repE0EEENS1_30default_config_static_selectorELNS0_4arch9wavefront6targetE1EEEvT1_,"axG",@progbits,_ZN7rocprim17ROCPRIM_400000_NS6detail17trampoline_kernelINS0_14default_configENS1_35adjacent_difference_config_selectorILb1ExEEZNS1_24adjacent_difference_implIS3_Lb1ELb0EPxN6thrust23THRUST_200600_302600_NS16discard_iteratorINS9_11use_defaultEEENS9_5minusIxEEEE10hipError_tPvRmT2_T3_mT4_P12ihipStream_tbEUlT_E_NS1_11comp_targetILNS1_3genE4ELNS1_11target_archE910ELNS1_3gpuE8ELNS1_3repE0EEENS1_30default_config_static_selectorELNS0_4arch9wavefront6targetE1EEEvT1_,comdat
	.protected	_ZN7rocprim17ROCPRIM_400000_NS6detail17trampoline_kernelINS0_14default_configENS1_35adjacent_difference_config_selectorILb1ExEEZNS1_24adjacent_difference_implIS3_Lb1ELb0EPxN6thrust23THRUST_200600_302600_NS16discard_iteratorINS9_11use_defaultEEENS9_5minusIxEEEE10hipError_tPvRmT2_T3_mT4_P12ihipStream_tbEUlT_E_NS1_11comp_targetILNS1_3genE4ELNS1_11target_archE910ELNS1_3gpuE8ELNS1_3repE0EEENS1_30default_config_static_selectorELNS0_4arch9wavefront6targetE1EEEvT1_ ; -- Begin function _ZN7rocprim17ROCPRIM_400000_NS6detail17trampoline_kernelINS0_14default_configENS1_35adjacent_difference_config_selectorILb1ExEEZNS1_24adjacent_difference_implIS3_Lb1ELb0EPxN6thrust23THRUST_200600_302600_NS16discard_iteratorINS9_11use_defaultEEENS9_5minusIxEEEE10hipError_tPvRmT2_T3_mT4_P12ihipStream_tbEUlT_E_NS1_11comp_targetILNS1_3genE4ELNS1_11target_archE910ELNS1_3gpuE8ELNS1_3repE0EEENS1_30default_config_static_selectorELNS0_4arch9wavefront6targetE1EEEvT1_
	.globl	_ZN7rocprim17ROCPRIM_400000_NS6detail17trampoline_kernelINS0_14default_configENS1_35adjacent_difference_config_selectorILb1ExEEZNS1_24adjacent_difference_implIS3_Lb1ELb0EPxN6thrust23THRUST_200600_302600_NS16discard_iteratorINS9_11use_defaultEEENS9_5minusIxEEEE10hipError_tPvRmT2_T3_mT4_P12ihipStream_tbEUlT_E_NS1_11comp_targetILNS1_3genE4ELNS1_11target_archE910ELNS1_3gpuE8ELNS1_3repE0EEENS1_30default_config_static_selectorELNS0_4arch9wavefront6targetE1EEEvT1_
	.p2align	8
	.type	_ZN7rocprim17ROCPRIM_400000_NS6detail17trampoline_kernelINS0_14default_configENS1_35adjacent_difference_config_selectorILb1ExEEZNS1_24adjacent_difference_implIS3_Lb1ELb0EPxN6thrust23THRUST_200600_302600_NS16discard_iteratorINS9_11use_defaultEEENS9_5minusIxEEEE10hipError_tPvRmT2_T3_mT4_P12ihipStream_tbEUlT_E_NS1_11comp_targetILNS1_3genE4ELNS1_11target_archE910ELNS1_3gpuE8ELNS1_3repE0EEENS1_30default_config_static_selectorELNS0_4arch9wavefront6targetE1EEEvT1_,@function
_ZN7rocprim17ROCPRIM_400000_NS6detail17trampoline_kernelINS0_14default_configENS1_35adjacent_difference_config_selectorILb1ExEEZNS1_24adjacent_difference_implIS3_Lb1ELb0EPxN6thrust23THRUST_200600_302600_NS16discard_iteratorINS9_11use_defaultEEENS9_5minusIxEEEE10hipError_tPvRmT2_T3_mT4_P12ihipStream_tbEUlT_E_NS1_11comp_targetILNS1_3genE4ELNS1_11target_archE910ELNS1_3gpuE8ELNS1_3repE0EEENS1_30default_config_static_selectorELNS0_4arch9wavefront6targetE1EEEvT1_: ; @_ZN7rocprim17ROCPRIM_400000_NS6detail17trampoline_kernelINS0_14default_configENS1_35adjacent_difference_config_selectorILb1ExEEZNS1_24adjacent_difference_implIS3_Lb1ELb0EPxN6thrust23THRUST_200600_302600_NS16discard_iteratorINS9_11use_defaultEEENS9_5minusIxEEEE10hipError_tPvRmT2_T3_mT4_P12ihipStream_tbEUlT_E_NS1_11comp_targetILNS1_3genE4ELNS1_11target_archE910ELNS1_3gpuE8ELNS1_3repE0EEENS1_30default_config_static_selectorELNS0_4arch9wavefront6targetE1EEEvT1_
; %bb.0:
	.section	.rodata,"a",@progbits
	.p2align	6, 0x0
	.amdhsa_kernel _ZN7rocprim17ROCPRIM_400000_NS6detail17trampoline_kernelINS0_14default_configENS1_35adjacent_difference_config_selectorILb1ExEEZNS1_24adjacent_difference_implIS3_Lb1ELb0EPxN6thrust23THRUST_200600_302600_NS16discard_iteratorINS9_11use_defaultEEENS9_5minusIxEEEE10hipError_tPvRmT2_T3_mT4_P12ihipStream_tbEUlT_E_NS1_11comp_targetILNS1_3genE4ELNS1_11target_archE910ELNS1_3gpuE8ELNS1_3repE0EEENS1_30default_config_static_selectorELNS0_4arch9wavefront6targetE1EEEvT1_
		.amdhsa_group_segment_fixed_size 0
		.amdhsa_private_segment_fixed_size 0
		.amdhsa_kernarg_size 64
		.amdhsa_user_sgpr_count 6
		.amdhsa_user_sgpr_private_segment_buffer 1
		.amdhsa_user_sgpr_dispatch_ptr 0
		.amdhsa_user_sgpr_queue_ptr 0
		.amdhsa_user_sgpr_kernarg_segment_ptr 1
		.amdhsa_user_sgpr_dispatch_id 0
		.amdhsa_user_sgpr_flat_scratch_init 0
		.amdhsa_user_sgpr_private_segment_size 0
		.amdhsa_uses_dynamic_stack 0
		.amdhsa_system_sgpr_private_segment_wavefront_offset 0
		.amdhsa_system_sgpr_workgroup_id_x 1
		.amdhsa_system_sgpr_workgroup_id_y 0
		.amdhsa_system_sgpr_workgroup_id_z 0
		.amdhsa_system_sgpr_workgroup_info 0
		.amdhsa_system_vgpr_workitem_id 0
		.amdhsa_next_free_vgpr 1
		.amdhsa_next_free_sgpr 0
		.amdhsa_reserve_vcc 0
		.amdhsa_reserve_flat_scratch 0
		.amdhsa_float_round_mode_32 0
		.amdhsa_float_round_mode_16_64 0
		.amdhsa_float_denorm_mode_32 3
		.amdhsa_float_denorm_mode_16_64 3
		.amdhsa_dx10_clamp 1
		.amdhsa_ieee_mode 1
		.amdhsa_fp16_overflow 0
		.amdhsa_exception_fp_ieee_invalid_op 0
		.amdhsa_exception_fp_denorm_src 0
		.amdhsa_exception_fp_ieee_div_zero 0
		.amdhsa_exception_fp_ieee_overflow 0
		.amdhsa_exception_fp_ieee_underflow 0
		.amdhsa_exception_fp_ieee_inexact 0
		.amdhsa_exception_int_div_zero 0
	.end_amdhsa_kernel
	.section	.text._ZN7rocprim17ROCPRIM_400000_NS6detail17trampoline_kernelINS0_14default_configENS1_35adjacent_difference_config_selectorILb1ExEEZNS1_24adjacent_difference_implIS3_Lb1ELb0EPxN6thrust23THRUST_200600_302600_NS16discard_iteratorINS9_11use_defaultEEENS9_5minusIxEEEE10hipError_tPvRmT2_T3_mT4_P12ihipStream_tbEUlT_E_NS1_11comp_targetILNS1_3genE4ELNS1_11target_archE910ELNS1_3gpuE8ELNS1_3repE0EEENS1_30default_config_static_selectorELNS0_4arch9wavefront6targetE1EEEvT1_,"axG",@progbits,_ZN7rocprim17ROCPRIM_400000_NS6detail17trampoline_kernelINS0_14default_configENS1_35adjacent_difference_config_selectorILb1ExEEZNS1_24adjacent_difference_implIS3_Lb1ELb0EPxN6thrust23THRUST_200600_302600_NS16discard_iteratorINS9_11use_defaultEEENS9_5minusIxEEEE10hipError_tPvRmT2_T3_mT4_P12ihipStream_tbEUlT_E_NS1_11comp_targetILNS1_3genE4ELNS1_11target_archE910ELNS1_3gpuE8ELNS1_3repE0EEENS1_30default_config_static_selectorELNS0_4arch9wavefront6targetE1EEEvT1_,comdat
.Lfunc_end870:
	.size	_ZN7rocprim17ROCPRIM_400000_NS6detail17trampoline_kernelINS0_14default_configENS1_35adjacent_difference_config_selectorILb1ExEEZNS1_24adjacent_difference_implIS3_Lb1ELb0EPxN6thrust23THRUST_200600_302600_NS16discard_iteratorINS9_11use_defaultEEENS9_5minusIxEEEE10hipError_tPvRmT2_T3_mT4_P12ihipStream_tbEUlT_E_NS1_11comp_targetILNS1_3genE4ELNS1_11target_archE910ELNS1_3gpuE8ELNS1_3repE0EEENS1_30default_config_static_selectorELNS0_4arch9wavefront6targetE1EEEvT1_, .Lfunc_end870-_ZN7rocprim17ROCPRIM_400000_NS6detail17trampoline_kernelINS0_14default_configENS1_35adjacent_difference_config_selectorILb1ExEEZNS1_24adjacent_difference_implIS3_Lb1ELb0EPxN6thrust23THRUST_200600_302600_NS16discard_iteratorINS9_11use_defaultEEENS9_5minusIxEEEE10hipError_tPvRmT2_T3_mT4_P12ihipStream_tbEUlT_E_NS1_11comp_targetILNS1_3genE4ELNS1_11target_archE910ELNS1_3gpuE8ELNS1_3repE0EEENS1_30default_config_static_selectorELNS0_4arch9wavefront6targetE1EEEvT1_
                                        ; -- End function
	.set _ZN7rocprim17ROCPRIM_400000_NS6detail17trampoline_kernelINS0_14default_configENS1_35adjacent_difference_config_selectorILb1ExEEZNS1_24adjacent_difference_implIS3_Lb1ELb0EPxN6thrust23THRUST_200600_302600_NS16discard_iteratorINS9_11use_defaultEEENS9_5minusIxEEEE10hipError_tPvRmT2_T3_mT4_P12ihipStream_tbEUlT_E_NS1_11comp_targetILNS1_3genE4ELNS1_11target_archE910ELNS1_3gpuE8ELNS1_3repE0EEENS1_30default_config_static_selectorELNS0_4arch9wavefront6targetE1EEEvT1_.num_vgpr, 0
	.set _ZN7rocprim17ROCPRIM_400000_NS6detail17trampoline_kernelINS0_14default_configENS1_35adjacent_difference_config_selectorILb1ExEEZNS1_24adjacent_difference_implIS3_Lb1ELb0EPxN6thrust23THRUST_200600_302600_NS16discard_iteratorINS9_11use_defaultEEENS9_5minusIxEEEE10hipError_tPvRmT2_T3_mT4_P12ihipStream_tbEUlT_E_NS1_11comp_targetILNS1_3genE4ELNS1_11target_archE910ELNS1_3gpuE8ELNS1_3repE0EEENS1_30default_config_static_selectorELNS0_4arch9wavefront6targetE1EEEvT1_.num_agpr, 0
	.set _ZN7rocprim17ROCPRIM_400000_NS6detail17trampoline_kernelINS0_14default_configENS1_35adjacent_difference_config_selectorILb1ExEEZNS1_24adjacent_difference_implIS3_Lb1ELb0EPxN6thrust23THRUST_200600_302600_NS16discard_iteratorINS9_11use_defaultEEENS9_5minusIxEEEE10hipError_tPvRmT2_T3_mT4_P12ihipStream_tbEUlT_E_NS1_11comp_targetILNS1_3genE4ELNS1_11target_archE910ELNS1_3gpuE8ELNS1_3repE0EEENS1_30default_config_static_selectorELNS0_4arch9wavefront6targetE1EEEvT1_.numbered_sgpr, 0
	.set _ZN7rocprim17ROCPRIM_400000_NS6detail17trampoline_kernelINS0_14default_configENS1_35adjacent_difference_config_selectorILb1ExEEZNS1_24adjacent_difference_implIS3_Lb1ELb0EPxN6thrust23THRUST_200600_302600_NS16discard_iteratorINS9_11use_defaultEEENS9_5minusIxEEEE10hipError_tPvRmT2_T3_mT4_P12ihipStream_tbEUlT_E_NS1_11comp_targetILNS1_3genE4ELNS1_11target_archE910ELNS1_3gpuE8ELNS1_3repE0EEENS1_30default_config_static_selectorELNS0_4arch9wavefront6targetE1EEEvT1_.num_named_barrier, 0
	.set _ZN7rocprim17ROCPRIM_400000_NS6detail17trampoline_kernelINS0_14default_configENS1_35adjacent_difference_config_selectorILb1ExEEZNS1_24adjacent_difference_implIS3_Lb1ELb0EPxN6thrust23THRUST_200600_302600_NS16discard_iteratorINS9_11use_defaultEEENS9_5minusIxEEEE10hipError_tPvRmT2_T3_mT4_P12ihipStream_tbEUlT_E_NS1_11comp_targetILNS1_3genE4ELNS1_11target_archE910ELNS1_3gpuE8ELNS1_3repE0EEENS1_30default_config_static_selectorELNS0_4arch9wavefront6targetE1EEEvT1_.private_seg_size, 0
	.set _ZN7rocprim17ROCPRIM_400000_NS6detail17trampoline_kernelINS0_14default_configENS1_35adjacent_difference_config_selectorILb1ExEEZNS1_24adjacent_difference_implIS3_Lb1ELb0EPxN6thrust23THRUST_200600_302600_NS16discard_iteratorINS9_11use_defaultEEENS9_5minusIxEEEE10hipError_tPvRmT2_T3_mT4_P12ihipStream_tbEUlT_E_NS1_11comp_targetILNS1_3genE4ELNS1_11target_archE910ELNS1_3gpuE8ELNS1_3repE0EEENS1_30default_config_static_selectorELNS0_4arch9wavefront6targetE1EEEvT1_.uses_vcc, 0
	.set _ZN7rocprim17ROCPRIM_400000_NS6detail17trampoline_kernelINS0_14default_configENS1_35adjacent_difference_config_selectorILb1ExEEZNS1_24adjacent_difference_implIS3_Lb1ELb0EPxN6thrust23THRUST_200600_302600_NS16discard_iteratorINS9_11use_defaultEEENS9_5minusIxEEEE10hipError_tPvRmT2_T3_mT4_P12ihipStream_tbEUlT_E_NS1_11comp_targetILNS1_3genE4ELNS1_11target_archE910ELNS1_3gpuE8ELNS1_3repE0EEENS1_30default_config_static_selectorELNS0_4arch9wavefront6targetE1EEEvT1_.uses_flat_scratch, 0
	.set _ZN7rocprim17ROCPRIM_400000_NS6detail17trampoline_kernelINS0_14default_configENS1_35adjacent_difference_config_selectorILb1ExEEZNS1_24adjacent_difference_implIS3_Lb1ELb0EPxN6thrust23THRUST_200600_302600_NS16discard_iteratorINS9_11use_defaultEEENS9_5minusIxEEEE10hipError_tPvRmT2_T3_mT4_P12ihipStream_tbEUlT_E_NS1_11comp_targetILNS1_3genE4ELNS1_11target_archE910ELNS1_3gpuE8ELNS1_3repE0EEENS1_30default_config_static_selectorELNS0_4arch9wavefront6targetE1EEEvT1_.has_dyn_sized_stack, 0
	.set _ZN7rocprim17ROCPRIM_400000_NS6detail17trampoline_kernelINS0_14default_configENS1_35adjacent_difference_config_selectorILb1ExEEZNS1_24adjacent_difference_implIS3_Lb1ELb0EPxN6thrust23THRUST_200600_302600_NS16discard_iteratorINS9_11use_defaultEEENS9_5minusIxEEEE10hipError_tPvRmT2_T3_mT4_P12ihipStream_tbEUlT_E_NS1_11comp_targetILNS1_3genE4ELNS1_11target_archE910ELNS1_3gpuE8ELNS1_3repE0EEENS1_30default_config_static_selectorELNS0_4arch9wavefront6targetE1EEEvT1_.has_recursion, 0
	.set _ZN7rocprim17ROCPRIM_400000_NS6detail17trampoline_kernelINS0_14default_configENS1_35adjacent_difference_config_selectorILb1ExEEZNS1_24adjacent_difference_implIS3_Lb1ELb0EPxN6thrust23THRUST_200600_302600_NS16discard_iteratorINS9_11use_defaultEEENS9_5minusIxEEEE10hipError_tPvRmT2_T3_mT4_P12ihipStream_tbEUlT_E_NS1_11comp_targetILNS1_3genE4ELNS1_11target_archE910ELNS1_3gpuE8ELNS1_3repE0EEENS1_30default_config_static_selectorELNS0_4arch9wavefront6targetE1EEEvT1_.has_indirect_call, 0
	.section	.AMDGPU.csdata,"",@progbits
; Kernel info:
; codeLenInByte = 0
; TotalNumSgprs: 4
; NumVgprs: 0
; ScratchSize: 0
; MemoryBound: 0
; FloatMode: 240
; IeeeMode: 1
; LDSByteSize: 0 bytes/workgroup (compile time only)
; SGPRBlocks: 0
; VGPRBlocks: 0
; NumSGPRsForWavesPerEU: 4
; NumVGPRsForWavesPerEU: 1
; Occupancy: 10
; WaveLimiterHint : 0
; COMPUTE_PGM_RSRC2:SCRATCH_EN: 0
; COMPUTE_PGM_RSRC2:USER_SGPR: 6
; COMPUTE_PGM_RSRC2:TRAP_HANDLER: 0
; COMPUTE_PGM_RSRC2:TGID_X_EN: 1
; COMPUTE_PGM_RSRC2:TGID_Y_EN: 0
; COMPUTE_PGM_RSRC2:TGID_Z_EN: 0
; COMPUTE_PGM_RSRC2:TIDIG_COMP_CNT: 0
	.section	.text._ZN7rocprim17ROCPRIM_400000_NS6detail17trampoline_kernelINS0_14default_configENS1_35adjacent_difference_config_selectorILb1ExEEZNS1_24adjacent_difference_implIS3_Lb1ELb0EPxN6thrust23THRUST_200600_302600_NS16discard_iteratorINS9_11use_defaultEEENS9_5minusIxEEEE10hipError_tPvRmT2_T3_mT4_P12ihipStream_tbEUlT_E_NS1_11comp_targetILNS1_3genE3ELNS1_11target_archE908ELNS1_3gpuE7ELNS1_3repE0EEENS1_30default_config_static_selectorELNS0_4arch9wavefront6targetE1EEEvT1_,"axG",@progbits,_ZN7rocprim17ROCPRIM_400000_NS6detail17trampoline_kernelINS0_14default_configENS1_35adjacent_difference_config_selectorILb1ExEEZNS1_24adjacent_difference_implIS3_Lb1ELb0EPxN6thrust23THRUST_200600_302600_NS16discard_iteratorINS9_11use_defaultEEENS9_5minusIxEEEE10hipError_tPvRmT2_T3_mT4_P12ihipStream_tbEUlT_E_NS1_11comp_targetILNS1_3genE3ELNS1_11target_archE908ELNS1_3gpuE7ELNS1_3repE0EEENS1_30default_config_static_selectorELNS0_4arch9wavefront6targetE1EEEvT1_,comdat
	.protected	_ZN7rocprim17ROCPRIM_400000_NS6detail17trampoline_kernelINS0_14default_configENS1_35adjacent_difference_config_selectorILb1ExEEZNS1_24adjacent_difference_implIS3_Lb1ELb0EPxN6thrust23THRUST_200600_302600_NS16discard_iteratorINS9_11use_defaultEEENS9_5minusIxEEEE10hipError_tPvRmT2_T3_mT4_P12ihipStream_tbEUlT_E_NS1_11comp_targetILNS1_3genE3ELNS1_11target_archE908ELNS1_3gpuE7ELNS1_3repE0EEENS1_30default_config_static_selectorELNS0_4arch9wavefront6targetE1EEEvT1_ ; -- Begin function _ZN7rocprim17ROCPRIM_400000_NS6detail17trampoline_kernelINS0_14default_configENS1_35adjacent_difference_config_selectorILb1ExEEZNS1_24adjacent_difference_implIS3_Lb1ELb0EPxN6thrust23THRUST_200600_302600_NS16discard_iteratorINS9_11use_defaultEEENS9_5minusIxEEEE10hipError_tPvRmT2_T3_mT4_P12ihipStream_tbEUlT_E_NS1_11comp_targetILNS1_3genE3ELNS1_11target_archE908ELNS1_3gpuE7ELNS1_3repE0EEENS1_30default_config_static_selectorELNS0_4arch9wavefront6targetE1EEEvT1_
	.globl	_ZN7rocprim17ROCPRIM_400000_NS6detail17trampoline_kernelINS0_14default_configENS1_35adjacent_difference_config_selectorILb1ExEEZNS1_24adjacent_difference_implIS3_Lb1ELb0EPxN6thrust23THRUST_200600_302600_NS16discard_iteratorINS9_11use_defaultEEENS9_5minusIxEEEE10hipError_tPvRmT2_T3_mT4_P12ihipStream_tbEUlT_E_NS1_11comp_targetILNS1_3genE3ELNS1_11target_archE908ELNS1_3gpuE7ELNS1_3repE0EEENS1_30default_config_static_selectorELNS0_4arch9wavefront6targetE1EEEvT1_
	.p2align	8
	.type	_ZN7rocprim17ROCPRIM_400000_NS6detail17trampoline_kernelINS0_14default_configENS1_35adjacent_difference_config_selectorILb1ExEEZNS1_24adjacent_difference_implIS3_Lb1ELb0EPxN6thrust23THRUST_200600_302600_NS16discard_iteratorINS9_11use_defaultEEENS9_5minusIxEEEE10hipError_tPvRmT2_T3_mT4_P12ihipStream_tbEUlT_E_NS1_11comp_targetILNS1_3genE3ELNS1_11target_archE908ELNS1_3gpuE7ELNS1_3repE0EEENS1_30default_config_static_selectorELNS0_4arch9wavefront6targetE1EEEvT1_,@function
_ZN7rocprim17ROCPRIM_400000_NS6detail17trampoline_kernelINS0_14default_configENS1_35adjacent_difference_config_selectorILb1ExEEZNS1_24adjacent_difference_implIS3_Lb1ELb0EPxN6thrust23THRUST_200600_302600_NS16discard_iteratorINS9_11use_defaultEEENS9_5minusIxEEEE10hipError_tPvRmT2_T3_mT4_P12ihipStream_tbEUlT_E_NS1_11comp_targetILNS1_3genE3ELNS1_11target_archE908ELNS1_3gpuE7ELNS1_3repE0EEENS1_30default_config_static_selectorELNS0_4arch9wavefront6targetE1EEEvT1_: ; @_ZN7rocprim17ROCPRIM_400000_NS6detail17trampoline_kernelINS0_14default_configENS1_35adjacent_difference_config_selectorILb1ExEEZNS1_24adjacent_difference_implIS3_Lb1ELb0EPxN6thrust23THRUST_200600_302600_NS16discard_iteratorINS9_11use_defaultEEENS9_5minusIxEEEE10hipError_tPvRmT2_T3_mT4_P12ihipStream_tbEUlT_E_NS1_11comp_targetILNS1_3genE3ELNS1_11target_archE908ELNS1_3gpuE7ELNS1_3repE0EEENS1_30default_config_static_selectorELNS0_4arch9wavefront6targetE1EEEvT1_
; %bb.0:
	.section	.rodata,"a",@progbits
	.p2align	6, 0x0
	.amdhsa_kernel _ZN7rocprim17ROCPRIM_400000_NS6detail17trampoline_kernelINS0_14default_configENS1_35adjacent_difference_config_selectorILb1ExEEZNS1_24adjacent_difference_implIS3_Lb1ELb0EPxN6thrust23THRUST_200600_302600_NS16discard_iteratorINS9_11use_defaultEEENS9_5minusIxEEEE10hipError_tPvRmT2_T3_mT4_P12ihipStream_tbEUlT_E_NS1_11comp_targetILNS1_3genE3ELNS1_11target_archE908ELNS1_3gpuE7ELNS1_3repE0EEENS1_30default_config_static_selectorELNS0_4arch9wavefront6targetE1EEEvT1_
		.amdhsa_group_segment_fixed_size 0
		.amdhsa_private_segment_fixed_size 0
		.amdhsa_kernarg_size 64
		.amdhsa_user_sgpr_count 6
		.amdhsa_user_sgpr_private_segment_buffer 1
		.amdhsa_user_sgpr_dispatch_ptr 0
		.amdhsa_user_sgpr_queue_ptr 0
		.amdhsa_user_sgpr_kernarg_segment_ptr 1
		.amdhsa_user_sgpr_dispatch_id 0
		.amdhsa_user_sgpr_flat_scratch_init 0
		.amdhsa_user_sgpr_private_segment_size 0
		.amdhsa_uses_dynamic_stack 0
		.amdhsa_system_sgpr_private_segment_wavefront_offset 0
		.amdhsa_system_sgpr_workgroup_id_x 1
		.amdhsa_system_sgpr_workgroup_id_y 0
		.amdhsa_system_sgpr_workgroup_id_z 0
		.amdhsa_system_sgpr_workgroup_info 0
		.amdhsa_system_vgpr_workitem_id 0
		.amdhsa_next_free_vgpr 1
		.amdhsa_next_free_sgpr 0
		.amdhsa_reserve_vcc 0
		.amdhsa_reserve_flat_scratch 0
		.amdhsa_float_round_mode_32 0
		.amdhsa_float_round_mode_16_64 0
		.amdhsa_float_denorm_mode_32 3
		.amdhsa_float_denorm_mode_16_64 3
		.amdhsa_dx10_clamp 1
		.amdhsa_ieee_mode 1
		.amdhsa_fp16_overflow 0
		.amdhsa_exception_fp_ieee_invalid_op 0
		.amdhsa_exception_fp_denorm_src 0
		.amdhsa_exception_fp_ieee_div_zero 0
		.amdhsa_exception_fp_ieee_overflow 0
		.amdhsa_exception_fp_ieee_underflow 0
		.amdhsa_exception_fp_ieee_inexact 0
		.amdhsa_exception_int_div_zero 0
	.end_amdhsa_kernel
	.section	.text._ZN7rocprim17ROCPRIM_400000_NS6detail17trampoline_kernelINS0_14default_configENS1_35adjacent_difference_config_selectorILb1ExEEZNS1_24adjacent_difference_implIS3_Lb1ELb0EPxN6thrust23THRUST_200600_302600_NS16discard_iteratorINS9_11use_defaultEEENS9_5minusIxEEEE10hipError_tPvRmT2_T3_mT4_P12ihipStream_tbEUlT_E_NS1_11comp_targetILNS1_3genE3ELNS1_11target_archE908ELNS1_3gpuE7ELNS1_3repE0EEENS1_30default_config_static_selectorELNS0_4arch9wavefront6targetE1EEEvT1_,"axG",@progbits,_ZN7rocprim17ROCPRIM_400000_NS6detail17trampoline_kernelINS0_14default_configENS1_35adjacent_difference_config_selectorILb1ExEEZNS1_24adjacent_difference_implIS3_Lb1ELb0EPxN6thrust23THRUST_200600_302600_NS16discard_iteratorINS9_11use_defaultEEENS9_5minusIxEEEE10hipError_tPvRmT2_T3_mT4_P12ihipStream_tbEUlT_E_NS1_11comp_targetILNS1_3genE3ELNS1_11target_archE908ELNS1_3gpuE7ELNS1_3repE0EEENS1_30default_config_static_selectorELNS0_4arch9wavefront6targetE1EEEvT1_,comdat
.Lfunc_end871:
	.size	_ZN7rocprim17ROCPRIM_400000_NS6detail17trampoline_kernelINS0_14default_configENS1_35adjacent_difference_config_selectorILb1ExEEZNS1_24adjacent_difference_implIS3_Lb1ELb0EPxN6thrust23THRUST_200600_302600_NS16discard_iteratorINS9_11use_defaultEEENS9_5minusIxEEEE10hipError_tPvRmT2_T3_mT4_P12ihipStream_tbEUlT_E_NS1_11comp_targetILNS1_3genE3ELNS1_11target_archE908ELNS1_3gpuE7ELNS1_3repE0EEENS1_30default_config_static_selectorELNS0_4arch9wavefront6targetE1EEEvT1_, .Lfunc_end871-_ZN7rocprim17ROCPRIM_400000_NS6detail17trampoline_kernelINS0_14default_configENS1_35adjacent_difference_config_selectorILb1ExEEZNS1_24adjacent_difference_implIS3_Lb1ELb0EPxN6thrust23THRUST_200600_302600_NS16discard_iteratorINS9_11use_defaultEEENS9_5minusIxEEEE10hipError_tPvRmT2_T3_mT4_P12ihipStream_tbEUlT_E_NS1_11comp_targetILNS1_3genE3ELNS1_11target_archE908ELNS1_3gpuE7ELNS1_3repE0EEENS1_30default_config_static_selectorELNS0_4arch9wavefront6targetE1EEEvT1_
                                        ; -- End function
	.set _ZN7rocprim17ROCPRIM_400000_NS6detail17trampoline_kernelINS0_14default_configENS1_35adjacent_difference_config_selectorILb1ExEEZNS1_24adjacent_difference_implIS3_Lb1ELb0EPxN6thrust23THRUST_200600_302600_NS16discard_iteratorINS9_11use_defaultEEENS9_5minusIxEEEE10hipError_tPvRmT2_T3_mT4_P12ihipStream_tbEUlT_E_NS1_11comp_targetILNS1_3genE3ELNS1_11target_archE908ELNS1_3gpuE7ELNS1_3repE0EEENS1_30default_config_static_selectorELNS0_4arch9wavefront6targetE1EEEvT1_.num_vgpr, 0
	.set _ZN7rocprim17ROCPRIM_400000_NS6detail17trampoline_kernelINS0_14default_configENS1_35adjacent_difference_config_selectorILb1ExEEZNS1_24adjacent_difference_implIS3_Lb1ELb0EPxN6thrust23THRUST_200600_302600_NS16discard_iteratorINS9_11use_defaultEEENS9_5minusIxEEEE10hipError_tPvRmT2_T3_mT4_P12ihipStream_tbEUlT_E_NS1_11comp_targetILNS1_3genE3ELNS1_11target_archE908ELNS1_3gpuE7ELNS1_3repE0EEENS1_30default_config_static_selectorELNS0_4arch9wavefront6targetE1EEEvT1_.num_agpr, 0
	.set _ZN7rocprim17ROCPRIM_400000_NS6detail17trampoline_kernelINS0_14default_configENS1_35adjacent_difference_config_selectorILb1ExEEZNS1_24adjacent_difference_implIS3_Lb1ELb0EPxN6thrust23THRUST_200600_302600_NS16discard_iteratorINS9_11use_defaultEEENS9_5minusIxEEEE10hipError_tPvRmT2_T3_mT4_P12ihipStream_tbEUlT_E_NS1_11comp_targetILNS1_3genE3ELNS1_11target_archE908ELNS1_3gpuE7ELNS1_3repE0EEENS1_30default_config_static_selectorELNS0_4arch9wavefront6targetE1EEEvT1_.numbered_sgpr, 0
	.set _ZN7rocprim17ROCPRIM_400000_NS6detail17trampoline_kernelINS0_14default_configENS1_35adjacent_difference_config_selectorILb1ExEEZNS1_24adjacent_difference_implIS3_Lb1ELb0EPxN6thrust23THRUST_200600_302600_NS16discard_iteratorINS9_11use_defaultEEENS9_5minusIxEEEE10hipError_tPvRmT2_T3_mT4_P12ihipStream_tbEUlT_E_NS1_11comp_targetILNS1_3genE3ELNS1_11target_archE908ELNS1_3gpuE7ELNS1_3repE0EEENS1_30default_config_static_selectorELNS0_4arch9wavefront6targetE1EEEvT1_.num_named_barrier, 0
	.set _ZN7rocprim17ROCPRIM_400000_NS6detail17trampoline_kernelINS0_14default_configENS1_35adjacent_difference_config_selectorILb1ExEEZNS1_24adjacent_difference_implIS3_Lb1ELb0EPxN6thrust23THRUST_200600_302600_NS16discard_iteratorINS9_11use_defaultEEENS9_5minusIxEEEE10hipError_tPvRmT2_T3_mT4_P12ihipStream_tbEUlT_E_NS1_11comp_targetILNS1_3genE3ELNS1_11target_archE908ELNS1_3gpuE7ELNS1_3repE0EEENS1_30default_config_static_selectorELNS0_4arch9wavefront6targetE1EEEvT1_.private_seg_size, 0
	.set _ZN7rocprim17ROCPRIM_400000_NS6detail17trampoline_kernelINS0_14default_configENS1_35adjacent_difference_config_selectorILb1ExEEZNS1_24adjacent_difference_implIS3_Lb1ELb0EPxN6thrust23THRUST_200600_302600_NS16discard_iteratorINS9_11use_defaultEEENS9_5minusIxEEEE10hipError_tPvRmT2_T3_mT4_P12ihipStream_tbEUlT_E_NS1_11comp_targetILNS1_3genE3ELNS1_11target_archE908ELNS1_3gpuE7ELNS1_3repE0EEENS1_30default_config_static_selectorELNS0_4arch9wavefront6targetE1EEEvT1_.uses_vcc, 0
	.set _ZN7rocprim17ROCPRIM_400000_NS6detail17trampoline_kernelINS0_14default_configENS1_35adjacent_difference_config_selectorILb1ExEEZNS1_24adjacent_difference_implIS3_Lb1ELb0EPxN6thrust23THRUST_200600_302600_NS16discard_iteratorINS9_11use_defaultEEENS9_5minusIxEEEE10hipError_tPvRmT2_T3_mT4_P12ihipStream_tbEUlT_E_NS1_11comp_targetILNS1_3genE3ELNS1_11target_archE908ELNS1_3gpuE7ELNS1_3repE0EEENS1_30default_config_static_selectorELNS0_4arch9wavefront6targetE1EEEvT1_.uses_flat_scratch, 0
	.set _ZN7rocprim17ROCPRIM_400000_NS6detail17trampoline_kernelINS0_14default_configENS1_35adjacent_difference_config_selectorILb1ExEEZNS1_24adjacent_difference_implIS3_Lb1ELb0EPxN6thrust23THRUST_200600_302600_NS16discard_iteratorINS9_11use_defaultEEENS9_5minusIxEEEE10hipError_tPvRmT2_T3_mT4_P12ihipStream_tbEUlT_E_NS1_11comp_targetILNS1_3genE3ELNS1_11target_archE908ELNS1_3gpuE7ELNS1_3repE0EEENS1_30default_config_static_selectorELNS0_4arch9wavefront6targetE1EEEvT1_.has_dyn_sized_stack, 0
	.set _ZN7rocprim17ROCPRIM_400000_NS6detail17trampoline_kernelINS0_14default_configENS1_35adjacent_difference_config_selectorILb1ExEEZNS1_24adjacent_difference_implIS3_Lb1ELb0EPxN6thrust23THRUST_200600_302600_NS16discard_iteratorINS9_11use_defaultEEENS9_5minusIxEEEE10hipError_tPvRmT2_T3_mT4_P12ihipStream_tbEUlT_E_NS1_11comp_targetILNS1_3genE3ELNS1_11target_archE908ELNS1_3gpuE7ELNS1_3repE0EEENS1_30default_config_static_selectorELNS0_4arch9wavefront6targetE1EEEvT1_.has_recursion, 0
	.set _ZN7rocprim17ROCPRIM_400000_NS6detail17trampoline_kernelINS0_14default_configENS1_35adjacent_difference_config_selectorILb1ExEEZNS1_24adjacent_difference_implIS3_Lb1ELb0EPxN6thrust23THRUST_200600_302600_NS16discard_iteratorINS9_11use_defaultEEENS9_5minusIxEEEE10hipError_tPvRmT2_T3_mT4_P12ihipStream_tbEUlT_E_NS1_11comp_targetILNS1_3genE3ELNS1_11target_archE908ELNS1_3gpuE7ELNS1_3repE0EEENS1_30default_config_static_selectorELNS0_4arch9wavefront6targetE1EEEvT1_.has_indirect_call, 0
	.section	.AMDGPU.csdata,"",@progbits
; Kernel info:
; codeLenInByte = 0
; TotalNumSgprs: 4
; NumVgprs: 0
; ScratchSize: 0
; MemoryBound: 0
; FloatMode: 240
; IeeeMode: 1
; LDSByteSize: 0 bytes/workgroup (compile time only)
; SGPRBlocks: 0
; VGPRBlocks: 0
; NumSGPRsForWavesPerEU: 4
; NumVGPRsForWavesPerEU: 1
; Occupancy: 10
; WaveLimiterHint : 0
; COMPUTE_PGM_RSRC2:SCRATCH_EN: 0
; COMPUTE_PGM_RSRC2:USER_SGPR: 6
; COMPUTE_PGM_RSRC2:TRAP_HANDLER: 0
; COMPUTE_PGM_RSRC2:TGID_X_EN: 1
; COMPUTE_PGM_RSRC2:TGID_Y_EN: 0
; COMPUTE_PGM_RSRC2:TGID_Z_EN: 0
; COMPUTE_PGM_RSRC2:TIDIG_COMP_CNT: 0
	.section	.text._ZN7rocprim17ROCPRIM_400000_NS6detail17trampoline_kernelINS0_14default_configENS1_35adjacent_difference_config_selectorILb1ExEEZNS1_24adjacent_difference_implIS3_Lb1ELb0EPxN6thrust23THRUST_200600_302600_NS16discard_iteratorINS9_11use_defaultEEENS9_5minusIxEEEE10hipError_tPvRmT2_T3_mT4_P12ihipStream_tbEUlT_E_NS1_11comp_targetILNS1_3genE2ELNS1_11target_archE906ELNS1_3gpuE6ELNS1_3repE0EEENS1_30default_config_static_selectorELNS0_4arch9wavefront6targetE1EEEvT1_,"axG",@progbits,_ZN7rocprim17ROCPRIM_400000_NS6detail17trampoline_kernelINS0_14default_configENS1_35adjacent_difference_config_selectorILb1ExEEZNS1_24adjacent_difference_implIS3_Lb1ELb0EPxN6thrust23THRUST_200600_302600_NS16discard_iteratorINS9_11use_defaultEEENS9_5minusIxEEEE10hipError_tPvRmT2_T3_mT4_P12ihipStream_tbEUlT_E_NS1_11comp_targetILNS1_3genE2ELNS1_11target_archE906ELNS1_3gpuE6ELNS1_3repE0EEENS1_30default_config_static_selectorELNS0_4arch9wavefront6targetE1EEEvT1_,comdat
	.protected	_ZN7rocprim17ROCPRIM_400000_NS6detail17trampoline_kernelINS0_14default_configENS1_35adjacent_difference_config_selectorILb1ExEEZNS1_24adjacent_difference_implIS3_Lb1ELb0EPxN6thrust23THRUST_200600_302600_NS16discard_iteratorINS9_11use_defaultEEENS9_5minusIxEEEE10hipError_tPvRmT2_T3_mT4_P12ihipStream_tbEUlT_E_NS1_11comp_targetILNS1_3genE2ELNS1_11target_archE906ELNS1_3gpuE6ELNS1_3repE0EEENS1_30default_config_static_selectorELNS0_4arch9wavefront6targetE1EEEvT1_ ; -- Begin function _ZN7rocprim17ROCPRIM_400000_NS6detail17trampoline_kernelINS0_14default_configENS1_35adjacent_difference_config_selectorILb1ExEEZNS1_24adjacent_difference_implIS3_Lb1ELb0EPxN6thrust23THRUST_200600_302600_NS16discard_iteratorINS9_11use_defaultEEENS9_5minusIxEEEE10hipError_tPvRmT2_T3_mT4_P12ihipStream_tbEUlT_E_NS1_11comp_targetILNS1_3genE2ELNS1_11target_archE906ELNS1_3gpuE6ELNS1_3repE0EEENS1_30default_config_static_selectorELNS0_4arch9wavefront6targetE1EEEvT1_
	.globl	_ZN7rocprim17ROCPRIM_400000_NS6detail17trampoline_kernelINS0_14default_configENS1_35adjacent_difference_config_selectorILb1ExEEZNS1_24adjacent_difference_implIS3_Lb1ELb0EPxN6thrust23THRUST_200600_302600_NS16discard_iteratorINS9_11use_defaultEEENS9_5minusIxEEEE10hipError_tPvRmT2_T3_mT4_P12ihipStream_tbEUlT_E_NS1_11comp_targetILNS1_3genE2ELNS1_11target_archE906ELNS1_3gpuE6ELNS1_3repE0EEENS1_30default_config_static_selectorELNS0_4arch9wavefront6targetE1EEEvT1_
	.p2align	8
	.type	_ZN7rocprim17ROCPRIM_400000_NS6detail17trampoline_kernelINS0_14default_configENS1_35adjacent_difference_config_selectorILb1ExEEZNS1_24adjacent_difference_implIS3_Lb1ELb0EPxN6thrust23THRUST_200600_302600_NS16discard_iteratorINS9_11use_defaultEEENS9_5minusIxEEEE10hipError_tPvRmT2_T3_mT4_P12ihipStream_tbEUlT_E_NS1_11comp_targetILNS1_3genE2ELNS1_11target_archE906ELNS1_3gpuE6ELNS1_3repE0EEENS1_30default_config_static_selectorELNS0_4arch9wavefront6targetE1EEEvT1_,@function
_ZN7rocprim17ROCPRIM_400000_NS6detail17trampoline_kernelINS0_14default_configENS1_35adjacent_difference_config_selectorILb1ExEEZNS1_24adjacent_difference_implIS3_Lb1ELb0EPxN6thrust23THRUST_200600_302600_NS16discard_iteratorINS9_11use_defaultEEENS9_5minusIxEEEE10hipError_tPvRmT2_T3_mT4_P12ihipStream_tbEUlT_E_NS1_11comp_targetILNS1_3genE2ELNS1_11target_archE906ELNS1_3gpuE6ELNS1_3repE0EEENS1_30default_config_static_selectorELNS0_4arch9wavefront6targetE1EEEvT1_: ; @_ZN7rocprim17ROCPRIM_400000_NS6detail17trampoline_kernelINS0_14default_configENS1_35adjacent_difference_config_selectorILb1ExEEZNS1_24adjacent_difference_implIS3_Lb1ELb0EPxN6thrust23THRUST_200600_302600_NS16discard_iteratorINS9_11use_defaultEEENS9_5minusIxEEEE10hipError_tPvRmT2_T3_mT4_P12ihipStream_tbEUlT_E_NS1_11comp_targetILNS1_3genE2ELNS1_11target_archE906ELNS1_3gpuE6ELNS1_3repE0EEENS1_30default_config_static_selectorELNS0_4arch9wavefront6targetE1EEEvT1_
; %bb.0:
	s_load_dwordx4 s[12:15], s[4:5], 0x0
	s_load_dwordx2 s[2:3], s[4:5], 0x20
	s_load_dwordx4 s[8:11], s[4:5], 0x30
	s_mul_i32 s16, s6, 0x580
	s_mov_b32 s7, 0
	s_waitcnt lgkmcnt(0)
	s_lshl_b64 s[0:1], s[14:15], 3
	s_add_u32 s22, s12, s0
	s_addc_u32 s23, s13, s1
	s_mul_i32 s5, s3, 0xba2e8ba3
	s_mul_hi_u32 s12, s2, 0xba2e8ba3
	s_mul_hi_u32 s4, s3, 0xba2e8ba3
	s_add_u32 s5, s5, s12
	s_mul_i32 s1, s2, 0x2e8ba2e8
	s_addc_u32 s4, s4, 0
	s_mul_hi_u32 s0, s2, 0x2e8ba2e8
	s_add_u32 s1, s1, s5
	s_addc_u32 s0, s0, 0
	s_add_u32 s0, s4, s0
	s_addc_u32 s1, 0, 0
	s_mul_i32 s5, s3, 0x2e8ba2e8
	s_mul_hi_u32 s4, s3, 0x2e8ba2e8
	s_add_u32 s0, s5, s0
	s_addc_u32 s1, s4, s1
	s_lshr_b64 s[4:5], s[0:1], 8
	s_lshr_b32 s0, s1, 8
	s_mulk_i32 s0, 0x580
	s_mul_hi_u32 s1, s4, 0x580
	s_add_i32 s1, s1, s0
	s_mul_i32 s0, s4, 0x580
	s_sub_u32 s0, s2, s0
	s_subb_u32 s1, s3, s1
	s_cmp_lg_u64 s[0:1], 0
	s_cselect_b64 s[0:1], -1, 0
	v_cndmask_b32_e64 v1, 0, 1, s[0:1]
	v_readfirstlane_b32 s0, v1
	s_add_u32 s4, s4, s0
	s_addc_u32 s5, s5, 0
	s_add_u32 s12, s10, s6
	s_addc_u32 s13, s11, 0
	s_add_u32 s14, s4, -1
	s_addc_u32 s15, s5, -1
	v_mov_b32_e32 v1, s14
	v_mov_b32_e32 v2, s15
	v_cmp_ge_u64_e64 s[0:1], s[12:13], v[1:2]
	s_mov_b64 s[18:19], -1
	s_and_b64 vcc, exec, s[0:1]
	s_cbranch_vccz .LBB872_24
; %bb.1:
	s_mul_i32 s3, s14, 0xfffffa80
	s_mov_b32 s17, s7
	s_add_i32 s3, s3, s2
	s_lshl_b64 s[18:19], s[16:17], 3
	s_add_u32 s18, s22, s18
	s_addc_u32 s19, s23, s19
	v_cmp_gt_u32_e32 vcc, s3, v0
                                        ; implicit-def: $vgpr1_vgpr2
	s_and_saveexec_b64 s[20:21], vcc
	s_cbranch_execz .LBB872_3
; %bb.2:
	v_lshlrev_b32_e32 v1, 3, v0
	global_load_dwordx2 v[1:2], v1, s[18:19]
.LBB872_3:
	s_or_b64 exec, exec, s[20:21]
	v_or_b32_e32 v3, 0x80, v0
	v_cmp_gt_u32_e32 vcc, s3, v3
                                        ; implicit-def: $vgpr3_vgpr4
	s_and_saveexec_b64 s[20:21], vcc
	s_cbranch_execz .LBB872_5
; %bb.4:
	v_lshlrev_b32_e32 v3, 3, v0
	global_load_dwordx2 v[3:4], v3, s[18:19] offset:1024
.LBB872_5:
	s_or_b64 exec, exec, s[20:21]
	v_or_b32_e32 v5, 0x100, v0
	v_cmp_gt_u32_e32 vcc, s3, v5
                                        ; implicit-def: $vgpr5_vgpr6
	s_and_saveexec_b64 s[20:21], vcc
	s_cbranch_execz .LBB872_7
; %bb.6:
	v_lshlrev_b32_e32 v5, 3, v0
	global_load_dwordx2 v[5:6], v5, s[18:19] offset:2048
.LBB872_7:
	s_or_b64 exec, exec, s[20:21]
	v_or_b32_e32 v7, 0x180, v0
	v_cmp_gt_u32_e32 vcc, s3, v7
                                        ; implicit-def: $vgpr7_vgpr8
	s_and_saveexec_b64 s[20:21], vcc
	s_cbranch_execz .LBB872_9
; %bb.8:
	v_lshlrev_b32_e32 v7, 3, v0
	global_load_dwordx2 v[7:8], v7, s[18:19] offset:3072
.LBB872_9:
	s_or_b64 exec, exec, s[20:21]
	v_or_b32_e32 v11, 0x200, v0
	v_cmp_gt_u32_e32 vcc, s3, v11
                                        ; implicit-def: $vgpr9_vgpr10
	s_and_saveexec_b64 s[20:21], vcc
	s_cbranch_execz .LBB872_11
; %bb.10:
	v_lshlrev_b32_e32 v9, 3, v11
	global_load_dwordx2 v[9:10], v9, s[18:19]
.LBB872_11:
	s_or_b64 exec, exec, s[20:21]
	v_or_b32_e32 v13, 0x280, v0
	v_cmp_gt_u32_e32 vcc, s3, v13
                                        ; implicit-def: $vgpr11_vgpr12
	s_and_saveexec_b64 s[20:21], vcc
	s_cbranch_execz .LBB872_13
; %bb.12:
	v_lshlrev_b32_e32 v11, 3, v13
	global_load_dwordx2 v[11:12], v11, s[18:19]
.LBB872_13:
	s_or_b64 exec, exec, s[20:21]
	v_or_b32_e32 v15, 0x300, v0
	v_cmp_gt_u32_e32 vcc, s3, v15
                                        ; implicit-def: $vgpr13_vgpr14
	s_and_saveexec_b64 s[20:21], vcc
	s_cbranch_execz .LBB872_15
; %bb.14:
	v_lshlrev_b32_e32 v13, 3, v15
	global_load_dwordx2 v[13:14], v13, s[18:19]
.LBB872_15:
	s_or_b64 exec, exec, s[20:21]
	v_or_b32_e32 v17, 0x380, v0
	v_cmp_gt_u32_e32 vcc, s3, v17
                                        ; implicit-def: $vgpr15_vgpr16
	s_and_saveexec_b64 s[20:21], vcc
	s_cbranch_execz .LBB872_17
; %bb.16:
	v_lshlrev_b32_e32 v15, 3, v17
	global_load_dwordx2 v[15:16], v15, s[18:19]
.LBB872_17:
	s_or_b64 exec, exec, s[20:21]
	v_or_b32_e32 v19, 0x400, v0
	v_cmp_gt_u32_e32 vcc, s3, v19
                                        ; implicit-def: $vgpr17_vgpr18
	s_and_saveexec_b64 s[20:21], vcc
	s_cbranch_execz .LBB872_19
; %bb.18:
	v_lshlrev_b32_e32 v17, 3, v19
	global_load_dwordx2 v[17:18], v17, s[18:19]
.LBB872_19:
	s_or_b64 exec, exec, s[20:21]
	v_or_b32_e32 v21, 0x480, v0
	v_cmp_gt_u32_e32 vcc, s3, v21
                                        ; implicit-def: $vgpr19_vgpr20
	s_and_saveexec_b64 s[20:21], vcc
	s_cbranch_execz .LBB872_21
; %bb.20:
	v_lshlrev_b32_e32 v19, 3, v21
	global_load_dwordx2 v[19:20], v19, s[18:19]
.LBB872_21:
	s_or_b64 exec, exec, s[20:21]
	v_or_b32_e32 v23, 0x500, v0
	v_cmp_gt_u32_e32 vcc, s3, v23
                                        ; implicit-def: $vgpr21_vgpr22
	s_and_saveexec_b64 s[20:21], vcc
	s_cbranch_execz .LBB872_23
; %bb.22:
	v_lshlrev_b32_e32 v21, 3, v23
	global_load_dwordx2 v[21:22], v21, s[18:19]
.LBB872_23:
	s_or_b64 exec, exec, s[20:21]
	v_lshlrev_b32_e32 v23, 3, v0
	s_mov_b64 s[18:19], 0
	s_waitcnt vmcnt(0)
	ds_write2st64_b64 v23, v[1:2], v[3:4] offset1:2
	ds_write2st64_b64 v23, v[5:6], v[7:8] offset0:4 offset1:6
	ds_write2st64_b64 v23, v[9:10], v[11:12] offset0:8 offset1:10
	;; [unrolled: 1-line block ×4, first 2 shown]
	ds_write_b64 v23, v[21:22] offset:10240
	s_waitcnt lgkmcnt(0)
	s_barrier
.LBB872_24:
	s_and_b64 vcc, exec, s[18:19]
	v_lshlrev_b32_e32 v45, 3, v0
	s_cbranch_vccz .LBB872_26
; %bb.25:
	s_mov_b32 s17, 0
	s_lshl_b64 s[16:17], s[16:17], 3
	s_add_u32 s16, s22, s16
	s_addc_u32 s17, s23, s17
	v_mov_b32_e32 v1, s17
	v_add_co_u32_e32 v19, vcc, s16, v45
	v_addc_co_u32_e32 v20, vcc, 0, v1, vcc
	v_add_co_u32_e32 v9, vcc, 0x1000, v19
	v_addc_co_u32_e32 v10, vcc, 0, v20, vcc
	global_load_dwordx2 v[1:2], v45, s[16:17]
	global_load_dwordx2 v[3:4], v45, s[16:17] offset:1024
	global_load_dwordx2 v[5:6], v45, s[16:17] offset:2048
	;; [unrolled: 1-line block ×3, first 2 shown]
	global_load_dwordx2 v[11:12], v[9:10], off
	global_load_dwordx2 v[13:14], v[9:10], off offset:1024
	global_load_dwordx2 v[15:16], v[9:10], off offset:2048
	;; [unrolled: 1-line block ×3, first 2 shown]
	v_add_co_u32_e32 v9, vcc, 0x2000, v19
	v_addc_co_u32_e32 v10, vcc, 0, v20, vcc
	global_load_dwordx2 v[19:20], v[9:10], off
	global_load_dwordx2 v[21:22], v[9:10], off offset:1024
	global_load_dwordx2 v[23:24], v[9:10], off offset:2048
	s_waitcnt vmcnt(9)
	ds_write2st64_b64 v45, v[1:2], v[3:4] offset1:2
	s_waitcnt vmcnt(7)
	ds_write2st64_b64 v45, v[5:6], v[7:8] offset0:4 offset1:6
	s_waitcnt vmcnt(5)
	ds_write2st64_b64 v45, v[11:12], v[13:14] offset0:8 offset1:10
	;; [unrolled: 2-line block ×4, first 2 shown]
	s_waitcnt vmcnt(0)
	ds_write_b64 v45, v[23:24] offset:10240
	s_waitcnt lgkmcnt(0)
	s_barrier
.LBB872_26:
	v_mul_u32_u24_e32 v21, 0x58, v0
	ds_read2_b64 v[1:4], v21 offset1:1
	ds_read2_b64 v[5:8], v21 offset0:2 offset1:3
	ds_read2_b64 v[9:12], v21 offset0:4 offset1:5
	;; [unrolled: 1-line block ×4, first 2 shown]
	ds_read_b64 v[21:22], v21 offset:80
	s_cmp_eq_u64 s[12:13], 0
	s_waitcnt lgkmcnt(0)
	s_barrier
	s_cbranch_scc1 .LBB872_31
; %bb.27:
	s_lshl_b64 s[10:11], s[10:11], 3
	s_add_u32 s3, s8, s10
	s_addc_u32 s8, s9, s11
	s_lshl_b64 s[6:7], s[6:7], 3
	s_add_u32 s3, s3, s6
	s_addc_u32 s7, s8, s7
	s_add_u32 s6, s3, -8
	s_addc_u32 s7, s7, -1
	s_load_dwordx2 s[6:7], s[6:7], 0x0
	s_cmp_eq_u64 s[12:13], s[14:15]
	s_cbranch_scc1 .LBB872_32
; %bb.28:
	s_waitcnt lgkmcnt(0)
	v_mov_b32_e32 v24, s7
	v_cmp_ne_u32_e32 vcc, 0, v0
	v_mov_b32_e32 v23, s6
	ds_write_b64 v45, v[21:22]
	s_waitcnt lgkmcnt(0)
	s_barrier
	s_and_saveexec_b64 s[8:9], vcc
; %bb.29:
	v_add_u32_e32 v23, -8, v45
	ds_read_b64 v[23:24], v23
; %bb.30:
	s_or_b64 exec, exec, s[8:9]
	s_waitcnt lgkmcnt(0)
	v_sub_co_u32_e32 v35, vcc, v1, v23
	v_subb_co_u32_e32 v36, vcc, v2, v24, vcc
	s_mov_b64 s[8:9], 0
	s_branch .LBB872_33
.LBB872_31:
                                        ; implicit-def: $vgpr35_vgpr36
                                        ; implicit-def: $vgpr43_vgpr44
                                        ; implicit-def: $vgpr41_vgpr42
                                        ; implicit-def: $vgpr39_vgpr40
                                        ; implicit-def: $vgpr37_vgpr38
                                        ; implicit-def: $vgpr33_vgpr34
                                        ; implicit-def: $vgpr31_vgpr32
                                        ; implicit-def: $vgpr29_vgpr30
                                        ; implicit-def: $vgpr27_vgpr28
                                        ; implicit-def: $vgpr25_vgpr26
                                        ; implicit-def: $vgpr23_vgpr24
	s_branch .LBB872_38
.LBB872_32:
	s_mov_b64 s[8:9], -1
                                        ; implicit-def: $vgpr35_vgpr36
.LBB872_33:
	v_mov_b32_e32 v44, v2
	v_mov_b32_e32 v42, v4
	;; [unrolled: 1-line block ×10, first 2 shown]
	s_and_b64 vcc, exec, s[8:9]
	v_mov_b32_e32 v43, v1
	v_mov_b32_e32 v41, v3
	;; [unrolled: 1-line block ×10, first 2 shown]
	s_cbranch_vccz .LBB872_37
; %bb.34:
	s_waitcnt lgkmcnt(0)
	v_mov_b32_e32 v36, s7
	v_mul_u32_u24_e32 v46, 11, v0
	v_cmp_ne_u32_e32 vcc, 0, v0
	v_mov_b32_e32 v35, s6
	ds_write_b64 v45, v[21:22]
	s_waitcnt lgkmcnt(0)
	s_barrier
	s_and_saveexec_b64 s[6:7], vcc
; %bb.35:
	v_add_u32_e32 v23, -8, v45
	ds_read_b64 v[35:36], v23
; %bb.36:
	s_or_b64 exec, exec, s[6:7]
	s_mul_i32 s3, s12, 0xfffffa80
	s_add_i32 s3, s3, s2
	v_add_u32_e32 v23, 10, v46
	v_cmp_gt_u32_e32 vcc, s3, v23
	v_add_u32_e32 v25, 9, v46
	v_cndmask_b32_e32 v24, 0, v20, vcc
	v_cndmask_b32_e32 v23, 0, v19, vcc
	v_cmp_gt_u32_e32 vcc, s3, v25
	v_add_u32_e32 v27, 8, v46
	v_cndmask_b32_e32 v26, 0, v18, vcc
	v_cndmask_b32_e32 v25, 0, v17, vcc
	;; [unrolled: 4-line block ×9, first 2 shown]
	v_cmp_gt_u32_e32 vcc, s3, v43
	v_cndmask_b32_e32 v44, 0, v2, vcc
	v_cndmask_b32_e32 v43, 0, v1, vcc
	v_cmp_gt_u32_e32 vcc, s3, v46
	s_waitcnt lgkmcnt(0)
	v_cndmask_b32_e32 v35, 0, v35, vcc
	v_cndmask_b32_e32 v36, 0, v36, vcc
	v_sub_co_u32_e32 v35, vcc, v1, v35
	v_subb_co_u32_e32 v36, vcc, v2, v36, vcc
.LBB872_37:
	s_waitcnt lgkmcnt(0)
	s_cbranch_execnz .LBB872_48
.LBB872_38:
	s_cmp_eq_u64 s[4:5], 1
	v_cmp_ne_u32_e32 vcc, 0, v0
	s_cbranch_scc1 .LBB872_43
; %bb.39:
	v_mov_b32_e32 v36, v2
	v_mov_b32_e32 v43, 0
	;; [unrolled: 1-line block ×3, first 2 shown]
	ds_write_b64 v45, v[21:22]
	s_waitcnt lgkmcnt(0)
	s_barrier
	s_and_saveexec_b64 s[4:5], vcc
	s_cbranch_execz .LBB872_41
; %bb.40:
	v_add_u32_e32 v23, -8, v45
	ds_read_b64 v[23:24], v23
	v_mov_b32_e32 v43, v0
	s_waitcnt lgkmcnt(0)
	v_sub_co_u32_e32 v35, vcc, v1, v23
	v_subb_co_u32_e32 v36, vcc, v2, v24, vcc
.LBB872_41:
	s_or_b64 exec, exec, s[4:5]
	s_cbranch_execz .LBB872_44
; %bb.42:
	v_mov_b32_e32 v42, v4
	v_mov_b32_e32 v40, v6
	;; [unrolled: 1-line block ×19, first 2 shown]
	s_branch .LBB872_47
.LBB872_43:
                                        ; implicit-def: $vgpr35_vgpr36
                                        ; implicit-def: $vgpr43
.LBB872_44:
	v_mul_u32_u24_e32 v35, 11, v0
	v_add_u32_e32 v23, 10, v35
	v_cmp_gt_u32_e32 vcc, s2, v23
	v_add_u32_e32 v25, 9, v35
	v_cndmask_b32_e32 v24, 0, v20, vcc
	v_cndmask_b32_e32 v23, 0, v19, vcc
	v_cmp_gt_u32_e32 vcc, s2, v25
	v_add_u32_e32 v27, 8, v35
	v_cndmask_b32_e32 v26, 0, v18, vcc
	v_cndmask_b32_e32 v25, 0, v17, vcc
	;; [unrolled: 4-line block ×9, first 2 shown]
	v_cmp_gt_u32_e32 vcc, s2, v36
	v_cndmask_b32_e32 v44, 0, v2, vcc
	v_cndmask_b32_e32 v43, 0, v1, vcc
	v_cmp_ne_u32_e32 vcc, 0, v0
	v_cmp_gt_u32_e64 s[2:3], s2, v35
	s_and_b64 s[4:5], vcc, s[2:3]
	ds_write_b64 v45, v[21:22]
	s_waitcnt lgkmcnt(0)
	s_barrier
	s_and_saveexec_b64 s[2:3], s[4:5]
	s_cbranch_execz .LBB872_46
; %bb.45:
	v_add_u32_e32 v35, -8, v45
	ds_read_b64 v[35:36], v35
	s_waitcnt lgkmcnt(0)
	v_sub_co_u32_e32 v1, vcc, v1, v35
	v_subb_co_u32_e32 v2, vcc, v2, v36, vcc
.LBB872_46:
	s_or_b64 exec, exec, s[2:3]
	v_mov_b32_e32 v36, v2
	v_mov_b32_e32 v35, v1
	;; [unrolled: 1-line block ×4, first 2 shown]
.LBB872_47:
	v_mov_b32_e32 v44, v2
	v_mov_b32_e32 v43, v1
.LBB872_48:
	v_sub_co_u32_e32 v1, vcc, v3, v43
	v_subb_co_u32_e32 v2, vcc, v4, v44, vcc
	v_sub_co_u32_e32 v3, vcc, v5, v41
	v_subb_co_u32_e32 v4, vcc, v6, v42, vcc
	;; [unrolled: 2-line block ×10, first 2 shown]
	v_mul_u32_u24_e32 v0, 0x58, v0
	s_mov_b64 s[2:3], -1
	s_and_b64 vcc, exec, s[0:1]
	s_barrier
	ds_write2_b64 v0, v[35:36], v[1:2] offset1:1
	ds_write2_b64 v0, v[3:4], v[5:6] offset0:2 offset1:3
	ds_write2_b64 v0, v[7:8], v[9:10] offset0:4 offset1:5
	;; [unrolled: 1-line block ×4, first 2 shown]
	ds_write_b64 v0, v[19:20] offset:80
	s_waitcnt lgkmcnt(0)
	s_cbranch_vccnz .LBB872_51
; %bb.49:
	s_andn2_b64 vcc, exec, s[2:3]
	s_cbranch_vccz .LBB872_52
.LBB872_50:
	s_endpgm
.LBB872_51:
	s_barrier
	s_cbranch_execnz .LBB872_50
.LBB872_52:
	s_barrier
	s_endpgm
	.section	.rodata,"a",@progbits
	.p2align	6, 0x0
	.amdhsa_kernel _ZN7rocprim17ROCPRIM_400000_NS6detail17trampoline_kernelINS0_14default_configENS1_35adjacent_difference_config_selectorILb1ExEEZNS1_24adjacent_difference_implIS3_Lb1ELb0EPxN6thrust23THRUST_200600_302600_NS16discard_iteratorINS9_11use_defaultEEENS9_5minusIxEEEE10hipError_tPvRmT2_T3_mT4_P12ihipStream_tbEUlT_E_NS1_11comp_targetILNS1_3genE2ELNS1_11target_archE906ELNS1_3gpuE6ELNS1_3repE0EEENS1_30default_config_static_selectorELNS0_4arch9wavefront6targetE1EEEvT1_
		.amdhsa_group_segment_fixed_size 11264
		.amdhsa_private_segment_fixed_size 0
		.amdhsa_kernarg_size 64
		.amdhsa_user_sgpr_count 6
		.amdhsa_user_sgpr_private_segment_buffer 1
		.amdhsa_user_sgpr_dispatch_ptr 0
		.amdhsa_user_sgpr_queue_ptr 0
		.amdhsa_user_sgpr_kernarg_segment_ptr 1
		.amdhsa_user_sgpr_dispatch_id 0
		.amdhsa_user_sgpr_flat_scratch_init 0
		.amdhsa_user_sgpr_private_segment_size 0
		.amdhsa_uses_dynamic_stack 0
		.amdhsa_system_sgpr_private_segment_wavefront_offset 0
		.amdhsa_system_sgpr_workgroup_id_x 1
		.amdhsa_system_sgpr_workgroup_id_y 0
		.amdhsa_system_sgpr_workgroup_id_z 0
		.amdhsa_system_sgpr_workgroup_info 0
		.amdhsa_system_vgpr_workitem_id 0
		.amdhsa_next_free_vgpr 65
		.amdhsa_next_free_sgpr 98
		.amdhsa_reserve_vcc 1
		.amdhsa_reserve_flat_scratch 0
		.amdhsa_float_round_mode_32 0
		.amdhsa_float_round_mode_16_64 0
		.amdhsa_float_denorm_mode_32 3
		.amdhsa_float_denorm_mode_16_64 3
		.amdhsa_dx10_clamp 1
		.amdhsa_ieee_mode 1
		.amdhsa_fp16_overflow 0
		.amdhsa_exception_fp_ieee_invalid_op 0
		.amdhsa_exception_fp_denorm_src 0
		.amdhsa_exception_fp_ieee_div_zero 0
		.amdhsa_exception_fp_ieee_overflow 0
		.amdhsa_exception_fp_ieee_underflow 0
		.amdhsa_exception_fp_ieee_inexact 0
		.amdhsa_exception_int_div_zero 0
	.end_amdhsa_kernel
	.section	.text._ZN7rocprim17ROCPRIM_400000_NS6detail17trampoline_kernelINS0_14default_configENS1_35adjacent_difference_config_selectorILb1ExEEZNS1_24adjacent_difference_implIS3_Lb1ELb0EPxN6thrust23THRUST_200600_302600_NS16discard_iteratorINS9_11use_defaultEEENS9_5minusIxEEEE10hipError_tPvRmT2_T3_mT4_P12ihipStream_tbEUlT_E_NS1_11comp_targetILNS1_3genE2ELNS1_11target_archE906ELNS1_3gpuE6ELNS1_3repE0EEENS1_30default_config_static_selectorELNS0_4arch9wavefront6targetE1EEEvT1_,"axG",@progbits,_ZN7rocprim17ROCPRIM_400000_NS6detail17trampoline_kernelINS0_14default_configENS1_35adjacent_difference_config_selectorILb1ExEEZNS1_24adjacent_difference_implIS3_Lb1ELb0EPxN6thrust23THRUST_200600_302600_NS16discard_iteratorINS9_11use_defaultEEENS9_5minusIxEEEE10hipError_tPvRmT2_T3_mT4_P12ihipStream_tbEUlT_E_NS1_11comp_targetILNS1_3genE2ELNS1_11target_archE906ELNS1_3gpuE6ELNS1_3repE0EEENS1_30default_config_static_selectorELNS0_4arch9wavefront6targetE1EEEvT1_,comdat
.Lfunc_end872:
	.size	_ZN7rocprim17ROCPRIM_400000_NS6detail17trampoline_kernelINS0_14default_configENS1_35adjacent_difference_config_selectorILb1ExEEZNS1_24adjacent_difference_implIS3_Lb1ELb0EPxN6thrust23THRUST_200600_302600_NS16discard_iteratorINS9_11use_defaultEEENS9_5minusIxEEEE10hipError_tPvRmT2_T3_mT4_P12ihipStream_tbEUlT_E_NS1_11comp_targetILNS1_3genE2ELNS1_11target_archE906ELNS1_3gpuE6ELNS1_3repE0EEENS1_30default_config_static_selectorELNS0_4arch9wavefront6targetE1EEEvT1_, .Lfunc_end872-_ZN7rocprim17ROCPRIM_400000_NS6detail17trampoline_kernelINS0_14default_configENS1_35adjacent_difference_config_selectorILb1ExEEZNS1_24adjacent_difference_implIS3_Lb1ELb0EPxN6thrust23THRUST_200600_302600_NS16discard_iteratorINS9_11use_defaultEEENS9_5minusIxEEEE10hipError_tPvRmT2_T3_mT4_P12ihipStream_tbEUlT_E_NS1_11comp_targetILNS1_3genE2ELNS1_11target_archE906ELNS1_3gpuE6ELNS1_3repE0EEENS1_30default_config_static_selectorELNS0_4arch9wavefront6targetE1EEEvT1_
                                        ; -- End function
	.set _ZN7rocprim17ROCPRIM_400000_NS6detail17trampoline_kernelINS0_14default_configENS1_35adjacent_difference_config_selectorILb1ExEEZNS1_24adjacent_difference_implIS3_Lb1ELb0EPxN6thrust23THRUST_200600_302600_NS16discard_iteratorINS9_11use_defaultEEENS9_5minusIxEEEE10hipError_tPvRmT2_T3_mT4_P12ihipStream_tbEUlT_E_NS1_11comp_targetILNS1_3genE2ELNS1_11target_archE906ELNS1_3gpuE6ELNS1_3repE0EEENS1_30default_config_static_selectorELNS0_4arch9wavefront6targetE1EEEvT1_.num_vgpr, 47
	.set _ZN7rocprim17ROCPRIM_400000_NS6detail17trampoline_kernelINS0_14default_configENS1_35adjacent_difference_config_selectorILb1ExEEZNS1_24adjacent_difference_implIS3_Lb1ELb0EPxN6thrust23THRUST_200600_302600_NS16discard_iteratorINS9_11use_defaultEEENS9_5minusIxEEEE10hipError_tPvRmT2_T3_mT4_P12ihipStream_tbEUlT_E_NS1_11comp_targetILNS1_3genE2ELNS1_11target_archE906ELNS1_3gpuE6ELNS1_3repE0EEENS1_30default_config_static_selectorELNS0_4arch9wavefront6targetE1EEEvT1_.num_agpr, 0
	.set _ZN7rocprim17ROCPRIM_400000_NS6detail17trampoline_kernelINS0_14default_configENS1_35adjacent_difference_config_selectorILb1ExEEZNS1_24adjacent_difference_implIS3_Lb1ELb0EPxN6thrust23THRUST_200600_302600_NS16discard_iteratorINS9_11use_defaultEEENS9_5minusIxEEEE10hipError_tPvRmT2_T3_mT4_P12ihipStream_tbEUlT_E_NS1_11comp_targetILNS1_3genE2ELNS1_11target_archE906ELNS1_3gpuE6ELNS1_3repE0EEENS1_30default_config_static_selectorELNS0_4arch9wavefront6targetE1EEEvT1_.numbered_sgpr, 24
	.set _ZN7rocprim17ROCPRIM_400000_NS6detail17trampoline_kernelINS0_14default_configENS1_35adjacent_difference_config_selectorILb1ExEEZNS1_24adjacent_difference_implIS3_Lb1ELb0EPxN6thrust23THRUST_200600_302600_NS16discard_iteratorINS9_11use_defaultEEENS9_5minusIxEEEE10hipError_tPvRmT2_T3_mT4_P12ihipStream_tbEUlT_E_NS1_11comp_targetILNS1_3genE2ELNS1_11target_archE906ELNS1_3gpuE6ELNS1_3repE0EEENS1_30default_config_static_selectorELNS0_4arch9wavefront6targetE1EEEvT1_.num_named_barrier, 0
	.set _ZN7rocprim17ROCPRIM_400000_NS6detail17trampoline_kernelINS0_14default_configENS1_35adjacent_difference_config_selectorILb1ExEEZNS1_24adjacent_difference_implIS3_Lb1ELb0EPxN6thrust23THRUST_200600_302600_NS16discard_iteratorINS9_11use_defaultEEENS9_5minusIxEEEE10hipError_tPvRmT2_T3_mT4_P12ihipStream_tbEUlT_E_NS1_11comp_targetILNS1_3genE2ELNS1_11target_archE906ELNS1_3gpuE6ELNS1_3repE0EEENS1_30default_config_static_selectorELNS0_4arch9wavefront6targetE1EEEvT1_.private_seg_size, 0
	.set _ZN7rocprim17ROCPRIM_400000_NS6detail17trampoline_kernelINS0_14default_configENS1_35adjacent_difference_config_selectorILb1ExEEZNS1_24adjacent_difference_implIS3_Lb1ELb0EPxN6thrust23THRUST_200600_302600_NS16discard_iteratorINS9_11use_defaultEEENS9_5minusIxEEEE10hipError_tPvRmT2_T3_mT4_P12ihipStream_tbEUlT_E_NS1_11comp_targetILNS1_3genE2ELNS1_11target_archE906ELNS1_3gpuE6ELNS1_3repE0EEENS1_30default_config_static_selectorELNS0_4arch9wavefront6targetE1EEEvT1_.uses_vcc, 1
	.set _ZN7rocprim17ROCPRIM_400000_NS6detail17trampoline_kernelINS0_14default_configENS1_35adjacent_difference_config_selectorILb1ExEEZNS1_24adjacent_difference_implIS3_Lb1ELb0EPxN6thrust23THRUST_200600_302600_NS16discard_iteratorINS9_11use_defaultEEENS9_5minusIxEEEE10hipError_tPvRmT2_T3_mT4_P12ihipStream_tbEUlT_E_NS1_11comp_targetILNS1_3genE2ELNS1_11target_archE906ELNS1_3gpuE6ELNS1_3repE0EEENS1_30default_config_static_selectorELNS0_4arch9wavefront6targetE1EEEvT1_.uses_flat_scratch, 0
	.set _ZN7rocprim17ROCPRIM_400000_NS6detail17trampoline_kernelINS0_14default_configENS1_35adjacent_difference_config_selectorILb1ExEEZNS1_24adjacent_difference_implIS3_Lb1ELb0EPxN6thrust23THRUST_200600_302600_NS16discard_iteratorINS9_11use_defaultEEENS9_5minusIxEEEE10hipError_tPvRmT2_T3_mT4_P12ihipStream_tbEUlT_E_NS1_11comp_targetILNS1_3genE2ELNS1_11target_archE906ELNS1_3gpuE6ELNS1_3repE0EEENS1_30default_config_static_selectorELNS0_4arch9wavefront6targetE1EEEvT1_.has_dyn_sized_stack, 0
	.set _ZN7rocprim17ROCPRIM_400000_NS6detail17trampoline_kernelINS0_14default_configENS1_35adjacent_difference_config_selectorILb1ExEEZNS1_24adjacent_difference_implIS3_Lb1ELb0EPxN6thrust23THRUST_200600_302600_NS16discard_iteratorINS9_11use_defaultEEENS9_5minusIxEEEE10hipError_tPvRmT2_T3_mT4_P12ihipStream_tbEUlT_E_NS1_11comp_targetILNS1_3genE2ELNS1_11target_archE906ELNS1_3gpuE6ELNS1_3repE0EEENS1_30default_config_static_selectorELNS0_4arch9wavefront6targetE1EEEvT1_.has_recursion, 0
	.set _ZN7rocprim17ROCPRIM_400000_NS6detail17trampoline_kernelINS0_14default_configENS1_35adjacent_difference_config_selectorILb1ExEEZNS1_24adjacent_difference_implIS3_Lb1ELb0EPxN6thrust23THRUST_200600_302600_NS16discard_iteratorINS9_11use_defaultEEENS9_5minusIxEEEE10hipError_tPvRmT2_T3_mT4_P12ihipStream_tbEUlT_E_NS1_11comp_targetILNS1_3genE2ELNS1_11target_archE906ELNS1_3gpuE6ELNS1_3repE0EEENS1_30default_config_static_selectorELNS0_4arch9wavefront6targetE1EEEvT1_.has_indirect_call, 0
	.section	.AMDGPU.csdata,"",@progbits
; Kernel info:
; codeLenInByte = 2120
; TotalNumSgprs: 28
; NumVgprs: 47
; ScratchSize: 0
; MemoryBound: 0
; FloatMode: 240
; IeeeMode: 1
; LDSByteSize: 11264 bytes/workgroup (compile time only)
; SGPRBlocks: 12
; VGPRBlocks: 16
; NumSGPRsForWavesPerEU: 102
; NumVGPRsForWavesPerEU: 65
; Occupancy: 3
; WaveLimiterHint : 1
; COMPUTE_PGM_RSRC2:SCRATCH_EN: 0
; COMPUTE_PGM_RSRC2:USER_SGPR: 6
; COMPUTE_PGM_RSRC2:TRAP_HANDLER: 0
; COMPUTE_PGM_RSRC2:TGID_X_EN: 1
; COMPUTE_PGM_RSRC2:TGID_Y_EN: 0
; COMPUTE_PGM_RSRC2:TGID_Z_EN: 0
; COMPUTE_PGM_RSRC2:TIDIG_COMP_CNT: 0
	.section	.text._ZN7rocprim17ROCPRIM_400000_NS6detail17trampoline_kernelINS0_14default_configENS1_35adjacent_difference_config_selectorILb1ExEEZNS1_24adjacent_difference_implIS3_Lb1ELb0EPxN6thrust23THRUST_200600_302600_NS16discard_iteratorINS9_11use_defaultEEENS9_5minusIxEEEE10hipError_tPvRmT2_T3_mT4_P12ihipStream_tbEUlT_E_NS1_11comp_targetILNS1_3genE9ELNS1_11target_archE1100ELNS1_3gpuE3ELNS1_3repE0EEENS1_30default_config_static_selectorELNS0_4arch9wavefront6targetE1EEEvT1_,"axG",@progbits,_ZN7rocprim17ROCPRIM_400000_NS6detail17trampoline_kernelINS0_14default_configENS1_35adjacent_difference_config_selectorILb1ExEEZNS1_24adjacent_difference_implIS3_Lb1ELb0EPxN6thrust23THRUST_200600_302600_NS16discard_iteratorINS9_11use_defaultEEENS9_5minusIxEEEE10hipError_tPvRmT2_T3_mT4_P12ihipStream_tbEUlT_E_NS1_11comp_targetILNS1_3genE9ELNS1_11target_archE1100ELNS1_3gpuE3ELNS1_3repE0EEENS1_30default_config_static_selectorELNS0_4arch9wavefront6targetE1EEEvT1_,comdat
	.protected	_ZN7rocprim17ROCPRIM_400000_NS6detail17trampoline_kernelINS0_14default_configENS1_35adjacent_difference_config_selectorILb1ExEEZNS1_24adjacent_difference_implIS3_Lb1ELb0EPxN6thrust23THRUST_200600_302600_NS16discard_iteratorINS9_11use_defaultEEENS9_5minusIxEEEE10hipError_tPvRmT2_T3_mT4_P12ihipStream_tbEUlT_E_NS1_11comp_targetILNS1_3genE9ELNS1_11target_archE1100ELNS1_3gpuE3ELNS1_3repE0EEENS1_30default_config_static_selectorELNS0_4arch9wavefront6targetE1EEEvT1_ ; -- Begin function _ZN7rocprim17ROCPRIM_400000_NS6detail17trampoline_kernelINS0_14default_configENS1_35adjacent_difference_config_selectorILb1ExEEZNS1_24adjacent_difference_implIS3_Lb1ELb0EPxN6thrust23THRUST_200600_302600_NS16discard_iteratorINS9_11use_defaultEEENS9_5minusIxEEEE10hipError_tPvRmT2_T3_mT4_P12ihipStream_tbEUlT_E_NS1_11comp_targetILNS1_3genE9ELNS1_11target_archE1100ELNS1_3gpuE3ELNS1_3repE0EEENS1_30default_config_static_selectorELNS0_4arch9wavefront6targetE1EEEvT1_
	.globl	_ZN7rocprim17ROCPRIM_400000_NS6detail17trampoline_kernelINS0_14default_configENS1_35adjacent_difference_config_selectorILb1ExEEZNS1_24adjacent_difference_implIS3_Lb1ELb0EPxN6thrust23THRUST_200600_302600_NS16discard_iteratorINS9_11use_defaultEEENS9_5minusIxEEEE10hipError_tPvRmT2_T3_mT4_P12ihipStream_tbEUlT_E_NS1_11comp_targetILNS1_3genE9ELNS1_11target_archE1100ELNS1_3gpuE3ELNS1_3repE0EEENS1_30default_config_static_selectorELNS0_4arch9wavefront6targetE1EEEvT1_
	.p2align	8
	.type	_ZN7rocprim17ROCPRIM_400000_NS6detail17trampoline_kernelINS0_14default_configENS1_35adjacent_difference_config_selectorILb1ExEEZNS1_24adjacent_difference_implIS3_Lb1ELb0EPxN6thrust23THRUST_200600_302600_NS16discard_iteratorINS9_11use_defaultEEENS9_5minusIxEEEE10hipError_tPvRmT2_T3_mT4_P12ihipStream_tbEUlT_E_NS1_11comp_targetILNS1_3genE9ELNS1_11target_archE1100ELNS1_3gpuE3ELNS1_3repE0EEENS1_30default_config_static_selectorELNS0_4arch9wavefront6targetE1EEEvT1_,@function
_ZN7rocprim17ROCPRIM_400000_NS6detail17trampoline_kernelINS0_14default_configENS1_35adjacent_difference_config_selectorILb1ExEEZNS1_24adjacent_difference_implIS3_Lb1ELb0EPxN6thrust23THRUST_200600_302600_NS16discard_iteratorINS9_11use_defaultEEENS9_5minusIxEEEE10hipError_tPvRmT2_T3_mT4_P12ihipStream_tbEUlT_E_NS1_11comp_targetILNS1_3genE9ELNS1_11target_archE1100ELNS1_3gpuE3ELNS1_3repE0EEENS1_30default_config_static_selectorELNS0_4arch9wavefront6targetE1EEEvT1_: ; @_ZN7rocprim17ROCPRIM_400000_NS6detail17trampoline_kernelINS0_14default_configENS1_35adjacent_difference_config_selectorILb1ExEEZNS1_24adjacent_difference_implIS3_Lb1ELb0EPxN6thrust23THRUST_200600_302600_NS16discard_iteratorINS9_11use_defaultEEENS9_5minusIxEEEE10hipError_tPvRmT2_T3_mT4_P12ihipStream_tbEUlT_E_NS1_11comp_targetILNS1_3genE9ELNS1_11target_archE1100ELNS1_3gpuE3ELNS1_3repE0EEENS1_30default_config_static_selectorELNS0_4arch9wavefront6targetE1EEEvT1_
; %bb.0:
	.section	.rodata,"a",@progbits
	.p2align	6, 0x0
	.amdhsa_kernel _ZN7rocprim17ROCPRIM_400000_NS6detail17trampoline_kernelINS0_14default_configENS1_35adjacent_difference_config_selectorILb1ExEEZNS1_24adjacent_difference_implIS3_Lb1ELb0EPxN6thrust23THRUST_200600_302600_NS16discard_iteratorINS9_11use_defaultEEENS9_5minusIxEEEE10hipError_tPvRmT2_T3_mT4_P12ihipStream_tbEUlT_E_NS1_11comp_targetILNS1_3genE9ELNS1_11target_archE1100ELNS1_3gpuE3ELNS1_3repE0EEENS1_30default_config_static_selectorELNS0_4arch9wavefront6targetE1EEEvT1_
		.amdhsa_group_segment_fixed_size 0
		.amdhsa_private_segment_fixed_size 0
		.amdhsa_kernarg_size 64
		.amdhsa_user_sgpr_count 6
		.amdhsa_user_sgpr_private_segment_buffer 1
		.amdhsa_user_sgpr_dispatch_ptr 0
		.amdhsa_user_sgpr_queue_ptr 0
		.amdhsa_user_sgpr_kernarg_segment_ptr 1
		.amdhsa_user_sgpr_dispatch_id 0
		.amdhsa_user_sgpr_flat_scratch_init 0
		.amdhsa_user_sgpr_private_segment_size 0
		.amdhsa_uses_dynamic_stack 0
		.amdhsa_system_sgpr_private_segment_wavefront_offset 0
		.amdhsa_system_sgpr_workgroup_id_x 1
		.amdhsa_system_sgpr_workgroup_id_y 0
		.amdhsa_system_sgpr_workgroup_id_z 0
		.amdhsa_system_sgpr_workgroup_info 0
		.amdhsa_system_vgpr_workitem_id 0
		.amdhsa_next_free_vgpr 1
		.amdhsa_next_free_sgpr 0
		.amdhsa_reserve_vcc 0
		.amdhsa_reserve_flat_scratch 0
		.amdhsa_float_round_mode_32 0
		.amdhsa_float_round_mode_16_64 0
		.amdhsa_float_denorm_mode_32 3
		.amdhsa_float_denorm_mode_16_64 3
		.amdhsa_dx10_clamp 1
		.amdhsa_ieee_mode 1
		.amdhsa_fp16_overflow 0
		.amdhsa_exception_fp_ieee_invalid_op 0
		.amdhsa_exception_fp_denorm_src 0
		.amdhsa_exception_fp_ieee_div_zero 0
		.amdhsa_exception_fp_ieee_overflow 0
		.amdhsa_exception_fp_ieee_underflow 0
		.amdhsa_exception_fp_ieee_inexact 0
		.amdhsa_exception_int_div_zero 0
	.end_amdhsa_kernel
	.section	.text._ZN7rocprim17ROCPRIM_400000_NS6detail17trampoline_kernelINS0_14default_configENS1_35adjacent_difference_config_selectorILb1ExEEZNS1_24adjacent_difference_implIS3_Lb1ELb0EPxN6thrust23THRUST_200600_302600_NS16discard_iteratorINS9_11use_defaultEEENS9_5minusIxEEEE10hipError_tPvRmT2_T3_mT4_P12ihipStream_tbEUlT_E_NS1_11comp_targetILNS1_3genE9ELNS1_11target_archE1100ELNS1_3gpuE3ELNS1_3repE0EEENS1_30default_config_static_selectorELNS0_4arch9wavefront6targetE1EEEvT1_,"axG",@progbits,_ZN7rocprim17ROCPRIM_400000_NS6detail17trampoline_kernelINS0_14default_configENS1_35adjacent_difference_config_selectorILb1ExEEZNS1_24adjacent_difference_implIS3_Lb1ELb0EPxN6thrust23THRUST_200600_302600_NS16discard_iteratorINS9_11use_defaultEEENS9_5minusIxEEEE10hipError_tPvRmT2_T3_mT4_P12ihipStream_tbEUlT_E_NS1_11comp_targetILNS1_3genE9ELNS1_11target_archE1100ELNS1_3gpuE3ELNS1_3repE0EEENS1_30default_config_static_selectorELNS0_4arch9wavefront6targetE1EEEvT1_,comdat
.Lfunc_end873:
	.size	_ZN7rocprim17ROCPRIM_400000_NS6detail17trampoline_kernelINS0_14default_configENS1_35adjacent_difference_config_selectorILb1ExEEZNS1_24adjacent_difference_implIS3_Lb1ELb0EPxN6thrust23THRUST_200600_302600_NS16discard_iteratorINS9_11use_defaultEEENS9_5minusIxEEEE10hipError_tPvRmT2_T3_mT4_P12ihipStream_tbEUlT_E_NS1_11comp_targetILNS1_3genE9ELNS1_11target_archE1100ELNS1_3gpuE3ELNS1_3repE0EEENS1_30default_config_static_selectorELNS0_4arch9wavefront6targetE1EEEvT1_, .Lfunc_end873-_ZN7rocprim17ROCPRIM_400000_NS6detail17trampoline_kernelINS0_14default_configENS1_35adjacent_difference_config_selectorILb1ExEEZNS1_24adjacent_difference_implIS3_Lb1ELb0EPxN6thrust23THRUST_200600_302600_NS16discard_iteratorINS9_11use_defaultEEENS9_5minusIxEEEE10hipError_tPvRmT2_T3_mT4_P12ihipStream_tbEUlT_E_NS1_11comp_targetILNS1_3genE9ELNS1_11target_archE1100ELNS1_3gpuE3ELNS1_3repE0EEENS1_30default_config_static_selectorELNS0_4arch9wavefront6targetE1EEEvT1_
                                        ; -- End function
	.set _ZN7rocprim17ROCPRIM_400000_NS6detail17trampoline_kernelINS0_14default_configENS1_35adjacent_difference_config_selectorILb1ExEEZNS1_24adjacent_difference_implIS3_Lb1ELb0EPxN6thrust23THRUST_200600_302600_NS16discard_iteratorINS9_11use_defaultEEENS9_5minusIxEEEE10hipError_tPvRmT2_T3_mT4_P12ihipStream_tbEUlT_E_NS1_11comp_targetILNS1_3genE9ELNS1_11target_archE1100ELNS1_3gpuE3ELNS1_3repE0EEENS1_30default_config_static_selectorELNS0_4arch9wavefront6targetE1EEEvT1_.num_vgpr, 0
	.set _ZN7rocprim17ROCPRIM_400000_NS6detail17trampoline_kernelINS0_14default_configENS1_35adjacent_difference_config_selectorILb1ExEEZNS1_24adjacent_difference_implIS3_Lb1ELb0EPxN6thrust23THRUST_200600_302600_NS16discard_iteratorINS9_11use_defaultEEENS9_5minusIxEEEE10hipError_tPvRmT2_T3_mT4_P12ihipStream_tbEUlT_E_NS1_11comp_targetILNS1_3genE9ELNS1_11target_archE1100ELNS1_3gpuE3ELNS1_3repE0EEENS1_30default_config_static_selectorELNS0_4arch9wavefront6targetE1EEEvT1_.num_agpr, 0
	.set _ZN7rocprim17ROCPRIM_400000_NS6detail17trampoline_kernelINS0_14default_configENS1_35adjacent_difference_config_selectorILb1ExEEZNS1_24adjacent_difference_implIS3_Lb1ELb0EPxN6thrust23THRUST_200600_302600_NS16discard_iteratorINS9_11use_defaultEEENS9_5minusIxEEEE10hipError_tPvRmT2_T3_mT4_P12ihipStream_tbEUlT_E_NS1_11comp_targetILNS1_3genE9ELNS1_11target_archE1100ELNS1_3gpuE3ELNS1_3repE0EEENS1_30default_config_static_selectorELNS0_4arch9wavefront6targetE1EEEvT1_.numbered_sgpr, 0
	.set _ZN7rocprim17ROCPRIM_400000_NS6detail17trampoline_kernelINS0_14default_configENS1_35adjacent_difference_config_selectorILb1ExEEZNS1_24adjacent_difference_implIS3_Lb1ELb0EPxN6thrust23THRUST_200600_302600_NS16discard_iteratorINS9_11use_defaultEEENS9_5minusIxEEEE10hipError_tPvRmT2_T3_mT4_P12ihipStream_tbEUlT_E_NS1_11comp_targetILNS1_3genE9ELNS1_11target_archE1100ELNS1_3gpuE3ELNS1_3repE0EEENS1_30default_config_static_selectorELNS0_4arch9wavefront6targetE1EEEvT1_.num_named_barrier, 0
	.set _ZN7rocprim17ROCPRIM_400000_NS6detail17trampoline_kernelINS0_14default_configENS1_35adjacent_difference_config_selectorILb1ExEEZNS1_24adjacent_difference_implIS3_Lb1ELb0EPxN6thrust23THRUST_200600_302600_NS16discard_iteratorINS9_11use_defaultEEENS9_5minusIxEEEE10hipError_tPvRmT2_T3_mT4_P12ihipStream_tbEUlT_E_NS1_11comp_targetILNS1_3genE9ELNS1_11target_archE1100ELNS1_3gpuE3ELNS1_3repE0EEENS1_30default_config_static_selectorELNS0_4arch9wavefront6targetE1EEEvT1_.private_seg_size, 0
	.set _ZN7rocprim17ROCPRIM_400000_NS6detail17trampoline_kernelINS0_14default_configENS1_35adjacent_difference_config_selectorILb1ExEEZNS1_24adjacent_difference_implIS3_Lb1ELb0EPxN6thrust23THRUST_200600_302600_NS16discard_iteratorINS9_11use_defaultEEENS9_5minusIxEEEE10hipError_tPvRmT2_T3_mT4_P12ihipStream_tbEUlT_E_NS1_11comp_targetILNS1_3genE9ELNS1_11target_archE1100ELNS1_3gpuE3ELNS1_3repE0EEENS1_30default_config_static_selectorELNS0_4arch9wavefront6targetE1EEEvT1_.uses_vcc, 0
	.set _ZN7rocprim17ROCPRIM_400000_NS6detail17trampoline_kernelINS0_14default_configENS1_35adjacent_difference_config_selectorILb1ExEEZNS1_24adjacent_difference_implIS3_Lb1ELb0EPxN6thrust23THRUST_200600_302600_NS16discard_iteratorINS9_11use_defaultEEENS9_5minusIxEEEE10hipError_tPvRmT2_T3_mT4_P12ihipStream_tbEUlT_E_NS1_11comp_targetILNS1_3genE9ELNS1_11target_archE1100ELNS1_3gpuE3ELNS1_3repE0EEENS1_30default_config_static_selectorELNS0_4arch9wavefront6targetE1EEEvT1_.uses_flat_scratch, 0
	.set _ZN7rocprim17ROCPRIM_400000_NS6detail17trampoline_kernelINS0_14default_configENS1_35adjacent_difference_config_selectorILb1ExEEZNS1_24adjacent_difference_implIS3_Lb1ELb0EPxN6thrust23THRUST_200600_302600_NS16discard_iteratorINS9_11use_defaultEEENS9_5minusIxEEEE10hipError_tPvRmT2_T3_mT4_P12ihipStream_tbEUlT_E_NS1_11comp_targetILNS1_3genE9ELNS1_11target_archE1100ELNS1_3gpuE3ELNS1_3repE0EEENS1_30default_config_static_selectorELNS0_4arch9wavefront6targetE1EEEvT1_.has_dyn_sized_stack, 0
	.set _ZN7rocprim17ROCPRIM_400000_NS6detail17trampoline_kernelINS0_14default_configENS1_35adjacent_difference_config_selectorILb1ExEEZNS1_24adjacent_difference_implIS3_Lb1ELb0EPxN6thrust23THRUST_200600_302600_NS16discard_iteratorINS9_11use_defaultEEENS9_5minusIxEEEE10hipError_tPvRmT2_T3_mT4_P12ihipStream_tbEUlT_E_NS1_11comp_targetILNS1_3genE9ELNS1_11target_archE1100ELNS1_3gpuE3ELNS1_3repE0EEENS1_30default_config_static_selectorELNS0_4arch9wavefront6targetE1EEEvT1_.has_recursion, 0
	.set _ZN7rocprim17ROCPRIM_400000_NS6detail17trampoline_kernelINS0_14default_configENS1_35adjacent_difference_config_selectorILb1ExEEZNS1_24adjacent_difference_implIS3_Lb1ELb0EPxN6thrust23THRUST_200600_302600_NS16discard_iteratorINS9_11use_defaultEEENS9_5minusIxEEEE10hipError_tPvRmT2_T3_mT4_P12ihipStream_tbEUlT_E_NS1_11comp_targetILNS1_3genE9ELNS1_11target_archE1100ELNS1_3gpuE3ELNS1_3repE0EEENS1_30default_config_static_selectorELNS0_4arch9wavefront6targetE1EEEvT1_.has_indirect_call, 0
	.section	.AMDGPU.csdata,"",@progbits
; Kernel info:
; codeLenInByte = 0
; TotalNumSgprs: 4
; NumVgprs: 0
; ScratchSize: 0
; MemoryBound: 0
; FloatMode: 240
; IeeeMode: 1
; LDSByteSize: 0 bytes/workgroup (compile time only)
; SGPRBlocks: 0
; VGPRBlocks: 0
; NumSGPRsForWavesPerEU: 4
; NumVGPRsForWavesPerEU: 1
; Occupancy: 10
; WaveLimiterHint : 0
; COMPUTE_PGM_RSRC2:SCRATCH_EN: 0
; COMPUTE_PGM_RSRC2:USER_SGPR: 6
; COMPUTE_PGM_RSRC2:TRAP_HANDLER: 0
; COMPUTE_PGM_RSRC2:TGID_X_EN: 1
; COMPUTE_PGM_RSRC2:TGID_Y_EN: 0
; COMPUTE_PGM_RSRC2:TGID_Z_EN: 0
; COMPUTE_PGM_RSRC2:TIDIG_COMP_CNT: 0
	.section	.text._ZN7rocprim17ROCPRIM_400000_NS6detail17trampoline_kernelINS0_14default_configENS1_35adjacent_difference_config_selectorILb1ExEEZNS1_24adjacent_difference_implIS3_Lb1ELb0EPxN6thrust23THRUST_200600_302600_NS16discard_iteratorINS9_11use_defaultEEENS9_5minusIxEEEE10hipError_tPvRmT2_T3_mT4_P12ihipStream_tbEUlT_E_NS1_11comp_targetILNS1_3genE8ELNS1_11target_archE1030ELNS1_3gpuE2ELNS1_3repE0EEENS1_30default_config_static_selectorELNS0_4arch9wavefront6targetE1EEEvT1_,"axG",@progbits,_ZN7rocprim17ROCPRIM_400000_NS6detail17trampoline_kernelINS0_14default_configENS1_35adjacent_difference_config_selectorILb1ExEEZNS1_24adjacent_difference_implIS3_Lb1ELb0EPxN6thrust23THRUST_200600_302600_NS16discard_iteratorINS9_11use_defaultEEENS9_5minusIxEEEE10hipError_tPvRmT2_T3_mT4_P12ihipStream_tbEUlT_E_NS1_11comp_targetILNS1_3genE8ELNS1_11target_archE1030ELNS1_3gpuE2ELNS1_3repE0EEENS1_30default_config_static_selectorELNS0_4arch9wavefront6targetE1EEEvT1_,comdat
	.protected	_ZN7rocprim17ROCPRIM_400000_NS6detail17trampoline_kernelINS0_14default_configENS1_35adjacent_difference_config_selectorILb1ExEEZNS1_24adjacent_difference_implIS3_Lb1ELb0EPxN6thrust23THRUST_200600_302600_NS16discard_iteratorINS9_11use_defaultEEENS9_5minusIxEEEE10hipError_tPvRmT2_T3_mT4_P12ihipStream_tbEUlT_E_NS1_11comp_targetILNS1_3genE8ELNS1_11target_archE1030ELNS1_3gpuE2ELNS1_3repE0EEENS1_30default_config_static_selectorELNS0_4arch9wavefront6targetE1EEEvT1_ ; -- Begin function _ZN7rocprim17ROCPRIM_400000_NS6detail17trampoline_kernelINS0_14default_configENS1_35adjacent_difference_config_selectorILb1ExEEZNS1_24adjacent_difference_implIS3_Lb1ELb0EPxN6thrust23THRUST_200600_302600_NS16discard_iteratorINS9_11use_defaultEEENS9_5minusIxEEEE10hipError_tPvRmT2_T3_mT4_P12ihipStream_tbEUlT_E_NS1_11comp_targetILNS1_3genE8ELNS1_11target_archE1030ELNS1_3gpuE2ELNS1_3repE0EEENS1_30default_config_static_selectorELNS0_4arch9wavefront6targetE1EEEvT1_
	.globl	_ZN7rocprim17ROCPRIM_400000_NS6detail17trampoline_kernelINS0_14default_configENS1_35adjacent_difference_config_selectorILb1ExEEZNS1_24adjacent_difference_implIS3_Lb1ELb0EPxN6thrust23THRUST_200600_302600_NS16discard_iteratorINS9_11use_defaultEEENS9_5minusIxEEEE10hipError_tPvRmT2_T3_mT4_P12ihipStream_tbEUlT_E_NS1_11comp_targetILNS1_3genE8ELNS1_11target_archE1030ELNS1_3gpuE2ELNS1_3repE0EEENS1_30default_config_static_selectorELNS0_4arch9wavefront6targetE1EEEvT1_
	.p2align	8
	.type	_ZN7rocprim17ROCPRIM_400000_NS6detail17trampoline_kernelINS0_14default_configENS1_35adjacent_difference_config_selectorILb1ExEEZNS1_24adjacent_difference_implIS3_Lb1ELb0EPxN6thrust23THRUST_200600_302600_NS16discard_iteratorINS9_11use_defaultEEENS9_5minusIxEEEE10hipError_tPvRmT2_T3_mT4_P12ihipStream_tbEUlT_E_NS1_11comp_targetILNS1_3genE8ELNS1_11target_archE1030ELNS1_3gpuE2ELNS1_3repE0EEENS1_30default_config_static_selectorELNS0_4arch9wavefront6targetE1EEEvT1_,@function
_ZN7rocprim17ROCPRIM_400000_NS6detail17trampoline_kernelINS0_14default_configENS1_35adjacent_difference_config_selectorILb1ExEEZNS1_24adjacent_difference_implIS3_Lb1ELb0EPxN6thrust23THRUST_200600_302600_NS16discard_iteratorINS9_11use_defaultEEENS9_5minusIxEEEE10hipError_tPvRmT2_T3_mT4_P12ihipStream_tbEUlT_E_NS1_11comp_targetILNS1_3genE8ELNS1_11target_archE1030ELNS1_3gpuE2ELNS1_3repE0EEENS1_30default_config_static_selectorELNS0_4arch9wavefront6targetE1EEEvT1_: ; @_ZN7rocprim17ROCPRIM_400000_NS6detail17trampoline_kernelINS0_14default_configENS1_35adjacent_difference_config_selectorILb1ExEEZNS1_24adjacent_difference_implIS3_Lb1ELb0EPxN6thrust23THRUST_200600_302600_NS16discard_iteratorINS9_11use_defaultEEENS9_5minusIxEEEE10hipError_tPvRmT2_T3_mT4_P12ihipStream_tbEUlT_E_NS1_11comp_targetILNS1_3genE8ELNS1_11target_archE1030ELNS1_3gpuE2ELNS1_3repE0EEENS1_30default_config_static_selectorELNS0_4arch9wavefront6targetE1EEEvT1_
; %bb.0:
	.section	.rodata,"a",@progbits
	.p2align	6, 0x0
	.amdhsa_kernel _ZN7rocprim17ROCPRIM_400000_NS6detail17trampoline_kernelINS0_14default_configENS1_35adjacent_difference_config_selectorILb1ExEEZNS1_24adjacent_difference_implIS3_Lb1ELb0EPxN6thrust23THRUST_200600_302600_NS16discard_iteratorINS9_11use_defaultEEENS9_5minusIxEEEE10hipError_tPvRmT2_T3_mT4_P12ihipStream_tbEUlT_E_NS1_11comp_targetILNS1_3genE8ELNS1_11target_archE1030ELNS1_3gpuE2ELNS1_3repE0EEENS1_30default_config_static_selectorELNS0_4arch9wavefront6targetE1EEEvT1_
		.amdhsa_group_segment_fixed_size 0
		.amdhsa_private_segment_fixed_size 0
		.amdhsa_kernarg_size 64
		.amdhsa_user_sgpr_count 6
		.amdhsa_user_sgpr_private_segment_buffer 1
		.amdhsa_user_sgpr_dispatch_ptr 0
		.amdhsa_user_sgpr_queue_ptr 0
		.amdhsa_user_sgpr_kernarg_segment_ptr 1
		.amdhsa_user_sgpr_dispatch_id 0
		.amdhsa_user_sgpr_flat_scratch_init 0
		.amdhsa_user_sgpr_private_segment_size 0
		.amdhsa_uses_dynamic_stack 0
		.amdhsa_system_sgpr_private_segment_wavefront_offset 0
		.amdhsa_system_sgpr_workgroup_id_x 1
		.amdhsa_system_sgpr_workgroup_id_y 0
		.amdhsa_system_sgpr_workgroup_id_z 0
		.amdhsa_system_sgpr_workgroup_info 0
		.amdhsa_system_vgpr_workitem_id 0
		.amdhsa_next_free_vgpr 1
		.amdhsa_next_free_sgpr 0
		.amdhsa_reserve_vcc 0
		.amdhsa_reserve_flat_scratch 0
		.amdhsa_float_round_mode_32 0
		.amdhsa_float_round_mode_16_64 0
		.amdhsa_float_denorm_mode_32 3
		.amdhsa_float_denorm_mode_16_64 3
		.amdhsa_dx10_clamp 1
		.amdhsa_ieee_mode 1
		.amdhsa_fp16_overflow 0
		.amdhsa_exception_fp_ieee_invalid_op 0
		.amdhsa_exception_fp_denorm_src 0
		.amdhsa_exception_fp_ieee_div_zero 0
		.amdhsa_exception_fp_ieee_overflow 0
		.amdhsa_exception_fp_ieee_underflow 0
		.amdhsa_exception_fp_ieee_inexact 0
		.amdhsa_exception_int_div_zero 0
	.end_amdhsa_kernel
	.section	.text._ZN7rocprim17ROCPRIM_400000_NS6detail17trampoline_kernelINS0_14default_configENS1_35adjacent_difference_config_selectorILb1ExEEZNS1_24adjacent_difference_implIS3_Lb1ELb0EPxN6thrust23THRUST_200600_302600_NS16discard_iteratorINS9_11use_defaultEEENS9_5minusIxEEEE10hipError_tPvRmT2_T3_mT4_P12ihipStream_tbEUlT_E_NS1_11comp_targetILNS1_3genE8ELNS1_11target_archE1030ELNS1_3gpuE2ELNS1_3repE0EEENS1_30default_config_static_selectorELNS0_4arch9wavefront6targetE1EEEvT1_,"axG",@progbits,_ZN7rocprim17ROCPRIM_400000_NS6detail17trampoline_kernelINS0_14default_configENS1_35adjacent_difference_config_selectorILb1ExEEZNS1_24adjacent_difference_implIS3_Lb1ELb0EPxN6thrust23THRUST_200600_302600_NS16discard_iteratorINS9_11use_defaultEEENS9_5minusIxEEEE10hipError_tPvRmT2_T3_mT4_P12ihipStream_tbEUlT_E_NS1_11comp_targetILNS1_3genE8ELNS1_11target_archE1030ELNS1_3gpuE2ELNS1_3repE0EEENS1_30default_config_static_selectorELNS0_4arch9wavefront6targetE1EEEvT1_,comdat
.Lfunc_end874:
	.size	_ZN7rocprim17ROCPRIM_400000_NS6detail17trampoline_kernelINS0_14default_configENS1_35adjacent_difference_config_selectorILb1ExEEZNS1_24adjacent_difference_implIS3_Lb1ELb0EPxN6thrust23THRUST_200600_302600_NS16discard_iteratorINS9_11use_defaultEEENS9_5minusIxEEEE10hipError_tPvRmT2_T3_mT4_P12ihipStream_tbEUlT_E_NS1_11comp_targetILNS1_3genE8ELNS1_11target_archE1030ELNS1_3gpuE2ELNS1_3repE0EEENS1_30default_config_static_selectorELNS0_4arch9wavefront6targetE1EEEvT1_, .Lfunc_end874-_ZN7rocprim17ROCPRIM_400000_NS6detail17trampoline_kernelINS0_14default_configENS1_35adjacent_difference_config_selectorILb1ExEEZNS1_24adjacent_difference_implIS3_Lb1ELb0EPxN6thrust23THRUST_200600_302600_NS16discard_iteratorINS9_11use_defaultEEENS9_5minusIxEEEE10hipError_tPvRmT2_T3_mT4_P12ihipStream_tbEUlT_E_NS1_11comp_targetILNS1_3genE8ELNS1_11target_archE1030ELNS1_3gpuE2ELNS1_3repE0EEENS1_30default_config_static_selectorELNS0_4arch9wavefront6targetE1EEEvT1_
                                        ; -- End function
	.set _ZN7rocprim17ROCPRIM_400000_NS6detail17trampoline_kernelINS0_14default_configENS1_35adjacent_difference_config_selectorILb1ExEEZNS1_24adjacent_difference_implIS3_Lb1ELb0EPxN6thrust23THRUST_200600_302600_NS16discard_iteratorINS9_11use_defaultEEENS9_5minusIxEEEE10hipError_tPvRmT2_T3_mT4_P12ihipStream_tbEUlT_E_NS1_11comp_targetILNS1_3genE8ELNS1_11target_archE1030ELNS1_3gpuE2ELNS1_3repE0EEENS1_30default_config_static_selectorELNS0_4arch9wavefront6targetE1EEEvT1_.num_vgpr, 0
	.set _ZN7rocprim17ROCPRIM_400000_NS6detail17trampoline_kernelINS0_14default_configENS1_35adjacent_difference_config_selectorILb1ExEEZNS1_24adjacent_difference_implIS3_Lb1ELb0EPxN6thrust23THRUST_200600_302600_NS16discard_iteratorINS9_11use_defaultEEENS9_5minusIxEEEE10hipError_tPvRmT2_T3_mT4_P12ihipStream_tbEUlT_E_NS1_11comp_targetILNS1_3genE8ELNS1_11target_archE1030ELNS1_3gpuE2ELNS1_3repE0EEENS1_30default_config_static_selectorELNS0_4arch9wavefront6targetE1EEEvT1_.num_agpr, 0
	.set _ZN7rocprim17ROCPRIM_400000_NS6detail17trampoline_kernelINS0_14default_configENS1_35adjacent_difference_config_selectorILb1ExEEZNS1_24adjacent_difference_implIS3_Lb1ELb0EPxN6thrust23THRUST_200600_302600_NS16discard_iteratorINS9_11use_defaultEEENS9_5minusIxEEEE10hipError_tPvRmT2_T3_mT4_P12ihipStream_tbEUlT_E_NS1_11comp_targetILNS1_3genE8ELNS1_11target_archE1030ELNS1_3gpuE2ELNS1_3repE0EEENS1_30default_config_static_selectorELNS0_4arch9wavefront6targetE1EEEvT1_.numbered_sgpr, 0
	.set _ZN7rocprim17ROCPRIM_400000_NS6detail17trampoline_kernelINS0_14default_configENS1_35adjacent_difference_config_selectorILb1ExEEZNS1_24adjacent_difference_implIS3_Lb1ELb0EPxN6thrust23THRUST_200600_302600_NS16discard_iteratorINS9_11use_defaultEEENS9_5minusIxEEEE10hipError_tPvRmT2_T3_mT4_P12ihipStream_tbEUlT_E_NS1_11comp_targetILNS1_3genE8ELNS1_11target_archE1030ELNS1_3gpuE2ELNS1_3repE0EEENS1_30default_config_static_selectorELNS0_4arch9wavefront6targetE1EEEvT1_.num_named_barrier, 0
	.set _ZN7rocprim17ROCPRIM_400000_NS6detail17trampoline_kernelINS0_14default_configENS1_35adjacent_difference_config_selectorILb1ExEEZNS1_24adjacent_difference_implIS3_Lb1ELb0EPxN6thrust23THRUST_200600_302600_NS16discard_iteratorINS9_11use_defaultEEENS9_5minusIxEEEE10hipError_tPvRmT2_T3_mT4_P12ihipStream_tbEUlT_E_NS1_11comp_targetILNS1_3genE8ELNS1_11target_archE1030ELNS1_3gpuE2ELNS1_3repE0EEENS1_30default_config_static_selectorELNS0_4arch9wavefront6targetE1EEEvT1_.private_seg_size, 0
	.set _ZN7rocprim17ROCPRIM_400000_NS6detail17trampoline_kernelINS0_14default_configENS1_35adjacent_difference_config_selectorILb1ExEEZNS1_24adjacent_difference_implIS3_Lb1ELb0EPxN6thrust23THRUST_200600_302600_NS16discard_iteratorINS9_11use_defaultEEENS9_5minusIxEEEE10hipError_tPvRmT2_T3_mT4_P12ihipStream_tbEUlT_E_NS1_11comp_targetILNS1_3genE8ELNS1_11target_archE1030ELNS1_3gpuE2ELNS1_3repE0EEENS1_30default_config_static_selectorELNS0_4arch9wavefront6targetE1EEEvT1_.uses_vcc, 0
	.set _ZN7rocprim17ROCPRIM_400000_NS6detail17trampoline_kernelINS0_14default_configENS1_35adjacent_difference_config_selectorILb1ExEEZNS1_24adjacent_difference_implIS3_Lb1ELb0EPxN6thrust23THRUST_200600_302600_NS16discard_iteratorINS9_11use_defaultEEENS9_5minusIxEEEE10hipError_tPvRmT2_T3_mT4_P12ihipStream_tbEUlT_E_NS1_11comp_targetILNS1_3genE8ELNS1_11target_archE1030ELNS1_3gpuE2ELNS1_3repE0EEENS1_30default_config_static_selectorELNS0_4arch9wavefront6targetE1EEEvT1_.uses_flat_scratch, 0
	.set _ZN7rocprim17ROCPRIM_400000_NS6detail17trampoline_kernelINS0_14default_configENS1_35adjacent_difference_config_selectorILb1ExEEZNS1_24adjacent_difference_implIS3_Lb1ELb0EPxN6thrust23THRUST_200600_302600_NS16discard_iteratorINS9_11use_defaultEEENS9_5minusIxEEEE10hipError_tPvRmT2_T3_mT4_P12ihipStream_tbEUlT_E_NS1_11comp_targetILNS1_3genE8ELNS1_11target_archE1030ELNS1_3gpuE2ELNS1_3repE0EEENS1_30default_config_static_selectorELNS0_4arch9wavefront6targetE1EEEvT1_.has_dyn_sized_stack, 0
	.set _ZN7rocprim17ROCPRIM_400000_NS6detail17trampoline_kernelINS0_14default_configENS1_35adjacent_difference_config_selectorILb1ExEEZNS1_24adjacent_difference_implIS3_Lb1ELb0EPxN6thrust23THRUST_200600_302600_NS16discard_iteratorINS9_11use_defaultEEENS9_5minusIxEEEE10hipError_tPvRmT2_T3_mT4_P12ihipStream_tbEUlT_E_NS1_11comp_targetILNS1_3genE8ELNS1_11target_archE1030ELNS1_3gpuE2ELNS1_3repE0EEENS1_30default_config_static_selectorELNS0_4arch9wavefront6targetE1EEEvT1_.has_recursion, 0
	.set _ZN7rocprim17ROCPRIM_400000_NS6detail17trampoline_kernelINS0_14default_configENS1_35adjacent_difference_config_selectorILb1ExEEZNS1_24adjacent_difference_implIS3_Lb1ELb0EPxN6thrust23THRUST_200600_302600_NS16discard_iteratorINS9_11use_defaultEEENS9_5minusIxEEEE10hipError_tPvRmT2_T3_mT4_P12ihipStream_tbEUlT_E_NS1_11comp_targetILNS1_3genE8ELNS1_11target_archE1030ELNS1_3gpuE2ELNS1_3repE0EEENS1_30default_config_static_selectorELNS0_4arch9wavefront6targetE1EEEvT1_.has_indirect_call, 0
	.section	.AMDGPU.csdata,"",@progbits
; Kernel info:
; codeLenInByte = 0
; TotalNumSgprs: 4
; NumVgprs: 0
; ScratchSize: 0
; MemoryBound: 0
; FloatMode: 240
; IeeeMode: 1
; LDSByteSize: 0 bytes/workgroup (compile time only)
; SGPRBlocks: 0
; VGPRBlocks: 0
; NumSGPRsForWavesPerEU: 4
; NumVGPRsForWavesPerEU: 1
; Occupancy: 10
; WaveLimiterHint : 0
; COMPUTE_PGM_RSRC2:SCRATCH_EN: 0
; COMPUTE_PGM_RSRC2:USER_SGPR: 6
; COMPUTE_PGM_RSRC2:TRAP_HANDLER: 0
; COMPUTE_PGM_RSRC2:TGID_X_EN: 1
; COMPUTE_PGM_RSRC2:TGID_Y_EN: 0
; COMPUTE_PGM_RSRC2:TGID_Z_EN: 0
; COMPUTE_PGM_RSRC2:TIDIG_COMP_CNT: 0
	.section	.text._ZN7rocprim17ROCPRIM_400000_NS6detail17trampoline_kernelINS0_14default_configENS1_25transform_config_selectorIiLb0EEEZNS1_14transform_implILb0ES3_S5_NS0_18transform_iteratorINS0_17counting_iteratorImlEEZNS1_24adjacent_difference_implIS3_Lb1ELb0EPiN6thrust23THRUST_200600_302600_NS16discard_iteratorINSD_11use_defaultEEENSD_5minusIiEEEE10hipError_tPvRmT2_T3_mT4_P12ihipStream_tbEUlmE_iEESB_NS0_8identityIvEEEESJ_SM_SN_mSO_SQ_bEUlT_E_NS1_11comp_targetILNS1_3genE0ELNS1_11target_archE4294967295ELNS1_3gpuE0ELNS1_3repE0EEENS1_30default_config_static_selectorELNS0_4arch9wavefront6targetE1EEEvT1_,"axG",@progbits,_ZN7rocprim17ROCPRIM_400000_NS6detail17trampoline_kernelINS0_14default_configENS1_25transform_config_selectorIiLb0EEEZNS1_14transform_implILb0ES3_S5_NS0_18transform_iteratorINS0_17counting_iteratorImlEEZNS1_24adjacent_difference_implIS3_Lb1ELb0EPiN6thrust23THRUST_200600_302600_NS16discard_iteratorINSD_11use_defaultEEENSD_5minusIiEEEE10hipError_tPvRmT2_T3_mT4_P12ihipStream_tbEUlmE_iEESB_NS0_8identityIvEEEESJ_SM_SN_mSO_SQ_bEUlT_E_NS1_11comp_targetILNS1_3genE0ELNS1_11target_archE4294967295ELNS1_3gpuE0ELNS1_3repE0EEENS1_30default_config_static_selectorELNS0_4arch9wavefront6targetE1EEEvT1_,comdat
	.protected	_ZN7rocprim17ROCPRIM_400000_NS6detail17trampoline_kernelINS0_14default_configENS1_25transform_config_selectorIiLb0EEEZNS1_14transform_implILb0ES3_S5_NS0_18transform_iteratorINS0_17counting_iteratorImlEEZNS1_24adjacent_difference_implIS3_Lb1ELb0EPiN6thrust23THRUST_200600_302600_NS16discard_iteratorINSD_11use_defaultEEENSD_5minusIiEEEE10hipError_tPvRmT2_T3_mT4_P12ihipStream_tbEUlmE_iEESB_NS0_8identityIvEEEESJ_SM_SN_mSO_SQ_bEUlT_E_NS1_11comp_targetILNS1_3genE0ELNS1_11target_archE4294967295ELNS1_3gpuE0ELNS1_3repE0EEENS1_30default_config_static_selectorELNS0_4arch9wavefront6targetE1EEEvT1_ ; -- Begin function _ZN7rocprim17ROCPRIM_400000_NS6detail17trampoline_kernelINS0_14default_configENS1_25transform_config_selectorIiLb0EEEZNS1_14transform_implILb0ES3_S5_NS0_18transform_iteratorINS0_17counting_iteratorImlEEZNS1_24adjacent_difference_implIS3_Lb1ELb0EPiN6thrust23THRUST_200600_302600_NS16discard_iteratorINSD_11use_defaultEEENSD_5minusIiEEEE10hipError_tPvRmT2_T3_mT4_P12ihipStream_tbEUlmE_iEESB_NS0_8identityIvEEEESJ_SM_SN_mSO_SQ_bEUlT_E_NS1_11comp_targetILNS1_3genE0ELNS1_11target_archE4294967295ELNS1_3gpuE0ELNS1_3repE0EEENS1_30default_config_static_selectorELNS0_4arch9wavefront6targetE1EEEvT1_
	.globl	_ZN7rocprim17ROCPRIM_400000_NS6detail17trampoline_kernelINS0_14default_configENS1_25transform_config_selectorIiLb0EEEZNS1_14transform_implILb0ES3_S5_NS0_18transform_iteratorINS0_17counting_iteratorImlEEZNS1_24adjacent_difference_implIS3_Lb1ELb0EPiN6thrust23THRUST_200600_302600_NS16discard_iteratorINSD_11use_defaultEEENSD_5minusIiEEEE10hipError_tPvRmT2_T3_mT4_P12ihipStream_tbEUlmE_iEESB_NS0_8identityIvEEEESJ_SM_SN_mSO_SQ_bEUlT_E_NS1_11comp_targetILNS1_3genE0ELNS1_11target_archE4294967295ELNS1_3gpuE0ELNS1_3repE0EEENS1_30default_config_static_selectorELNS0_4arch9wavefront6targetE1EEEvT1_
	.p2align	8
	.type	_ZN7rocprim17ROCPRIM_400000_NS6detail17trampoline_kernelINS0_14default_configENS1_25transform_config_selectorIiLb0EEEZNS1_14transform_implILb0ES3_S5_NS0_18transform_iteratorINS0_17counting_iteratorImlEEZNS1_24adjacent_difference_implIS3_Lb1ELb0EPiN6thrust23THRUST_200600_302600_NS16discard_iteratorINSD_11use_defaultEEENSD_5minusIiEEEE10hipError_tPvRmT2_T3_mT4_P12ihipStream_tbEUlmE_iEESB_NS0_8identityIvEEEESJ_SM_SN_mSO_SQ_bEUlT_E_NS1_11comp_targetILNS1_3genE0ELNS1_11target_archE4294967295ELNS1_3gpuE0ELNS1_3repE0EEENS1_30default_config_static_selectorELNS0_4arch9wavefront6targetE1EEEvT1_,@function
_ZN7rocprim17ROCPRIM_400000_NS6detail17trampoline_kernelINS0_14default_configENS1_25transform_config_selectorIiLb0EEEZNS1_14transform_implILb0ES3_S5_NS0_18transform_iteratorINS0_17counting_iteratorImlEEZNS1_24adjacent_difference_implIS3_Lb1ELb0EPiN6thrust23THRUST_200600_302600_NS16discard_iteratorINSD_11use_defaultEEENSD_5minusIiEEEE10hipError_tPvRmT2_T3_mT4_P12ihipStream_tbEUlmE_iEESB_NS0_8identityIvEEEESJ_SM_SN_mSO_SQ_bEUlT_E_NS1_11comp_targetILNS1_3genE0ELNS1_11target_archE4294967295ELNS1_3gpuE0ELNS1_3repE0EEENS1_30default_config_static_selectorELNS0_4arch9wavefront6targetE1EEEvT1_: ; @_ZN7rocprim17ROCPRIM_400000_NS6detail17trampoline_kernelINS0_14default_configENS1_25transform_config_selectorIiLb0EEEZNS1_14transform_implILb0ES3_S5_NS0_18transform_iteratorINS0_17counting_iteratorImlEEZNS1_24adjacent_difference_implIS3_Lb1ELb0EPiN6thrust23THRUST_200600_302600_NS16discard_iteratorINSD_11use_defaultEEENSD_5minusIiEEEE10hipError_tPvRmT2_T3_mT4_P12ihipStream_tbEUlmE_iEESB_NS0_8identityIvEEEESJ_SM_SN_mSO_SQ_bEUlT_E_NS1_11comp_targetILNS1_3genE0ELNS1_11target_archE4294967295ELNS1_3gpuE0ELNS1_3repE0EEENS1_30default_config_static_selectorELNS0_4arch9wavefront6targetE1EEEvT1_
; %bb.0:
	.section	.rodata,"a",@progbits
	.p2align	6, 0x0
	.amdhsa_kernel _ZN7rocprim17ROCPRIM_400000_NS6detail17trampoline_kernelINS0_14default_configENS1_25transform_config_selectorIiLb0EEEZNS1_14transform_implILb0ES3_S5_NS0_18transform_iteratorINS0_17counting_iteratorImlEEZNS1_24adjacent_difference_implIS3_Lb1ELb0EPiN6thrust23THRUST_200600_302600_NS16discard_iteratorINSD_11use_defaultEEENSD_5minusIiEEEE10hipError_tPvRmT2_T3_mT4_P12ihipStream_tbEUlmE_iEESB_NS0_8identityIvEEEESJ_SM_SN_mSO_SQ_bEUlT_E_NS1_11comp_targetILNS1_3genE0ELNS1_11target_archE4294967295ELNS1_3gpuE0ELNS1_3repE0EEENS1_30default_config_static_selectorELNS0_4arch9wavefront6targetE1EEEvT1_
		.amdhsa_group_segment_fixed_size 0
		.amdhsa_private_segment_fixed_size 0
		.amdhsa_kernarg_size 56
		.amdhsa_user_sgpr_count 6
		.amdhsa_user_sgpr_private_segment_buffer 1
		.amdhsa_user_sgpr_dispatch_ptr 0
		.amdhsa_user_sgpr_queue_ptr 0
		.amdhsa_user_sgpr_kernarg_segment_ptr 1
		.amdhsa_user_sgpr_dispatch_id 0
		.amdhsa_user_sgpr_flat_scratch_init 0
		.amdhsa_user_sgpr_private_segment_size 0
		.amdhsa_uses_dynamic_stack 0
		.amdhsa_system_sgpr_private_segment_wavefront_offset 0
		.amdhsa_system_sgpr_workgroup_id_x 1
		.amdhsa_system_sgpr_workgroup_id_y 0
		.amdhsa_system_sgpr_workgroup_id_z 0
		.amdhsa_system_sgpr_workgroup_info 0
		.amdhsa_system_vgpr_workitem_id 0
		.amdhsa_next_free_vgpr 1
		.amdhsa_next_free_sgpr 0
		.amdhsa_reserve_vcc 0
		.amdhsa_reserve_flat_scratch 0
		.amdhsa_float_round_mode_32 0
		.amdhsa_float_round_mode_16_64 0
		.amdhsa_float_denorm_mode_32 3
		.amdhsa_float_denorm_mode_16_64 3
		.amdhsa_dx10_clamp 1
		.amdhsa_ieee_mode 1
		.amdhsa_fp16_overflow 0
		.amdhsa_exception_fp_ieee_invalid_op 0
		.amdhsa_exception_fp_denorm_src 0
		.amdhsa_exception_fp_ieee_div_zero 0
		.amdhsa_exception_fp_ieee_overflow 0
		.amdhsa_exception_fp_ieee_underflow 0
		.amdhsa_exception_fp_ieee_inexact 0
		.amdhsa_exception_int_div_zero 0
	.end_amdhsa_kernel
	.section	.text._ZN7rocprim17ROCPRIM_400000_NS6detail17trampoline_kernelINS0_14default_configENS1_25transform_config_selectorIiLb0EEEZNS1_14transform_implILb0ES3_S5_NS0_18transform_iteratorINS0_17counting_iteratorImlEEZNS1_24adjacent_difference_implIS3_Lb1ELb0EPiN6thrust23THRUST_200600_302600_NS16discard_iteratorINSD_11use_defaultEEENSD_5minusIiEEEE10hipError_tPvRmT2_T3_mT4_P12ihipStream_tbEUlmE_iEESB_NS0_8identityIvEEEESJ_SM_SN_mSO_SQ_bEUlT_E_NS1_11comp_targetILNS1_3genE0ELNS1_11target_archE4294967295ELNS1_3gpuE0ELNS1_3repE0EEENS1_30default_config_static_selectorELNS0_4arch9wavefront6targetE1EEEvT1_,"axG",@progbits,_ZN7rocprim17ROCPRIM_400000_NS6detail17trampoline_kernelINS0_14default_configENS1_25transform_config_selectorIiLb0EEEZNS1_14transform_implILb0ES3_S5_NS0_18transform_iteratorINS0_17counting_iteratorImlEEZNS1_24adjacent_difference_implIS3_Lb1ELb0EPiN6thrust23THRUST_200600_302600_NS16discard_iteratorINSD_11use_defaultEEENSD_5minusIiEEEE10hipError_tPvRmT2_T3_mT4_P12ihipStream_tbEUlmE_iEESB_NS0_8identityIvEEEESJ_SM_SN_mSO_SQ_bEUlT_E_NS1_11comp_targetILNS1_3genE0ELNS1_11target_archE4294967295ELNS1_3gpuE0ELNS1_3repE0EEENS1_30default_config_static_selectorELNS0_4arch9wavefront6targetE1EEEvT1_,comdat
.Lfunc_end875:
	.size	_ZN7rocprim17ROCPRIM_400000_NS6detail17trampoline_kernelINS0_14default_configENS1_25transform_config_selectorIiLb0EEEZNS1_14transform_implILb0ES3_S5_NS0_18transform_iteratorINS0_17counting_iteratorImlEEZNS1_24adjacent_difference_implIS3_Lb1ELb0EPiN6thrust23THRUST_200600_302600_NS16discard_iteratorINSD_11use_defaultEEENSD_5minusIiEEEE10hipError_tPvRmT2_T3_mT4_P12ihipStream_tbEUlmE_iEESB_NS0_8identityIvEEEESJ_SM_SN_mSO_SQ_bEUlT_E_NS1_11comp_targetILNS1_3genE0ELNS1_11target_archE4294967295ELNS1_3gpuE0ELNS1_3repE0EEENS1_30default_config_static_selectorELNS0_4arch9wavefront6targetE1EEEvT1_, .Lfunc_end875-_ZN7rocprim17ROCPRIM_400000_NS6detail17trampoline_kernelINS0_14default_configENS1_25transform_config_selectorIiLb0EEEZNS1_14transform_implILb0ES3_S5_NS0_18transform_iteratorINS0_17counting_iteratorImlEEZNS1_24adjacent_difference_implIS3_Lb1ELb0EPiN6thrust23THRUST_200600_302600_NS16discard_iteratorINSD_11use_defaultEEENSD_5minusIiEEEE10hipError_tPvRmT2_T3_mT4_P12ihipStream_tbEUlmE_iEESB_NS0_8identityIvEEEESJ_SM_SN_mSO_SQ_bEUlT_E_NS1_11comp_targetILNS1_3genE0ELNS1_11target_archE4294967295ELNS1_3gpuE0ELNS1_3repE0EEENS1_30default_config_static_selectorELNS0_4arch9wavefront6targetE1EEEvT1_
                                        ; -- End function
	.set _ZN7rocprim17ROCPRIM_400000_NS6detail17trampoline_kernelINS0_14default_configENS1_25transform_config_selectorIiLb0EEEZNS1_14transform_implILb0ES3_S5_NS0_18transform_iteratorINS0_17counting_iteratorImlEEZNS1_24adjacent_difference_implIS3_Lb1ELb0EPiN6thrust23THRUST_200600_302600_NS16discard_iteratorINSD_11use_defaultEEENSD_5minusIiEEEE10hipError_tPvRmT2_T3_mT4_P12ihipStream_tbEUlmE_iEESB_NS0_8identityIvEEEESJ_SM_SN_mSO_SQ_bEUlT_E_NS1_11comp_targetILNS1_3genE0ELNS1_11target_archE4294967295ELNS1_3gpuE0ELNS1_3repE0EEENS1_30default_config_static_selectorELNS0_4arch9wavefront6targetE1EEEvT1_.num_vgpr, 0
	.set _ZN7rocprim17ROCPRIM_400000_NS6detail17trampoline_kernelINS0_14default_configENS1_25transform_config_selectorIiLb0EEEZNS1_14transform_implILb0ES3_S5_NS0_18transform_iteratorINS0_17counting_iteratorImlEEZNS1_24adjacent_difference_implIS3_Lb1ELb0EPiN6thrust23THRUST_200600_302600_NS16discard_iteratorINSD_11use_defaultEEENSD_5minusIiEEEE10hipError_tPvRmT2_T3_mT4_P12ihipStream_tbEUlmE_iEESB_NS0_8identityIvEEEESJ_SM_SN_mSO_SQ_bEUlT_E_NS1_11comp_targetILNS1_3genE0ELNS1_11target_archE4294967295ELNS1_3gpuE0ELNS1_3repE0EEENS1_30default_config_static_selectorELNS0_4arch9wavefront6targetE1EEEvT1_.num_agpr, 0
	.set _ZN7rocprim17ROCPRIM_400000_NS6detail17trampoline_kernelINS0_14default_configENS1_25transform_config_selectorIiLb0EEEZNS1_14transform_implILb0ES3_S5_NS0_18transform_iteratorINS0_17counting_iteratorImlEEZNS1_24adjacent_difference_implIS3_Lb1ELb0EPiN6thrust23THRUST_200600_302600_NS16discard_iteratorINSD_11use_defaultEEENSD_5minusIiEEEE10hipError_tPvRmT2_T3_mT4_P12ihipStream_tbEUlmE_iEESB_NS0_8identityIvEEEESJ_SM_SN_mSO_SQ_bEUlT_E_NS1_11comp_targetILNS1_3genE0ELNS1_11target_archE4294967295ELNS1_3gpuE0ELNS1_3repE0EEENS1_30default_config_static_selectorELNS0_4arch9wavefront6targetE1EEEvT1_.numbered_sgpr, 0
	.set _ZN7rocprim17ROCPRIM_400000_NS6detail17trampoline_kernelINS0_14default_configENS1_25transform_config_selectorIiLb0EEEZNS1_14transform_implILb0ES3_S5_NS0_18transform_iteratorINS0_17counting_iteratorImlEEZNS1_24adjacent_difference_implIS3_Lb1ELb0EPiN6thrust23THRUST_200600_302600_NS16discard_iteratorINSD_11use_defaultEEENSD_5minusIiEEEE10hipError_tPvRmT2_T3_mT4_P12ihipStream_tbEUlmE_iEESB_NS0_8identityIvEEEESJ_SM_SN_mSO_SQ_bEUlT_E_NS1_11comp_targetILNS1_3genE0ELNS1_11target_archE4294967295ELNS1_3gpuE0ELNS1_3repE0EEENS1_30default_config_static_selectorELNS0_4arch9wavefront6targetE1EEEvT1_.num_named_barrier, 0
	.set _ZN7rocprim17ROCPRIM_400000_NS6detail17trampoline_kernelINS0_14default_configENS1_25transform_config_selectorIiLb0EEEZNS1_14transform_implILb0ES3_S5_NS0_18transform_iteratorINS0_17counting_iteratorImlEEZNS1_24adjacent_difference_implIS3_Lb1ELb0EPiN6thrust23THRUST_200600_302600_NS16discard_iteratorINSD_11use_defaultEEENSD_5minusIiEEEE10hipError_tPvRmT2_T3_mT4_P12ihipStream_tbEUlmE_iEESB_NS0_8identityIvEEEESJ_SM_SN_mSO_SQ_bEUlT_E_NS1_11comp_targetILNS1_3genE0ELNS1_11target_archE4294967295ELNS1_3gpuE0ELNS1_3repE0EEENS1_30default_config_static_selectorELNS0_4arch9wavefront6targetE1EEEvT1_.private_seg_size, 0
	.set _ZN7rocprim17ROCPRIM_400000_NS6detail17trampoline_kernelINS0_14default_configENS1_25transform_config_selectorIiLb0EEEZNS1_14transform_implILb0ES3_S5_NS0_18transform_iteratorINS0_17counting_iteratorImlEEZNS1_24adjacent_difference_implIS3_Lb1ELb0EPiN6thrust23THRUST_200600_302600_NS16discard_iteratorINSD_11use_defaultEEENSD_5minusIiEEEE10hipError_tPvRmT2_T3_mT4_P12ihipStream_tbEUlmE_iEESB_NS0_8identityIvEEEESJ_SM_SN_mSO_SQ_bEUlT_E_NS1_11comp_targetILNS1_3genE0ELNS1_11target_archE4294967295ELNS1_3gpuE0ELNS1_3repE0EEENS1_30default_config_static_selectorELNS0_4arch9wavefront6targetE1EEEvT1_.uses_vcc, 0
	.set _ZN7rocprim17ROCPRIM_400000_NS6detail17trampoline_kernelINS0_14default_configENS1_25transform_config_selectorIiLb0EEEZNS1_14transform_implILb0ES3_S5_NS0_18transform_iteratorINS0_17counting_iteratorImlEEZNS1_24adjacent_difference_implIS3_Lb1ELb0EPiN6thrust23THRUST_200600_302600_NS16discard_iteratorINSD_11use_defaultEEENSD_5minusIiEEEE10hipError_tPvRmT2_T3_mT4_P12ihipStream_tbEUlmE_iEESB_NS0_8identityIvEEEESJ_SM_SN_mSO_SQ_bEUlT_E_NS1_11comp_targetILNS1_3genE0ELNS1_11target_archE4294967295ELNS1_3gpuE0ELNS1_3repE0EEENS1_30default_config_static_selectorELNS0_4arch9wavefront6targetE1EEEvT1_.uses_flat_scratch, 0
	.set _ZN7rocprim17ROCPRIM_400000_NS6detail17trampoline_kernelINS0_14default_configENS1_25transform_config_selectorIiLb0EEEZNS1_14transform_implILb0ES3_S5_NS0_18transform_iteratorINS0_17counting_iteratorImlEEZNS1_24adjacent_difference_implIS3_Lb1ELb0EPiN6thrust23THRUST_200600_302600_NS16discard_iteratorINSD_11use_defaultEEENSD_5minusIiEEEE10hipError_tPvRmT2_T3_mT4_P12ihipStream_tbEUlmE_iEESB_NS0_8identityIvEEEESJ_SM_SN_mSO_SQ_bEUlT_E_NS1_11comp_targetILNS1_3genE0ELNS1_11target_archE4294967295ELNS1_3gpuE0ELNS1_3repE0EEENS1_30default_config_static_selectorELNS0_4arch9wavefront6targetE1EEEvT1_.has_dyn_sized_stack, 0
	.set _ZN7rocprim17ROCPRIM_400000_NS6detail17trampoline_kernelINS0_14default_configENS1_25transform_config_selectorIiLb0EEEZNS1_14transform_implILb0ES3_S5_NS0_18transform_iteratorINS0_17counting_iteratorImlEEZNS1_24adjacent_difference_implIS3_Lb1ELb0EPiN6thrust23THRUST_200600_302600_NS16discard_iteratorINSD_11use_defaultEEENSD_5minusIiEEEE10hipError_tPvRmT2_T3_mT4_P12ihipStream_tbEUlmE_iEESB_NS0_8identityIvEEEESJ_SM_SN_mSO_SQ_bEUlT_E_NS1_11comp_targetILNS1_3genE0ELNS1_11target_archE4294967295ELNS1_3gpuE0ELNS1_3repE0EEENS1_30default_config_static_selectorELNS0_4arch9wavefront6targetE1EEEvT1_.has_recursion, 0
	.set _ZN7rocprim17ROCPRIM_400000_NS6detail17trampoline_kernelINS0_14default_configENS1_25transform_config_selectorIiLb0EEEZNS1_14transform_implILb0ES3_S5_NS0_18transform_iteratorINS0_17counting_iteratorImlEEZNS1_24adjacent_difference_implIS3_Lb1ELb0EPiN6thrust23THRUST_200600_302600_NS16discard_iteratorINSD_11use_defaultEEENSD_5minusIiEEEE10hipError_tPvRmT2_T3_mT4_P12ihipStream_tbEUlmE_iEESB_NS0_8identityIvEEEESJ_SM_SN_mSO_SQ_bEUlT_E_NS1_11comp_targetILNS1_3genE0ELNS1_11target_archE4294967295ELNS1_3gpuE0ELNS1_3repE0EEENS1_30default_config_static_selectorELNS0_4arch9wavefront6targetE1EEEvT1_.has_indirect_call, 0
	.section	.AMDGPU.csdata,"",@progbits
; Kernel info:
; codeLenInByte = 0
; TotalNumSgprs: 4
; NumVgprs: 0
; ScratchSize: 0
; MemoryBound: 0
; FloatMode: 240
; IeeeMode: 1
; LDSByteSize: 0 bytes/workgroup (compile time only)
; SGPRBlocks: 0
; VGPRBlocks: 0
; NumSGPRsForWavesPerEU: 4
; NumVGPRsForWavesPerEU: 1
; Occupancy: 10
; WaveLimiterHint : 0
; COMPUTE_PGM_RSRC2:SCRATCH_EN: 0
; COMPUTE_PGM_RSRC2:USER_SGPR: 6
; COMPUTE_PGM_RSRC2:TRAP_HANDLER: 0
; COMPUTE_PGM_RSRC2:TGID_X_EN: 1
; COMPUTE_PGM_RSRC2:TGID_Y_EN: 0
; COMPUTE_PGM_RSRC2:TGID_Z_EN: 0
; COMPUTE_PGM_RSRC2:TIDIG_COMP_CNT: 0
	.section	.text._ZN7rocprim17ROCPRIM_400000_NS6detail17trampoline_kernelINS0_14default_configENS1_25transform_config_selectorIiLb0EEEZNS1_14transform_implILb0ES3_S5_NS0_18transform_iteratorINS0_17counting_iteratorImlEEZNS1_24adjacent_difference_implIS3_Lb1ELb0EPiN6thrust23THRUST_200600_302600_NS16discard_iteratorINSD_11use_defaultEEENSD_5minusIiEEEE10hipError_tPvRmT2_T3_mT4_P12ihipStream_tbEUlmE_iEESB_NS0_8identityIvEEEESJ_SM_SN_mSO_SQ_bEUlT_E_NS1_11comp_targetILNS1_3genE5ELNS1_11target_archE942ELNS1_3gpuE9ELNS1_3repE0EEENS1_30default_config_static_selectorELNS0_4arch9wavefront6targetE1EEEvT1_,"axG",@progbits,_ZN7rocprim17ROCPRIM_400000_NS6detail17trampoline_kernelINS0_14default_configENS1_25transform_config_selectorIiLb0EEEZNS1_14transform_implILb0ES3_S5_NS0_18transform_iteratorINS0_17counting_iteratorImlEEZNS1_24adjacent_difference_implIS3_Lb1ELb0EPiN6thrust23THRUST_200600_302600_NS16discard_iteratorINSD_11use_defaultEEENSD_5minusIiEEEE10hipError_tPvRmT2_T3_mT4_P12ihipStream_tbEUlmE_iEESB_NS0_8identityIvEEEESJ_SM_SN_mSO_SQ_bEUlT_E_NS1_11comp_targetILNS1_3genE5ELNS1_11target_archE942ELNS1_3gpuE9ELNS1_3repE0EEENS1_30default_config_static_selectorELNS0_4arch9wavefront6targetE1EEEvT1_,comdat
	.protected	_ZN7rocprim17ROCPRIM_400000_NS6detail17trampoline_kernelINS0_14default_configENS1_25transform_config_selectorIiLb0EEEZNS1_14transform_implILb0ES3_S5_NS0_18transform_iteratorINS0_17counting_iteratorImlEEZNS1_24adjacent_difference_implIS3_Lb1ELb0EPiN6thrust23THRUST_200600_302600_NS16discard_iteratorINSD_11use_defaultEEENSD_5minusIiEEEE10hipError_tPvRmT2_T3_mT4_P12ihipStream_tbEUlmE_iEESB_NS0_8identityIvEEEESJ_SM_SN_mSO_SQ_bEUlT_E_NS1_11comp_targetILNS1_3genE5ELNS1_11target_archE942ELNS1_3gpuE9ELNS1_3repE0EEENS1_30default_config_static_selectorELNS0_4arch9wavefront6targetE1EEEvT1_ ; -- Begin function _ZN7rocprim17ROCPRIM_400000_NS6detail17trampoline_kernelINS0_14default_configENS1_25transform_config_selectorIiLb0EEEZNS1_14transform_implILb0ES3_S5_NS0_18transform_iteratorINS0_17counting_iteratorImlEEZNS1_24adjacent_difference_implIS3_Lb1ELb0EPiN6thrust23THRUST_200600_302600_NS16discard_iteratorINSD_11use_defaultEEENSD_5minusIiEEEE10hipError_tPvRmT2_T3_mT4_P12ihipStream_tbEUlmE_iEESB_NS0_8identityIvEEEESJ_SM_SN_mSO_SQ_bEUlT_E_NS1_11comp_targetILNS1_3genE5ELNS1_11target_archE942ELNS1_3gpuE9ELNS1_3repE0EEENS1_30default_config_static_selectorELNS0_4arch9wavefront6targetE1EEEvT1_
	.globl	_ZN7rocprim17ROCPRIM_400000_NS6detail17trampoline_kernelINS0_14default_configENS1_25transform_config_selectorIiLb0EEEZNS1_14transform_implILb0ES3_S5_NS0_18transform_iteratorINS0_17counting_iteratorImlEEZNS1_24adjacent_difference_implIS3_Lb1ELb0EPiN6thrust23THRUST_200600_302600_NS16discard_iteratorINSD_11use_defaultEEENSD_5minusIiEEEE10hipError_tPvRmT2_T3_mT4_P12ihipStream_tbEUlmE_iEESB_NS0_8identityIvEEEESJ_SM_SN_mSO_SQ_bEUlT_E_NS1_11comp_targetILNS1_3genE5ELNS1_11target_archE942ELNS1_3gpuE9ELNS1_3repE0EEENS1_30default_config_static_selectorELNS0_4arch9wavefront6targetE1EEEvT1_
	.p2align	8
	.type	_ZN7rocprim17ROCPRIM_400000_NS6detail17trampoline_kernelINS0_14default_configENS1_25transform_config_selectorIiLb0EEEZNS1_14transform_implILb0ES3_S5_NS0_18transform_iteratorINS0_17counting_iteratorImlEEZNS1_24adjacent_difference_implIS3_Lb1ELb0EPiN6thrust23THRUST_200600_302600_NS16discard_iteratorINSD_11use_defaultEEENSD_5minusIiEEEE10hipError_tPvRmT2_T3_mT4_P12ihipStream_tbEUlmE_iEESB_NS0_8identityIvEEEESJ_SM_SN_mSO_SQ_bEUlT_E_NS1_11comp_targetILNS1_3genE5ELNS1_11target_archE942ELNS1_3gpuE9ELNS1_3repE0EEENS1_30default_config_static_selectorELNS0_4arch9wavefront6targetE1EEEvT1_,@function
_ZN7rocprim17ROCPRIM_400000_NS6detail17trampoline_kernelINS0_14default_configENS1_25transform_config_selectorIiLb0EEEZNS1_14transform_implILb0ES3_S5_NS0_18transform_iteratorINS0_17counting_iteratorImlEEZNS1_24adjacent_difference_implIS3_Lb1ELb0EPiN6thrust23THRUST_200600_302600_NS16discard_iteratorINSD_11use_defaultEEENSD_5minusIiEEEE10hipError_tPvRmT2_T3_mT4_P12ihipStream_tbEUlmE_iEESB_NS0_8identityIvEEEESJ_SM_SN_mSO_SQ_bEUlT_E_NS1_11comp_targetILNS1_3genE5ELNS1_11target_archE942ELNS1_3gpuE9ELNS1_3repE0EEENS1_30default_config_static_selectorELNS0_4arch9wavefront6targetE1EEEvT1_: ; @_ZN7rocprim17ROCPRIM_400000_NS6detail17trampoline_kernelINS0_14default_configENS1_25transform_config_selectorIiLb0EEEZNS1_14transform_implILb0ES3_S5_NS0_18transform_iteratorINS0_17counting_iteratorImlEEZNS1_24adjacent_difference_implIS3_Lb1ELb0EPiN6thrust23THRUST_200600_302600_NS16discard_iteratorINSD_11use_defaultEEENSD_5minusIiEEEE10hipError_tPvRmT2_T3_mT4_P12ihipStream_tbEUlmE_iEESB_NS0_8identityIvEEEESJ_SM_SN_mSO_SQ_bEUlT_E_NS1_11comp_targetILNS1_3genE5ELNS1_11target_archE942ELNS1_3gpuE9ELNS1_3repE0EEENS1_30default_config_static_selectorELNS0_4arch9wavefront6targetE1EEEvT1_
; %bb.0:
	.section	.rodata,"a",@progbits
	.p2align	6, 0x0
	.amdhsa_kernel _ZN7rocprim17ROCPRIM_400000_NS6detail17trampoline_kernelINS0_14default_configENS1_25transform_config_selectorIiLb0EEEZNS1_14transform_implILb0ES3_S5_NS0_18transform_iteratorINS0_17counting_iteratorImlEEZNS1_24adjacent_difference_implIS3_Lb1ELb0EPiN6thrust23THRUST_200600_302600_NS16discard_iteratorINSD_11use_defaultEEENSD_5minusIiEEEE10hipError_tPvRmT2_T3_mT4_P12ihipStream_tbEUlmE_iEESB_NS0_8identityIvEEEESJ_SM_SN_mSO_SQ_bEUlT_E_NS1_11comp_targetILNS1_3genE5ELNS1_11target_archE942ELNS1_3gpuE9ELNS1_3repE0EEENS1_30default_config_static_selectorELNS0_4arch9wavefront6targetE1EEEvT1_
		.amdhsa_group_segment_fixed_size 0
		.amdhsa_private_segment_fixed_size 0
		.amdhsa_kernarg_size 56
		.amdhsa_user_sgpr_count 6
		.amdhsa_user_sgpr_private_segment_buffer 1
		.amdhsa_user_sgpr_dispatch_ptr 0
		.amdhsa_user_sgpr_queue_ptr 0
		.amdhsa_user_sgpr_kernarg_segment_ptr 1
		.amdhsa_user_sgpr_dispatch_id 0
		.amdhsa_user_sgpr_flat_scratch_init 0
		.amdhsa_user_sgpr_private_segment_size 0
		.amdhsa_uses_dynamic_stack 0
		.amdhsa_system_sgpr_private_segment_wavefront_offset 0
		.amdhsa_system_sgpr_workgroup_id_x 1
		.amdhsa_system_sgpr_workgroup_id_y 0
		.amdhsa_system_sgpr_workgroup_id_z 0
		.amdhsa_system_sgpr_workgroup_info 0
		.amdhsa_system_vgpr_workitem_id 0
		.amdhsa_next_free_vgpr 1
		.amdhsa_next_free_sgpr 0
		.amdhsa_reserve_vcc 0
		.amdhsa_reserve_flat_scratch 0
		.amdhsa_float_round_mode_32 0
		.amdhsa_float_round_mode_16_64 0
		.amdhsa_float_denorm_mode_32 3
		.amdhsa_float_denorm_mode_16_64 3
		.amdhsa_dx10_clamp 1
		.amdhsa_ieee_mode 1
		.amdhsa_fp16_overflow 0
		.amdhsa_exception_fp_ieee_invalid_op 0
		.amdhsa_exception_fp_denorm_src 0
		.amdhsa_exception_fp_ieee_div_zero 0
		.amdhsa_exception_fp_ieee_overflow 0
		.amdhsa_exception_fp_ieee_underflow 0
		.amdhsa_exception_fp_ieee_inexact 0
		.amdhsa_exception_int_div_zero 0
	.end_amdhsa_kernel
	.section	.text._ZN7rocprim17ROCPRIM_400000_NS6detail17trampoline_kernelINS0_14default_configENS1_25transform_config_selectorIiLb0EEEZNS1_14transform_implILb0ES3_S5_NS0_18transform_iteratorINS0_17counting_iteratorImlEEZNS1_24adjacent_difference_implIS3_Lb1ELb0EPiN6thrust23THRUST_200600_302600_NS16discard_iteratorINSD_11use_defaultEEENSD_5minusIiEEEE10hipError_tPvRmT2_T3_mT4_P12ihipStream_tbEUlmE_iEESB_NS0_8identityIvEEEESJ_SM_SN_mSO_SQ_bEUlT_E_NS1_11comp_targetILNS1_3genE5ELNS1_11target_archE942ELNS1_3gpuE9ELNS1_3repE0EEENS1_30default_config_static_selectorELNS0_4arch9wavefront6targetE1EEEvT1_,"axG",@progbits,_ZN7rocprim17ROCPRIM_400000_NS6detail17trampoline_kernelINS0_14default_configENS1_25transform_config_selectorIiLb0EEEZNS1_14transform_implILb0ES3_S5_NS0_18transform_iteratorINS0_17counting_iteratorImlEEZNS1_24adjacent_difference_implIS3_Lb1ELb0EPiN6thrust23THRUST_200600_302600_NS16discard_iteratorINSD_11use_defaultEEENSD_5minusIiEEEE10hipError_tPvRmT2_T3_mT4_P12ihipStream_tbEUlmE_iEESB_NS0_8identityIvEEEESJ_SM_SN_mSO_SQ_bEUlT_E_NS1_11comp_targetILNS1_3genE5ELNS1_11target_archE942ELNS1_3gpuE9ELNS1_3repE0EEENS1_30default_config_static_selectorELNS0_4arch9wavefront6targetE1EEEvT1_,comdat
.Lfunc_end876:
	.size	_ZN7rocprim17ROCPRIM_400000_NS6detail17trampoline_kernelINS0_14default_configENS1_25transform_config_selectorIiLb0EEEZNS1_14transform_implILb0ES3_S5_NS0_18transform_iteratorINS0_17counting_iteratorImlEEZNS1_24adjacent_difference_implIS3_Lb1ELb0EPiN6thrust23THRUST_200600_302600_NS16discard_iteratorINSD_11use_defaultEEENSD_5minusIiEEEE10hipError_tPvRmT2_T3_mT4_P12ihipStream_tbEUlmE_iEESB_NS0_8identityIvEEEESJ_SM_SN_mSO_SQ_bEUlT_E_NS1_11comp_targetILNS1_3genE5ELNS1_11target_archE942ELNS1_3gpuE9ELNS1_3repE0EEENS1_30default_config_static_selectorELNS0_4arch9wavefront6targetE1EEEvT1_, .Lfunc_end876-_ZN7rocprim17ROCPRIM_400000_NS6detail17trampoline_kernelINS0_14default_configENS1_25transform_config_selectorIiLb0EEEZNS1_14transform_implILb0ES3_S5_NS0_18transform_iteratorINS0_17counting_iteratorImlEEZNS1_24adjacent_difference_implIS3_Lb1ELb0EPiN6thrust23THRUST_200600_302600_NS16discard_iteratorINSD_11use_defaultEEENSD_5minusIiEEEE10hipError_tPvRmT2_T3_mT4_P12ihipStream_tbEUlmE_iEESB_NS0_8identityIvEEEESJ_SM_SN_mSO_SQ_bEUlT_E_NS1_11comp_targetILNS1_3genE5ELNS1_11target_archE942ELNS1_3gpuE9ELNS1_3repE0EEENS1_30default_config_static_selectorELNS0_4arch9wavefront6targetE1EEEvT1_
                                        ; -- End function
	.set _ZN7rocprim17ROCPRIM_400000_NS6detail17trampoline_kernelINS0_14default_configENS1_25transform_config_selectorIiLb0EEEZNS1_14transform_implILb0ES3_S5_NS0_18transform_iteratorINS0_17counting_iteratorImlEEZNS1_24adjacent_difference_implIS3_Lb1ELb0EPiN6thrust23THRUST_200600_302600_NS16discard_iteratorINSD_11use_defaultEEENSD_5minusIiEEEE10hipError_tPvRmT2_T3_mT4_P12ihipStream_tbEUlmE_iEESB_NS0_8identityIvEEEESJ_SM_SN_mSO_SQ_bEUlT_E_NS1_11comp_targetILNS1_3genE5ELNS1_11target_archE942ELNS1_3gpuE9ELNS1_3repE0EEENS1_30default_config_static_selectorELNS0_4arch9wavefront6targetE1EEEvT1_.num_vgpr, 0
	.set _ZN7rocprim17ROCPRIM_400000_NS6detail17trampoline_kernelINS0_14default_configENS1_25transform_config_selectorIiLb0EEEZNS1_14transform_implILb0ES3_S5_NS0_18transform_iteratorINS0_17counting_iteratorImlEEZNS1_24adjacent_difference_implIS3_Lb1ELb0EPiN6thrust23THRUST_200600_302600_NS16discard_iteratorINSD_11use_defaultEEENSD_5minusIiEEEE10hipError_tPvRmT2_T3_mT4_P12ihipStream_tbEUlmE_iEESB_NS0_8identityIvEEEESJ_SM_SN_mSO_SQ_bEUlT_E_NS1_11comp_targetILNS1_3genE5ELNS1_11target_archE942ELNS1_3gpuE9ELNS1_3repE0EEENS1_30default_config_static_selectorELNS0_4arch9wavefront6targetE1EEEvT1_.num_agpr, 0
	.set _ZN7rocprim17ROCPRIM_400000_NS6detail17trampoline_kernelINS0_14default_configENS1_25transform_config_selectorIiLb0EEEZNS1_14transform_implILb0ES3_S5_NS0_18transform_iteratorINS0_17counting_iteratorImlEEZNS1_24adjacent_difference_implIS3_Lb1ELb0EPiN6thrust23THRUST_200600_302600_NS16discard_iteratorINSD_11use_defaultEEENSD_5minusIiEEEE10hipError_tPvRmT2_T3_mT4_P12ihipStream_tbEUlmE_iEESB_NS0_8identityIvEEEESJ_SM_SN_mSO_SQ_bEUlT_E_NS1_11comp_targetILNS1_3genE5ELNS1_11target_archE942ELNS1_3gpuE9ELNS1_3repE0EEENS1_30default_config_static_selectorELNS0_4arch9wavefront6targetE1EEEvT1_.numbered_sgpr, 0
	.set _ZN7rocprim17ROCPRIM_400000_NS6detail17trampoline_kernelINS0_14default_configENS1_25transform_config_selectorIiLb0EEEZNS1_14transform_implILb0ES3_S5_NS0_18transform_iteratorINS0_17counting_iteratorImlEEZNS1_24adjacent_difference_implIS3_Lb1ELb0EPiN6thrust23THRUST_200600_302600_NS16discard_iteratorINSD_11use_defaultEEENSD_5minusIiEEEE10hipError_tPvRmT2_T3_mT4_P12ihipStream_tbEUlmE_iEESB_NS0_8identityIvEEEESJ_SM_SN_mSO_SQ_bEUlT_E_NS1_11comp_targetILNS1_3genE5ELNS1_11target_archE942ELNS1_3gpuE9ELNS1_3repE0EEENS1_30default_config_static_selectorELNS0_4arch9wavefront6targetE1EEEvT1_.num_named_barrier, 0
	.set _ZN7rocprim17ROCPRIM_400000_NS6detail17trampoline_kernelINS0_14default_configENS1_25transform_config_selectorIiLb0EEEZNS1_14transform_implILb0ES3_S5_NS0_18transform_iteratorINS0_17counting_iteratorImlEEZNS1_24adjacent_difference_implIS3_Lb1ELb0EPiN6thrust23THRUST_200600_302600_NS16discard_iteratorINSD_11use_defaultEEENSD_5minusIiEEEE10hipError_tPvRmT2_T3_mT4_P12ihipStream_tbEUlmE_iEESB_NS0_8identityIvEEEESJ_SM_SN_mSO_SQ_bEUlT_E_NS1_11comp_targetILNS1_3genE5ELNS1_11target_archE942ELNS1_3gpuE9ELNS1_3repE0EEENS1_30default_config_static_selectorELNS0_4arch9wavefront6targetE1EEEvT1_.private_seg_size, 0
	.set _ZN7rocprim17ROCPRIM_400000_NS6detail17trampoline_kernelINS0_14default_configENS1_25transform_config_selectorIiLb0EEEZNS1_14transform_implILb0ES3_S5_NS0_18transform_iteratorINS0_17counting_iteratorImlEEZNS1_24adjacent_difference_implIS3_Lb1ELb0EPiN6thrust23THRUST_200600_302600_NS16discard_iteratorINSD_11use_defaultEEENSD_5minusIiEEEE10hipError_tPvRmT2_T3_mT4_P12ihipStream_tbEUlmE_iEESB_NS0_8identityIvEEEESJ_SM_SN_mSO_SQ_bEUlT_E_NS1_11comp_targetILNS1_3genE5ELNS1_11target_archE942ELNS1_3gpuE9ELNS1_3repE0EEENS1_30default_config_static_selectorELNS0_4arch9wavefront6targetE1EEEvT1_.uses_vcc, 0
	.set _ZN7rocprim17ROCPRIM_400000_NS6detail17trampoline_kernelINS0_14default_configENS1_25transform_config_selectorIiLb0EEEZNS1_14transform_implILb0ES3_S5_NS0_18transform_iteratorINS0_17counting_iteratorImlEEZNS1_24adjacent_difference_implIS3_Lb1ELb0EPiN6thrust23THRUST_200600_302600_NS16discard_iteratorINSD_11use_defaultEEENSD_5minusIiEEEE10hipError_tPvRmT2_T3_mT4_P12ihipStream_tbEUlmE_iEESB_NS0_8identityIvEEEESJ_SM_SN_mSO_SQ_bEUlT_E_NS1_11comp_targetILNS1_3genE5ELNS1_11target_archE942ELNS1_3gpuE9ELNS1_3repE0EEENS1_30default_config_static_selectorELNS0_4arch9wavefront6targetE1EEEvT1_.uses_flat_scratch, 0
	.set _ZN7rocprim17ROCPRIM_400000_NS6detail17trampoline_kernelINS0_14default_configENS1_25transform_config_selectorIiLb0EEEZNS1_14transform_implILb0ES3_S5_NS0_18transform_iteratorINS0_17counting_iteratorImlEEZNS1_24adjacent_difference_implIS3_Lb1ELb0EPiN6thrust23THRUST_200600_302600_NS16discard_iteratorINSD_11use_defaultEEENSD_5minusIiEEEE10hipError_tPvRmT2_T3_mT4_P12ihipStream_tbEUlmE_iEESB_NS0_8identityIvEEEESJ_SM_SN_mSO_SQ_bEUlT_E_NS1_11comp_targetILNS1_3genE5ELNS1_11target_archE942ELNS1_3gpuE9ELNS1_3repE0EEENS1_30default_config_static_selectorELNS0_4arch9wavefront6targetE1EEEvT1_.has_dyn_sized_stack, 0
	.set _ZN7rocprim17ROCPRIM_400000_NS6detail17trampoline_kernelINS0_14default_configENS1_25transform_config_selectorIiLb0EEEZNS1_14transform_implILb0ES3_S5_NS0_18transform_iteratorINS0_17counting_iteratorImlEEZNS1_24adjacent_difference_implIS3_Lb1ELb0EPiN6thrust23THRUST_200600_302600_NS16discard_iteratorINSD_11use_defaultEEENSD_5minusIiEEEE10hipError_tPvRmT2_T3_mT4_P12ihipStream_tbEUlmE_iEESB_NS0_8identityIvEEEESJ_SM_SN_mSO_SQ_bEUlT_E_NS1_11comp_targetILNS1_3genE5ELNS1_11target_archE942ELNS1_3gpuE9ELNS1_3repE0EEENS1_30default_config_static_selectorELNS0_4arch9wavefront6targetE1EEEvT1_.has_recursion, 0
	.set _ZN7rocprim17ROCPRIM_400000_NS6detail17trampoline_kernelINS0_14default_configENS1_25transform_config_selectorIiLb0EEEZNS1_14transform_implILb0ES3_S5_NS0_18transform_iteratorINS0_17counting_iteratorImlEEZNS1_24adjacent_difference_implIS3_Lb1ELb0EPiN6thrust23THRUST_200600_302600_NS16discard_iteratorINSD_11use_defaultEEENSD_5minusIiEEEE10hipError_tPvRmT2_T3_mT4_P12ihipStream_tbEUlmE_iEESB_NS0_8identityIvEEEESJ_SM_SN_mSO_SQ_bEUlT_E_NS1_11comp_targetILNS1_3genE5ELNS1_11target_archE942ELNS1_3gpuE9ELNS1_3repE0EEENS1_30default_config_static_selectorELNS0_4arch9wavefront6targetE1EEEvT1_.has_indirect_call, 0
	.section	.AMDGPU.csdata,"",@progbits
; Kernel info:
; codeLenInByte = 0
; TotalNumSgprs: 4
; NumVgprs: 0
; ScratchSize: 0
; MemoryBound: 0
; FloatMode: 240
; IeeeMode: 1
; LDSByteSize: 0 bytes/workgroup (compile time only)
; SGPRBlocks: 0
; VGPRBlocks: 0
; NumSGPRsForWavesPerEU: 4
; NumVGPRsForWavesPerEU: 1
; Occupancy: 10
; WaveLimiterHint : 0
; COMPUTE_PGM_RSRC2:SCRATCH_EN: 0
; COMPUTE_PGM_RSRC2:USER_SGPR: 6
; COMPUTE_PGM_RSRC2:TRAP_HANDLER: 0
; COMPUTE_PGM_RSRC2:TGID_X_EN: 1
; COMPUTE_PGM_RSRC2:TGID_Y_EN: 0
; COMPUTE_PGM_RSRC2:TGID_Z_EN: 0
; COMPUTE_PGM_RSRC2:TIDIG_COMP_CNT: 0
	.section	.text._ZN7rocprim17ROCPRIM_400000_NS6detail17trampoline_kernelINS0_14default_configENS1_25transform_config_selectorIiLb0EEEZNS1_14transform_implILb0ES3_S5_NS0_18transform_iteratorINS0_17counting_iteratorImlEEZNS1_24adjacent_difference_implIS3_Lb1ELb0EPiN6thrust23THRUST_200600_302600_NS16discard_iteratorINSD_11use_defaultEEENSD_5minusIiEEEE10hipError_tPvRmT2_T3_mT4_P12ihipStream_tbEUlmE_iEESB_NS0_8identityIvEEEESJ_SM_SN_mSO_SQ_bEUlT_E_NS1_11comp_targetILNS1_3genE4ELNS1_11target_archE910ELNS1_3gpuE8ELNS1_3repE0EEENS1_30default_config_static_selectorELNS0_4arch9wavefront6targetE1EEEvT1_,"axG",@progbits,_ZN7rocprim17ROCPRIM_400000_NS6detail17trampoline_kernelINS0_14default_configENS1_25transform_config_selectorIiLb0EEEZNS1_14transform_implILb0ES3_S5_NS0_18transform_iteratorINS0_17counting_iteratorImlEEZNS1_24adjacent_difference_implIS3_Lb1ELb0EPiN6thrust23THRUST_200600_302600_NS16discard_iteratorINSD_11use_defaultEEENSD_5minusIiEEEE10hipError_tPvRmT2_T3_mT4_P12ihipStream_tbEUlmE_iEESB_NS0_8identityIvEEEESJ_SM_SN_mSO_SQ_bEUlT_E_NS1_11comp_targetILNS1_3genE4ELNS1_11target_archE910ELNS1_3gpuE8ELNS1_3repE0EEENS1_30default_config_static_selectorELNS0_4arch9wavefront6targetE1EEEvT1_,comdat
	.protected	_ZN7rocprim17ROCPRIM_400000_NS6detail17trampoline_kernelINS0_14default_configENS1_25transform_config_selectorIiLb0EEEZNS1_14transform_implILb0ES3_S5_NS0_18transform_iteratorINS0_17counting_iteratorImlEEZNS1_24adjacent_difference_implIS3_Lb1ELb0EPiN6thrust23THRUST_200600_302600_NS16discard_iteratorINSD_11use_defaultEEENSD_5minusIiEEEE10hipError_tPvRmT2_T3_mT4_P12ihipStream_tbEUlmE_iEESB_NS0_8identityIvEEEESJ_SM_SN_mSO_SQ_bEUlT_E_NS1_11comp_targetILNS1_3genE4ELNS1_11target_archE910ELNS1_3gpuE8ELNS1_3repE0EEENS1_30default_config_static_selectorELNS0_4arch9wavefront6targetE1EEEvT1_ ; -- Begin function _ZN7rocprim17ROCPRIM_400000_NS6detail17trampoline_kernelINS0_14default_configENS1_25transform_config_selectorIiLb0EEEZNS1_14transform_implILb0ES3_S5_NS0_18transform_iteratorINS0_17counting_iteratorImlEEZNS1_24adjacent_difference_implIS3_Lb1ELb0EPiN6thrust23THRUST_200600_302600_NS16discard_iteratorINSD_11use_defaultEEENSD_5minusIiEEEE10hipError_tPvRmT2_T3_mT4_P12ihipStream_tbEUlmE_iEESB_NS0_8identityIvEEEESJ_SM_SN_mSO_SQ_bEUlT_E_NS1_11comp_targetILNS1_3genE4ELNS1_11target_archE910ELNS1_3gpuE8ELNS1_3repE0EEENS1_30default_config_static_selectorELNS0_4arch9wavefront6targetE1EEEvT1_
	.globl	_ZN7rocprim17ROCPRIM_400000_NS6detail17trampoline_kernelINS0_14default_configENS1_25transform_config_selectorIiLb0EEEZNS1_14transform_implILb0ES3_S5_NS0_18transform_iteratorINS0_17counting_iteratorImlEEZNS1_24adjacent_difference_implIS3_Lb1ELb0EPiN6thrust23THRUST_200600_302600_NS16discard_iteratorINSD_11use_defaultEEENSD_5minusIiEEEE10hipError_tPvRmT2_T3_mT4_P12ihipStream_tbEUlmE_iEESB_NS0_8identityIvEEEESJ_SM_SN_mSO_SQ_bEUlT_E_NS1_11comp_targetILNS1_3genE4ELNS1_11target_archE910ELNS1_3gpuE8ELNS1_3repE0EEENS1_30default_config_static_selectorELNS0_4arch9wavefront6targetE1EEEvT1_
	.p2align	8
	.type	_ZN7rocprim17ROCPRIM_400000_NS6detail17trampoline_kernelINS0_14default_configENS1_25transform_config_selectorIiLb0EEEZNS1_14transform_implILb0ES3_S5_NS0_18transform_iteratorINS0_17counting_iteratorImlEEZNS1_24adjacent_difference_implIS3_Lb1ELb0EPiN6thrust23THRUST_200600_302600_NS16discard_iteratorINSD_11use_defaultEEENSD_5minusIiEEEE10hipError_tPvRmT2_T3_mT4_P12ihipStream_tbEUlmE_iEESB_NS0_8identityIvEEEESJ_SM_SN_mSO_SQ_bEUlT_E_NS1_11comp_targetILNS1_3genE4ELNS1_11target_archE910ELNS1_3gpuE8ELNS1_3repE0EEENS1_30default_config_static_selectorELNS0_4arch9wavefront6targetE1EEEvT1_,@function
_ZN7rocprim17ROCPRIM_400000_NS6detail17trampoline_kernelINS0_14default_configENS1_25transform_config_selectorIiLb0EEEZNS1_14transform_implILb0ES3_S5_NS0_18transform_iteratorINS0_17counting_iteratorImlEEZNS1_24adjacent_difference_implIS3_Lb1ELb0EPiN6thrust23THRUST_200600_302600_NS16discard_iteratorINSD_11use_defaultEEENSD_5minusIiEEEE10hipError_tPvRmT2_T3_mT4_P12ihipStream_tbEUlmE_iEESB_NS0_8identityIvEEEESJ_SM_SN_mSO_SQ_bEUlT_E_NS1_11comp_targetILNS1_3genE4ELNS1_11target_archE910ELNS1_3gpuE8ELNS1_3repE0EEENS1_30default_config_static_selectorELNS0_4arch9wavefront6targetE1EEEvT1_: ; @_ZN7rocprim17ROCPRIM_400000_NS6detail17trampoline_kernelINS0_14default_configENS1_25transform_config_selectorIiLb0EEEZNS1_14transform_implILb0ES3_S5_NS0_18transform_iteratorINS0_17counting_iteratorImlEEZNS1_24adjacent_difference_implIS3_Lb1ELb0EPiN6thrust23THRUST_200600_302600_NS16discard_iteratorINSD_11use_defaultEEENSD_5minusIiEEEE10hipError_tPvRmT2_T3_mT4_P12ihipStream_tbEUlmE_iEESB_NS0_8identityIvEEEESJ_SM_SN_mSO_SQ_bEUlT_E_NS1_11comp_targetILNS1_3genE4ELNS1_11target_archE910ELNS1_3gpuE8ELNS1_3repE0EEENS1_30default_config_static_selectorELNS0_4arch9wavefront6targetE1EEEvT1_
; %bb.0:
	.section	.rodata,"a",@progbits
	.p2align	6, 0x0
	.amdhsa_kernel _ZN7rocprim17ROCPRIM_400000_NS6detail17trampoline_kernelINS0_14default_configENS1_25transform_config_selectorIiLb0EEEZNS1_14transform_implILb0ES3_S5_NS0_18transform_iteratorINS0_17counting_iteratorImlEEZNS1_24adjacent_difference_implIS3_Lb1ELb0EPiN6thrust23THRUST_200600_302600_NS16discard_iteratorINSD_11use_defaultEEENSD_5minusIiEEEE10hipError_tPvRmT2_T3_mT4_P12ihipStream_tbEUlmE_iEESB_NS0_8identityIvEEEESJ_SM_SN_mSO_SQ_bEUlT_E_NS1_11comp_targetILNS1_3genE4ELNS1_11target_archE910ELNS1_3gpuE8ELNS1_3repE0EEENS1_30default_config_static_selectorELNS0_4arch9wavefront6targetE1EEEvT1_
		.amdhsa_group_segment_fixed_size 0
		.amdhsa_private_segment_fixed_size 0
		.amdhsa_kernarg_size 56
		.amdhsa_user_sgpr_count 6
		.amdhsa_user_sgpr_private_segment_buffer 1
		.amdhsa_user_sgpr_dispatch_ptr 0
		.amdhsa_user_sgpr_queue_ptr 0
		.amdhsa_user_sgpr_kernarg_segment_ptr 1
		.amdhsa_user_sgpr_dispatch_id 0
		.amdhsa_user_sgpr_flat_scratch_init 0
		.amdhsa_user_sgpr_private_segment_size 0
		.amdhsa_uses_dynamic_stack 0
		.amdhsa_system_sgpr_private_segment_wavefront_offset 0
		.amdhsa_system_sgpr_workgroup_id_x 1
		.amdhsa_system_sgpr_workgroup_id_y 0
		.amdhsa_system_sgpr_workgroup_id_z 0
		.amdhsa_system_sgpr_workgroup_info 0
		.amdhsa_system_vgpr_workitem_id 0
		.amdhsa_next_free_vgpr 1
		.amdhsa_next_free_sgpr 0
		.amdhsa_reserve_vcc 0
		.amdhsa_reserve_flat_scratch 0
		.amdhsa_float_round_mode_32 0
		.amdhsa_float_round_mode_16_64 0
		.amdhsa_float_denorm_mode_32 3
		.amdhsa_float_denorm_mode_16_64 3
		.amdhsa_dx10_clamp 1
		.amdhsa_ieee_mode 1
		.amdhsa_fp16_overflow 0
		.amdhsa_exception_fp_ieee_invalid_op 0
		.amdhsa_exception_fp_denorm_src 0
		.amdhsa_exception_fp_ieee_div_zero 0
		.amdhsa_exception_fp_ieee_overflow 0
		.amdhsa_exception_fp_ieee_underflow 0
		.amdhsa_exception_fp_ieee_inexact 0
		.amdhsa_exception_int_div_zero 0
	.end_amdhsa_kernel
	.section	.text._ZN7rocprim17ROCPRIM_400000_NS6detail17trampoline_kernelINS0_14default_configENS1_25transform_config_selectorIiLb0EEEZNS1_14transform_implILb0ES3_S5_NS0_18transform_iteratorINS0_17counting_iteratorImlEEZNS1_24adjacent_difference_implIS3_Lb1ELb0EPiN6thrust23THRUST_200600_302600_NS16discard_iteratorINSD_11use_defaultEEENSD_5minusIiEEEE10hipError_tPvRmT2_T3_mT4_P12ihipStream_tbEUlmE_iEESB_NS0_8identityIvEEEESJ_SM_SN_mSO_SQ_bEUlT_E_NS1_11comp_targetILNS1_3genE4ELNS1_11target_archE910ELNS1_3gpuE8ELNS1_3repE0EEENS1_30default_config_static_selectorELNS0_4arch9wavefront6targetE1EEEvT1_,"axG",@progbits,_ZN7rocprim17ROCPRIM_400000_NS6detail17trampoline_kernelINS0_14default_configENS1_25transform_config_selectorIiLb0EEEZNS1_14transform_implILb0ES3_S5_NS0_18transform_iteratorINS0_17counting_iteratorImlEEZNS1_24adjacent_difference_implIS3_Lb1ELb0EPiN6thrust23THRUST_200600_302600_NS16discard_iteratorINSD_11use_defaultEEENSD_5minusIiEEEE10hipError_tPvRmT2_T3_mT4_P12ihipStream_tbEUlmE_iEESB_NS0_8identityIvEEEESJ_SM_SN_mSO_SQ_bEUlT_E_NS1_11comp_targetILNS1_3genE4ELNS1_11target_archE910ELNS1_3gpuE8ELNS1_3repE0EEENS1_30default_config_static_selectorELNS0_4arch9wavefront6targetE1EEEvT1_,comdat
.Lfunc_end877:
	.size	_ZN7rocprim17ROCPRIM_400000_NS6detail17trampoline_kernelINS0_14default_configENS1_25transform_config_selectorIiLb0EEEZNS1_14transform_implILb0ES3_S5_NS0_18transform_iteratorINS0_17counting_iteratorImlEEZNS1_24adjacent_difference_implIS3_Lb1ELb0EPiN6thrust23THRUST_200600_302600_NS16discard_iteratorINSD_11use_defaultEEENSD_5minusIiEEEE10hipError_tPvRmT2_T3_mT4_P12ihipStream_tbEUlmE_iEESB_NS0_8identityIvEEEESJ_SM_SN_mSO_SQ_bEUlT_E_NS1_11comp_targetILNS1_3genE4ELNS1_11target_archE910ELNS1_3gpuE8ELNS1_3repE0EEENS1_30default_config_static_selectorELNS0_4arch9wavefront6targetE1EEEvT1_, .Lfunc_end877-_ZN7rocprim17ROCPRIM_400000_NS6detail17trampoline_kernelINS0_14default_configENS1_25transform_config_selectorIiLb0EEEZNS1_14transform_implILb0ES3_S5_NS0_18transform_iteratorINS0_17counting_iteratorImlEEZNS1_24adjacent_difference_implIS3_Lb1ELb0EPiN6thrust23THRUST_200600_302600_NS16discard_iteratorINSD_11use_defaultEEENSD_5minusIiEEEE10hipError_tPvRmT2_T3_mT4_P12ihipStream_tbEUlmE_iEESB_NS0_8identityIvEEEESJ_SM_SN_mSO_SQ_bEUlT_E_NS1_11comp_targetILNS1_3genE4ELNS1_11target_archE910ELNS1_3gpuE8ELNS1_3repE0EEENS1_30default_config_static_selectorELNS0_4arch9wavefront6targetE1EEEvT1_
                                        ; -- End function
	.set _ZN7rocprim17ROCPRIM_400000_NS6detail17trampoline_kernelINS0_14default_configENS1_25transform_config_selectorIiLb0EEEZNS1_14transform_implILb0ES3_S5_NS0_18transform_iteratorINS0_17counting_iteratorImlEEZNS1_24adjacent_difference_implIS3_Lb1ELb0EPiN6thrust23THRUST_200600_302600_NS16discard_iteratorINSD_11use_defaultEEENSD_5minusIiEEEE10hipError_tPvRmT2_T3_mT4_P12ihipStream_tbEUlmE_iEESB_NS0_8identityIvEEEESJ_SM_SN_mSO_SQ_bEUlT_E_NS1_11comp_targetILNS1_3genE4ELNS1_11target_archE910ELNS1_3gpuE8ELNS1_3repE0EEENS1_30default_config_static_selectorELNS0_4arch9wavefront6targetE1EEEvT1_.num_vgpr, 0
	.set _ZN7rocprim17ROCPRIM_400000_NS6detail17trampoline_kernelINS0_14default_configENS1_25transform_config_selectorIiLb0EEEZNS1_14transform_implILb0ES3_S5_NS0_18transform_iteratorINS0_17counting_iteratorImlEEZNS1_24adjacent_difference_implIS3_Lb1ELb0EPiN6thrust23THRUST_200600_302600_NS16discard_iteratorINSD_11use_defaultEEENSD_5minusIiEEEE10hipError_tPvRmT2_T3_mT4_P12ihipStream_tbEUlmE_iEESB_NS0_8identityIvEEEESJ_SM_SN_mSO_SQ_bEUlT_E_NS1_11comp_targetILNS1_3genE4ELNS1_11target_archE910ELNS1_3gpuE8ELNS1_3repE0EEENS1_30default_config_static_selectorELNS0_4arch9wavefront6targetE1EEEvT1_.num_agpr, 0
	.set _ZN7rocprim17ROCPRIM_400000_NS6detail17trampoline_kernelINS0_14default_configENS1_25transform_config_selectorIiLb0EEEZNS1_14transform_implILb0ES3_S5_NS0_18transform_iteratorINS0_17counting_iteratorImlEEZNS1_24adjacent_difference_implIS3_Lb1ELb0EPiN6thrust23THRUST_200600_302600_NS16discard_iteratorINSD_11use_defaultEEENSD_5minusIiEEEE10hipError_tPvRmT2_T3_mT4_P12ihipStream_tbEUlmE_iEESB_NS0_8identityIvEEEESJ_SM_SN_mSO_SQ_bEUlT_E_NS1_11comp_targetILNS1_3genE4ELNS1_11target_archE910ELNS1_3gpuE8ELNS1_3repE0EEENS1_30default_config_static_selectorELNS0_4arch9wavefront6targetE1EEEvT1_.numbered_sgpr, 0
	.set _ZN7rocprim17ROCPRIM_400000_NS6detail17trampoline_kernelINS0_14default_configENS1_25transform_config_selectorIiLb0EEEZNS1_14transform_implILb0ES3_S5_NS0_18transform_iteratorINS0_17counting_iteratorImlEEZNS1_24adjacent_difference_implIS3_Lb1ELb0EPiN6thrust23THRUST_200600_302600_NS16discard_iteratorINSD_11use_defaultEEENSD_5minusIiEEEE10hipError_tPvRmT2_T3_mT4_P12ihipStream_tbEUlmE_iEESB_NS0_8identityIvEEEESJ_SM_SN_mSO_SQ_bEUlT_E_NS1_11comp_targetILNS1_3genE4ELNS1_11target_archE910ELNS1_3gpuE8ELNS1_3repE0EEENS1_30default_config_static_selectorELNS0_4arch9wavefront6targetE1EEEvT1_.num_named_barrier, 0
	.set _ZN7rocprim17ROCPRIM_400000_NS6detail17trampoline_kernelINS0_14default_configENS1_25transform_config_selectorIiLb0EEEZNS1_14transform_implILb0ES3_S5_NS0_18transform_iteratorINS0_17counting_iteratorImlEEZNS1_24adjacent_difference_implIS3_Lb1ELb0EPiN6thrust23THRUST_200600_302600_NS16discard_iteratorINSD_11use_defaultEEENSD_5minusIiEEEE10hipError_tPvRmT2_T3_mT4_P12ihipStream_tbEUlmE_iEESB_NS0_8identityIvEEEESJ_SM_SN_mSO_SQ_bEUlT_E_NS1_11comp_targetILNS1_3genE4ELNS1_11target_archE910ELNS1_3gpuE8ELNS1_3repE0EEENS1_30default_config_static_selectorELNS0_4arch9wavefront6targetE1EEEvT1_.private_seg_size, 0
	.set _ZN7rocprim17ROCPRIM_400000_NS6detail17trampoline_kernelINS0_14default_configENS1_25transform_config_selectorIiLb0EEEZNS1_14transform_implILb0ES3_S5_NS0_18transform_iteratorINS0_17counting_iteratorImlEEZNS1_24adjacent_difference_implIS3_Lb1ELb0EPiN6thrust23THRUST_200600_302600_NS16discard_iteratorINSD_11use_defaultEEENSD_5minusIiEEEE10hipError_tPvRmT2_T3_mT4_P12ihipStream_tbEUlmE_iEESB_NS0_8identityIvEEEESJ_SM_SN_mSO_SQ_bEUlT_E_NS1_11comp_targetILNS1_3genE4ELNS1_11target_archE910ELNS1_3gpuE8ELNS1_3repE0EEENS1_30default_config_static_selectorELNS0_4arch9wavefront6targetE1EEEvT1_.uses_vcc, 0
	.set _ZN7rocprim17ROCPRIM_400000_NS6detail17trampoline_kernelINS0_14default_configENS1_25transform_config_selectorIiLb0EEEZNS1_14transform_implILb0ES3_S5_NS0_18transform_iteratorINS0_17counting_iteratorImlEEZNS1_24adjacent_difference_implIS3_Lb1ELb0EPiN6thrust23THRUST_200600_302600_NS16discard_iteratorINSD_11use_defaultEEENSD_5minusIiEEEE10hipError_tPvRmT2_T3_mT4_P12ihipStream_tbEUlmE_iEESB_NS0_8identityIvEEEESJ_SM_SN_mSO_SQ_bEUlT_E_NS1_11comp_targetILNS1_3genE4ELNS1_11target_archE910ELNS1_3gpuE8ELNS1_3repE0EEENS1_30default_config_static_selectorELNS0_4arch9wavefront6targetE1EEEvT1_.uses_flat_scratch, 0
	.set _ZN7rocprim17ROCPRIM_400000_NS6detail17trampoline_kernelINS0_14default_configENS1_25transform_config_selectorIiLb0EEEZNS1_14transform_implILb0ES3_S5_NS0_18transform_iteratorINS0_17counting_iteratorImlEEZNS1_24adjacent_difference_implIS3_Lb1ELb0EPiN6thrust23THRUST_200600_302600_NS16discard_iteratorINSD_11use_defaultEEENSD_5minusIiEEEE10hipError_tPvRmT2_T3_mT4_P12ihipStream_tbEUlmE_iEESB_NS0_8identityIvEEEESJ_SM_SN_mSO_SQ_bEUlT_E_NS1_11comp_targetILNS1_3genE4ELNS1_11target_archE910ELNS1_3gpuE8ELNS1_3repE0EEENS1_30default_config_static_selectorELNS0_4arch9wavefront6targetE1EEEvT1_.has_dyn_sized_stack, 0
	.set _ZN7rocprim17ROCPRIM_400000_NS6detail17trampoline_kernelINS0_14default_configENS1_25transform_config_selectorIiLb0EEEZNS1_14transform_implILb0ES3_S5_NS0_18transform_iteratorINS0_17counting_iteratorImlEEZNS1_24adjacent_difference_implIS3_Lb1ELb0EPiN6thrust23THRUST_200600_302600_NS16discard_iteratorINSD_11use_defaultEEENSD_5minusIiEEEE10hipError_tPvRmT2_T3_mT4_P12ihipStream_tbEUlmE_iEESB_NS0_8identityIvEEEESJ_SM_SN_mSO_SQ_bEUlT_E_NS1_11comp_targetILNS1_3genE4ELNS1_11target_archE910ELNS1_3gpuE8ELNS1_3repE0EEENS1_30default_config_static_selectorELNS0_4arch9wavefront6targetE1EEEvT1_.has_recursion, 0
	.set _ZN7rocprim17ROCPRIM_400000_NS6detail17trampoline_kernelINS0_14default_configENS1_25transform_config_selectorIiLb0EEEZNS1_14transform_implILb0ES3_S5_NS0_18transform_iteratorINS0_17counting_iteratorImlEEZNS1_24adjacent_difference_implIS3_Lb1ELb0EPiN6thrust23THRUST_200600_302600_NS16discard_iteratorINSD_11use_defaultEEENSD_5minusIiEEEE10hipError_tPvRmT2_T3_mT4_P12ihipStream_tbEUlmE_iEESB_NS0_8identityIvEEEESJ_SM_SN_mSO_SQ_bEUlT_E_NS1_11comp_targetILNS1_3genE4ELNS1_11target_archE910ELNS1_3gpuE8ELNS1_3repE0EEENS1_30default_config_static_selectorELNS0_4arch9wavefront6targetE1EEEvT1_.has_indirect_call, 0
	.section	.AMDGPU.csdata,"",@progbits
; Kernel info:
; codeLenInByte = 0
; TotalNumSgprs: 4
; NumVgprs: 0
; ScratchSize: 0
; MemoryBound: 0
; FloatMode: 240
; IeeeMode: 1
; LDSByteSize: 0 bytes/workgroup (compile time only)
; SGPRBlocks: 0
; VGPRBlocks: 0
; NumSGPRsForWavesPerEU: 4
; NumVGPRsForWavesPerEU: 1
; Occupancy: 10
; WaveLimiterHint : 0
; COMPUTE_PGM_RSRC2:SCRATCH_EN: 0
; COMPUTE_PGM_RSRC2:USER_SGPR: 6
; COMPUTE_PGM_RSRC2:TRAP_HANDLER: 0
; COMPUTE_PGM_RSRC2:TGID_X_EN: 1
; COMPUTE_PGM_RSRC2:TGID_Y_EN: 0
; COMPUTE_PGM_RSRC2:TGID_Z_EN: 0
; COMPUTE_PGM_RSRC2:TIDIG_COMP_CNT: 0
	.section	.text._ZN7rocprim17ROCPRIM_400000_NS6detail17trampoline_kernelINS0_14default_configENS1_25transform_config_selectorIiLb0EEEZNS1_14transform_implILb0ES3_S5_NS0_18transform_iteratorINS0_17counting_iteratorImlEEZNS1_24adjacent_difference_implIS3_Lb1ELb0EPiN6thrust23THRUST_200600_302600_NS16discard_iteratorINSD_11use_defaultEEENSD_5minusIiEEEE10hipError_tPvRmT2_T3_mT4_P12ihipStream_tbEUlmE_iEESB_NS0_8identityIvEEEESJ_SM_SN_mSO_SQ_bEUlT_E_NS1_11comp_targetILNS1_3genE3ELNS1_11target_archE908ELNS1_3gpuE7ELNS1_3repE0EEENS1_30default_config_static_selectorELNS0_4arch9wavefront6targetE1EEEvT1_,"axG",@progbits,_ZN7rocprim17ROCPRIM_400000_NS6detail17trampoline_kernelINS0_14default_configENS1_25transform_config_selectorIiLb0EEEZNS1_14transform_implILb0ES3_S5_NS0_18transform_iteratorINS0_17counting_iteratorImlEEZNS1_24adjacent_difference_implIS3_Lb1ELb0EPiN6thrust23THRUST_200600_302600_NS16discard_iteratorINSD_11use_defaultEEENSD_5minusIiEEEE10hipError_tPvRmT2_T3_mT4_P12ihipStream_tbEUlmE_iEESB_NS0_8identityIvEEEESJ_SM_SN_mSO_SQ_bEUlT_E_NS1_11comp_targetILNS1_3genE3ELNS1_11target_archE908ELNS1_3gpuE7ELNS1_3repE0EEENS1_30default_config_static_selectorELNS0_4arch9wavefront6targetE1EEEvT1_,comdat
	.protected	_ZN7rocprim17ROCPRIM_400000_NS6detail17trampoline_kernelINS0_14default_configENS1_25transform_config_selectorIiLb0EEEZNS1_14transform_implILb0ES3_S5_NS0_18transform_iteratorINS0_17counting_iteratorImlEEZNS1_24adjacent_difference_implIS3_Lb1ELb0EPiN6thrust23THRUST_200600_302600_NS16discard_iteratorINSD_11use_defaultEEENSD_5minusIiEEEE10hipError_tPvRmT2_T3_mT4_P12ihipStream_tbEUlmE_iEESB_NS0_8identityIvEEEESJ_SM_SN_mSO_SQ_bEUlT_E_NS1_11comp_targetILNS1_3genE3ELNS1_11target_archE908ELNS1_3gpuE7ELNS1_3repE0EEENS1_30default_config_static_selectorELNS0_4arch9wavefront6targetE1EEEvT1_ ; -- Begin function _ZN7rocprim17ROCPRIM_400000_NS6detail17trampoline_kernelINS0_14default_configENS1_25transform_config_selectorIiLb0EEEZNS1_14transform_implILb0ES3_S5_NS0_18transform_iteratorINS0_17counting_iteratorImlEEZNS1_24adjacent_difference_implIS3_Lb1ELb0EPiN6thrust23THRUST_200600_302600_NS16discard_iteratorINSD_11use_defaultEEENSD_5minusIiEEEE10hipError_tPvRmT2_T3_mT4_P12ihipStream_tbEUlmE_iEESB_NS0_8identityIvEEEESJ_SM_SN_mSO_SQ_bEUlT_E_NS1_11comp_targetILNS1_3genE3ELNS1_11target_archE908ELNS1_3gpuE7ELNS1_3repE0EEENS1_30default_config_static_selectorELNS0_4arch9wavefront6targetE1EEEvT1_
	.globl	_ZN7rocprim17ROCPRIM_400000_NS6detail17trampoline_kernelINS0_14default_configENS1_25transform_config_selectorIiLb0EEEZNS1_14transform_implILb0ES3_S5_NS0_18transform_iteratorINS0_17counting_iteratorImlEEZNS1_24adjacent_difference_implIS3_Lb1ELb0EPiN6thrust23THRUST_200600_302600_NS16discard_iteratorINSD_11use_defaultEEENSD_5minusIiEEEE10hipError_tPvRmT2_T3_mT4_P12ihipStream_tbEUlmE_iEESB_NS0_8identityIvEEEESJ_SM_SN_mSO_SQ_bEUlT_E_NS1_11comp_targetILNS1_3genE3ELNS1_11target_archE908ELNS1_3gpuE7ELNS1_3repE0EEENS1_30default_config_static_selectorELNS0_4arch9wavefront6targetE1EEEvT1_
	.p2align	8
	.type	_ZN7rocprim17ROCPRIM_400000_NS6detail17trampoline_kernelINS0_14default_configENS1_25transform_config_selectorIiLb0EEEZNS1_14transform_implILb0ES3_S5_NS0_18transform_iteratorINS0_17counting_iteratorImlEEZNS1_24adjacent_difference_implIS3_Lb1ELb0EPiN6thrust23THRUST_200600_302600_NS16discard_iteratorINSD_11use_defaultEEENSD_5minusIiEEEE10hipError_tPvRmT2_T3_mT4_P12ihipStream_tbEUlmE_iEESB_NS0_8identityIvEEEESJ_SM_SN_mSO_SQ_bEUlT_E_NS1_11comp_targetILNS1_3genE3ELNS1_11target_archE908ELNS1_3gpuE7ELNS1_3repE0EEENS1_30default_config_static_selectorELNS0_4arch9wavefront6targetE1EEEvT1_,@function
_ZN7rocprim17ROCPRIM_400000_NS6detail17trampoline_kernelINS0_14default_configENS1_25transform_config_selectorIiLb0EEEZNS1_14transform_implILb0ES3_S5_NS0_18transform_iteratorINS0_17counting_iteratorImlEEZNS1_24adjacent_difference_implIS3_Lb1ELb0EPiN6thrust23THRUST_200600_302600_NS16discard_iteratorINSD_11use_defaultEEENSD_5minusIiEEEE10hipError_tPvRmT2_T3_mT4_P12ihipStream_tbEUlmE_iEESB_NS0_8identityIvEEEESJ_SM_SN_mSO_SQ_bEUlT_E_NS1_11comp_targetILNS1_3genE3ELNS1_11target_archE908ELNS1_3gpuE7ELNS1_3repE0EEENS1_30default_config_static_selectorELNS0_4arch9wavefront6targetE1EEEvT1_: ; @_ZN7rocprim17ROCPRIM_400000_NS6detail17trampoline_kernelINS0_14default_configENS1_25transform_config_selectorIiLb0EEEZNS1_14transform_implILb0ES3_S5_NS0_18transform_iteratorINS0_17counting_iteratorImlEEZNS1_24adjacent_difference_implIS3_Lb1ELb0EPiN6thrust23THRUST_200600_302600_NS16discard_iteratorINSD_11use_defaultEEENSD_5minusIiEEEE10hipError_tPvRmT2_T3_mT4_P12ihipStream_tbEUlmE_iEESB_NS0_8identityIvEEEESJ_SM_SN_mSO_SQ_bEUlT_E_NS1_11comp_targetILNS1_3genE3ELNS1_11target_archE908ELNS1_3gpuE7ELNS1_3repE0EEENS1_30default_config_static_selectorELNS0_4arch9wavefront6targetE1EEEvT1_
; %bb.0:
	.section	.rodata,"a",@progbits
	.p2align	6, 0x0
	.amdhsa_kernel _ZN7rocprim17ROCPRIM_400000_NS6detail17trampoline_kernelINS0_14default_configENS1_25transform_config_selectorIiLb0EEEZNS1_14transform_implILb0ES3_S5_NS0_18transform_iteratorINS0_17counting_iteratorImlEEZNS1_24adjacent_difference_implIS3_Lb1ELb0EPiN6thrust23THRUST_200600_302600_NS16discard_iteratorINSD_11use_defaultEEENSD_5minusIiEEEE10hipError_tPvRmT2_T3_mT4_P12ihipStream_tbEUlmE_iEESB_NS0_8identityIvEEEESJ_SM_SN_mSO_SQ_bEUlT_E_NS1_11comp_targetILNS1_3genE3ELNS1_11target_archE908ELNS1_3gpuE7ELNS1_3repE0EEENS1_30default_config_static_selectorELNS0_4arch9wavefront6targetE1EEEvT1_
		.amdhsa_group_segment_fixed_size 0
		.amdhsa_private_segment_fixed_size 0
		.amdhsa_kernarg_size 56
		.amdhsa_user_sgpr_count 6
		.amdhsa_user_sgpr_private_segment_buffer 1
		.amdhsa_user_sgpr_dispatch_ptr 0
		.amdhsa_user_sgpr_queue_ptr 0
		.amdhsa_user_sgpr_kernarg_segment_ptr 1
		.amdhsa_user_sgpr_dispatch_id 0
		.amdhsa_user_sgpr_flat_scratch_init 0
		.amdhsa_user_sgpr_private_segment_size 0
		.amdhsa_uses_dynamic_stack 0
		.amdhsa_system_sgpr_private_segment_wavefront_offset 0
		.amdhsa_system_sgpr_workgroup_id_x 1
		.amdhsa_system_sgpr_workgroup_id_y 0
		.amdhsa_system_sgpr_workgroup_id_z 0
		.amdhsa_system_sgpr_workgroup_info 0
		.amdhsa_system_vgpr_workitem_id 0
		.amdhsa_next_free_vgpr 1
		.amdhsa_next_free_sgpr 0
		.amdhsa_reserve_vcc 0
		.amdhsa_reserve_flat_scratch 0
		.amdhsa_float_round_mode_32 0
		.amdhsa_float_round_mode_16_64 0
		.amdhsa_float_denorm_mode_32 3
		.amdhsa_float_denorm_mode_16_64 3
		.amdhsa_dx10_clamp 1
		.amdhsa_ieee_mode 1
		.amdhsa_fp16_overflow 0
		.amdhsa_exception_fp_ieee_invalid_op 0
		.amdhsa_exception_fp_denorm_src 0
		.amdhsa_exception_fp_ieee_div_zero 0
		.amdhsa_exception_fp_ieee_overflow 0
		.amdhsa_exception_fp_ieee_underflow 0
		.amdhsa_exception_fp_ieee_inexact 0
		.amdhsa_exception_int_div_zero 0
	.end_amdhsa_kernel
	.section	.text._ZN7rocprim17ROCPRIM_400000_NS6detail17trampoline_kernelINS0_14default_configENS1_25transform_config_selectorIiLb0EEEZNS1_14transform_implILb0ES3_S5_NS0_18transform_iteratorINS0_17counting_iteratorImlEEZNS1_24adjacent_difference_implIS3_Lb1ELb0EPiN6thrust23THRUST_200600_302600_NS16discard_iteratorINSD_11use_defaultEEENSD_5minusIiEEEE10hipError_tPvRmT2_T3_mT4_P12ihipStream_tbEUlmE_iEESB_NS0_8identityIvEEEESJ_SM_SN_mSO_SQ_bEUlT_E_NS1_11comp_targetILNS1_3genE3ELNS1_11target_archE908ELNS1_3gpuE7ELNS1_3repE0EEENS1_30default_config_static_selectorELNS0_4arch9wavefront6targetE1EEEvT1_,"axG",@progbits,_ZN7rocprim17ROCPRIM_400000_NS6detail17trampoline_kernelINS0_14default_configENS1_25transform_config_selectorIiLb0EEEZNS1_14transform_implILb0ES3_S5_NS0_18transform_iteratorINS0_17counting_iteratorImlEEZNS1_24adjacent_difference_implIS3_Lb1ELb0EPiN6thrust23THRUST_200600_302600_NS16discard_iteratorINSD_11use_defaultEEENSD_5minusIiEEEE10hipError_tPvRmT2_T3_mT4_P12ihipStream_tbEUlmE_iEESB_NS0_8identityIvEEEESJ_SM_SN_mSO_SQ_bEUlT_E_NS1_11comp_targetILNS1_3genE3ELNS1_11target_archE908ELNS1_3gpuE7ELNS1_3repE0EEENS1_30default_config_static_selectorELNS0_4arch9wavefront6targetE1EEEvT1_,comdat
.Lfunc_end878:
	.size	_ZN7rocprim17ROCPRIM_400000_NS6detail17trampoline_kernelINS0_14default_configENS1_25transform_config_selectorIiLb0EEEZNS1_14transform_implILb0ES3_S5_NS0_18transform_iteratorINS0_17counting_iteratorImlEEZNS1_24adjacent_difference_implIS3_Lb1ELb0EPiN6thrust23THRUST_200600_302600_NS16discard_iteratorINSD_11use_defaultEEENSD_5minusIiEEEE10hipError_tPvRmT2_T3_mT4_P12ihipStream_tbEUlmE_iEESB_NS0_8identityIvEEEESJ_SM_SN_mSO_SQ_bEUlT_E_NS1_11comp_targetILNS1_3genE3ELNS1_11target_archE908ELNS1_3gpuE7ELNS1_3repE0EEENS1_30default_config_static_selectorELNS0_4arch9wavefront6targetE1EEEvT1_, .Lfunc_end878-_ZN7rocprim17ROCPRIM_400000_NS6detail17trampoline_kernelINS0_14default_configENS1_25transform_config_selectorIiLb0EEEZNS1_14transform_implILb0ES3_S5_NS0_18transform_iteratorINS0_17counting_iteratorImlEEZNS1_24adjacent_difference_implIS3_Lb1ELb0EPiN6thrust23THRUST_200600_302600_NS16discard_iteratorINSD_11use_defaultEEENSD_5minusIiEEEE10hipError_tPvRmT2_T3_mT4_P12ihipStream_tbEUlmE_iEESB_NS0_8identityIvEEEESJ_SM_SN_mSO_SQ_bEUlT_E_NS1_11comp_targetILNS1_3genE3ELNS1_11target_archE908ELNS1_3gpuE7ELNS1_3repE0EEENS1_30default_config_static_selectorELNS0_4arch9wavefront6targetE1EEEvT1_
                                        ; -- End function
	.set _ZN7rocprim17ROCPRIM_400000_NS6detail17trampoline_kernelINS0_14default_configENS1_25transform_config_selectorIiLb0EEEZNS1_14transform_implILb0ES3_S5_NS0_18transform_iteratorINS0_17counting_iteratorImlEEZNS1_24adjacent_difference_implIS3_Lb1ELb0EPiN6thrust23THRUST_200600_302600_NS16discard_iteratorINSD_11use_defaultEEENSD_5minusIiEEEE10hipError_tPvRmT2_T3_mT4_P12ihipStream_tbEUlmE_iEESB_NS0_8identityIvEEEESJ_SM_SN_mSO_SQ_bEUlT_E_NS1_11comp_targetILNS1_3genE3ELNS1_11target_archE908ELNS1_3gpuE7ELNS1_3repE0EEENS1_30default_config_static_selectorELNS0_4arch9wavefront6targetE1EEEvT1_.num_vgpr, 0
	.set _ZN7rocprim17ROCPRIM_400000_NS6detail17trampoline_kernelINS0_14default_configENS1_25transform_config_selectorIiLb0EEEZNS1_14transform_implILb0ES3_S5_NS0_18transform_iteratorINS0_17counting_iteratorImlEEZNS1_24adjacent_difference_implIS3_Lb1ELb0EPiN6thrust23THRUST_200600_302600_NS16discard_iteratorINSD_11use_defaultEEENSD_5minusIiEEEE10hipError_tPvRmT2_T3_mT4_P12ihipStream_tbEUlmE_iEESB_NS0_8identityIvEEEESJ_SM_SN_mSO_SQ_bEUlT_E_NS1_11comp_targetILNS1_3genE3ELNS1_11target_archE908ELNS1_3gpuE7ELNS1_3repE0EEENS1_30default_config_static_selectorELNS0_4arch9wavefront6targetE1EEEvT1_.num_agpr, 0
	.set _ZN7rocprim17ROCPRIM_400000_NS6detail17trampoline_kernelINS0_14default_configENS1_25transform_config_selectorIiLb0EEEZNS1_14transform_implILb0ES3_S5_NS0_18transform_iteratorINS0_17counting_iteratorImlEEZNS1_24adjacent_difference_implIS3_Lb1ELb0EPiN6thrust23THRUST_200600_302600_NS16discard_iteratorINSD_11use_defaultEEENSD_5minusIiEEEE10hipError_tPvRmT2_T3_mT4_P12ihipStream_tbEUlmE_iEESB_NS0_8identityIvEEEESJ_SM_SN_mSO_SQ_bEUlT_E_NS1_11comp_targetILNS1_3genE3ELNS1_11target_archE908ELNS1_3gpuE7ELNS1_3repE0EEENS1_30default_config_static_selectorELNS0_4arch9wavefront6targetE1EEEvT1_.numbered_sgpr, 0
	.set _ZN7rocprim17ROCPRIM_400000_NS6detail17trampoline_kernelINS0_14default_configENS1_25transform_config_selectorIiLb0EEEZNS1_14transform_implILb0ES3_S5_NS0_18transform_iteratorINS0_17counting_iteratorImlEEZNS1_24adjacent_difference_implIS3_Lb1ELb0EPiN6thrust23THRUST_200600_302600_NS16discard_iteratorINSD_11use_defaultEEENSD_5minusIiEEEE10hipError_tPvRmT2_T3_mT4_P12ihipStream_tbEUlmE_iEESB_NS0_8identityIvEEEESJ_SM_SN_mSO_SQ_bEUlT_E_NS1_11comp_targetILNS1_3genE3ELNS1_11target_archE908ELNS1_3gpuE7ELNS1_3repE0EEENS1_30default_config_static_selectorELNS0_4arch9wavefront6targetE1EEEvT1_.num_named_barrier, 0
	.set _ZN7rocprim17ROCPRIM_400000_NS6detail17trampoline_kernelINS0_14default_configENS1_25transform_config_selectorIiLb0EEEZNS1_14transform_implILb0ES3_S5_NS0_18transform_iteratorINS0_17counting_iteratorImlEEZNS1_24adjacent_difference_implIS3_Lb1ELb0EPiN6thrust23THRUST_200600_302600_NS16discard_iteratorINSD_11use_defaultEEENSD_5minusIiEEEE10hipError_tPvRmT2_T3_mT4_P12ihipStream_tbEUlmE_iEESB_NS0_8identityIvEEEESJ_SM_SN_mSO_SQ_bEUlT_E_NS1_11comp_targetILNS1_3genE3ELNS1_11target_archE908ELNS1_3gpuE7ELNS1_3repE0EEENS1_30default_config_static_selectorELNS0_4arch9wavefront6targetE1EEEvT1_.private_seg_size, 0
	.set _ZN7rocprim17ROCPRIM_400000_NS6detail17trampoline_kernelINS0_14default_configENS1_25transform_config_selectorIiLb0EEEZNS1_14transform_implILb0ES3_S5_NS0_18transform_iteratorINS0_17counting_iteratorImlEEZNS1_24adjacent_difference_implIS3_Lb1ELb0EPiN6thrust23THRUST_200600_302600_NS16discard_iteratorINSD_11use_defaultEEENSD_5minusIiEEEE10hipError_tPvRmT2_T3_mT4_P12ihipStream_tbEUlmE_iEESB_NS0_8identityIvEEEESJ_SM_SN_mSO_SQ_bEUlT_E_NS1_11comp_targetILNS1_3genE3ELNS1_11target_archE908ELNS1_3gpuE7ELNS1_3repE0EEENS1_30default_config_static_selectorELNS0_4arch9wavefront6targetE1EEEvT1_.uses_vcc, 0
	.set _ZN7rocprim17ROCPRIM_400000_NS6detail17trampoline_kernelINS0_14default_configENS1_25transform_config_selectorIiLb0EEEZNS1_14transform_implILb0ES3_S5_NS0_18transform_iteratorINS0_17counting_iteratorImlEEZNS1_24adjacent_difference_implIS3_Lb1ELb0EPiN6thrust23THRUST_200600_302600_NS16discard_iteratorINSD_11use_defaultEEENSD_5minusIiEEEE10hipError_tPvRmT2_T3_mT4_P12ihipStream_tbEUlmE_iEESB_NS0_8identityIvEEEESJ_SM_SN_mSO_SQ_bEUlT_E_NS1_11comp_targetILNS1_3genE3ELNS1_11target_archE908ELNS1_3gpuE7ELNS1_3repE0EEENS1_30default_config_static_selectorELNS0_4arch9wavefront6targetE1EEEvT1_.uses_flat_scratch, 0
	.set _ZN7rocprim17ROCPRIM_400000_NS6detail17trampoline_kernelINS0_14default_configENS1_25transform_config_selectorIiLb0EEEZNS1_14transform_implILb0ES3_S5_NS0_18transform_iteratorINS0_17counting_iteratorImlEEZNS1_24adjacent_difference_implIS3_Lb1ELb0EPiN6thrust23THRUST_200600_302600_NS16discard_iteratorINSD_11use_defaultEEENSD_5minusIiEEEE10hipError_tPvRmT2_T3_mT4_P12ihipStream_tbEUlmE_iEESB_NS0_8identityIvEEEESJ_SM_SN_mSO_SQ_bEUlT_E_NS1_11comp_targetILNS1_3genE3ELNS1_11target_archE908ELNS1_3gpuE7ELNS1_3repE0EEENS1_30default_config_static_selectorELNS0_4arch9wavefront6targetE1EEEvT1_.has_dyn_sized_stack, 0
	.set _ZN7rocprim17ROCPRIM_400000_NS6detail17trampoline_kernelINS0_14default_configENS1_25transform_config_selectorIiLb0EEEZNS1_14transform_implILb0ES3_S5_NS0_18transform_iteratorINS0_17counting_iteratorImlEEZNS1_24adjacent_difference_implIS3_Lb1ELb0EPiN6thrust23THRUST_200600_302600_NS16discard_iteratorINSD_11use_defaultEEENSD_5minusIiEEEE10hipError_tPvRmT2_T3_mT4_P12ihipStream_tbEUlmE_iEESB_NS0_8identityIvEEEESJ_SM_SN_mSO_SQ_bEUlT_E_NS1_11comp_targetILNS1_3genE3ELNS1_11target_archE908ELNS1_3gpuE7ELNS1_3repE0EEENS1_30default_config_static_selectorELNS0_4arch9wavefront6targetE1EEEvT1_.has_recursion, 0
	.set _ZN7rocprim17ROCPRIM_400000_NS6detail17trampoline_kernelINS0_14default_configENS1_25transform_config_selectorIiLb0EEEZNS1_14transform_implILb0ES3_S5_NS0_18transform_iteratorINS0_17counting_iteratorImlEEZNS1_24adjacent_difference_implIS3_Lb1ELb0EPiN6thrust23THRUST_200600_302600_NS16discard_iteratorINSD_11use_defaultEEENSD_5minusIiEEEE10hipError_tPvRmT2_T3_mT4_P12ihipStream_tbEUlmE_iEESB_NS0_8identityIvEEEESJ_SM_SN_mSO_SQ_bEUlT_E_NS1_11comp_targetILNS1_3genE3ELNS1_11target_archE908ELNS1_3gpuE7ELNS1_3repE0EEENS1_30default_config_static_selectorELNS0_4arch9wavefront6targetE1EEEvT1_.has_indirect_call, 0
	.section	.AMDGPU.csdata,"",@progbits
; Kernel info:
; codeLenInByte = 0
; TotalNumSgprs: 4
; NumVgprs: 0
; ScratchSize: 0
; MemoryBound: 0
; FloatMode: 240
; IeeeMode: 1
; LDSByteSize: 0 bytes/workgroup (compile time only)
; SGPRBlocks: 0
; VGPRBlocks: 0
; NumSGPRsForWavesPerEU: 4
; NumVGPRsForWavesPerEU: 1
; Occupancy: 10
; WaveLimiterHint : 0
; COMPUTE_PGM_RSRC2:SCRATCH_EN: 0
; COMPUTE_PGM_RSRC2:USER_SGPR: 6
; COMPUTE_PGM_RSRC2:TRAP_HANDLER: 0
; COMPUTE_PGM_RSRC2:TGID_X_EN: 1
; COMPUTE_PGM_RSRC2:TGID_Y_EN: 0
; COMPUTE_PGM_RSRC2:TGID_Z_EN: 0
; COMPUTE_PGM_RSRC2:TIDIG_COMP_CNT: 0
	.section	.text._ZN7rocprim17ROCPRIM_400000_NS6detail17trampoline_kernelINS0_14default_configENS1_25transform_config_selectorIiLb0EEEZNS1_14transform_implILb0ES3_S5_NS0_18transform_iteratorINS0_17counting_iteratorImlEEZNS1_24adjacent_difference_implIS3_Lb1ELb0EPiN6thrust23THRUST_200600_302600_NS16discard_iteratorINSD_11use_defaultEEENSD_5minusIiEEEE10hipError_tPvRmT2_T3_mT4_P12ihipStream_tbEUlmE_iEESB_NS0_8identityIvEEEESJ_SM_SN_mSO_SQ_bEUlT_E_NS1_11comp_targetILNS1_3genE2ELNS1_11target_archE906ELNS1_3gpuE6ELNS1_3repE0EEENS1_30default_config_static_selectorELNS0_4arch9wavefront6targetE1EEEvT1_,"axG",@progbits,_ZN7rocprim17ROCPRIM_400000_NS6detail17trampoline_kernelINS0_14default_configENS1_25transform_config_selectorIiLb0EEEZNS1_14transform_implILb0ES3_S5_NS0_18transform_iteratorINS0_17counting_iteratorImlEEZNS1_24adjacent_difference_implIS3_Lb1ELb0EPiN6thrust23THRUST_200600_302600_NS16discard_iteratorINSD_11use_defaultEEENSD_5minusIiEEEE10hipError_tPvRmT2_T3_mT4_P12ihipStream_tbEUlmE_iEESB_NS0_8identityIvEEEESJ_SM_SN_mSO_SQ_bEUlT_E_NS1_11comp_targetILNS1_3genE2ELNS1_11target_archE906ELNS1_3gpuE6ELNS1_3repE0EEENS1_30default_config_static_selectorELNS0_4arch9wavefront6targetE1EEEvT1_,comdat
	.protected	_ZN7rocprim17ROCPRIM_400000_NS6detail17trampoline_kernelINS0_14default_configENS1_25transform_config_selectorIiLb0EEEZNS1_14transform_implILb0ES3_S5_NS0_18transform_iteratorINS0_17counting_iteratorImlEEZNS1_24adjacent_difference_implIS3_Lb1ELb0EPiN6thrust23THRUST_200600_302600_NS16discard_iteratorINSD_11use_defaultEEENSD_5minusIiEEEE10hipError_tPvRmT2_T3_mT4_P12ihipStream_tbEUlmE_iEESB_NS0_8identityIvEEEESJ_SM_SN_mSO_SQ_bEUlT_E_NS1_11comp_targetILNS1_3genE2ELNS1_11target_archE906ELNS1_3gpuE6ELNS1_3repE0EEENS1_30default_config_static_selectorELNS0_4arch9wavefront6targetE1EEEvT1_ ; -- Begin function _ZN7rocprim17ROCPRIM_400000_NS6detail17trampoline_kernelINS0_14default_configENS1_25transform_config_selectorIiLb0EEEZNS1_14transform_implILb0ES3_S5_NS0_18transform_iteratorINS0_17counting_iteratorImlEEZNS1_24adjacent_difference_implIS3_Lb1ELb0EPiN6thrust23THRUST_200600_302600_NS16discard_iteratorINSD_11use_defaultEEENSD_5minusIiEEEE10hipError_tPvRmT2_T3_mT4_P12ihipStream_tbEUlmE_iEESB_NS0_8identityIvEEEESJ_SM_SN_mSO_SQ_bEUlT_E_NS1_11comp_targetILNS1_3genE2ELNS1_11target_archE906ELNS1_3gpuE6ELNS1_3repE0EEENS1_30default_config_static_selectorELNS0_4arch9wavefront6targetE1EEEvT1_
	.globl	_ZN7rocprim17ROCPRIM_400000_NS6detail17trampoline_kernelINS0_14default_configENS1_25transform_config_selectorIiLb0EEEZNS1_14transform_implILb0ES3_S5_NS0_18transform_iteratorINS0_17counting_iteratorImlEEZNS1_24adjacent_difference_implIS3_Lb1ELb0EPiN6thrust23THRUST_200600_302600_NS16discard_iteratorINSD_11use_defaultEEENSD_5minusIiEEEE10hipError_tPvRmT2_T3_mT4_P12ihipStream_tbEUlmE_iEESB_NS0_8identityIvEEEESJ_SM_SN_mSO_SQ_bEUlT_E_NS1_11comp_targetILNS1_3genE2ELNS1_11target_archE906ELNS1_3gpuE6ELNS1_3repE0EEENS1_30default_config_static_selectorELNS0_4arch9wavefront6targetE1EEEvT1_
	.p2align	8
	.type	_ZN7rocprim17ROCPRIM_400000_NS6detail17trampoline_kernelINS0_14default_configENS1_25transform_config_selectorIiLb0EEEZNS1_14transform_implILb0ES3_S5_NS0_18transform_iteratorINS0_17counting_iteratorImlEEZNS1_24adjacent_difference_implIS3_Lb1ELb0EPiN6thrust23THRUST_200600_302600_NS16discard_iteratorINSD_11use_defaultEEENSD_5minusIiEEEE10hipError_tPvRmT2_T3_mT4_P12ihipStream_tbEUlmE_iEESB_NS0_8identityIvEEEESJ_SM_SN_mSO_SQ_bEUlT_E_NS1_11comp_targetILNS1_3genE2ELNS1_11target_archE906ELNS1_3gpuE6ELNS1_3repE0EEENS1_30default_config_static_selectorELNS0_4arch9wavefront6targetE1EEEvT1_,@function
_ZN7rocprim17ROCPRIM_400000_NS6detail17trampoline_kernelINS0_14default_configENS1_25transform_config_selectorIiLb0EEEZNS1_14transform_implILb0ES3_S5_NS0_18transform_iteratorINS0_17counting_iteratorImlEEZNS1_24adjacent_difference_implIS3_Lb1ELb0EPiN6thrust23THRUST_200600_302600_NS16discard_iteratorINSD_11use_defaultEEENSD_5minusIiEEEE10hipError_tPvRmT2_T3_mT4_P12ihipStream_tbEUlmE_iEESB_NS0_8identityIvEEEESJ_SM_SN_mSO_SQ_bEUlT_E_NS1_11comp_targetILNS1_3genE2ELNS1_11target_archE906ELNS1_3gpuE6ELNS1_3repE0EEENS1_30default_config_static_selectorELNS0_4arch9wavefront6targetE1EEEvT1_: ; @_ZN7rocprim17ROCPRIM_400000_NS6detail17trampoline_kernelINS0_14default_configENS1_25transform_config_selectorIiLb0EEEZNS1_14transform_implILb0ES3_S5_NS0_18transform_iteratorINS0_17counting_iteratorImlEEZNS1_24adjacent_difference_implIS3_Lb1ELb0EPiN6thrust23THRUST_200600_302600_NS16discard_iteratorINSD_11use_defaultEEENSD_5minusIiEEEE10hipError_tPvRmT2_T3_mT4_P12ihipStream_tbEUlmE_iEESB_NS0_8identityIvEEEESJ_SM_SN_mSO_SQ_bEUlT_E_NS1_11comp_targetILNS1_3genE2ELNS1_11target_archE906ELNS1_3gpuE6ELNS1_3repE0EEENS1_30default_config_static_selectorELNS0_4arch9wavefront6targetE1EEEvT1_
; %bb.0:
	s_load_dwordx4 s[0:3], s[4:5], 0x18
	s_load_dwordx2 s[14:15], s[4:5], 0x28
	s_load_dwordx4 s[8:11], s[4:5], 0x0
	s_load_dword s12, s[4:5], 0x10
	s_waitcnt lgkmcnt(0)
	s_load_dword s3, s[4:5], 0x38
                                        ; kill: killed $sgpr4_sgpr5
	s_lshl_b64 s[4:5], s[0:1], 2
	s_add_u32 s14, s14, s4
	s_addc_u32 s15, s15, s5
	s_lshl_b32 s4, s6, 11
	s_waitcnt lgkmcnt(0)
	s_add_i32 s3, s3, -1
	s_add_u32 s7, s8, s4
	s_addc_u32 s8, s9, 0
	s_add_u32 s16, s7, s0
	s_addc_u32 s17, s8, s1
	s_mov_b32 s5, 0
	s_cmp_lg_u32 s6, s3
	v_lshlrev_b32_e32 v5, 2, v0
	s_cbranch_scc0 .LBB879_2
; %bb.1:
	v_mov_b32_e32 v1, s17
	v_add_co_u32_e32 v2, vcc, s16, v0
	v_addc_co_u32_e32 v3, vcc, 0, v1, vcc
	v_mad_u64_u32 v[1:2], s[0:1], v2, s12, 0
	s_mov_b32 s13, s5
	s_lshl_b64 s[6:7], s[4:5], 2
	v_mad_u64_u32 v[2:3], s[0:1], v3, s12, v[2:3]
	v_mov_b32_e32 v3, s11
	s_lshl_b64 s[0:1], s[12:13], 12
	v_lshlrev_b64 v[1:2], 2, v[1:2]
	s_add_u32 s6, s14, s6
	v_add_co_u32_e32 v1, vcc, s10, v1
	v_addc_co_u32_e32 v2, vcc, v3, v2, vcc
	global_load_dword v6, v[1:2], off
	v_mov_b32_e32 v3, s1
	v_add_co_u32_e32 v1, vcc, s0, v1
	v_addc_co_u32_e32 v2, vcc, v2, v3, vcc
	global_load_dword v1, v[1:2], off
	s_addc_u32 s7, s15, s7
	v_mov_b32_e32 v2, s7
	v_add_co_u32_e32 v3, vcc, s6, v5
	v_addc_co_u32_e32 v4, vcc, 0, v2, vcc
	s_waitcnt vmcnt(1)
	global_store_dword v5, v6, s[6:7]
	s_mov_b64 s[6:7], -1
	s_cbranch_execz .LBB879_3
	s_branch .LBB879_12
.LBB879_2:
	s_mov_b64 s[6:7], 0
                                        ; implicit-def: $vgpr1
                                        ; implicit-def: $vgpr3_vgpr4
.LBB879_3:
	s_sub_i32 s8, s2, s4
	s_waitcnt vmcnt(1)
	v_mov_b32_e32 v1, 0
	v_cmp_gt_u32_e32 vcc, s8, v0
	v_mov_b32_e32 v2, v1
	s_and_saveexec_b64 s[2:3], vcc
	s_cbranch_execz .LBB879_5
; %bb.4:
	v_mov_b32_e32 v2, s17
	v_add_co_u32_e64 v3, s[0:1], s16, v0
	v_addc_co_u32_e64 v4, s[0:1], 0, v2, s[0:1]
	v_mad_u64_u32 v[2:3], s[0:1], v3, s12, 0
	v_mad_u64_u32 v[3:4], s[0:1], v4, s12, v[3:4]
	v_mov_b32_e32 v4, s11
	v_lshlrev_b64 v[2:3], 2, v[2:3]
	v_add_co_u32_e64 v2, s[0:1], s10, v2
	v_addc_co_u32_e64 v3, s[0:1], v4, v3, s[0:1]
	global_load_dword v2, v[2:3], off
	v_mov_b32_e32 v3, v1
	s_waitcnt vmcnt(0)
	v_mov_b32_e32 v1, v2
	v_mov_b32_e32 v2, v3
.LBB879_5:
	s_or_b64 exec, exec, s[2:3]
	v_or_b32_e32 v0, 0x400, v0
	v_cmp_gt_u32_e64 s[0:1], s8, v0
	s_and_saveexec_b64 s[8:9], s[0:1]
	s_cbranch_execz .LBB879_7
; %bb.6:
	v_mov_b32_e32 v2, s17
	v_add_co_u32_e64 v0, s[2:3], s16, v0
	v_addc_co_u32_e64 v4, s[2:3], 0, v2, s[2:3]
	v_mad_u64_u32 v[2:3], s[2:3], v0, s12, 0
	v_mov_b32_e32 v0, v3
	v_mad_u64_u32 v[3:4], s[2:3], v4, s12, v[0:1]
	v_mov_b32_e32 v0, s11
	v_lshlrev_b64 v[2:3], 2, v[2:3]
	v_add_co_u32_e64 v2, s[2:3], s10, v2
	v_addc_co_u32_e64 v3, s[2:3], v0, v3, s[2:3]
	global_load_dword v2, v[2:3], off
.LBB879_7:
	s_or_b64 exec, exec, s[8:9]
	s_lshl_b64 s[2:3], s[4:5], 2
	s_add_u32 s2, s14, s2
	s_addc_u32 s3, s15, s3
	v_cndmask_b32_e32 v0, 0, v1, vcc
	v_mov_b32_e32 v1, s3
	v_add_co_u32_e64 v3, s[2:3], s2, v5
	v_addc_co_u32_e64 v4, s[2:3], 0, v1, s[2:3]
	s_and_saveexec_b64 s[2:3], vcc
	s_cbranch_execz .LBB879_9
; %bb.8:
	global_store_dword v[3:4], v0, off
.LBB879_9:
	s_or_b64 exec, exec, s[2:3]
                                        ; implicit-def: $vgpr1
	s_and_saveexec_b64 s[2:3], s[0:1]
	s_cbranch_execz .LBB879_11
; %bb.10:
	s_waitcnt vmcnt(0)
	v_cndmask_b32_e64 v1, 0, v2, s[0:1]
	s_or_b64 s[6:7], s[6:7], exec
.LBB879_11:
	s_or_b64 exec, exec, s[2:3]
.LBB879_12:
	s_and_saveexec_b64 s[0:1], s[6:7]
	s_cbranch_execnz .LBB879_14
; %bb.13:
	s_endpgm
.LBB879_14:
	s_waitcnt vmcnt(0)
	v_add_co_u32_e32 v2, vcc, 0x1000, v3
	v_addc_co_u32_e32 v3, vcc, 0, v4, vcc
	global_store_dword v[2:3], v1, off
	s_endpgm
	.section	.rodata,"a",@progbits
	.p2align	6, 0x0
	.amdhsa_kernel _ZN7rocprim17ROCPRIM_400000_NS6detail17trampoline_kernelINS0_14default_configENS1_25transform_config_selectorIiLb0EEEZNS1_14transform_implILb0ES3_S5_NS0_18transform_iteratorINS0_17counting_iteratorImlEEZNS1_24adjacent_difference_implIS3_Lb1ELb0EPiN6thrust23THRUST_200600_302600_NS16discard_iteratorINSD_11use_defaultEEENSD_5minusIiEEEE10hipError_tPvRmT2_T3_mT4_P12ihipStream_tbEUlmE_iEESB_NS0_8identityIvEEEESJ_SM_SN_mSO_SQ_bEUlT_E_NS1_11comp_targetILNS1_3genE2ELNS1_11target_archE906ELNS1_3gpuE6ELNS1_3repE0EEENS1_30default_config_static_selectorELNS0_4arch9wavefront6targetE1EEEvT1_
		.amdhsa_group_segment_fixed_size 0
		.amdhsa_private_segment_fixed_size 0
		.amdhsa_kernarg_size 312
		.amdhsa_user_sgpr_count 6
		.amdhsa_user_sgpr_private_segment_buffer 1
		.amdhsa_user_sgpr_dispatch_ptr 0
		.amdhsa_user_sgpr_queue_ptr 0
		.amdhsa_user_sgpr_kernarg_segment_ptr 1
		.amdhsa_user_sgpr_dispatch_id 0
		.amdhsa_user_sgpr_flat_scratch_init 0
		.amdhsa_user_sgpr_private_segment_size 0
		.amdhsa_uses_dynamic_stack 0
		.amdhsa_system_sgpr_private_segment_wavefront_offset 0
		.amdhsa_system_sgpr_workgroup_id_x 1
		.amdhsa_system_sgpr_workgroup_id_y 0
		.amdhsa_system_sgpr_workgroup_id_z 0
		.amdhsa_system_sgpr_workgroup_info 0
		.amdhsa_system_vgpr_workitem_id 0
		.amdhsa_next_free_vgpr 7
		.amdhsa_next_free_sgpr 18
		.amdhsa_reserve_vcc 1
		.amdhsa_reserve_flat_scratch 0
		.amdhsa_float_round_mode_32 0
		.amdhsa_float_round_mode_16_64 0
		.amdhsa_float_denorm_mode_32 3
		.amdhsa_float_denorm_mode_16_64 3
		.amdhsa_dx10_clamp 1
		.amdhsa_ieee_mode 1
		.amdhsa_fp16_overflow 0
		.amdhsa_exception_fp_ieee_invalid_op 0
		.amdhsa_exception_fp_denorm_src 0
		.amdhsa_exception_fp_ieee_div_zero 0
		.amdhsa_exception_fp_ieee_overflow 0
		.amdhsa_exception_fp_ieee_underflow 0
		.amdhsa_exception_fp_ieee_inexact 0
		.amdhsa_exception_int_div_zero 0
	.end_amdhsa_kernel
	.section	.text._ZN7rocprim17ROCPRIM_400000_NS6detail17trampoline_kernelINS0_14default_configENS1_25transform_config_selectorIiLb0EEEZNS1_14transform_implILb0ES3_S5_NS0_18transform_iteratorINS0_17counting_iteratorImlEEZNS1_24adjacent_difference_implIS3_Lb1ELb0EPiN6thrust23THRUST_200600_302600_NS16discard_iteratorINSD_11use_defaultEEENSD_5minusIiEEEE10hipError_tPvRmT2_T3_mT4_P12ihipStream_tbEUlmE_iEESB_NS0_8identityIvEEEESJ_SM_SN_mSO_SQ_bEUlT_E_NS1_11comp_targetILNS1_3genE2ELNS1_11target_archE906ELNS1_3gpuE6ELNS1_3repE0EEENS1_30default_config_static_selectorELNS0_4arch9wavefront6targetE1EEEvT1_,"axG",@progbits,_ZN7rocprim17ROCPRIM_400000_NS6detail17trampoline_kernelINS0_14default_configENS1_25transform_config_selectorIiLb0EEEZNS1_14transform_implILb0ES3_S5_NS0_18transform_iteratorINS0_17counting_iteratorImlEEZNS1_24adjacent_difference_implIS3_Lb1ELb0EPiN6thrust23THRUST_200600_302600_NS16discard_iteratorINSD_11use_defaultEEENSD_5minusIiEEEE10hipError_tPvRmT2_T3_mT4_P12ihipStream_tbEUlmE_iEESB_NS0_8identityIvEEEESJ_SM_SN_mSO_SQ_bEUlT_E_NS1_11comp_targetILNS1_3genE2ELNS1_11target_archE906ELNS1_3gpuE6ELNS1_3repE0EEENS1_30default_config_static_selectorELNS0_4arch9wavefront6targetE1EEEvT1_,comdat
.Lfunc_end879:
	.size	_ZN7rocprim17ROCPRIM_400000_NS6detail17trampoline_kernelINS0_14default_configENS1_25transform_config_selectorIiLb0EEEZNS1_14transform_implILb0ES3_S5_NS0_18transform_iteratorINS0_17counting_iteratorImlEEZNS1_24adjacent_difference_implIS3_Lb1ELb0EPiN6thrust23THRUST_200600_302600_NS16discard_iteratorINSD_11use_defaultEEENSD_5minusIiEEEE10hipError_tPvRmT2_T3_mT4_P12ihipStream_tbEUlmE_iEESB_NS0_8identityIvEEEESJ_SM_SN_mSO_SQ_bEUlT_E_NS1_11comp_targetILNS1_3genE2ELNS1_11target_archE906ELNS1_3gpuE6ELNS1_3repE0EEENS1_30default_config_static_selectorELNS0_4arch9wavefront6targetE1EEEvT1_, .Lfunc_end879-_ZN7rocprim17ROCPRIM_400000_NS6detail17trampoline_kernelINS0_14default_configENS1_25transform_config_selectorIiLb0EEEZNS1_14transform_implILb0ES3_S5_NS0_18transform_iteratorINS0_17counting_iteratorImlEEZNS1_24adjacent_difference_implIS3_Lb1ELb0EPiN6thrust23THRUST_200600_302600_NS16discard_iteratorINSD_11use_defaultEEENSD_5minusIiEEEE10hipError_tPvRmT2_T3_mT4_P12ihipStream_tbEUlmE_iEESB_NS0_8identityIvEEEESJ_SM_SN_mSO_SQ_bEUlT_E_NS1_11comp_targetILNS1_3genE2ELNS1_11target_archE906ELNS1_3gpuE6ELNS1_3repE0EEENS1_30default_config_static_selectorELNS0_4arch9wavefront6targetE1EEEvT1_
                                        ; -- End function
	.set _ZN7rocprim17ROCPRIM_400000_NS6detail17trampoline_kernelINS0_14default_configENS1_25transform_config_selectorIiLb0EEEZNS1_14transform_implILb0ES3_S5_NS0_18transform_iteratorINS0_17counting_iteratorImlEEZNS1_24adjacent_difference_implIS3_Lb1ELb0EPiN6thrust23THRUST_200600_302600_NS16discard_iteratorINSD_11use_defaultEEENSD_5minusIiEEEE10hipError_tPvRmT2_T3_mT4_P12ihipStream_tbEUlmE_iEESB_NS0_8identityIvEEEESJ_SM_SN_mSO_SQ_bEUlT_E_NS1_11comp_targetILNS1_3genE2ELNS1_11target_archE906ELNS1_3gpuE6ELNS1_3repE0EEENS1_30default_config_static_selectorELNS0_4arch9wavefront6targetE1EEEvT1_.num_vgpr, 7
	.set _ZN7rocprim17ROCPRIM_400000_NS6detail17trampoline_kernelINS0_14default_configENS1_25transform_config_selectorIiLb0EEEZNS1_14transform_implILb0ES3_S5_NS0_18transform_iteratorINS0_17counting_iteratorImlEEZNS1_24adjacent_difference_implIS3_Lb1ELb0EPiN6thrust23THRUST_200600_302600_NS16discard_iteratorINSD_11use_defaultEEENSD_5minusIiEEEE10hipError_tPvRmT2_T3_mT4_P12ihipStream_tbEUlmE_iEESB_NS0_8identityIvEEEESJ_SM_SN_mSO_SQ_bEUlT_E_NS1_11comp_targetILNS1_3genE2ELNS1_11target_archE906ELNS1_3gpuE6ELNS1_3repE0EEENS1_30default_config_static_selectorELNS0_4arch9wavefront6targetE1EEEvT1_.num_agpr, 0
	.set _ZN7rocprim17ROCPRIM_400000_NS6detail17trampoline_kernelINS0_14default_configENS1_25transform_config_selectorIiLb0EEEZNS1_14transform_implILb0ES3_S5_NS0_18transform_iteratorINS0_17counting_iteratorImlEEZNS1_24adjacent_difference_implIS3_Lb1ELb0EPiN6thrust23THRUST_200600_302600_NS16discard_iteratorINSD_11use_defaultEEENSD_5minusIiEEEE10hipError_tPvRmT2_T3_mT4_P12ihipStream_tbEUlmE_iEESB_NS0_8identityIvEEEESJ_SM_SN_mSO_SQ_bEUlT_E_NS1_11comp_targetILNS1_3genE2ELNS1_11target_archE906ELNS1_3gpuE6ELNS1_3repE0EEENS1_30default_config_static_selectorELNS0_4arch9wavefront6targetE1EEEvT1_.numbered_sgpr, 18
	.set _ZN7rocprim17ROCPRIM_400000_NS6detail17trampoline_kernelINS0_14default_configENS1_25transform_config_selectorIiLb0EEEZNS1_14transform_implILb0ES3_S5_NS0_18transform_iteratorINS0_17counting_iteratorImlEEZNS1_24adjacent_difference_implIS3_Lb1ELb0EPiN6thrust23THRUST_200600_302600_NS16discard_iteratorINSD_11use_defaultEEENSD_5minusIiEEEE10hipError_tPvRmT2_T3_mT4_P12ihipStream_tbEUlmE_iEESB_NS0_8identityIvEEEESJ_SM_SN_mSO_SQ_bEUlT_E_NS1_11comp_targetILNS1_3genE2ELNS1_11target_archE906ELNS1_3gpuE6ELNS1_3repE0EEENS1_30default_config_static_selectorELNS0_4arch9wavefront6targetE1EEEvT1_.num_named_barrier, 0
	.set _ZN7rocprim17ROCPRIM_400000_NS6detail17trampoline_kernelINS0_14default_configENS1_25transform_config_selectorIiLb0EEEZNS1_14transform_implILb0ES3_S5_NS0_18transform_iteratorINS0_17counting_iteratorImlEEZNS1_24adjacent_difference_implIS3_Lb1ELb0EPiN6thrust23THRUST_200600_302600_NS16discard_iteratorINSD_11use_defaultEEENSD_5minusIiEEEE10hipError_tPvRmT2_T3_mT4_P12ihipStream_tbEUlmE_iEESB_NS0_8identityIvEEEESJ_SM_SN_mSO_SQ_bEUlT_E_NS1_11comp_targetILNS1_3genE2ELNS1_11target_archE906ELNS1_3gpuE6ELNS1_3repE0EEENS1_30default_config_static_selectorELNS0_4arch9wavefront6targetE1EEEvT1_.private_seg_size, 0
	.set _ZN7rocprim17ROCPRIM_400000_NS6detail17trampoline_kernelINS0_14default_configENS1_25transform_config_selectorIiLb0EEEZNS1_14transform_implILb0ES3_S5_NS0_18transform_iteratorINS0_17counting_iteratorImlEEZNS1_24adjacent_difference_implIS3_Lb1ELb0EPiN6thrust23THRUST_200600_302600_NS16discard_iteratorINSD_11use_defaultEEENSD_5minusIiEEEE10hipError_tPvRmT2_T3_mT4_P12ihipStream_tbEUlmE_iEESB_NS0_8identityIvEEEESJ_SM_SN_mSO_SQ_bEUlT_E_NS1_11comp_targetILNS1_3genE2ELNS1_11target_archE906ELNS1_3gpuE6ELNS1_3repE0EEENS1_30default_config_static_selectorELNS0_4arch9wavefront6targetE1EEEvT1_.uses_vcc, 1
	.set _ZN7rocprim17ROCPRIM_400000_NS6detail17trampoline_kernelINS0_14default_configENS1_25transform_config_selectorIiLb0EEEZNS1_14transform_implILb0ES3_S5_NS0_18transform_iteratorINS0_17counting_iteratorImlEEZNS1_24adjacent_difference_implIS3_Lb1ELb0EPiN6thrust23THRUST_200600_302600_NS16discard_iteratorINSD_11use_defaultEEENSD_5minusIiEEEE10hipError_tPvRmT2_T3_mT4_P12ihipStream_tbEUlmE_iEESB_NS0_8identityIvEEEESJ_SM_SN_mSO_SQ_bEUlT_E_NS1_11comp_targetILNS1_3genE2ELNS1_11target_archE906ELNS1_3gpuE6ELNS1_3repE0EEENS1_30default_config_static_selectorELNS0_4arch9wavefront6targetE1EEEvT1_.uses_flat_scratch, 0
	.set _ZN7rocprim17ROCPRIM_400000_NS6detail17trampoline_kernelINS0_14default_configENS1_25transform_config_selectorIiLb0EEEZNS1_14transform_implILb0ES3_S5_NS0_18transform_iteratorINS0_17counting_iteratorImlEEZNS1_24adjacent_difference_implIS3_Lb1ELb0EPiN6thrust23THRUST_200600_302600_NS16discard_iteratorINSD_11use_defaultEEENSD_5minusIiEEEE10hipError_tPvRmT2_T3_mT4_P12ihipStream_tbEUlmE_iEESB_NS0_8identityIvEEEESJ_SM_SN_mSO_SQ_bEUlT_E_NS1_11comp_targetILNS1_3genE2ELNS1_11target_archE906ELNS1_3gpuE6ELNS1_3repE0EEENS1_30default_config_static_selectorELNS0_4arch9wavefront6targetE1EEEvT1_.has_dyn_sized_stack, 0
	.set _ZN7rocprim17ROCPRIM_400000_NS6detail17trampoline_kernelINS0_14default_configENS1_25transform_config_selectorIiLb0EEEZNS1_14transform_implILb0ES3_S5_NS0_18transform_iteratorINS0_17counting_iteratorImlEEZNS1_24adjacent_difference_implIS3_Lb1ELb0EPiN6thrust23THRUST_200600_302600_NS16discard_iteratorINSD_11use_defaultEEENSD_5minusIiEEEE10hipError_tPvRmT2_T3_mT4_P12ihipStream_tbEUlmE_iEESB_NS0_8identityIvEEEESJ_SM_SN_mSO_SQ_bEUlT_E_NS1_11comp_targetILNS1_3genE2ELNS1_11target_archE906ELNS1_3gpuE6ELNS1_3repE0EEENS1_30default_config_static_selectorELNS0_4arch9wavefront6targetE1EEEvT1_.has_recursion, 0
	.set _ZN7rocprim17ROCPRIM_400000_NS6detail17trampoline_kernelINS0_14default_configENS1_25transform_config_selectorIiLb0EEEZNS1_14transform_implILb0ES3_S5_NS0_18transform_iteratorINS0_17counting_iteratorImlEEZNS1_24adjacent_difference_implIS3_Lb1ELb0EPiN6thrust23THRUST_200600_302600_NS16discard_iteratorINSD_11use_defaultEEENSD_5minusIiEEEE10hipError_tPvRmT2_T3_mT4_P12ihipStream_tbEUlmE_iEESB_NS0_8identityIvEEEESJ_SM_SN_mSO_SQ_bEUlT_E_NS1_11comp_targetILNS1_3genE2ELNS1_11target_archE906ELNS1_3gpuE6ELNS1_3repE0EEENS1_30default_config_static_selectorELNS0_4arch9wavefront6targetE1EEEvT1_.has_indirect_call, 0
	.section	.AMDGPU.csdata,"",@progbits
; Kernel info:
; codeLenInByte = 584
; TotalNumSgprs: 22
; NumVgprs: 7
; ScratchSize: 0
; MemoryBound: 0
; FloatMode: 240
; IeeeMode: 1
; LDSByteSize: 0 bytes/workgroup (compile time only)
; SGPRBlocks: 2
; VGPRBlocks: 1
; NumSGPRsForWavesPerEU: 22
; NumVGPRsForWavesPerEU: 7
; Occupancy: 10
; WaveLimiterHint : 0
; COMPUTE_PGM_RSRC2:SCRATCH_EN: 0
; COMPUTE_PGM_RSRC2:USER_SGPR: 6
; COMPUTE_PGM_RSRC2:TRAP_HANDLER: 0
; COMPUTE_PGM_RSRC2:TGID_X_EN: 1
; COMPUTE_PGM_RSRC2:TGID_Y_EN: 0
; COMPUTE_PGM_RSRC2:TGID_Z_EN: 0
; COMPUTE_PGM_RSRC2:TIDIG_COMP_CNT: 0
	.section	.text._ZN7rocprim17ROCPRIM_400000_NS6detail17trampoline_kernelINS0_14default_configENS1_25transform_config_selectorIiLb0EEEZNS1_14transform_implILb0ES3_S5_NS0_18transform_iteratorINS0_17counting_iteratorImlEEZNS1_24adjacent_difference_implIS3_Lb1ELb0EPiN6thrust23THRUST_200600_302600_NS16discard_iteratorINSD_11use_defaultEEENSD_5minusIiEEEE10hipError_tPvRmT2_T3_mT4_P12ihipStream_tbEUlmE_iEESB_NS0_8identityIvEEEESJ_SM_SN_mSO_SQ_bEUlT_E_NS1_11comp_targetILNS1_3genE10ELNS1_11target_archE1201ELNS1_3gpuE5ELNS1_3repE0EEENS1_30default_config_static_selectorELNS0_4arch9wavefront6targetE1EEEvT1_,"axG",@progbits,_ZN7rocprim17ROCPRIM_400000_NS6detail17trampoline_kernelINS0_14default_configENS1_25transform_config_selectorIiLb0EEEZNS1_14transform_implILb0ES3_S5_NS0_18transform_iteratorINS0_17counting_iteratorImlEEZNS1_24adjacent_difference_implIS3_Lb1ELb0EPiN6thrust23THRUST_200600_302600_NS16discard_iteratorINSD_11use_defaultEEENSD_5minusIiEEEE10hipError_tPvRmT2_T3_mT4_P12ihipStream_tbEUlmE_iEESB_NS0_8identityIvEEEESJ_SM_SN_mSO_SQ_bEUlT_E_NS1_11comp_targetILNS1_3genE10ELNS1_11target_archE1201ELNS1_3gpuE5ELNS1_3repE0EEENS1_30default_config_static_selectorELNS0_4arch9wavefront6targetE1EEEvT1_,comdat
	.protected	_ZN7rocprim17ROCPRIM_400000_NS6detail17trampoline_kernelINS0_14default_configENS1_25transform_config_selectorIiLb0EEEZNS1_14transform_implILb0ES3_S5_NS0_18transform_iteratorINS0_17counting_iteratorImlEEZNS1_24adjacent_difference_implIS3_Lb1ELb0EPiN6thrust23THRUST_200600_302600_NS16discard_iteratorINSD_11use_defaultEEENSD_5minusIiEEEE10hipError_tPvRmT2_T3_mT4_P12ihipStream_tbEUlmE_iEESB_NS0_8identityIvEEEESJ_SM_SN_mSO_SQ_bEUlT_E_NS1_11comp_targetILNS1_3genE10ELNS1_11target_archE1201ELNS1_3gpuE5ELNS1_3repE0EEENS1_30default_config_static_selectorELNS0_4arch9wavefront6targetE1EEEvT1_ ; -- Begin function _ZN7rocprim17ROCPRIM_400000_NS6detail17trampoline_kernelINS0_14default_configENS1_25transform_config_selectorIiLb0EEEZNS1_14transform_implILb0ES3_S5_NS0_18transform_iteratorINS0_17counting_iteratorImlEEZNS1_24adjacent_difference_implIS3_Lb1ELb0EPiN6thrust23THRUST_200600_302600_NS16discard_iteratorINSD_11use_defaultEEENSD_5minusIiEEEE10hipError_tPvRmT2_T3_mT4_P12ihipStream_tbEUlmE_iEESB_NS0_8identityIvEEEESJ_SM_SN_mSO_SQ_bEUlT_E_NS1_11comp_targetILNS1_3genE10ELNS1_11target_archE1201ELNS1_3gpuE5ELNS1_3repE0EEENS1_30default_config_static_selectorELNS0_4arch9wavefront6targetE1EEEvT1_
	.globl	_ZN7rocprim17ROCPRIM_400000_NS6detail17trampoline_kernelINS0_14default_configENS1_25transform_config_selectorIiLb0EEEZNS1_14transform_implILb0ES3_S5_NS0_18transform_iteratorINS0_17counting_iteratorImlEEZNS1_24adjacent_difference_implIS3_Lb1ELb0EPiN6thrust23THRUST_200600_302600_NS16discard_iteratorINSD_11use_defaultEEENSD_5minusIiEEEE10hipError_tPvRmT2_T3_mT4_P12ihipStream_tbEUlmE_iEESB_NS0_8identityIvEEEESJ_SM_SN_mSO_SQ_bEUlT_E_NS1_11comp_targetILNS1_3genE10ELNS1_11target_archE1201ELNS1_3gpuE5ELNS1_3repE0EEENS1_30default_config_static_selectorELNS0_4arch9wavefront6targetE1EEEvT1_
	.p2align	8
	.type	_ZN7rocprim17ROCPRIM_400000_NS6detail17trampoline_kernelINS0_14default_configENS1_25transform_config_selectorIiLb0EEEZNS1_14transform_implILb0ES3_S5_NS0_18transform_iteratorINS0_17counting_iteratorImlEEZNS1_24adjacent_difference_implIS3_Lb1ELb0EPiN6thrust23THRUST_200600_302600_NS16discard_iteratorINSD_11use_defaultEEENSD_5minusIiEEEE10hipError_tPvRmT2_T3_mT4_P12ihipStream_tbEUlmE_iEESB_NS0_8identityIvEEEESJ_SM_SN_mSO_SQ_bEUlT_E_NS1_11comp_targetILNS1_3genE10ELNS1_11target_archE1201ELNS1_3gpuE5ELNS1_3repE0EEENS1_30default_config_static_selectorELNS0_4arch9wavefront6targetE1EEEvT1_,@function
_ZN7rocprim17ROCPRIM_400000_NS6detail17trampoline_kernelINS0_14default_configENS1_25transform_config_selectorIiLb0EEEZNS1_14transform_implILb0ES3_S5_NS0_18transform_iteratorINS0_17counting_iteratorImlEEZNS1_24adjacent_difference_implIS3_Lb1ELb0EPiN6thrust23THRUST_200600_302600_NS16discard_iteratorINSD_11use_defaultEEENSD_5minusIiEEEE10hipError_tPvRmT2_T3_mT4_P12ihipStream_tbEUlmE_iEESB_NS0_8identityIvEEEESJ_SM_SN_mSO_SQ_bEUlT_E_NS1_11comp_targetILNS1_3genE10ELNS1_11target_archE1201ELNS1_3gpuE5ELNS1_3repE0EEENS1_30default_config_static_selectorELNS0_4arch9wavefront6targetE1EEEvT1_: ; @_ZN7rocprim17ROCPRIM_400000_NS6detail17trampoline_kernelINS0_14default_configENS1_25transform_config_selectorIiLb0EEEZNS1_14transform_implILb0ES3_S5_NS0_18transform_iteratorINS0_17counting_iteratorImlEEZNS1_24adjacent_difference_implIS3_Lb1ELb0EPiN6thrust23THRUST_200600_302600_NS16discard_iteratorINSD_11use_defaultEEENSD_5minusIiEEEE10hipError_tPvRmT2_T3_mT4_P12ihipStream_tbEUlmE_iEESB_NS0_8identityIvEEEESJ_SM_SN_mSO_SQ_bEUlT_E_NS1_11comp_targetILNS1_3genE10ELNS1_11target_archE1201ELNS1_3gpuE5ELNS1_3repE0EEENS1_30default_config_static_selectorELNS0_4arch9wavefront6targetE1EEEvT1_
; %bb.0:
	.section	.rodata,"a",@progbits
	.p2align	6, 0x0
	.amdhsa_kernel _ZN7rocprim17ROCPRIM_400000_NS6detail17trampoline_kernelINS0_14default_configENS1_25transform_config_selectorIiLb0EEEZNS1_14transform_implILb0ES3_S5_NS0_18transform_iteratorINS0_17counting_iteratorImlEEZNS1_24adjacent_difference_implIS3_Lb1ELb0EPiN6thrust23THRUST_200600_302600_NS16discard_iteratorINSD_11use_defaultEEENSD_5minusIiEEEE10hipError_tPvRmT2_T3_mT4_P12ihipStream_tbEUlmE_iEESB_NS0_8identityIvEEEESJ_SM_SN_mSO_SQ_bEUlT_E_NS1_11comp_targetILNS1_3genE10ELNS1_11target_archE1201ELNS1_3gpuE5ELNS1_3repE0EEENS1_30default_config_static_selectorELNS0_4arch9wavefront6targetE1EEEvT1_
		.amdhsa_group_segment_fixed_size 0
		.amdhsa_private_segment_fixed_size 0
		.amdhsa_kernarg_size 56
		.amdhsa_user_sgpr_count 6
		.amdhsa_user_sgpr_private_segment_buffer 1
		.amdhsa_user_sgpr_dispatch_ptr 0
		.amdhsa_user_sgpr_queue_ptr 0
		.amdhsa_user_sgpr_kernarg_segment_ptr 1
		.amdhsa_user_sgpr_dispatch_id 0
		.amdhsa_user_sgpr_flat_scratch_init 0
		.amdhsa_user_sgpr_private_segment_size 0
		.amdhsa_uses_dynamic_stack 0
		.amdhsa_system_sgpr_private_segment_wavefront_offset 0
		.amdhsa_system_sgpr_workgroup_id_x 1
		.amdhsa_system_sgpr_workgroup_id_y 0
		.amdhsa_system_sgpr_workgroup_id_z 0
		.amdhsa_system_sgpr_workgroup_info 0
		.amdhsa_system_vgpr_workitem_id 0
		.amdhsa_next_free_vgpr 1
		.amdhsa_next_free_sgpr 0
		.amdhsa_reserve_vcc 0
		.amdhsa_reserve_flat_scratch 0
		.amdhsa_float_round_mode_32 0
		.amdhsa_float_round_mode_16_64 0
		.amdhsa_float_denorm_mode_32 3
		.amdhsa_float_denorm_mode_16_64 3
		.amdhsa_dx10_clamp 1
		.amdhsa_ieee_mode 1
		.amdhsa_fp16_overflow 0
		.amdhsa_exception_fp_ieee_invalid_op 0
		.amdhsa_exception_fp_denorm_src 0
		.amdhsa_exception_fp_ieee_div_zero 0
		.amdhsa_exception_fp_ieee_overflow 0
		.amdhsa_exception_fp_ieee_underflow 0
		.amdhsa_exception_fp_ieee_inexact 0
		.amdhsa_exception_int_div_zero 0
	.end_amdhsa_kernel
	.section	.text._ZN7rocprim17ROCPRIM_400000_NS6detail17trampoline_kernelINS0_14default_configENS1_25transform_config_selectorIiLb0EEEZNS1_14transform_implILb0ES3_S5_NS0_18transform_iteratorINS0_17counting_iteratorImlEEZNS1_24adjacent_difference_implIS3_Lb1ELb0EPiN6thrust23THRUST_200600_302600_NS16discard_iteratorINSD_11use_defaultEEENSD_5minusIiEEEE10hipError_tPvRmT2_T3_mT4_P12ihipStream_tbEUlmE_iEESB_NS0_8identityIvEEEESJ_SM_SN_mSO_SQ_bEUlT_E_NS1_11comp_targetILNS1_3genE10ELNS1_11target_archE1201ELNS1_3gpuE5ELNS1_3repE0EEENS1_30default_config_static_selectorELNS0_4arch9wavefront6targetE1EEEvT1_,"axG",@progbits,_ZN7rocprim17ROCPRIM_400000_NS6detail17trampoline_kernelINS0_14default_configENS1_25transform_config_selectorIiLb0EEEZNS1_14transform_implILb0ES3_S5_NS0_18transform_iteratorINS0_17counting_iteratorImlEEZNS1_24adjacent_difference_implIS3_Lb1ELb0EPiN6thrust23THRUST_200600_302600_NS16discard_iteratorINSD_11use_defaultEEENSD_5minusIiEEEE10hipError_tPvRmT2_T3_mT4_P12ihipStream_tbEUlmE_iEESB_NS0_8identityIvEEEESJ_SM_SN_mSO_SQ_bEUlT_E_NS1_11comp_targetILNS1_3genE10ELNS1_11target_archE1201ELNS1_3gpuE5ELNS1_3repE0EEENS1_30default_config_static_selectorELNS0_4arch9wavefront6targetE1EEEvT1_,comdat
.Lfunc_end880:
	.size	_ZN7rocprim17ROCPRIM_400000_NS6detail17trampoline_kernelINS0_14default_configENS1_25transform_config_selectorIiLb0EEEZNS1_14transform_implILb0ES3_S5_NS0_18transform_iteratorINS0_17counting_iteratorImlEEZNS1_24adjacent_difference_implIS3_Lb1ELb0EPiN6thrust23THRUST_200600_302600_NS16discard_iteratorINSD_11use_defaultEEENSD_5minusIiEEEE10hipError_tPvRmT2_T3_mT4_P12ihipStream_tbEUlmE_iEESB_NS0_8identityIvEEEESJ_SM_SN_mSO_SQ_bEUlT_E_NS1_11comp_targetILNS1_3genE10ELNS1_11target_archE1201ELNS1_3gpuE5ELNS1_3repE0EEENS1_30default_config_static_selectorELNS0_4arch9wavefront6targetE1EEEvT1_, .Lfunc_end880-_ZN7rocprim17ROCPRIM_400000_NS6detail17trampoline_kernelINS0_14default_configENS1_25transform_config_selectorIiLb0EEEZNS1_14transform_implILb0ES3_S5_NS0_18transform_iteratorINS0_17counting_iteratorImlEEZNS1_24adjacent_difference_implIS3_Lb1ELb0EPiN6thrust23THRUST_200600_302600_NS16discard_iteratorINSD_11use_defaultEEENSD_5minusIiEEEE10hipError_tPvRmT2_T3_mT4_P12ihipStream_tbEUlmE_iEESB_NS0_8identityIvEEEESJ_SM_SN_mSO_SQ_bEUlT_E_NS1_11comp_targetILNS1_3genE10ELNS1_11target_archE1201ELNS1_3gpuE5ELNS1_3repE0EEENS1_30default_config_static_selectorELNS0_4arch9wavefront6targetE1EEEvT1_
                                        ; -- End function
	.set _ZN7rocprim17ROCPRIM_400000_NS6detail17trampoline_kernelINS0_14default_configENS1_25transform_config_selectorIiLb0EEEZNS1_14transform_implILb0ES3_S5_NS0_18transform_iteratorINS0_17counting_iteratorImlEEZNS1_24adjacent_difference_implIS3_Lb1ELb0EPiN6thrust23THRUST_200600_302600_NS16discard_iteratorINSD_11use_defaultEEENSD_5minusIiEEEE10hipError_tPvRmT2_T3_mT4_P12ihipStream_tbEUlmE_iEESB_NS0_8identityIvEEEESJ_SM_SN_mSO_SQ_bEUlT_E_NS1_11comp_targetILNS1_3genE10ELNS1_11target_archE1201ELNS1_3gpuE5ELNS1_3repE0EEENS1_30default_config_static_selectorELNS0_4arch9wavefront6targetE1EEEvT1_.num_vgpr, 0
	.set _ZN7rocprim17ROCPRIM_400000_NS6detail17trampoline_kernelINS0_14default_configENS1_25transform_config_selectorIiLb0EEEZNS1_14transform_implILb0ES3_S5_NS0_18transform_iteratorINS0_17counting_iteratorImlEEZNS1_24adjacent_difference_implIS3_Lb1ELb0EPiN6thrust23THRUST_200600_302600_NS16discard_iteratorINSD_11use_defaultEEENSD_5minusIiEEEE10hipError_tPvRmT2_T3_mT4_P12ihipStream_tbEUlmE_iEESB_NS0_8identityIvEEEESJ_SM_SN_mSO_SQ_bEUlT_E_NS1_11comp_targetILNS1_3genE10ELNS1_11target_archE1201ELNS1_3gpuE5ELNS1_3repE0EEENS1_30default_config_static_selectorELNS0_4arch9wavefront6targetE1EEEvT1_.num_agpr, 0
	.set _ZN7rocprim17ROCPRIM_400000_NS6detail17trampoline_kernelINS0_14default_configENS1_25transform_config_selectorIiLb0EEEZNS1_14transform_implILb0ES3_S5_NS0_18transform_iteratorINS0_17counting_iteratorImlEEZNS1_24adjacent_difference_implIS3_Lb1ELb0EPiN6thrust23THRUST_200600_302600_NS16discard_iteratorINSD_11use_defaultEEENSD_5minusIiEEEE10hipError_tPvRmT2_T3_mT4_P12ihipStream_tbEUlmE_iEESB_NS0_8identityIvEEEESJ_SM_SN_mSO_SQ_bEUlT_E_NS1_11comp_targetILNS1_3genE10ELNS1_11target_archE1201ELNS1_3gpuE5ELNS1_3repE0EEENS1_30default_config_static_selectorELNS0_4arch9wavefront6targetE1EEEvT1_.numbered_sgpr, 0
	.set _ZN7rocprim17ROCPRIM_400000_NS6detail17trampoline_kernelINS0_14default_configENS1_25transform_config_selectorIiLb0EEEZNS1_14transform_implILb0ES3_S5_NS0_18transform_iteratorINS0_17counting_iteratorImlEEZNS1_24adjacent_difference_implIS3_Lb1ELb0EPiN6thrust23THRUST_200600_302600_NS16discard_iteratorINSD_11use_defaultEEENSD_5minusIiEEEE10hipError_tPvRmT2_T3_mT4_P12ihipStream_tbEUlmE_iEESB_NS0_8identityIvEEEESJ_SM_SN_mSO_SQ_bEUlT_E_NS1_11comp_targetILNS1_3genE10ELNS1_11target_archE1201ELNS1_3gpuE5ELNS1_3repE0EEENS1_30default_config_static_selectorELNS0_4arch9wavefront6targetE1EEEvT1_.num_named_barrier, 0
	.set _ZN7rocprim17ROCPRIM_400000_NS6detail17trampoline_kernelINS0_14default_configENS1_25transform_config_selectorIiLb0EEEZNS1_14transform_implILb0ES3_S5_NS0_18transform_iteratorINS0_17counting_iteratorImlEEZNS1_24adjacent_difference_implIS3_Lb1ELb0EPiN6thrust23THRUST_200600_302600_NS16discard_iteratorINSD_11use_defaultEEENSD_5minusIiEEEE10hipError_tPvRmT2_T3_mT4_P12ihipStream_tbEUlmE_iEESB_NS0_8identityIvEEEESJ_SM_SN_mSO_SQ_bEUlT_E_NS1_11comp_targetILNS1_3genE10ELNS1_11target_archE1201ELNS1_3gpuE5ELNS1_3repE0EEENS1_30default_config_static_selectorELNS0_4arch9wavefront6targetE1EEEvT1_.private_seg_size, 0
	.set _ZN7rocprim17ROCPRIM_400000_NS6detail17trampoline_kernelINS0_14default_configENS1_25transform_config_selectorIiLb0EEEZNS1_14transform_implILb0ES3_S5_NS0_18transform_iteratorINS0_17counting_iteratorImlEEZNS1_24adjacent_difference_implIS3_Lb1ELb0EPiN6thrust23THRUST_200600_302600_NS16discard_iteratorINSD_11use_defaultEEENSD_5minusIiEEEE10hipError_tPvRmT2_T3_mT4_P12ihipStream_tbEUlmE_iEESB_NS0_8identityIvEEEESJ_SM_SN_mSO_SQ_bEUlT_E_NS1_11comp_targetILNS1_3genE10ELNS1_11target_archE1201ELNS1_3gpuE5ELNS1_3repE0EEENS1_30default_config_static_selectorELNS0_4arch9wavefront6targetE1EEEvT1_.uses_vcc, 0
	.set _ZN7rocprim17ROCPRIM_400000_NS6detail17trampoline_kernelINS0_14default_configENS1_25transform_config_selectorIiLb0EEEZNS1_14transform_implILb0ES3_S5_NS0_18transform_iteratorINS0_17counting_iteratorImlEEZNS1_24adjacent_difference_implIS3_Lb1ELb0EPiN6thrust23THRUST_200600_302600_NS16discard_iteratorINSD_11use_defaultEEENSD_5minusIiEEEE10hipError_tPvRmT2_T3_mT4_P12ihipStream_tbEUlmE_iEESB_NS0_8identityIvEEEESJ_SM_SN_mSO_SQ_bEUlT_E_NS1_11comp_targetILNS1_3genE10ELNS1_11target_archE1201ELNS1_3gpuE5ELNS1_3repE0EEENS1_30default_config_static_selectorELNS0_4arch9wavefront6targetE1EEEvT1_.uses_flat_scratch, 0
	.set _ZN7rocprim17ROCPRIM_400000_NS6detail17trampoline_kernelINS0_14default_configENS1_25transform_config_selectorIiLb0EEEZNS1_14transform_implILb0ES3_S5_NS0_18transform_iteratorINS0_17counting_iteratorImlEEZNS1_24adjacent_difference_implIS3_Lb1ELb0EPiN6thrust23THRUST_200600_302600_NS16discard_iteratorINSD_11use_defaultEEENSD_5minusIiEEEE10hipError_tPvRmT2_T3_mT4_P12ihipStream_tbEUlmE_iEESB_NS0_8identityIvEEEESJ_SM_SN_mSO_SQ_bEUlT_E_NS1_11comp_targetILNS1_3genE10ELNS1_11target_archE1201ELNS1_3gpuE5ELNS1_3repE0EEENS1_30default_config_static_selectorELNS0_4arch9wavefront6targetE1EEEvT1_.has_dyn_sized_stack, 0
	.set _ZN7rocprim17ROCPRIM_400000_NS6detail17trampoline_kernelINS0_14default_configENS1_25transform_config_selectorIiLb0EEEZNS1_14transform_implILb0ES3_S5_NS0_18transform_iteratorINS0_17counting_iteratorImlEEZNS1_24adjacent_difference_implIS3_Lb1ELb0EPiN6thrust23THRUST_200600_302600_NS16discard_iteratorINSD_11use_defaultEEENSD_5minusIiEEEE10hipError_tPvRmT2_T3_mT4_P12ihipStream_tbEUlmE_iEESB_NS0_8identityIvEEEESJ_SM_SN_mSO_SQ_bEUlT_E_NS1_11comp_targetILNS1_3genE10ELNS1_11target_archE1201ELNS1_3gpuE5ELNS1_3repE0EEENS1_30default_config_static_selectorELNS0_4arch9wavefront6targetE1EEEvT1_.has_recursion, 0
	.set _ZN7rocprim17ROCPRIM_400000_NS6detail17trampoline_kernelINS0_14default_configENS1_25transform_config_selectorIiLb0EEEZNS1_14transform_implILb0ES3_S5_NS0_18transform_iteratorINS0_17counting_iteratorImlEEZNS1_24adjacent_difference_implIS3_Lb1ELb0EPiN6thrust23THRUST_200600_302600_NS16discard_iteratorINSD_11use_defaultEEENSD_5minusIiEEEE10hipError_tPvRmT2_T3_mT4_P12ihipStream_tbEUlmE_iEESB_NS0_8identityIvEEEESJ_SM_SN_mSO_SQ_bEUlT_E_NS1_11comp_targetILNS1_3genE10ELNS1_11target_archE1201ELNS1_3gpuE5ELNS1_3repE0EEENS1_30default_config_static_selectorELNS0_4arch9wavefront6targetE1EEEvT1_.has_indirect_call, 0
	.section	.AMDGPU.csdata,"",@progbits
; Kernel info:
; codeLenInByte = 0
; TotalNumSgprs: 4
; NumVgprs: 0
; ScratchSize: 0
; MemoryBound: 0
; FloatMode: 240
; IeeeMode: 1
; LDSByteSize: 0 bytes/workgroup (compile time only)
; SGPRBlocks: 0
; VGPRBlocks: 0
; NumSGPRsForWavesPerEU: 4
; NumVGPRsForWavesPerEU: 1
; Occupancy: 10
; WaveLimiterHint : 0
; COMPUTE_PGM_RSRC2:SCRATCH_EN: 0
; COMPUTE_PGM_RSRC2:USER_SGPR: 6
; COMPUTE_PGM_RSRC2:TRAP_HANDLER: 0
; COMPUTE_PGM_RSRC2:TGID_X_EN: 1
; COMPUTE_PGM_RSRC2:TGID_Y_EN: 0
; COMPUTE_PGM_RSRC2:TGID_Z_EN: 0
; COMPUTE_PGM_RSRC2:TIDIG_COMP_CNT: 0
	.section	.text._ZN7rocprim17ROCPRIM_400000_NS6detail17trampoline_kernelINS0_14default_configENS1_25transform_config_selectorIiLb0EEEZNS1_14transform_implILb0ES3_S5_NS0_18transform_iteratorINS0_17counting_iteratorImlEEZNS1_24adjacent_difference_implIS3_Lb1ELb0EPiN6thrust23THRUST_200600_302600_NS16discard_iteratorINSD_11use_defaultEEENSD_5minusIiEEEE10hipError_tPvRmT2_T3_mT4_P12ihipStream_tbEUlmE_iEESB_NS0_8identityIvEEEESJ_SM_SN_mSO_SQ_bEUlT_E_NS1_11comp_targetILNS1_3genE10ELNS1_11target_archE1200ELNS1_3gpuE4ELNS1_3repE0EEENS1_30default_config_static_selectorELNS0_4arch9wavefront6targetE1EEEvT1_,"axG",@progbits,_ZN7rocprim17ROCPRIM_400000_NS6detail17trampoline_kernelINS0_14default_configENS1_25transform_config_selectorIiLb0EEEZNS1_14transform_implILb0ES3_S5_NS0_18transform_iteratorINS0_17counting_iteratorImlEEZNS1_24adjacent_difference_implIS3_Lb1ELb0EPiN6thrust23THRUST_200600_302600_NS16discard_iteratorINSD_11use_defaultEEENSD_5minusIiEEEE10hipError_tPvRmT2_T3_mT4_P12ihipStream_tbEUlmE_iEESB_NS0_8identityIvEEEESJ_SM_SN_mSO_SQ_bEUlT_E_NS1_11comp_targetILNS1_3genE10ELNS1_11target_archE1200ELNS1_3gpuE4ELNS1_3repE0EEENS1_30default_config_static_selectorELNS0_4arch9wavefront6targetE1EEEvT1_,comdat
	.protected	_ZN7rocprim17ROCPRIM_400000_NS6detail17trampoline_kernelINS0_14default_configENS1_25transform_config_selectorIiLb0EEEZNS1_14transform_implILb0ES3_S5_NS0_18transform_iteratorINS0_17counting_iteratorImlEEZNS1_24adjacent_difference_implIS3_Lb1ELb0EPiN6thrust23THRUST_200600_302600_NS16discard_iteratorINSD_11use_defaultEEENSD_5minusIiEEEE10hipError_tPvRmT2_T3_mT4_P12ihipStream_tbEUlmE_iEESB_NS0_8identityIvEEEESJ_SM_SN_mSO_SQ_bEUlT_E_NS1_11comp_targetILNS1_3genE10ELNS1_11target_archE1200ELNS1_3gpuE4ELNS1_3repE0EEENS1_30default_config_static_selectorELNS0_4arch9wavefront6targetE1EEEvT1_ ; -- Begin function _ZN7rocprim17ROCPRIM_400000_NS6detail17trampoline_kernelINS0_14default_configENS1_25transform_config_selectorIiLb0EEEZNS1_14transform_implILb0ES3_S5_NS0_18transform_iteratorINS0_17counting_iteratorImlEEZNS1_24adjacent_difference_implIS3_Lb1ELb0EPiN6thrust23THRUST_200600_302600_NS16discard_iteratorINSD_11use_defaultEEENSD_5minusIiEEEE10hipError_tPvRmT2_T3_mT4_P12ihipStream_tbEUlmE_iEESB_NS0_8identityIvEEEESJ_SM_SN_mSO_SQ_bEUlT_E_NS1_11comp_targetILNS1_3genE10ELNS1_11target_archE1200ELNS1_3gpuE4ELNS1_3repE0EEENS1_30default_config_static_selectorELNS0_4arch9wavefront6targetE1EEEvT1_
	.globl	_ZN7rocprim17ROCPRIM_400000_NS6detail17trampoline_kernelINS0_14default_configENS1_25transform_config_selectorIiLb0EEEZNS1_14transform_implILb0ES3_S5_NS0_18transform_iteratorINS0_17counting_iteratorImlEEZNS1_24adjacent_difference_implIS3_Lb1ELb0EPiN6thrust23THRUST_200600_302600_NS16discard_iteratorINSD_11use_defaultEEENSD_5minusIiEEEE10hipError_tPvRmT2_T3_mT4_P12ihipStream_tbEUlmE_iEESB_NS0_8identityIvEEEESJ_SM_SN_mSO_SQ_bEUlT_E_NS1_11comp_targetILNS1_3genE10ELNS1_11target_archE1200ELNS1_3gpuE4ELNS1_3repE0EEENS1_30default_config_static_selectorELNS0_4arch9wavefront6targetE1EEEvT1_
	.p2align	8
	.type	_ZN7rocprim17ROCPRIM_400000_NS6detail17trampoline_kernelINS0_14default_configENS1_25transform_config_selectorIiLb0EEEZNS1_14transform_implILb0ES3_S5_NS0_18transform_iteratorINS0_17counting_iteratorImlEEZNS1_24adjacent_difference_implIS3_Lb1ELb0EPiN6thrust23THRUST_200600_302600_NS16discard_iteratorINSD_11use_defaultEEENSD_5minusIiEEEE10hipError_tPvRmT2_T3_mT4_P12ihipStream_tbEUlmE_iEESB_NS0_8identityIvEEEESJ_SM_SN_mSO_SQ_bEUlT_E_NS1_11comp_targetILNS1_3genE10ELNS1_11target_archE1200ELNS1_3gpuE4ELNS1_3repE0EEENS1_30default_config_static_selectorELNS0_4arch9wavefront6targetE1EEEvT1_,@function
_ZN7rocprim17ROCPRIM_400000_NS6detail17trampoline_kernelINS0_14default_configENS1_25transform_config_selectorIiLb0EEEZNS1_14transform_implILb0ES3_S5_NS0_18transform_iteratorINS0_17counting_iteratorImlEEZNS1_24adjacent_difference_implIS3_Lb1ELb0EPiN6thrust23THRUST_200600_302600_NS16discard_iteratorINSD_11use_defaultEEENSD_5minusIiEEEE10hipError_tPvRmT2_T3_mT4_P12ihipStream_tbEUlmE_iEESB_NS0_8identityIvEEEESJ_SM_SN_mSO_SQ_bEUlT_E_NS1_11comp_targetILNS1_3genE10ELNS1_11target_archE1200ELNS1_3gpuE4ELNS1_3repE0EEENS1_30default_config_static_selectorELNS0_4arch9wavefront6targetE1EEEvT1_: ; @_ZN7rocprim17ROCPRIM_400000_NS6detail17trampoline_kernelINS0_14default_configENS1_25transform_config_selectorIiLb0EEEZNS1_14transform_implILb0ES3_S5_NS0_18transform_iteratorINS0_17counting_iteratorImlEEZNS1_24adjacent_difference_implIS3_Lb1ELb0EPiN6thrust23THRUST_200600_302600_NS16discard_iteratorINSD_11use_defaultEEENSD_5minusIiEEEE10hipError_tPvRmT2_T3_mT4_P12ihipStream_tbEUlmE_iEESB_NS0_8identityIvEEEESJ_SM_SN_mSO_SQ_bEUlT_E_NS1_11comp_targetILNS1_3genE10ELNS1_11target_archE1200ELNS1_3gpuE4ELNS1_3repE0EEENS1_30default_config_static_selectorELNS0_4arch9wavefront6targetE1EEEvT1_
; %bb.0:
	.section	.rodata,"a",@progbits
	.p2align	6, 0x0
	.amdhsa_kernel _ZN7rocprim17ROCPRIM_400000_NS6detail17trampoline_kernelINS0_14default_configENS1_25transform_config_selectorIiLb0EEEZNS1_14transform_implILb0ES3_S5_NS0_18transform_iteratorINS0_17counting_iteratorImlEEZNS1_24adjacent_difference_implIS3_Lb1ELb0EPiN6thrust23THRUST_200600_302600_NS16discard_iteratorINSD_11use_defaultEEENSD_5minusIiEEEE10hipError_tPvRmT2_T3_mT4_P12ihipStream_tbEUlmE_iEESB_NS0_8identityIvEEEESJ_SM_SN_mSO_SQ_bEUlT_E_NS1_11comp_targetILNS1_3genE10ELNS1_11target_archE1200ELNS1_3gpuE4ELNS1_3repE0EEENS1_30default_config_static_selectorELNS0_4arch9wavefront6targetE1EEEvT1_
		.amdhsa_group_segment_fixed_size 0
		.amdhsa_private_segment_fixed_size 0
		.amdhsa_kernarg_size 56
		.amdhsa_user_sgpr_count 6
		.amdhsa_user_sgpr_private_segment_buffer 1
		.amdhsa_user_sgpr_dispatch_ptr 0
		.amdhsa_user_sgpr_queue_ptr 0
		.amdhsa_user_sgpr_kernarg_segment_ptr 1
		.amdhsa_user_sgpr_dispatch_id 0
		.amdhsa_user_sgpr_flat_scratch_init 0
		.amdhsa_user_sgpr_private_segment_size 0
		.amdhsa_uses_dynamic_stack 0
		.amdhsa_system_sgpr_private_segment_wavefront_offset 0
		.amdhsa_system_sgpr_workgroup_id_x 1
		.amdhsa_system_sgpr_workgroup_id_y 0
		.amdhsa_system_sgpr_workgroup_id_z 0
		.amdhsa_system_sgpr_workgroup_info 0
		.amdhsa_system_vgpr_workitem_id 0
		.amdhsa_next_free_vgpr 1
		.amdhsa_next_free_sgpr 0
		.amdhsa_reserve_vcc 0
		.amdhsa_reserve_flat_scratch 0
		.amdhsa_float_round_mode_32 0
		.amdhsa_float_round_mode_16_64 0
		.amdhsa_float_denorm_mode_32 3
		.amdhsa_float_denorm_mode_16_64 3
		.amdhsa_dx10_clamp 1
		.amdhsa_ieee_mode 1
		.amdhsa_fp16_overflow 0
		.amdhsa_exception_fp_ieee_invalid_op 0
		.amdhsa_exception_fp_denorm_src 0
		.amdhsa_exception_fp_ieee_div_zero 0
		.amdhsa_exception_fp_ieee_overflow 0
		.amdhsa_exception_fp_ieee_underflow 0
		.amdhsa_exception_fp_ieee_inexact 0
		.amdhsa_exception_int_div_zero 0
	.end_amdhsa_kernel
	.section	.text._ZN7rocprim17ROCPRIM_400000_NS6detail17trampoline_kernelINS0_14default_configENS1_25transform_config_selectorIiLb0EEEZNS1_14transform_implILb0ES3_S5_NS0_18transform_iteratorINS0_17counting_iteratorImlEEZNS1_24adjacent_difference_implIS3_Lb1ELb0EPiN6thrust23THRUST_200600_302600_NS16discard_iteratorINSD_11use_defaultEEENSD_5minusIiEEEE10hipError_tPvRmT2_T3_mT4_P12ihipStream_tbEUlmE_iEESB_NS0_8identityIvEEEESJ_SM_SN_mSO_SQ_bEUlT_E_NS1_11comp_targetILNS1_3genE10ELNS1_11target_archE1200ELNS1_3gpuE4ELNS1_3repE0EEENS1_30default_config_static_selectorELNS0_4arch9wavefront6targetE1EEEvT1_,"axG",@progbits,_ZN7rocprim17ROCPRIM_400000_NS6detail17trampoline_kernelINS0_14default_configENS1_25transform_config_selectorIiLb0EEEZNS1_14transform_implILb0ES3_S5_NS0_18transform_iteratorINS0_17counting_iteratorImlEEZNS1_24adjacent_difference_implIS3_Lb1ELb0EPiN6thrust23THRUST_200600_302600_NS16discard_iteratorINSD_11use_defaultEEENSD_5minusIiEEEE10hipError_tPvRmT2_T3_mT4_P12ihipStream_tbEUlmE_iEESB_NS0_8identityIvEEEESJ_SM_SN_mSO_SQ_bEUlT_E_NS1_11comp_targetILNS1_3genE10ELNS1_11target_archE1200ELNS1_3gpuE4ELNS1_3repE0EEENS1_30default_config_static_selectorELNS0_4arch9wavefront6targetE1EEEvT1_,comdat
.Lfunc_end881:
	.size	_ZN7rocprim17ROCPRIM_400000_NS6detail17trampoline_kernelINS0_14default_configENS1_25transform_config_selectorIiLb0EEEZNS1_14transform_implILb0ES3_S5_NS0_18transform_iteratorINS0_17counting_iteratorImlEEZNS1_24adjacent_difference_implIS3_Lb1ELb0EPiN6thrust23THRUST_200600_302600_NS16discard_iteratorINSD_11use_defaultEEENSD_5minusIiEEEE10hipError_tPvRmT2_T3_mT4_P12ihipStream_tbEUlmE_iEESB_NS0_8identityIvEEEESJ_SM_SN_mSO_SQ_bEUlT_E_NS1_11comp_targetILNS1_3genE10ELNS1_11target_archE1200ELNS1_3gpuE4ELNS1_3repE0EEENS1_30default_config_static_selectorELNS0_4arch9wavefront6targetE1EEEvT1_, .Lfunc_end881-_ZN7rocprim17ROCPRIM_400000_NS6detail17trampoline_kernelINS0_14default_configENS1_25transform_config_selectorIiLb0EEEZNS1_14transform_implILb0ES3_S5_NS0_18transform_iteratorINS0_17counting_iteratorImlEEZNS1_24adjacent_difference_implIS3_Lb1ELb0EPiN6thrust23THRUST_200600_302600_NS16discard_iteratorINSD_11use_defaultEEENSD_5minusIiEEEE10hipError_tPvRmT2_T3_mT4_P12ihipStream_tbEUlmE_iEESB_NS0_8identityIvEEEESJ_SM_SN_mSO_SQ_bEUlT_E_NS1_11comp_targetILNS1_3genE10ELNS1_11target_archE1200ELNS1_3gpuE4ELNS1_3repE0EEENS1_30default_config_static_selectorELNS0_4arch9wavefront6targetE1EEEvT1_
                                        ; -- End function
	.set _ZN7rocprim17ROCPRIM_400000_NS6detail17trampoline_kernelINS0_14default_configENS1_25transform_config_selectorIiLb0EEEZNS1_14transform_implILb0ES3_S5_NS0_18transform_iteratorINS0_17counting_iteratorImlEEZNS1_24adjacent_difference_implIS3_Lb1ELb0EPiN6thrust23THRUST_200600_302600_NS16discard_iteratorINSD_11use_defaultEEENSD_5minusIiEEEE10hipError_tPvRmT2_T3_mT4_P12ihipStream_tbEUlmE_iEESB_NS0_8identityIvEEEESJ_SM_SN_mSO_SQ_bEUlT_E_NS1_11comp_targetILNS1_3genE10ELNS1_11target_archE1200ELNS1_3gpuE4ELNS1_3repE0EEENS1_30default_config_static_selectorELNS0_4arch9wavefront6targetE1EEEvT1_.num_vgpr, 0
	.set _ZN7rocprim17ROCPRIM_400000_NS6detail17trampoline_kernelINS0_14default_configENS1_25transform_config_selectorIiLb0EEEZNS1_14transform_implILb0ES3_S5_NS0_18transform_iteratorINS0_17counting_iteratorImlEEZNS1_24adjacent_difference_implIS3_Lb1ELb0EPiN6thrust23THRUST_200600_302600_NS16discard_iteratorINSD_11use_defaultEEENSD_5minusIiEEEE10hipError_tPvRmT2_T3_mT4_P12ihipStream_tbEUlmE_iEESB_NS0_8identityIvEEEESJ_SM_SN_mSO_SQ_bEUlT_E_NS1_11comp_targetILNS1_3genE10ELNS1_11target_archE1200ELNS1_3gpuE4ELNS1_3repE0EEENS1_30default_config_static_selectorELNS0_4arch9wavefront6targetE1EEEvT1_.num_agpr, 0
	.set _ZN7rocprim17ROCPRIM_400000_NS6detail17trampoline_kernelINS0_14default_configENS1_25transform_config_selectorIiLb0EEEZNS1_14transform_implILb0ES3_S5_NS0_18transform_iteratorINS0_17counting_iteratorImlEEZNS1_24adjacent_difference_implIS3_Lb1ELb0EPiN6thrust23THRUST_200600_302600_NS16discard_iteratorINSD_11use_defaultEEENSD_5minusIiEEEE10hipError_tPvRmT2_T3_mT4_P12ihipStream_tbEUlmE_iEESB_NS0_8identityIvEEEESJ_SM_SN_mSO_SQ_bEUlT_E_NS1_11comp_targetILNS1_3genE10ELNS1_11target_archE1200ELNS1_3gpuE4ELNS1_3repE0EEENS1_30default_config_static_selectorELNS0_4arch9wavefront6targetE1EEEvT1_.numbered_sgpr, 0
	.set _ZN7rocprim17ROCPRIM_400000_NS6detail17trampoline_kernelINS0_14default_configENS1_25transform_config_selectorIiLb0EEEZNS1_14transform_implILb0ES3_S5_NS0_18transform_iteratorINS0_17counting_iteratorImlEEZNS1_24adjacent_difference_implIS3_Lb1ELb0EPiN6thrust23THRUST_200600_302600_NS16discard_iteratorINSD_11use_defaultEEENSD_5minusIiEEEE10hipError_tPvRmT2_T3_mT4_P12ihipStream_tbEUlmE_iEESB_NS0_8identityIvEEEESJ_SM_SN_mSO_SQ_bEUlT_E_NS1_11comp_targetILNS1_3genE10ELNS1_11target_archE1200ELNS1_3gpuE4ELNS1_3repE0EEENS1_30default_config_static_selectorELNS0_4arch9wavefront6targetE1EEEvT1_.num_named_barrier, 0
	.set _ZN7rocprim17ROCPRIM_400000_NS6detail17trampoline_kernelINS0_14default_configENS1_25transform_config_selectorIiLb0EEEZNS1_14transform_implILb0ES3_S5_NS0_18transform_iteratorINS0_17counting_iteratorImlEEZNS1_24adjacent_difference_implIS3_Lb1ELb0EPiN6thrust23THRUST_200600_302600_NS16discard_iteratorINSD_11use_defaultEEENSD_5minusIiEEEE10hipError_tPvRmT2_T3_mT4_P12ihipStream_tbEUlmE_iEESB_NS0_8identityIvEEEESJ_SM_SN_mSO_SQ_bEUlT_E_NS1_11comp_targetILNS1_3genE10ELNS1_11target_archE1200ELNS1_3gpuE4ELNS1_3repE0EEENS1_30default_config_static_selectorELNS0_4arch9wavefront6targetE1EEEvT1_.private_seg_size, 0
	.set _ZN7rocprim17ROCPRIM_400000_NS6detail17trampoline_kernelINS0_14default_configENS1_25transform_config_selectorIiLb0EEEZNS1_14transform_implILb0ES3_S5_NS0_18transform_iteratorINS0_17counting_iteratorImlEEZNS1_24adjacent_difference_implIS3_Lb1ELb0EPiN6thrust23THRUST_200600_302600_NS16discard_iteratorINSD_11use_defaultEEENSD_5minusIiEEEE10hipError_tPvRmT2_T3_mT4_P12ihipStream_tbEUlmE_iEESB_NS0_8identityIvEEEESJ_SM_SN_mSO_SQ_bEUlT_E_NS1_11comp_targetILNS1_3genE10ELNS1_11target_archE1200ELNS1_3gpuE4ELNS1_3repE0EEENS1_30default_config_static_selectorELNS0_4arch9wavefront6targetE1EEEvT1_.uses_vcc, 0
	.set _ZN7rocprim17ROCPRIM_400000_NS6detail17trampoline_kernelINS0_14default_configENS1_25transform_config_selectorIiLb0EEEZNS1_14transform_implILb0ES3_S5_NS0_18transform_iteratorINS0_17counting_iteratorImlEEZNS1_24adjacent_difference_implIS3_Lb1ELb0EPiN6thrust23THRUST_200600_302600_NS16discard_iteratorINSD_11use_defaultEEENSD_5minusIiEEEE10hipError_tPvRmT2_T3_mT4_P12ihipStream_tbEUlmE_iEESB_NS0_8identityIvEEEESJ_SM_SN_mSO_SQ_bEUlT_E_NS1_11comp_targetILNS1_3genE10ELNS1_11target_archE1200ELNS1_3gpuE4ELNS1_3repE0EEENS1_30default_config_static_selectorELNS0_4arch9wavefront6targetE1EEEvT1_.uses_flat_scratch, 0
	.set _ZN7rocprim17ROCPRIM_400000_NS6detail17trampoline_kernelINS0_14default_configENS1_25transform_config_selectorIiLb0EEEZNS1_14transform_implILb0ES3_S5_NS0_18transform_iteratorINS0_17counting_iteratorImlEEZNS1_24adjacent_difference_implIS3_Lb1ELb0EPiN6thrust23THRUST_200600_302600_NS16discard_iteratorINSD_11use_defaultEEENSD_5minusIiEEEE10hipError_tPvRmT2_T3_mT4_P12ihipStream_tbEUlmE_iEESB_NS0_8identityIvEEEESJ_SM_SN_mSO_SQ_bEUlT_E_NS1_11comp_targetILNS1_3genE10ELNS1_11target_archE1200ELNS1_3gpuE4ELNS1_3repE0EEENS1_30default_config_static_selectorELNS0_4arch9wavefront6targetE1EEEvT1_.has_dyn_sized_stack, 0
	.set _ZN7rocprim17ROCPRIM_400000_NS6detail17trampoline_kernelINS0_14default_configENS1_25transform_config_selectorIiLb0EEEZNS1_14transform_implILb0ES3_S5_NS0_18transform_iteratorINS0_17counting_iteratorImlEEZNS1_24adjacent_difference_implIS3_Lb1ELb0EPiN6thrust23THRUST_200600_302600_NS16discard_iteratorINSD_11use_defaultEEENSD_5minusIiEEEE10hipError_tPvRmT2_T3_mT4_P12ihipStream_tbEUlmE_iEESB_NS0_8identityIvEEEESJ_SM_SN_mSO_SQ_bEUlT_E_NS1_11comp_targetILNS1_3genE10ELNS1_11target_archE1200ELNS1_3gpuE4ELNS1_3repE0EEENS1_30default_config_static_selectorELNS0_4arch9wavefront6targetE1EEEvT1_.has_recursion, 0
	.set _ZN7rocprim17ROCPRIM_400000_NS6detail17trampoline_kernelINS0_14default_configENS1_25transform_config_selectorIiLb0EEEZNS1_14transform_implILb0ES3_S5_NS0_18transform_iteratorINS0_17counting_iteratorImlEEZNS1_24adjacent_difference_implIS3_Lb1ELb0EPiN6thrust23THRUST_200600_302600_NS16discard_iteratorINSD_11use_defaultEEENSD_5minusIiEEEE10hipError_tPvRmT2_T3_mT4_P12ihipStream_tbEUlmE_iEESB_NS0_8identityIvEEEESJ_SM_SN_mSO_SQ_bEUlT_E_NS1_11comp_targetILNS1_3genE10ELNS1_11target_archE1200ELNS1_3gpuE4ELNS1_3repE0EEENS1_30default_config_static_selectorELNS0_4arch9wavefront6targetE1EEEvT1_.has_indirect_call, 0
	.section	.AMDGPU.csdata,"",@progbits
; Kernel info:
; codeLenInByte = 0
; TotalNumSgprs: 4
; NumVgprs: 0
; ScratchSize: 0
; MemoryBound: 0
; FloatMode: 240
; IeeeMode: 1
; LDSByteSize: 0 bytes/workgroup (compile time only)
; SGPRBlocks: 0
; VGPRBlocks: 0
; NumSGPRsForWavesPerEU: 4
; NumVGPRsForWavesPerEU: 1
; Occupancy: 10
; WaveLimiterHint : 0
; COMPUTE_PGM_RSRC2:SCRATCH_EN: 0
; COMPUTE_PGM_RSRC2:USER_SGPR: 6
; COMPUTE_PGM_RSRC2:TRAP_HANDLER: 0
; COMPUTE_PGM_RSRC2:TGID_X_EN: 1
; COMPUTE_PGM_RSRC2:TGID_Y_EN: 0
; COMPUTE_PGM_RSRC2:TGID_Z_EN: 0
; COMPUTE_PGM_RSRC2:TIDIG_COMP_CNT: 0
	.section	.text._ZN7rocprim17ROCPRIM_400000_NS6detail17trampoline_kernelINS0_14default_configENS1_25transform_config_selectorIiLb0EEEZNS1_14transform_implILb0ES3_S5_NS0_18transform_iteratorINS0_17counting_iteratorImlEEZNS1_24adjacent_difference_implIS3_Lb1ELb0EPiN6thrust23THRUST_200600_302600_NS16discard_iteratorINSD_11use_defaultEEENSD_5minusIiEEEE10hipError_tPvRmT2_T3_mT4_P12ihipStream_tbEUlmE_iEESB_NS0_8identityIvEEEESJ_SM_SN_mSO_SQ_bEUlT_E_NS1_11comp_targetILNS1_3genE9ELNS1_11target_archE1100ELNS1_3gpuE3ELNS1_3repE0EEENS1_30default_config_static_selectorELNS0_4arch9wavefront6targetE1EEEvT1_,"axG",@progbits,_ZN7rocprim17ROCPRIM_400000_NS6detail17trampoline_kernelINS0_14default_configENS1_25transform_config_selectorIiLb0EEEZNS1_14transform_implILb0ES3_S5_NS0_18transform_iteratorINS0_17counting_iteratorImlEEZNS1_24adjacent_difference_implIS3_Lb1ELb0EPiN6thrust23THRUST_200600_302600_NS16discard_iteratorINSD_11use_defaultEEENSD_5minusIiEEEE10hipError_tPvRmT2_T3_mT4_P12ihipStream_tbEUlmE_iEESB_NS0_8identityIvEEEESJ_SM_SN_mSO_SQ_bEUlT_E_NS1_11comp_targetILNS1_3genE9ELNS1_11target_archE1100ELNS1_3gpuE3ELNS1_3repE0EEENS1_30default_config_static_selectorELNS0_4arch9wavefront6targetE1EEEvT1_,comdat
	.protected	_ZN7rocprim17ROCPRIM_400000_NS6detail17trampoline_kernelINS0_14default_configENS1_25transform_config_selectorIiLb0EEEZNS1_14transform_implILb0ES3_S5_NS0_18transform_iteratorINS0_17counting_iteratorImlEEZNS1_24adjacent_difference_implIS3_Lb1ELb0EPiN6thrust23THRUST_200600_302600_NS16discard_iteratorINSD_11use_defaultEEENSD_5minusIiEEEE10hipError_tPvRmT2_T3_mT4_P12ihipStream_tbEUlmE_iEESB_NS0_8identityIvEEEESJ_SM_SN_mSO_SQ_bEUlT_E_NS1_11comp_targetILNS1_3genE9ELNS1_11target_archE1100ELNS1_3gpuE3ELNS1_3repE0EEENS1_30default_config_static_selectorELNS0_4arch9wavefront6targetE1EEEvT1_ ; -- Begin function _ZN7rocprim17ROCPRIM_400000_NS6detail17trampoline_kernelINS0_14default_configENS1_25transform_config_selectorIiLb0EEEZNS1_14transform_implILb0ES3_S5_NS0_18transform_iteratorINS0_17counting_iteratorImlEEZNS1_24adjacent_difference_implIS3_Lb1ELb0EPiN6thrust23THRUST_200600_302600_NS16discard_iteratorINSD_11use_defaultEEENSD_5minusIiEEEE10hipError_tPvRmT2_T3_mT4_P12ihipStream_tbEUlmE_iEESB_NS0_8identityIvEEEESJ_SM_SN_mSO_SQ_bEUlT_E_NS1_11comp_targetILNS1_3genE9ELNS1_11target_archE1100ELNS1_3gpuE3ELNS1_3repE0EEENS1_30default_config_static_selectorELNS0_4arch9wavefront6targetE1EEEvT1_
	.globl	_ZN7rocprim17ROCPRIM_400000_NS6detail17trampoline_kernelINS0_14default_configENS1_25transform_config_selectorIiLb0EEEZNS1_14transform_implILb0ES3_S5_NS0_18transform_iteratorINS0_17counting_iteratorImlEEZNS1_24adjacent_difference_implIS3_Lb1ELb0EPiN6thrust23THRUST_200600_302600_NS16discard_iteratorINSD_11use_defaultEEENSD_5minusIiEEEE10hipError_tPvRmT2_T3_mT4_P12ihipStream_tbEUlmE_iEESB_NS0_8identityIvEEEESJ_SM_SN_mSO_SQ_bEUlT_E_NS1_11comp_targetILNS1_3genE9ELNS1_11target_archE1100ELNS1_3gpuE3ELNS1_3repE0EEENS1_30default_config_static_selectorELNS0_4arch9wavefront6targetE1EEEvT1_
	.p2align	8
	.type	_ZN7rocprim17ROCPRIM_400000_NS6detail17trampoline_kernelINS0_14default_configENS1_25transform_config_selectorIiLb0EEEZNS1_14transform_implILb0ES3_S5_NS0_18transform_iteratorINS0_17counting_iteratorImlEEZNS1_24adjacent_difference_implIS3_Lb1ELb0EPiN6thrust23THRUST_200600_302600_NS16discard_iteratorINSD_11use_defaultEEENSD_5minusIiEEEE10hipError_tPvRmT2_T3_mT4_P12ihipStream_tbEUlmE_iEESB_NS0_8identityIvEEEESJ_SM_SN_mSO_SQ_bEUlT_E_NS1_11comp_targetILNS1_3genE9ELNS1_11target_archE1100ELNS1_3gpuE3ELNS1_3repE0EEENS1_30default_config_static_selectorELNS0_4arch9wavefront6targetE1EEEvT1_,@function
_ZN7rocprim17ROCPRIM_400000_NS6detail17trampoline_kernelINS0_14default_configENS1_25transform_config_selectorIiLb0EEEZNS1_14transform_implILb0ES3_S5_NS0_18transform_iteratorINS0_17counting_iteratorImlEEZNS1_24adjacent_difference_implIS3_Lb1ELb0EPiN6thrust23THRUST_200600_302600_NS16discard_iteratorINSD_11use_defaultEEENSD_5minusIiEEEE10hipError_tPvRmT2_T3_mT4_P12ihipStream_tbEUlmE_iEESB_NS0_8identityIvEEEESJ_SM_SN_mSO_SQ_bEUlT_E_NS1_11comp_targetILNS1_3genE9ELNS1_11target_archE1100ELNS1_3gpuE3ELNS1_3repE0EEENS1_30default_config_static_selectorELNS0_4arch9wavefront6targetE1EEEvT1_: ; @_ZN7rocprim17ROCPRIM_400000_NS6detail17trampoline_kernelINS0_14default_configENS1_25transform_config_selectorIiLb0EEEZNS1_14transform_implILb0ES3_S5_NS0_18transform_iteratorINS0_17counting_iteratorImlEEZNS1_24adjacent_difference_implIS3_Lb1ELb0EPiN6thrust23THRUST_200600_302600_NS16discard_iteratorINSD_11use_defaultEEENSD_5minusIiEEEE10hipError_tPvRmT2_T3_mT4_P12ihipStream_tbEUlmE_iEESB_NS0_8identityIvEEEESJ_SM_SN_mSO_SQ_bEUlT_E_NS1_11comp_targetILNS1_3genE9ELNS1_11target_archE1100ELNS1_3gpuE3ELNS1_3repE0EEENS1_30default_config_static_selectorELNS0_4arch9wavefront6targetE1EEEvT1_
; %bb.0:
	.section	.rodata,"a",@progbits
	.p2align	6, 0x0
	.amdhsa_kernel _ZN7rocprim17ROCPRIM_400000_NS6detail17trampoline_kernelINS0_14default_configENS1_25transform_config_selectorIiLb0EEEZNS1_14transform_implILb0ES3_S5_NS0_18transform_iteratorINS0_17counting_iteratorImlEEZNS1_24adjacent_difference_implIS3_Lb1ELb0EPiN6thrust23THRUST_200600_302600_NS16discard_iteratorINSD_11use_defaultEEENSD_5minusIiEEEE10hipError_tPvRmT2_T3_mT4_P12ihipStream_tbEUlmE_iEESB_NS0_8identityIvEEEESJ_SM_SN_mSO_SQ_bEUlT_E_NS1_11comp_targetILNS1_3genE9ELNS1_11target_archE1100ELNS1_3gpuE3ELNS1_3repE0EEENS1_30default_config_static_selectorELNS0_4arch9wavefront6targetE1EEEvT1_
		.amdhsa_group_segment_fixed_size 0
		.amdhsa_private_segment_fixed_size 0
		.amdhsa_kernarg_size 56
		.amdhsa_user_sgpr_count 6
		.amdhsa_user_sgpr_private_segment_buffer 1
		.amdhsa_user_sgpr_dispatch_ptr 0
		.amdhsa_user_sgpr_queue_ptr 0
		.amdhsa_user_sgpr_kernarg_segment_ptr 1
		.amdhsa_user_sgpr_dispatch_id 0
		.amdhsa_user_sgpr_flat_scratch_init 0
		.amdhsa_user_sgpr_private_segment_size 0
		.amdhsa_uses_dynamic_stack 0
		.amdhsa_system_sgpr_private_segment_wavefront_offset 0
		.amdhsa_system_sgpr_workgroup_id_x 1
		.amdhsa_system_sgpr_workgroup_id_y 0
		.amdhsa_system_sgpr_workgroup_id_z 0
		.amdhsa_system_sgpr_workgroup_info 0
		.amdhsa_system_vgpr_workitem_id 0
		.amdhsa_next_free_vgpr 1
		.amdhsa_next_free_sgpr 0
		.amdhsa_reserve_vcc 0
		.amdhsa_reserve_flat_scratch 0
		.amdhsa_float_round_mode_32 0
		.amdhsa_float_round_mode_16_64 0
		.amdhsa_float_denorm_mode_32 3
		.amdhsa_float_denorm_mode_16_64 3
		.amdhsa_dx10_clamp 1
		.amdhsa_ieee_mode 1
		.amdhsa_fp16_overflow 0
		.amdhsa_exception_fp_ieee_invalid_op 0
		.amdhsa_exception_fp_denorm_src 0
		.amdhsa_exception_fp_ieee_div_zero 0
		.amdhsa_exception_fp_ieee_overflow 0
		.amdhsa_exception_fp_ieee_underflow 0
		.amdhsa_exception_fp_ieee_inexact 0
		.amdhsa_exception_int_div_zero 0
	.end_amdhsa_kernel
	.section	.text._ZN7rocprim17ROCPRIM_400000_NS6detail17trampoline_kernelINS0_14default_configENS1_25transform_config_selectorIiLb0EEEZNS1_14transform_implILb0ES3_S5_NS0_18transform_iteratorINS0_17counting_iteratorImlEEZNS1_24adjacent_difference_implIS3_Lb1ELb0EPiN6thrust23THRUST_200600_302600_NS16discard_iteratorINSD_11use_defaultEEENSD_5minusIiEEEE10hipError_tPvRmT2_T3_mT4_P12ihipStream_tbEUlmE_iEESB_NS0_8identityIvEEEESJ_SM_SN_mSO_SQ_bEUlT_E_NS1_11comp_targetILNS1_3genE9ELNS1_11target_archE1100ELNS1_3gpuE3ELNS1_3repE0EEENS1_30default_config_static_selectorELNS0_4arch9wavefront6targetE1EEEvT1_,"axG",@progbits,_ZN7rocprim17ROCPRIM_400000_NS6detail17trampoline_kernelINS0_14default_configENS1_25transform_config_selectorIiLb0EEEZNS1_14transform_implILb0ES3_S5_NS0_18transform_iteratorINS0_17counting_iteratorImlEEZNS1_24adjacent_difference_implIS3_Lb1ELb0EPiN6thrust23THRUST_200600_302600_NS16discard_iteratorINSD_11use_defaultEEENSD_5minusIiEEEE10hipError_tPvRmT2_T3_mT4_P12ihipStream_tbEUlmE_iEESB_NS0_8identityIvEEEESJ_SM_SN_mSO_SQ_bEUlT_E_NS1_11comp_targetILNS1_3genE9ELNS1_11target_archE1100ELNS1_3gpuE3ELNS1_3repE0EEENS1_30default_config_static_selectorELNS0_4arch9wavefront6targetE1EEEvT1_,comdat
.Lfunc_end882:
	.size	_ZN7rocprim17ROCPRIM_400000_NS6detail17trampoline_kernelINS0_14default_configENS1_25transform_config_selectorIiLb0EEEZNS1_14transform_implILb0ES3_S5_NS0_18transform_iteratorINS0_17counting_iteratorImlEEZNS1_24adjacent_difference_implIS3_Lb1ELb0EPiN6thrust23THRUST_200600_302600_NS16discard_iteratorINSD_11use_defaultEEENSD_5minusIiEEEE10hipError_tPvRmT2_T3_mT4_P12ihipStream_tbEUlmE_iEESB_NS0_8identityIvEEEESJ_SM_SN_mSO_SQ_bEUlT_E_NS1_11comp_targetILNS1_3genE9ELNS1_11target_archE1100ELNS1_3gpuE3ELNS1_3repE0EEENS1_30default_config_static_selectorELNS0_4arch9wavefront6targetE1EEEvT1_, .Lfunc_end882-_ZN7rocprim17ROCPRIM_400000_NS6detail17trampoline_kernelINS0_14default_configENS1_25transform_config_selectorIiLb0EEEZNS1_14transform_implILb0ES3_S5_NS0_18transform_iteratorINS0_17counting_iteratorImlEEZNS1_24adjacent_difference_implIS3_Lb1ELb0EPiN6thrust23THRUST_200600_302600_NS16discard_iteratorINSD_11use_defaultEEENSD_5minusIiEEEE10hipError_tPvRmT2_T3_mT4_P12ihipStream_tbEUlmE_iEESB_NS0_8identityIvEEEESJ_SM_SN_mSO_SQ_bEUlT_E_NS1_11comp_targetILNS1_3genE9ELNS1_11target_archE1100ELNS1_3gpuE3ELNS1_3repE0EEENS1_30default_config_static_selectorELNS0_4arch9wavefront6targetE1EEEvT1_
                                        ; -- End function
	.set _ZN7rocprim17ROCPRIM_400000_NS6detail17trampoline_kernelINS0_14default_configENS1_25transform_config_selectorIiLb0EEEZNS1_14transform_implILb0ES3_S5_NS0_18transform_iteratorINS0_17counting_iteratorImlEEZNS1_24adjacent_difference_implIS3_Lb1ELb0EPiN6thrust23THRUST_200600_302600_NS16discard_iteratorINSD_11use_defaultEEENSD_5minusIiEEEE10hipError_tPvRmT2_T3_mT4_P12ihipStream_tbEUlmE_iEESB_NS0_8identityIvEEEESJ_SM_SN_mSO_SQ_bEUlT_E_NS1_11comp_targetILNS1_3genE9ELNS1_11target_archE1100ELNS1_3gpuE3ELNS1_3repE0EEENS1_30default_config_static_selectorELNS0_4arch9wavefront6targetE1EEEvT1_.num_vgpr, 0
	.set _ZN7rocprim17ROCPRIM_400000_NS6detail17trampoline_kernelINS0_14default_configENS1_25transform_config_selectorIiLb0EEEZNS1_14transform_implILb0ES3_S5_NS0_18transform_iteratorINS0_17counting_iteratorImlEEZNS1_24adjacent_difference_implIS3_Lb1ELb0EPiN6thrust23THRUST_200600_302600_NS16discard_iteratorINSD_11use_defaultEEENSD_5minusIiEEEE10hipError_tPvRmT2_T3_mT4_P12ihipStream_tbEUlmE_iEESB_NS0_8identityIvEEEESJ_SM_SN_mSO_SQ_bEUlT_E_NS1_11comp_targetILNS1_3genE9ELNS1_11target_archE1100ELNS1_3gpuE3ELNS1_3repE0EEENS1_30default_config_static_selectorELNS0_4arch9wavefront6targetE1EEEvT1_.num_agpr, 0
	.set _ZN7rocprim17ROCPRIM_400000_NS6detail17trampoline_kernelINS0_14default_configENS1_25transform_config_selectorIiLb0EEEZNS1_14transform_implILb0ES3_S5_NS0_18transform_iteratorINS0_17counting_iteratorImlEEZNS1_24adjacent_difference_implIS3_Lb1ELb0EPiN6thrust23THRUST_200600_302600_NS16discard_iteratorINSD_11use_defaultEEENSD_5minusIiEEEE10hipError_tPvRmT2_T3_mT4_P12ihipStream_tbEUlmE_iEESB_NS0_8identityIvEEEESJ_SM_SN_mSO_SQ_bEUlT_E_NS1_11comp_targetILNS1_3genE9ELNS1_11target_archE1100ELNS1_3gpuE3ELNS1_3repE0EEENS1_30default_config_static_selectorELNS0_4arch9wavefront6targetE1EEEvT1_.numbered_sgpr, 0
	.set _ZN7rocprim17ROCPRIM_400000_NS6detail17trampoline_kernelINS0_14default_configENS1_25transform_config_selectorIiLb0EEEZNS1_14transform_implILb0ES3_S5_NS0_18transform_iteratorINS0_17counting_iteratorImlEEZNS1_24adjacent_difference_implIS3_Lb1ELb0EPiN6thrust23THRUST_200600_302600_NS16discard_iteratorINSD_11use_defaultEEENSD_5minusIiEEEE10hipError_tPvRmT2_T3_mT4_P12ihipStream_tbEUlmE_iEESB_NS0_8identityIvEEEESJ_SM_SN_mSO_SQ_bEUlT_E_NS1_11comp_targetILNS1_3genE9ELNS1_11target_archE1100ELNS1_3gpuE3ELNS1_3repE0EEENS1_30default_config_static_selectorELNS0_4arch9wavefront6targetE1EEEvT1_.num_named_barrier, 0
	.set _ZN7rocprim17ROCPRIM_400000_NS6detail17trampoline_kernelINS0_14default_configENS1_25transform_config_selectorIiLb0EEEZNS1_14transform_implILb0ES3_S5_NS0_18transform_iteratorINS0_17counting_iteratorImlEEZNS1_24adjacent_difference_implIS3_Lb1ELb0EPiN6thrust23THRUST_200600_302600_NS16discard_iteratorINSD_11use_defaultEEENSD_5minusIiEEEE10hipError_tPvRmT2_T3_mT4_P12ihipStream_tbEUlmE_iEESB_NS0_8identityIvEEEESJ_SM_SN_mSO_SQ_bEUlT_E_NS1_11comp_targetILNS1_3genE9ELNS1_11target_archE1100ELNS1_3gpuE3ELNS1_3repE0EEENS1_30default_config_static_selectorELNS0_4arch9wavefront6targetE1EEEvT1_.private_seg_size, 0
	.set _ZN7rocprim17ROCPRIM_400000_NS6detail17trampoline_kernelINS0_14default_configENS1_25transform_config_selectorIiLb0EEEZNS1_14transform_implILb0ES3_S5_NS0_18transform_iteratorINS0_17counting_iteratorImlEEZNS1_24adjacent_difference_implIS3_Lb1ELb0EPiN6thrust23THRUST_200600_302600_NS16discard_iteratorINSD_11use_defaultEEENSD_5minusIiEEEE10hipError_tPvRmT2_T3_mT4_P12ihipStream_tbEUlmE_iEESB_NS0_8identityIvEEEESJ_SM_SN_mSO_SQ_bEUlT_E_NS1_11comp_targetILNS1_3genE9ELNS1_11target_archE1100ELNS1_3gpuE3ELNS1_3repE0EEENS1_30default_config_static_selectorELNS0_4arch9wavefront6targetE1EEEvT1_.uses_vcc, 0
	.set _ZN7rocprim17ROCPRIM_400000_NS6detail17trampoline_kernelINS0_14default_configENS1_25transform_config_selectorIiLb0EEEZNS1_14transform_implILb0ES3_S5_NS0_18transform_iteratorINS0_17counting_iteratorImlEEZNS1_24adjacent_difference_implIS3_Lb1ELb0EPiN6thrust23THRUST_200600_302600_NS16discard_iteratorINSD_11use_defaultEEENSD_5minusIiEEEE10hipError_tPvRmT2_T3_mT4_P12ihipStream_tbEUlmE_iEESB_NS0_8identityIvEEEESJ_SM_SN_mSO_SQ_bEUlT_E_NS1_11comp_targetILNS1_3genE9ELNS1_11target_archE1100ELNS1_3gpuE3ELNS1_3repE0EEENS1_30default_config_static_selectorELNS0_4arch9wavefront6targetE1EEEvT1_.uses_flat_scratch, 0
	.set _ZN7rocprim17ROCPRIM_400000_NS6detail17trampoline_kernelINS0_14default_configENS1_25transform_config_selectorIiLb0EEEZNS1_14transform_implILb0ES3_S5_NS0_18transform_iteratorINS0_17counting_iteratorImlEEZNS1_24adjacent_difference_implIS3_Lb1ELb0EPiN6thrust23THRUST_200600_302600_NS16discard_iteratorINSD_11use_defaultEEENSD_5minusIiEEEE10hipError_tPvRmT2_T3_mT4_P12ihipStream_tbEUlmE_iEESB_NS0_8identityIvEEEESJ_SM_SN_mSO_SQ_bEUlT_E_NS1_11comp_targetILNS1_3genE9ELNS1_11target_archE1100ELNS1_3gpuE3ELNS1_3repE0EEENS1_30default_config_static_selectorELNS0_4arch9wavefront6targetE1EEEvT1_.has_dyn_sized_stack, 0
	.set _ZN7rocprim17ROCPRIM_400000_NS6detail17trampoline_kernelINS0_14default_configENS1_25transform_config_selectorIiLb0EEEZNS1_14transform_implILb0ES3_S5_NS0_18transform_iteratorINS0_17counting_iteratorImlEEZNS1_24adjacent_difference_implIS3_Lb1ELb0EPiN6thrust23THRUST_200600_302600_NS16discard_iteratorINSD_11use_defaultEEENSD_5minusIiEEEE10hipError_tPvRmT2_T3_mT4_P12ihipStream_tbEUlmE_iEESB_NS0_8identityIvEEEESJ_SM_SN_mSO_SQ_bEUlT_E_NS1_11comp_targetILNS1_3genE9ELNS1_11target_archE1100ELNS1_3gpuE3ELNS1_3repE0EEENS1_30default_config_static_selectorELNS0_4arch9wavefront6targetE1EEEvT1_.has_recursion, 0
	.set _ZN7rocprim17ROCPRIM_400000_NS6detail17trampoline_kernelINS0_14default_configENS1_25transform_config_selectorIiLb0EEEZNS1_14transform_implILb0ES3_S5_NS0_18transform_iteratorINS0_17counting_iteratorImlEEZNS1_24adjacent_difference_implIS3_Lb1ELb0EPiN6thrust23THRUST_200600_302600_NS16discard_iteratorINSD_11use_defaultEEENSD_5minusIiEEEE10hipError_tPvRmT2_T3_mT4_P12ihipStream_tbEUlmE_iEESB_NS0_8identityIvEEEESJ_SM_SN_mSO_SQ_bEUlT_E_NS1_11comp_targetILNS1_3genE9ELNS1_11target_archE1100ELNS1_3gpuE3ELNS1_3repE0EEENS1_30default_config_static_selectorELNS0_4arch9wavefront6targetE1EEEvT1_.has_indirect_call, 0
	.section	.AMDGPU.csdata,"",@progbits
; Kernel info:
; codeLenInByte = 0
; TotalNumSgprs: 4
; NumVgprs: 0
; ScratchSize: 0
; MemoryBound: 0
; FloatMode: 240
; IeeeMode: 1
; LDSByteSize: 0 bytes/workgroup (compile time only)
; SGPRBlocks: 0
; VGPRBlocks: 0
; NumSGPRsForWavesPerEU: 4
; NumVGPRsForWavesPerEU: 1
; Occupancy: 10
; WaveLimiterHint : 0
; COMPUTE_PGM_RSRC2:SCRATCH_EN: 0
; COMPUTE_PGM_RSRC2:USER_SGPR: 6
; COMPUTE_PGM_RSRC2:TRAP_HANDLER: 0
; COMPUTE_PGM_RSRC2:TGID_X_EN: 1
; COMPUTE_PGM_RSRC2:TGID_Y_EN: 0
; COMPUTE_PGM_RSRC2:TGID_Z_EN: 0
; COMPUTE_PGM_RSRC2:TIDIG_COMP_CNT: 0
	.section	.text._ZN7rocprim17ROCPRIM_400000_NS6detail17trampoline_kernelINS0_14default_configENS1_25transform_config_selectorIiLb0EEEZNS1_14transform_implILb0ES3_S5_NS0_18transform_iteratorINS0_17counting_iteratorImlEEZNS1_24adjacent_difference_implIS3_Lb1ELb0EPiN6thrust23THRUST_200600_302600_NS16discard_iteratorINSD_11use_defaultEEENSD_5minusIiEEEE10hipError_tPvRmT2_T3_mT4_P12ihipStream_tbEUlmE_iEESB_NS0_8identityIvEEEESJ_SM_SN_mSO_SQ_bEUlT_E_NS1_11comp_targetILNS1_3genE8ELNS1_11target_archE1030ELNS1_3gpuE2ELNS1_3repE0EEENS1_30default_config_static_selectorELNS0_4arch9wavefront6targetE1EEEvT1_,"axG",@progbits,_ZN7rocprim17ROCPRIM_400000_NS6detail17trampoline_kernelINS0_14default_configENS1_25transform_config_selectorIiLb0EEEZNS1_14transform_implILb0ES3_S5_NS0_18transform_iteratorINS0_17counting_iteratorImlEEZNS1_24adjacent_difference_implIS3_Lb1ELb0EPiN6thrust23THRUST_200600_302600_NS16discard_iteratorINSD_11use_defaultEEENSD_5minusIiEEEE10hipError_tPvRmT2_T3_mT4_P12ihipStream_tbEUlmE_iEESB_NS0_8identityIvEEEESJ_SM_SN_mSO_SQ_bEUlT_E_NS1_11comp_targetILNS1_3genE8ELNS1_11target_archE1030ELNS1_3gpuE2ELNS1_3repE0EEENS1_30default_config_static_selectorELNS0_4arch9wavefront6targetE1EEEvT1_,comdat
	.protected	_ZN7rocprim17ROCPRIM_400000_NS6detail17trampoline_kernelINS0_14default_configENS1_25transform_config_selectorIiLb0EEEZNS1_14transform_implILb0ES3_S5_NS0_18transform_iteratorINS0_17counting_iteratorImlEEZNS1_24adjacent_difference_implIS3_Lb1ELb0EPiN6thrust23THRUST_200600_302600_NS16discard_iteratorINSD_11use_defaultEEENSD_5minusIiEEEE10hipError_tPvRmT2_T3_mT4_P12ihipStream_tbEUlmE_iEESB_NS0_8identityIvEEEESJ_SM_SN_mSO_SQ_bEUlT_E_NS1_11comp_targetILNS1_3genE8ELNS1_11target_archE1030ELNS1_3gpuE2ELNS1_3repE0EEENS1_30default_config_static_selectorELNS0_4arch9wavefront6targetE1EEEvT1_ ; -- Begin function _ZN7rocprim17ROCPRIM_400000_NS6detail17trampoline_kernelINS0_14default_configENS1_25transform_config_selectorIiLb0EEEZNS1_14transform_implILb0ES3_S5_NS0_18transform_iteratorINS0_17counting_iteratorImlEEZNS1_24adjacent_difference_implIS3_Lb1ELb0EPiN6thrust23THRUST_200600_302600_NS16discard_iteratorINSD_11use_defaultEEENSD_5minusIiEEEE10hipError_tPvRmT2_T3_mT4_P12ihipStream_tbEUlmE_iEESB_NS0_8identityIvEEEESJ_SM_SN_mSO_SQ_bEUlT_E_NS1_11comp_targetILNS1_3genE8ELNS1_11target_archE1030ELNS1_3gpuE2ELNS1_3repE0EEENS1_30default_config_static_selectorELNS0_4arch9wavefront6targetE1EEEvT1_
	.globl	_ZN7rocprim17ROCPRIM_400000_NS6detail17trampoline_kernelINS0_14default_configENS1_25transform_config_selectorIiLb0EEEZNS1_14transform_implILb0ES3_S5_NS0_18transform_iteratorINS0_17counting_iteratorImlEEZNS1_24adjacent_difference_implIS3_Lb1ELb0EPiN6thrust23THRUST_200600_302600_NS16discard_iteratorINSD_11use_defaultEEENSD_5minusIiEEEE10hipError_tPvRmT2_T3_mT4_P12ihipStream_tbEUlmE_iEESB_NS0_8identityIvEEEESJ_SM_SN_mSO_SQ_bEUlT_E_NS1_11comp_targetILNS1_3genE8ELNS1_11target_archE1030ELNS1_3gpuE2ELNS1_3repE0EEENS1_30default_config_static_selectorELNS0_4arch9wavefront6targetE1EEEvT1_
	.p2align	8
	.type	_ZN7rocprim17ROCPRIM_400000_NS6detail17trampoline_kernelINS0_14default_configENS1_25transform_config_selectorIiLb0EEEZNS1_14transform_implILb0ES3_S5_NS0_18transform_iteratorINS0_17counting_iteratorImlEEZNS1_24adjacent_difference_implIS3_Lb1ELb0EPiN6thrust23THRUST_200600_302600_NS16discard_iteratorINSD_11use_defaultEEENSD_5minusIiEEEE10hipError_tPvRmT2_T3_mT4_P12ihipStream_tbEUlmE_iEESB_NS0_8identityIvEEEESJ_SM_SN_mSO_SQ_bEUlT_E_NS1_11comp_targetILNS1_3genE8ELNS1_11target_archE1030ELNS1_3gpuE2ELNS1_3repE0EEENS1_30default_config_static_selectorELNS0_4arch9wavefront6targetE1EEEvT1_,@function
_ZN7rocprim17ROCPRIM_400000_NS6detail17trampoline_kernelINS0_14default_configENS1_25transform_config_selectorIiLb0EEEZNS1_14transform_implILb0ES3_S5_NS0_18transform_iteratorINS0_17counting_iteratorImlEEZNS1_24adjacent_difference_implIS3_Lb1ELb0EPiN6thrust23THRUST_200600_302600_NS16discard_iteratorINSD_11use_defaultEEENSD_5minusIiEEEE10hipError_tPvRmT2_T3_mT4_P12ihipStream_tbEUlmE_iEESB_NS0_8identityIvEEEESJ_SM_SN_mSO_SQ_bEUlT_E_NS1_11comp_targetILNS1_3genE8ELNS1_11target_archE1030ELNS1_3gpuE2ELNS1_3repE0EEENS1_30default_config_static_selectorELNS0_4arch9wavefront6targetE1EEEvT1_: ; @_ZN7rocprim17ROCPRIM_400000_NS6detail17trampoline_kernelINS0_14default_configENS1_25transform_config_selectorIiLb0EEEZNS1_14transform_implILb0ES3_S5_NS0_18transform_iteratorINS0_17counting_iteratorImlEEZNS1_24adjacent_difference_implIS3_Lb1ELb0EPiN6thrust23THRUST_200600_302600_NS16discard_iteratorINSD_11use_defaultEEENSD_5minusIiEEEE10hipError_tPvRmT2_T3_mT4_P12ihipStream_tbEUlmE_iEESB_NS0_8identityIvEEEESJ_SM_SN_mSO_SQ_bEUlT_E_NS1_11comp_targetILNS1_3genE8ELNS1_11target_archE1030ELNS1_3gpuE2ELNS1_3repE0EEENS1_30default_config_static_selectorELNS0_4arch9wavefront6targetE1EEEvT1_
; %bb.0:
	.section	.rodata,"a",@progbits
	.p2align	6, 0x0
	.amdhsa_kernel _ZN7rocprim17ROCPRIM_400000_NS6detail17trampoline_kernelINS0_14default_configENS1_25transform_config_selectorIiLb0EEEZNS1_14transform_implILb0ES3_S5_NS0_18transform_iteratorINS0_17counting_iteratorImlEEZNS1_24adjacent_difference_implIS3_Lb1ELb0EPiN6thrust23THRUST_200600_302600_NS16discard_iteratorINSD_11use_defaultEEENSD_5minusIiEEEE10hipError_tPvRmT2_T3_mT4_P12ihipStream_tbEUlmE_iEESB_NS0_8identityIvEEEESJ_SM_SN_mSO_SQ_bEUlT_E_NS1_11comp_targetILNS1_3genE8ELNS1_11target_archE1030ELNS1_3gpuE2ELNS1_3repE0EEENS1_30default_config_static_selectorELNS0_4arch9wavefront6targetE1EEEvT1_
		.amdhsa_group_segment_fixed_size 0
		.amdhsa_private_segment_fixed_size 0
		.amdhsa_kernarg_size 56
		.amdhsa_user_sgpr_count 6
		.amdhsa_user_sgpr_private_segment_buffer 1
		.amdhsa_user_sgpr_dispatch_ptr 0
		.amdhsa_user_sgpr_queue_ptr 0
		.amdhsa_user_sgpr_kernarg_segment_ptr 1
		.amdhsa_user_sgpr_dispatch_id 0
		.amdhsa_user_sgpr_flat_scratch_init 0
		.amdhsa_user_sgpr_private_segment_size 0
		.amdhsa_uses_dynamic_stack 0
		.amdhsa_system_sgpr_private_segment_wavefront_offset 0
		.amdhsa_system_sgpr_workgroup_id_x 1
		.amdhsa_system_sgpr_workgroup_id_y 0
		.amdhsa_system_sgpr_workgroup_id_z 0
		.amdhsa_system_sgpr_workgroup_info 0
		.amdhsa_system_vgpr_workitem_id 0
		.amdhsa_next_free_vgpr 1
		.amdhsa_next_free_sgpr 0
		.amdhsa_reserve_vcc 0
		.amdhsa_reserve_flat_scratch 0
		.amdhsa_float_round_mode_32 0
		.amdhsa_float_round_mode_16_64 0
		.amdhsa_float_denorm_mode_32 3
		.amdhsa_float_denorm_mode_16_64 3
		.amdhsa_dx10_clamp 1
		.amdhsa_ieee_mode 1
		.amdhsa_fp16_overflow 0
		.amdhsa_exception_fp_ieee_invalid_op 0
		.amdhsa_exception_fp_denorm_src 0
		.amdhsa_exception_fp_ieee_div_zero 0
		.amdhsa_exception_fp_ieee_overflow 0
		.amdhsa_exception_fp_ieee_underflow 0
		.amdhsa_exception_fp_ieee_inexact 0
		.amdhsa_exception_int_div_zero 0
	.end_amdhsa_kernel
	.section	.text._ZN7rocprim17ROCPRIM_400000_NS6detail17trampoline_kernelINS0_14default_configENS1_25transform_config_selectorIiLb0EEEZNS1_14transform_implILb0ES3_S5_NS0_18transform_iteratorINS0_17counting_iteratorImlEEZNS1_24adjacent_difference_implIS3_Lb1ELb0EPiN6thrust23THRUST_200600_302600_NS16discard_iteratorINSD_11use_defaultEEENSD_5minusIiEEEE10hipError_tPvRmT2_T3_mT4_P12ihipStream_tbEUlmE_iEESB_NS0_8identityIvEEEESJ_SM_SN_mSO_SQ_bEUlT_E_NS1_11comp_targetILNS1_3genE8ELNS1_11target_archE1030ELNS1_3gpuE2ELNS1_3repE0EEENS1_30default_config_static_selectorELNS0_4arch9wavefront6targetE1EEEvT1_,"axG",@progbits,_ZN7rocprim17ROCPRIM_400000_NS6detail17trampoline_kernelINS0_14default_configENS1_25transform_config_selectorIiLb0EEEZNS1_14transform_implILb0ES3_S5_NS0_18transform_iteratorINS0_17counting_iteratorImlEEZNS1_24adjacent_difference_implIS3_Lb1ELb0EPiN6thrust23THRUST_200600_302600_NS16discard_iteratorINSD_11use_defaultEEENSD_5minusIiEEEE10hipError_tPvRmT2_T3_mT4_P12ihipStream_tbEUlmE_iEESB_NS0_8identityIvEEEESJ_SM_SN_mSO_SQ_bEUlT_E_NS1_11comp_targetILNS1_3genE8ELNS1_11target_archE1030ELNS1_3gpuE2ELNS1_3repE0EEENS1_30default_config_static_selectorELNS0_4arch9wavefront6targetE1EEEvT1_,comdat
.Lfunc_end883:
	.size	_ZN7rocprim17ROCPRIM_400000_NS6detail17trampoline_kernelINS0_14default_configENS1_25transform_config_selectorIiLb0EEEZNS1_14transform_implILb0ES3_S5_NS0_18transform_iteratorINS0_17counting_iteratorImlEEZNS1_24adjacent_difference_implIS3_Lb1ELb0EPiN6thrust23THRUST_200600_302600_NS16discard_iteratorINSD_11use_defaultEEENSD_5minusIiEEEE10hipError_tPvRmT2_T3_mT4_P12ihipStream_tbEUlmE_iEESB_NS0_8identityIvEEEESJ_SM_SN_mSO_SQ_bEUlT_E_NS1_11comp_targetILNS1_3genE8ELNS1_11target_archE1030ELNS1_3gpuE2ELNS1_3repE0EEENS1_30default_config_static_selectorELNS0_4arch9wavefront6targetE1EEEvT1_, .Lfunc_end883-_ZN7rocprim17ROCPRIM_400000_NS6detail17trampoline_kernelINS0_14default_configENS1_25transform_config_selectorIiLb0EEEZNS1_14transform_implILb0ES3_S5_NS0_18transform_iteratorINS0_17counting_iteratorImlEEZNS1_24adjacent_difference_implIS3_Lb1ELb0EPiN6thrust23THRUST_200600_302600_NS16discard_iteratorINSD_11use_defaultEEENSD_5minusIiEEEE10hipError_tPvRmT2_T3_mT4_P12ihipStream_tbEUlmE_iEESB_NS0_8identityIvEEEESJ_SM_SN_mSO_SQ_bEUlT_E_NS1_11comp_targetILNS1_3genE8ELNS1_11target_archE1030ELNS1_3gpuE2ELNS1_3repE0EEENS1_30default_config_static_selectorELNS0_4arch9wavefront6targetE1EEEvT1_
                                        ; -- End function
	.set _ZN7rocprim17ROCPRIM_400000_NS6detail17trampoline_kernelINS0_14default_configENS1_25transform_config_selectorIiLb0EEEZNS1_14transform_implILb0ES3_S5_NS0_18transform_iteratorINS0_17counting_iteratorImlEEZNS1_24adjacent_difference_implIS3_Lb1ELb0EPiN6thrust23THRUST_200600_302600_NS16discard_iteratorINSD_11use_defaultEEENSD_5minusIiEEEE10hipError_tPvRmT2_T3_mT4_P12ihipStream_tbEUlmE_iEESB_NS0_8identityIvEEEESJ_SM_SN_mSO_SQ_bEUlT_E_NS1_11comp_targetILNS1_3genE8ELNS1_11target_archE1030ELNS1_3gpuE2ELNS1_3repE0EEENS1_30default_config_static_selectorELNS0_4arch9wavefront6targetE1EEEvT1_.num_vgpr, 0
	.set _ZN7rocprim17ROCPRIM_400000_NS6detail17trampoline_kernelINS0_14default_configENS1_25transform_config_selectorIiLb0EEEZNS1_14transform_implILb0ES3_S5_NS0_18transform_iteratorINS0_17counting_iteratorImlEEZNS1_24adjacent_difference_implIS3_Lb1ELb0EPiN6thrust23THRUST_200600_302600_NS16discard_iteratorINSD_11use_defaultEEENSD_5minusIiEEEE10hipError_tPvRmT2_T3_mT4_P12ihipStream_tbEUlmE_iEESB_NS0_8identityIvEEEESJ_SM_SN_mSO_SQ_bEUlT_E_NS1_11comp_targetILNS1_3genE8ELNS1_11target_archE1030ELNS1_3gpuE2ELNS1_3repE0EEENS1_30default_config_static_selectorELNS0_4arch9wavefront6targetE1EEEvT1_.num_agpr, 0
	.set _ZN7rocprim17ROCPRIM_400000_NS6detail17trampoline_kernelINS0_14default_configENS1_25transform_config_selectorIiLb0EEEZNS1_14transform_implILb0ES3_S5_NS0_18transform_iteratorINS0_17counting_iteratorImlEEZNS1_24adjacent_difference_implIS3_Lb1ELb0EPiN6thrust23THRUST_200600_302600_NS16discard_iteratorINSD_11use_defaultEEENSD_5minusIiEEEE10hipError_tPvRmT2_T3_mT4_P12ihipStream_tbEUlmE_iEESB_NS0_8identityIvEEEESJ_SM_SN_mSO_SQ_bEUlT_E_NS1_11comp_targetILNS1_3genE8ELNS1_11target_archE1030ELNS1_3gpuE2ELNS1_3repE0EEENS1_30default_config_static_selectorELNS0_4arch9wavefront6targetE1EEEvT1_.numbered_sgpr, 0
	.set _ZN7rocprim17ROCPRIM_400000_NS6detail17trampoline_kernelINS0_14default_configENS1_25transform_config_selectorIiLb0EEEZNS1_14transform_implILb0ES3_S5_NS0_18transform_iteratorINS0_17counting_iteratorImlEEZNS1_24adjacent_difference_implIS3_Lb1ELb0EPiN6thrust23THRUST_200600_302600_NS16discard_iteratorINSD_11use_defaultEEENSD_5minusIiEEEE10hipError_tPvRmT2_T3_mT4_P12ihipStream_tbEUlmE_iEESB_NS0_8identityIvEEEESJ_SM_SN_mSO_SQ_bEUlT_E_NS1_11comp_targetILNS1_3genE8ELNS1_11target_archE1030ELNS1_3gpuE2ELNS1_3repE0EEENS1_30default_config_static_selectorELNS0_4arch9wavefront6targetE1EEEvT1_.num_named_barrier, 0
	.set _ZN7rocprim17ROCPRIM_400000_NS6detail17trampoline_kernelINS0_14default_configENS1_25transform_config_selectorIiLb0EEEZNS1_14transform_implILb0ES3_S5_NS0_18transform_iteratorINS0_17counting_iteratorImlEEZNS1_24adjacent_difference_implIS3_Lb1ELb0EPiN6thrust23THRUST_200600_302600_NS16discard_iteratorINSD_11use_defaultEEENSD_5minusIiEEEE10hipError_tPvRmT2_T3_mT4_P12ihipStream_tbEUlmE_iEESB_NS0_8identityIvEEEESJ_SM_SN_mSO_SQ_bEUlT_E_NS1_11comp_targetILNS1_3genE8ELNS1_11target_archE1030ELNS1_3gpuE2ELNS1_3repE0EEENS1_30default_config_static_selectorELNS0_4arch9wavefront6targetE1EEEvT1_.private_seg_size, 0
	.set _ZN7rocprim17ROCPRIM_400000_NS6detail17trampoline_kernelINS0_14default_configENS1_25transform_config_selectorIiLb0EEEZNS1_14transform_implILb0ES3_S5_NS0_18transform_iteratorINS0_17counting_iteratorImlEEZNS1_24adjacent_difference_implIS3_Lb1ELb0EPiN6thrust23THRUST_200600_302600_NS16discard_iteratorINSD_11use_defaultEEENSD_5minusIiEEEE10hipError_tPvRmT2_T3_mT4_P12ihipStream_tbEUlmE_iEESB_NS0_8identityIvEEEESJ_SM_SN_mSO_SQ_bEUlT_E_NS1_11comp_targetILNS1_3genE8ELNS1_11target_archE1030ELNS1_3gpuE2ELNS1_3repE0EEENS1_30default_config_static_selectorELNS0_4arch9wavefront6targetE1EEEvT1_.uses_vcc, 0
	.set _ZN7rocprim17ROCPRIM_400000_NS6detail17trampoline_kernelINS0_14default_configENS1_25transform_config_selectorIiLb0EEEZNS1_14transform_implILb0ES3_S5_NS0_18transform_iteratorINS0_17counting_iteratorImlEEZNS1_24adjacent_difference_implIS3_Lb1ELb0EPiN6thrust23THRUST_200600_302600_NS16discard_iteratorINSD_11use_defaultEEENSD_5minusIiEEEE10hipError_tPvRmT2_T3_mT4_P12ihipStream_tbEUlmE_iEESB_NS0_8identityIvEEEESJ_SM_SN_mSO_SQ_bEUlT_E_NS1_11comp_targetILNS1_3genE8ELNS1_11target_archE1030ELNS1_3gpuE2ELNS1_3repE0EEENS1_30default_config_static_selectorELNS0_4arch9wavefront6targetE1EEEvT1_.uses_flat_scratch, 0
	.set _ZN7rocprim17ROCPRIM_400000_NS6detail17trampoline_kernelINS0_14default_configENS1_25transform_config_selectorIiLb0EEEZNS1_14transform_implILb0ES3_S5_NS0_18transform_iteratorINS0_17counting_iteratorImlEEZNS1_24adjacent_difference_implIS3_Lb1ELb0EPiN6thrust23THRUST_200600_302600_NS16discard_iteratorINSD_11use_defaultEEENSD_5minusIiEEEE10hipError_tPvRmT2_T3_mT4_P12ihipStream_tbEUlmE_iEESB_NS0_8identityIvEEEESJ_SM_SN_mSO_SQ_bEUlT_E_NS1_11comp_targetILNS1_3genE8ELNS1_11target_archE1030ELNS1_3gpuE2ELNS1_3repE0EEENS1_30default_config_static_selectorELNS0_4arch9wavefront6targetE1EEEvT1_.has_dyn_sized_stack, 0
	.set _ZN7rocprim17ROCPRIM_400000_NS6detail17trampoline_kernelINS0_14default_configENS1_25transform_config_selectorIiLb0EEEZNS1_14transform_implILb0ES3_S5_NS0_18transform_iteratorINS0_17counting_iteratorImlEEZNS1_24adjacent_difference_implIS3_Lb1ELb0EPiN6thrust23THRUST_200600_302600_NS16discard_iteratorINSD_11use_defaultEEENSD_5minusIiEEEE10hipError_tPvRmT2_T3_mT4_P12ihipStream_tbEUlmE_iEESB_NS0_8identityIvEEEESJ_SM_SN_mSO_SQ_bEUlT_E_NS1_11comp_targetILNS1_3genE8ELNS1_11target_archE1030ELNS1_3gpuE2ELNS1_3repE0EEENS1_30default_config_static_selectorELNS0_4arch9wavefront6targetE1EEEvT1_.has_recursion, 0
	.set _ZN7rocprim17ROCPRIM_400000_NS6detail17trampoline_kernelINS0_14default_configENS1_25transform_config_selectorIiLb0EEEZNS1_14transform_implILb0ES3_S5_NS0_18transform_iteratorINS0_17counting_iteratorImlEEZNS1_24adjacent_difference_implIS3_Lb1ELb0EPiN6thrust23THRUST_200600_302600_NS16discard_iteratorINSD_11use_defaultEEENSD_5minusIiEEEE10hipError_tPvRmT2_T3_mT4_P12ihipStream_tbEUlmE_iEESB_NS0_8identityIvEEEESJ_SM_SN_mSO_SQ_bEUlT_E_NS1_11comp_targetILNS1_3genE8ELNS1_11target_archE1030ELNS1_3gpuE2ELNS1_3repE0EEENS1_30default_config_static_selectorELNS0_4arch9wavefront6targetE1EEEvT1_.has_indirect_call, 0
	.section	.AMDGPU.csdata,"",@progbits
; Kernel info:
; codeLenInByte = 0
; TotalNumSgprs: 4
; NumVgprs: 0
; ScratchSize: 0
; MemoryBound: 0
; FloatMode: 240
; IeeeMode: 1
; LDSByteSize: 0 bytes/workgroup (compile time only)
; SGPRBlocks: 0
; VGPRBlocks: 0
; NumSGPRsForWavesPerEU: 4
; NumVGPRsForWavesPerEU: 1
; Occupancy: 10
; WaveLimiterHint : 0
; COMPUTE_PGM_RSRC2:SCRATCH_EN: 0
; COMPUTE_PGM_RSRC2:USER_SGPR: 6
; COMPUTE_PGM_RSRC2:TRAP_HANDLER: 0
; COMPUTE_PGM_RSRC2:TGID_X_EN: 1
; COMPUTE_PGM_RSRC2:TGID_Y_EN: 0
; COMPUTE_PGM_RSRC2:TGID_Z_EN: 0
; COMPUTE_PGM_RSRC2:TIDIG_COMP_CNT: 0
	.section	.text._ZN7rocprim17ROCPRIM_400000_NS6detail17trampoline_kernelINS0_14default_configENS1_35adjacent_difference_config_selectorILb1EiEEZNS1_24adjacent_difference_implIS3_Lb1ELb0EPiN6thrust23THRUST_200600_302600_NS16discard_iteratorINS9_11use_defaultEEENS9_5minusIiEEEE10hipError_tPvRmT2_T3_mT4_P12ihipStream_tbEUlT_E_NS1_11comp_targetILNS1_3genE0ELNS1_11target_archE4294967295ELNS1_3gpuE0ELNS1_3repE0EEENS1_30default_config_static_selectorELNS0_4arch9wavefront6targetE1EEEvT1_,"axG",@progbits,_ZN7rocprim17ROCPRIM_400000_NS6detail17trampoline_kernelINS0_14default_configENS1_35adjacent_difference_config_selectorILb1EiEEZNS1_24adjacent_difference_implIS3_Lb1ELb0EPiN6thrust23THRUST_200600_302600_NS16discard_iteratorINS9_11use_defaultEEENS9_5minusIiEEEE10hipError_tPvRmT2_T3_mT4_P12ihipStream_tbEUlT_E_NS1_11comp_targetILNS1_3genE0ELNS1_11target_archE4294967295ELNS1_3gpuE0ELNS1_3repE0EEENS1_30default_config_static_selectorELNS0_4arch9wavefront6targetE1EEEvT1_,comdat
	.protected	_ZN7rocprim17ROCPRIM_400000_NS6detail17trampoline_kernelINS0_14default_configENS1_35adjacent_difference_config_selectorILb1EiEEZNS1_24adjacent_difference_implIS3_Lb1ELb0EPiN6thrust23THRUST_200600_302600_NS16discard_iteratorINS9_11use_defaultEEENS9_5minusIiEEEE10hipError_tPvRmT2_T3_mT4_P12ihipStream_tbEUlT_E_NS1_11comp_targetILNS1_3genE0ELNS1_11target_archE4294967295ELNS1_3gpuE0ELNS1_3repE0EEENS1_30default_config_static_selectorELNS0_4arch9wavefront6targetE1EEEvT1_ ; -- Begin function _ZN7rocprim17ROCPRIM_400000_NS6detail17trampoline_kernelINS0_14default_configENS1_35adjacent_difference_config_selectorILb1EiEEZNS1_24adjacent_difference_implIS3_Lb1ELb0EPiN6thrust23THRUST_200600_302600_NS16discard_iteratorINS9_11use_defaultEEENS9_5minusIiEEEE10hipError_tPvRmT2_T3_mT4_P12ihipStream_tbEUlT_E_NS1_11comp_targetILNS1_3genE0ELNS1_11target_archE4294967295ELNS1_3gpuE0ELNS1_3repE0EEENS1_30default_config_static_selectorELNS0_4arch9wavefront6targetE1EEEvT1_
	.globl	_ZN7rocprim17ROCPRIM_400000_NS6detail17trampoline_kernelINS0_14default_configENS1_35adjacent_difference_config_selectorILb1EiEEZNS1_24adjacent_difference_implIS3_Lb1ELb0EPiN6thrust23THRUST_200600_302600_NS16discard_iteratorINS9_11use_defaultEEENS9_5minusIiEEEE10hipError_tPvRmT2_T3_mT4_P12ihipStream_tbEUlT_E_NS1_11comp_targetILNS1_3genE0ELNS1_11target_archE4294967295ELNS1_3gpuE0ELNS1_3repE0EEENS1_30default_config_static_selectorELNS0_4arch9wavefront6targetE1EEEvT1_
	.p2align	8
	.type	_ZN7rocprim17ROCPRIM_400000_NS6detail17trampoline_kernelINS0_14default_configENS1_35adjacent_difference_config_selectorILb1EiEEZNS1_24adjacent_difference_implIS3_Lb1ELb0EPiN6thrust23THRUST_200600_302600_NS16discard_iteratorINS9_11use_defaultEEENS9_5minusIiEEEE10hipError_tPvRmT2_T3_mT4_P12ihipStream_tbEUlT_E_NS1_11comp_targetILNS1_3genE0ELNS1_11target_archE4294967295ELNS1_3gpuE0ELNS1_3repE0EEENS1_30default_config_static_selectorELNS0_4arch9wavefront6targetE1EEEvT1_,@function
_ZN7rocprim17ROCPRIM_400000_NS6detail17trampoline_kernelINS0_14default_configENS1_35adjacent_difference_config_selectorILb1EiEEZNS1_24adjacent_difference_implIS3_Lb1ELb0EPiN6thrust23THRUST_200600_302600_NS16discard_iteratorINS9_11use_defaultEEENS9_5minusIiEEEE10hipError_tPvRmT2_T3_mT4_P12ihipStream_tbEUlT_E_NS1_11comp_targetILNS1_3genE0ELNS1_11target_archE4294967295ELNS1_3gpuE0ELNS1_3repE0EEENS1_30default_config_static_selectorELNS0_4arch9wavefront6targetE1EEEvT1_: ; @_ZN7rocprim17ROCPRIM_400000_NS6detail17trampoline_kernelINS0_14default_configENS1_35adjacent_difference_config_selectorILb1EiEEZNS1_24adjacent_difference_implIS3_Lb1ELb0EPiN6thrust23THRUST_200600_302600_NS16discard_iteratorINS9_11use_defaultEEENS9_5minusIiEEEE10hipError_tPvRmT2_T3_mT4_P12ihipStream_tbEUlT_E_NS1_11comp_targetILNS1_3genE0ELNS1_11target_archE4294967295ELNS1_3gpuE0ELNS1_3repE0EEENS1_30default_config_static_selectorELNS0_4arch9wavefront6targetE1EEEvT1_
; %bb.0:
	.section	.rodata,"a",@progbits
	.p2align	6, 0x0
	.amdhsa_kernel _ZN7rocprim17ROCPRIM_400000_NS6detail17trampoline_kernelINS0_14default_configENS1_35adjacent_difference_config_selectorILb1EiEEZNS1_24adjacent_difference_implIS3_Lb1ELb0EPiN6thrust23THRUST_200600_302600_NS16discard_iteratorINS9_11use_defaultEEENS9_5minusIiEEEE10hipError_tPvRmT2_T3_mT4_P12ihipStream_tbEUlT_E_NS1_11comp_targetILNS1_3genE0ELNS1_11target_archE4294967295ELNS1_3gpuE0ELNS1_3repE0EEENS1_30default_config_static_selectorELNS0_4arch9wavefront6targetE1EEEvT1_
		.amdhsa_group_segment_fixed_size 0
		.amdhsa_private_segment_fixed_size 0
		.amdhsa_kernarg_size 64
		.amdhsa_user_sgpr_count 6
		.amdhsa_user_sgpr_private_segment_buffer 1
		.amdhsa_user_sgpr_dispatch_ptr 0
		.amdhsa_user_sgpr_queue_ptr 0
		.amdhsa_user_sgpr_kernarg_segment_ptr 1
		.amdhsa_user_sgpr_dispatch_id 0
		.amdhsa_user_sgpr_flat_scratch_init 0
		.amdhsa_user_sgpr_private_segment_size 0
		.amdhsa_uses_dynamic_stack 0
		.amdhsa_system_sgpr_private_segment_wavefront_offset 0
		.amdhsa_system_sgpr_workgroup_id_x 1
		.amdhsa_system_sgpr_workgroup_id_y 0
		.amdhsa_system_sgpr_workgroup_id_z 0
		.amdhsa_system_sgpr_workgroup_info 0
		.amdhsa_system_vgpr_workitem_id 0
		.amdhsa_next_free_vgpr 1
		.amdhsa_next_free_sgpr 0
		.amdhsa_reserve_vcc 0
		.amdhsa_reserve_flat_scratch 0
		.amdhsa_float_round_mode_32 0
		.amdhsa_float_round_mode_16_64 0
		.amdhsa_float_denorm_mode_32 3
		.amdhsa_float_denorm_mode_16_64 3
		.amdhsa_dx10_clamp 1
		.amdhsa_ieee_mode 1
		.amdhsa_fp16_overflow 0
		.amdhsa_exception_fp_ieee_invalid_op 0
		.amdhsa_exception_fp_denorm_src 0
		.amdhsa_exception_fp_ieee_div_zero 0
		.amdhsa_exception_fp_ieee_overflow 0
		.amdhsa_exception_fp_ieee_underflow 0
		.amdhsa_exception_fp_ieee_inexact 0
		.amdhsa_exception_int_div_zero 0
	.end_amdhsa_kernel
	.section	.text._ZN7rocprim17ROCPRIM_400000_NS6detail17trampoline_kernelINS0_14default_configENS1_35adjacent_difference_config_selectorILb1EiEEZNS1_24adjacent_difference_implIS3_Lb1ELb0EPiN6thrust23THRUST_200600_302600_NS16discard_iteratorINS9_11use_defaultEEENS9_5minusIiEEEE10hipError_tPvRmT2_T3_mT4_P12ihipStream_tbEUlT_E_NS1_11comp_targetILNS1_3genE0ELNS1_11target_archE4294967295ELNS1_3gpuE0ELNS1_3repE0EEENS1_30default_config_static_selectorELNS0_4arch9wavefront6targetE1EEEvT1_,"axG",@progbits,_ZN7rocprim17ROCPRIM_400000_NS6detail17trampoline_kernelINS0_14default_configENS1_35adjacent_difference_config_selectorILb1EiEEZNS1_24adjacent_difference_implIS3_Lb1ELb0EPiN6thrust23THRUST_200600_302600_NS16discard_iteratorINS9_11use_defaultEEENS9_5minusIiEEEE10hipError_tPvRmT2_T3_mT4_P12ihipStream_tbEUlT_E_NS1_11comp_targetILNS1_3genE0ELNS1_11target_archE4294967295ELNS1_3gpuE0ELNS1_3repE0EEENS1_30default_config_static_selectorELNS0_4arch9wavefront6targetE1EEEvT1_,comdat
.Lfunc_end884:
	.size	_ZN7rocprim17ROCPRIM_400000_NS6detail17trampoline_kernelINS0_14default_configENS1_35adjacent_difference_config_selectorILb1EiEEZNS1_24adjacent_difference_implIS3_Lb1ELb0EPiN6thrust23THRUST_200600_302600_NS16discard_iteratorINS9_11use_defaultEEENS9_5minusIiEEEE10hipError_tPvRmT2_T3_mT4_P12ihipStream_tbEUlT_E_NS1_11comp_targetILNS1_3genE0ELNS1_11target_archE4294967295ELNS1_3gpuE0ELNS1_3repE0EEENS1_30default_config_static_selectorELNS0_4arch9wavefront6targetE1EEEvT1_, .Lfunc_end884-_ZN7rocprim17ROCPRIM_400000_NS6detail17trampoline_kernelINS0_14default_configENS1_35adjacent_difference_config_selectorILb1EiEEZNS1_24adjacent_difference_implIS3_Lb1ELb0EPiN6thrust23THRUST_200600_302600_NS16discard_iteratorINS9_11use_defaultEEENS9_5minusIiEEEE10hipError_tPvRmT2_T3_mT4_P12ihipStream_tbEUlT_E_NS1_11comp_targetILNS1_3genE0ELNS1_11target_archE4294967295ELNS1_3gpuE0ELNS1_3repE0EEENS1_30default_config_static_selectorELNS0_4arch9wavefront6targetE1EEEvT1_
                                        ; -- End function
	.set _ZN7rocprim17ROCPRIM_400000_NS6detail17trampoline_kernelINS0_14default_configENS1_35adjacent_difference_config_selectorILb1EiEEZNS1_24adjacent_difference_implIS3_Lb1ELb0EPiN6thrust23THRUST_200600_302600_NS16discard_iteratorINS9_11use_defaultEEENS9_5minusIiEEEE10hipError_tPvRmT2_T3_mT4_P12ihipStream_tbEUlT_E_NS1_11comp_targetILNS1_3genE0ELNS1_11target_archE4294967295ELNS1_3gpuE0ELNS1_3repE0EEENS1_30default_config_static_selectorELNS0_4arch9wavefront6targetE1EEEvT1_.num_vgpr, 0
	.set _ZN7rocprim17ROCPRIM_400000_NS6detail17trampoline_kernelINS0_14default_configENS1_35adjacent_difference_config_selectorILb1EiEEZNS1_24adjacent_difference_implIS3_Lb1ELb0EPiN6thrust23THRUST_200600_302600_NS16discard_iteratorINS9_11use_defaultEEENS9_5minusIiEEEE10hipError_tPvRmT2_T3_mT4_P12ihipStream_tbEUlT_E_NS1_11comp_targetILNS1_3genE0ELNS1_11target_archE4294967295ELNS1_3gpuE0ELNS1_3repE0EEENS1_30default_config_static_selectorELNS0_4arch9wavefront6targetE1EEEvT1_.num_agpr, 0
	.set _ZN7rocprim17ROCPRIM_400000_NS6detail17trampoline_kernelINS0_14default_configENS1_35adjacent_difference_config_selectorILb1EiEEZNS1_24adjacent_difference_implIS3_Lb1ELb0EPiN6thrust23THRUST_200600_302600_NS16discard_iteratorINS9_11use_defaultEEENS9_5minusIiEEEE10hipError_tPvRmT2_T3_mT4_P12ihipStream_tbEUlT_E_NS1_11comp_targetILNS1_3genE0ELNS1_11target_archE4294967295ELNS1_3gpuE0ELNS1_3repE0EEENS1_30default_config_static_selectorELNS0_4arch9wavefront6targetE1EEEvT1_.numbered_sgpr, 0
	.set _ZN7rocprim17ROCPRIM_400000_NS6detail17trampoline_kernelINS0_14default_configENS1_35adjacent_difference_config_selectorILb1EiEEZNS1_24adjacent_difference_implIS3_Lb1ELb0EPiN6thrust23THRUST_200600_302600_NS16discard_iteratorINS9_11use_defaultEEENS9_5minusIiEEEE10hipError_tPvRmT2_T3_mT4_P12ihipStream_tbEUlT_E_NS1_11comp_targetILNS1_3genE0ELNS1_11target_archE4294967295ELNS1_3gpuE0ELNS1_3repE0EEENS1_30default_config_static_selectorELNS0_4arch9wavefront6targetE1EEEvT1_.num_named_barrier, 0
	.set _ZN7rocprim17ROCPRIM_400000_NS6detail17trampoline_kernelINS0_14default_configENS1_35adjacent_difference_config_selectorILb1EiEEZNS1_24adjacent_difference_implIS3_Lb1ELb0EPiN6thrust23THRUST_200600_302600_NS16discard_iteratorINS9_11use_defaultEEENS9_5minusIiEEEE10hipError_tPvRmT2_T3_mT4_P12ihipStream_tbEUlT_E_NS1_11comp_targetILNS1_3genE0ELNS1_11target_archE4294967295ELNS1_3gpuE0ELNS1_3repE0EEENS1_30default_config_static_selectorELNS0_4arch9wavefront6targetE1EEEvT1_.private_seg_size, 0
	.set _ZN7rocprim17ROCPRIM_400000_NS6detail17trampoline_kernelINS0_14default_configENS1_35adjacent_difference_config_selectorILb1EiEEZNS1_24adjacent_difference_implIS3_Lb1ELb0EPiN6thrust23THRUST_200600_302600_NS16discard_iteratorINS9_11use_defaultEEENS9_5minusIiEEEE10hipError_tPvRmT2_T3_mT4_P12ihipStream_tbEUlT_E_NS1_11comp_targetILNS1_3genE0ELNS1_11target_archE4294967295ELNS1_3gpuE0ELNS1_3repE0EEENS1_30default_config_static_selectorELNS0_4arch9wavefront6targetE1EEEvT1_.uses_vcc, 0
	.set _ZN7rocprim17ROCPRIM_400000_NS6detail17trampoline_kernelINS0_14default_configENS1_35adjacent_difference_config_selectorILb1EiEEZNS1_24adjacent_difference_implIS3_Lb1ELb0EPiN6thrust23THRUST_200600_302600_NS16discard_iteratorINS9_11use_defaultEEENS9_5minusIiEEEE10hipError_tPvRmT2_T3_mT4_P12ihipStream_tbEUlT_E_NS1_11comp_targetILNS1_3genE0ELNS1_11target_archE4294967295ELNS1_3gpuE0ELNS1_3repE0EEENS1_30default_config_static_selectorELNS0_4arch9wavefront6targetE1EEEvT1_.uses_flat_scratch, 0
	.set _ZN7rocprim17ROCPRIM_400000_NS6detail17trampoline_kernelINS0_14default_configENS1_35adjacent_difference_config_selectorILb1EiEEZNS1_24adjacent_difference_implIS3_Lb1ELb0EPiN6thrust23THRUST_200600_302600_NS16discard_iteratorINS9_11use_defaultEEENS9_5minusIiEEEE10hipError_tPvRmT2_T3_mT4_P12ihipStream_tbEUlT_E_NS1_11comp_targetILNS1_3genE0ELNS1_11target_archE4294967295ELNS1_3gpuE0ELNS1_3repE0EEENS1_30default_config_static_selectorELNS0_4arch9wavefront6targetE1EEEvT1_.has_dyn_sized_stack, 0
	.set _ZN7rocprim17ROCPRIM_400000_NS6detail17trampoline_kernelINS0_14default_configENS1_35adjacent_difference_config_selectorILb1EiEEZNS1_24adjacent_difference_implIS3_Lb1ELb0EPiN6thrust23THRUST_200600_302600_NS16discard_iteratorINS9_11use_defaultEEENS9_5minusIiEEEE10hipError_tPvRmT2_T3_mT4_P12ihipStream_tbEUlT_E_NS1_11comp_targetILNS1_3genE0ELNS1_11target_archE4294967295ELNS1_3gpuE0ELNS1_3repE0EEENS1_30default_config_static_selectorELNS0_4arch9wavefront6targetE1EEEvT1_.has_recursion, 0
	.set _ZN7rocprim17ROCPRIM_400000_NS6detail17trampoline_kernelINS0_14default_configENS1_35adjacent_difference_config_selectorILb1EiEEZNS1_24adjacent_difference_implIS3_Lb1ELb0EPiN6thrust23THRUST_200600_302600_NS16discard_iteratorINS9_11use_defaultEEENS9_5minusIiEEEE10hipError_tPvRmT2_T3_mT4_P12ihipStream_tbEUlT_E_NS1_11comp_targetILNS1_3genE0ELNS1_11target_archE4294967295ELNS1_3gpuE0ELNS1_3repE0EEENS1_30default_config_static_selectorELNS0_4arch9wavefront6targetE1EEEvT1_.has_indirect_call, 0
	.section	.AMDGPU.csdata,"",@progbits
; Kernel info:
; codeLenInByte = 0
; TotalNumSgprs: 4
; NumVgprs: 0
; ScratchSize: 0
; MemoryBound: 0
; FloatMode: 240
; IeeeMode: 1
; LDSByteSize: 0 bytes/workgroup (compile time only)
; SGPRBlocks: 0
; VGPRBlocks: 0
; NumSGPRsForWavesPerEU: 4
; NumVGPRsForWavesPerEU: 1
; Occupancy: 10
; WaveLimiterHint : 0
; COMPUTE_PGM_RSRC2:SCRATCH_EN: 0
; COMPUTE_PGM_RSRC2:USER_SGPR: 6
; COMPUTE_PGM_RSRC2:TRAP_HANDLER: 0
; COMPUTE_PGM_RSRC2:TGID_X_EN: 1
; COMPUTE_PGM_RSRC2:TGID_Y_EN: 0
; COMPUTE_PGM_RSRC2:TGID_Z_EN: 0
; COMPUTE_PGM_RSRC2:TIDIG_COMP_CNT: 0
	.section	.text._ZN7rocprim17ROCPRIM_400000_NS6detail17trampoline_kernelINS0_14default_configENS1_35adjacent_difference_config_selectorILb1EiEEZNS1_24adjacent_difference_implIS3_Lb1ELb0EPiN6thrust23THRUST_200600_302600_NS16discard_iteratorINS9_11use_defaultEEENS9_5minusIiEEEE10hipError_tPvRmT2_T3_mT4_P12ihipStream_tbEUlT_E_NS1_11comp_targetILNS1_3genE10ELNS1_11target_archE1201ELNS1_3gpuE5ELNS1_3repE0EEENS1_30default_config_static_selectorELNS0_4arch9wavefront6targetE1EEEvT1_,"axG",@progbits,_ZN7rocprim17ROCPRIM_400000_NS6detail17trampoline_kernelINS0_14default_configENS1_35adjacent_difference_config_selectorILb1EiEEZNS1_24adjacent_difference_implIS3_Lb1ELb0EPiN6thrust23THRUST_200600_302600_NS16discard_iteratorINS9_11use_defaultEEENS9_5minusIiEEEE10hipError_tPvRmT2_T3_mT4_P12ihipStream_tbEUlT_E_NS1_11comp_targetILNS1_3genE10ELNS1_11target_archE1201ELNS1_3gpuE5ELNS1_3repE0EEENS1_30default_config_static_selectorELNS0_4arch9wavefront6targetE1EEEvT1_,comdat
	.protected	_ZN7rocprim17ROCPRIM_400000_NS6detail17trampoline_kernelINS0_14default_configENS1_35adjacent_difference_config_selectorILb1EiEEZNS1_24adjacent_difference_implIS3_Lb1ELb0EPiN6thrust23THRUST_200600_302600_NS16discard_iteratorINS9_11use_defaultEEENS9_5minusIiEEEE10hipError_tPvRmT2_T3_mT4_P12ihipStream_tbEUlT_E_NS1_11comp_targetILNS1_3genE10ELNS1_11target_archE1201ELNS1_3gpuE5ELNS1_3repE0EEENS1_30default_config_static_selectorELNS0_4arch9wavefront6targetE1EEEvT1_ ; -- Begin function _ZN7rocprim17ROCPRIM_400000_NS6detail17trampoline_kernelINS0_14default_configENS1_35adjacent_difference_config_selectorILb1EiEEZNS1_24adjacent_difference_implIS3_Lb1ELb0EPiN6thrust23THRUST_200600_302600_NS16discard_iteratorINS9_11use_defaultEEENS9_5minusIiEEEE10hipError_tPvRmT2_T3_mT4_P12ihipStream_tbEUlT_E_NS1_11comp_targetILNS1_3genE10ELNS1_11target_archE1201ELNS1_3gpuE5ELNS1_3repE0EEENS1_30default_config_static_selectorELNS0_4arch9wavefront6targetE1EEEvT1_
	.globl	_ZN7rocprim17ROCPRIM_400000_NS6detail17trampoline_kernelINS0_14default_configENS1_35adjacent_difference_config_selectorILb1EiEEZNS1_24adjacent_difference_implIS3_Lb1ELb0EPiN6thrust23THRUST_200600_302600_NS16discard_iteratorINS9_11use_defaultEEENS9_5minusIiEEEE10hipError_tPvRmT2_T3_mT4_P12ihipStream_tbEUlT_E_NS1_11comp_targetILNS1_3genE10ELNS1_11target_archE1201ELNS1_3gpuE5ELNS1_3repE0EEENS1_30default_config_static_selectorELNS0_4arch9wavefront6targetE1EEEvT1_
	.p2align	8
	.type	_ZN7rocprim17ROCPRIM_400000_NS6detail17trampoline_kernelINS0_14default_configENS1_35adjacent_difference_config_selectorILb1EiEEZNS1_24adjacent_difference_implIS3_Lb1ELb0EPiN6thrust23THRUST_200600_302600_NS16discard_iteratorINS9_11use_defaultEEENS9_5minusIiEEEE10hipError_tPvRmT2_T3_mT4_P12ihipStream_tbEUlT_E_NS1_11comp_targetILNS1_3genE10ELNS1_11target_archE1201ELNS1_3gpuE5ELNS1_3repE0EEENS1_30default_config_static_selectorELNS0_4arch9wavefront6targetE1EEEvT1_,@function
_ZN7rocprim17ROCPRIM_400000_NS6detail17trampoline_kernelINS0_14default_configENS1_35adjacent_difference_config_selectorILb1EiEEZNS1_24adjacent_difference_implIS3_Lb1ELb0EPiN6thrust23THRUST_200600_302600_NS16discard_iteratorINS9_11use_defaultEEENS9_5minusIiEEEE10hipError_tPvRmT2_T3_mT4_P12ihipStream_tbEUlT_E_NS1_11comp_targetILNS1_3genE10ELNS1_11target_archE1201ELNS1_3gpuE5ELNS1_3repE0EEENS1_30default_config_static_selectorELNS0_4arch9wavefront6targetE1EEEvT1_: ; @_ZN7rocprim17ROCPRIM_400000_NS6detail17trampoline_kernelINS0_14default_configENS1_35adjacent_difference_config_selectorILb1EiEEZNS1_24adjacent_difference_implIS3_Lb1ELb0EPiN6thrust23THRUST_200600_302600_NS16discard_iteratorINS9_11use_defaultEEENS9_5minusIiEEEE10hipError_tPvRmT2_T3_mT4_P12ihipStream_tbEUlT_E_NS1_11comp_targetILNS1_3genE10ELNS1_11target_archE1201ELNS1_3gpuE5ELNS1_3repE0EEENS1_30default_config_static_selectorELNS0_4arch9wavefront6targetE1EEEvT1_
; %bb.0:
	.section	.rodata,"a",@progbits
	.p2align	6, 0x0
	.amdhsa_kernel _ZN7rocprim17ROCPRIM_400000_NS6detail17trampoline_kernelINS0_14default_configENS1_35adjacent_difference_config_selectorILb1EiEEZNS1_24adjacent_difference_implIS3_Lb1ELb0EPiN6thrust23THRUST_200600_302600_NS16discard_iteratorINS9_11use_defaultEEENS9_5minusIiEEEE10hipError_tPvRmT2_T3_mT4_P12ihipStream_tbEUlT_E_NS1_11comp_targetILNS1_3genE10ELNS1_11target_archE1201ELNS1_3gpuE5ELNS1_3repE0EEENS1_30default_config_static_selectorELNS0_4arch9wavefront6targetE1EEEvT1_
		.amdhsa_group_segment_fixed_size 0
		.amdhsa_private_segment_fixed_size 0
		.amdhsa_kernarg_size 64
		.amdhsa_user_sgpr_count 6
		.amdhsa_user_sgpr_private_segment_buffer 1
		.amdhsa_user_sgpr_dispatch_ptr 0
		.amdhsa_user_sgpr_queue_ptr 0
		.amdhsa_user_sgpr_kernarg_segment_ptr 1
		.amdhsa_user_sgpr_dispatch_id 0
		.amdhsa_user_sgpr_flat_scratch_init 0
		.amdhsa_user_sgpr_private_segment_size 0
		.amdhsa_uses_dynamic_stack 0
		.amdhsa_system_sgpr_private_segment_wavefront_offset 0
		.amdhsa_system_sgpr_workgroup_id_x 1
		.amdhsa_system_sgpr_workgroup_id_y 0
		.amdhsa_system_sgpr_workgroup_id_z 0
		.amdhsa_system_sgpr_workgroup_info 0
		.amdhsa_system_vgpr_workitem_id 0
		.amdhsa_next_free_vgpr 1
		.amdhsa_next_free_sgpr 0
		.amdhsa_reserve_vcc 0
		.amdhsa_reserve_flat_scratch 0
		.amdhsa_float_round_mode_32 0
		.amdhsa_float_round_mode_16_64 0
		.amdhsa_float_denorm_mode_32 3
		.amdhsa_float_denorm_mode_16_64 3
		.amdhsa_dx10_clamp 1
		.amdhsa_ieee_mode 1
		.amdhsa_fp16_overflow 0
		.amdhsa_exception_fp_ieee_invalid_op 0
		.amdhsa_exception_fp_denorm_src 0
		.amdhsa_exception_fp_ieee_div_zero 0
		.amdhsa_exception_fp_ieee_overflow 0
		.amdhsa_exception_fp_ieee_underflow 0
		.amdhsa_exception_fp_ieee_inexact 0
		.amdhsa_exception_int_div_zero 0
	.end_amdhsa_kernel
	.section	.text._ZN7rocprim17ROCPRIM_400000_NS6detail17trampoline_kernelINS0_14default_configENS1_35adjacent_difference_config_selectorILb1EiEEZNS1_24adjacent_difference_implIS3_Lb1ELb0EPiN6thrust23THRUST_200600_302600_NS16discard_iteratorINS9_11use_defaultEEENS9_5minusIiEEEE10hipError_tPvRmT2_T3_mT4_P12ihipStream_tbEUlT_E_NS1_11comp_targetILNS1_3genE10ELNS1_11target_archE1201ELNS1_3gpuE5ELNS1_3repE0EEENS1_30default_config_static_selectorELNS0_4arch9wavefront6targetE1EEEvT1_,"axG",@progbits,_ZN7rocprim17ROCPRIM_400000_NS6detail17trampoline_kernelINS0_14default_configENS1_35adjacent_difference_config_selectorILb1EiEEZNS1_24adjacent_difference_implIS3_Lb1ELb0EPiN6thrust23THRUST_200600_302600_NS16discard_iteratorINS9_11use_defaultEEENS9_5minusIiEEEE10hipError_tPvRmT2_T3_mT4_P12ihipStream_tbEUlT_E_NS1_11comp_targetILNS1_3genE10ELNS1_11target_archE1201ELNS1_3gpuE5ELNS1_3repE0EEENS1_30default_config_static_selectorELNS0_4arch9wavefront6targetE1EEEvT1_,comdat
.Lfunc_end885:
	.size	_ZN7rocprim17ROCPRIM_400000_NS6detail17trampoline_kernelINS0_14default_configENS1_35adjacent_difference_config_selectorILb1EiEEZNS1_24adjacent_difference_implIS3_Lb1ELb0EPiN6thrust23THRUST_200600_302600_NS16discard_iteratorINS9_11use_defaultEEENS9_5minusIiEEEE10hipError_tPvRmT2_T3_mT4_P12ihipStream_tbEUlT_E_NS1_11comp_targetILNS1_3genE10ELNS1_11target_archE1201ELNS1_3gpuE5ELNS1_3repE0EEENS1_30default_config_static_selectorELNS0_4arch9wavefront6targetE1EEEvT1_, .Lfunc_end885-_ZN7rocprim17ROCPRIM_400000_NS6detail17trampoline_kernelINS0_14default_configENS1_35adjacent_difference_config_selectorILb1EiEEZNS1_24adjacent_difference_implIS3_Lb1ELb0EPiN6thrust23THRUST_200600_302600_NS16discard_iteratorINS9_11use_defaultEEENS9_5minusIiEEEE10hipError_tPvRmT2_T3_mT4_P12ihipStream_tbEUlT_E_NS1_11comp_targetILNS1_3genE10ELNS1_11target_archE1201ELNS1_3gpuE5ELNS1_3repE0EEENS1_30default_config_static_selectorELNS0_4arch9wavefront6targetE1EEEvT1_
                                        ; -- End function
	.set _ZN7rocprim17ROCPRIM_400000_NS6detail17trampoline_kernelINS0_14default_configENS1_35adjacent_difference_config_selectorILb1EiEEZNS1_24adjacent_difference_implIS3_Lb1ELb0EPiN6thrust23THRUST_200600_302600_NS16discard_iteratorINS9_11use_defaultEEENS9_5minusIiEEEE10hipError_tPvRmT2_T3_mT4_P12ihipStream_tbEUlT_E_NS1_11comp_targetILNS1_3genE10ELNS1_11target_archE1201ELNS1_3gpuE5ELNS1_3repE0EEENS1_30default_config_static_selectorELNS0_4arch9wavefront6targetE1EEEvT1_.num_vgpr, 0
	.set _ZN7rocprim17ROCPRIM_400000_NS6detail17trampoline_kernelINS0_14default_configENS1_35adjacent_difference_config_selectorILb1EiEEZNS1_24adjacent_difference_implIS3_Lb1ELb0EPiN6thrust23THRUST_200600_302600_NS16discard_iteratorINS9_11use_defaultEEENS9_5minusIiEEEE10hipError_tPvRmT2_T3_mT4_P12ihipStream_tbEUlT_E_NS1_11comp_targetILNS1_3genE10ELNS1_11target_archE1201ELNS1_3gpuE5ELNS1_3repE0EEENS1_30default_config_static_selectorELNS0_4arch9wavefront6targetE1EEEvT1_.num_agpr, 0
	.set _ZN7rocprim17ROCPRIM_400000_NS6detail17trampoline_kernelINS0_14default_configENS1_35adjacent_difference_config_selectorILb1EiEEZNS1_24adjacent_difference_implIS3_Lb1ELb0EPiN6thrust23THRUST_200600_302600_NS16discard_iteratorINS9_11use_defaultEEENS9_5minusIiEEEE10hipError_tPvRmT2_T3_mT4_P12ihipStream_tbEUlT_E_NS1_11comp_targetILNS1_3genE10ELNS1_11target_archE1201ELNS1_3gpuE5ELNS1_3repE0EEENS1_30default_config_static_selectorELNS0_4arch9wavefront6targetE1EEEvT1_.numbered_sgpr, 0
	.set _ZN7rocprim17ROCPRIM_400000_NS6detail17trampoline_kernelINS0_14default_configENS1_35adjacent_difference_config_selectorILb1EiEEZNS1_24adjacent_difference_implIS3_Lb1ELb0EPiN6thrust23THRUST_200600_302600_NS16discard_iteratorINS9_11use_defaultEEENS9_5minusIiEEEE10hipError_tPvRmT2_T3_mT4_P12ihipStream_tbEUlT_E_NS1_11comp_targetILNS1_3genE10ELNS1_11target_archE1201ELNS1_3gpuE5ELNS1_3repE0EEENS1_30default_config_static_selectorELNS0_4arch9wavefront6targetE1EEEvT1_.num_named_barrier, 0
	.set _ZN7rocprim17ROCPRIM_400000_NS6detail17trampoline_kernelINS0_14default_configENS1_35adjacent_difference_config_selectorILb1EiEEZNS1_24adjacent_difference_implIS3_Lb1ELb0EPiN6thrust23THRUST_200600_302600_NS16discard_iteratorINS9_11use_defaultEEENS9_5minusIiEEEE10hipError_tPvRmT2_T3_mT4_P12ihipStream_tbEUlT_E_NS1_11comp_targetILNS1_3genE10ELNS1_11target_archE1201ELNS1_3gpuE5ELNS1_3repE0EEENS1_30default_config_static_selectorELNS0_4arch9wavefront6targetE1EEEvT1_.private_seg_size, 0
	.set _ZN7rocprim17ROCPRIM_400000_NS6detail17trampoline_kernelINS0_14default_configENS1_35adjacent_difference_config_selectorILb1EiEEZNS1_24adjacent_difference_implIS3_Lb1ELb0EPiN6thrust23THRUST_200600_302600_NS16discard_iteratorINS9_11use_defaultEEENS9_5minusIiEEEE10hipError_tPvRmT2_T3_mT4_P12ihipStream_tbEUlT_E_NS1_11comp_targetILNS1_3genE10ELNS1_11target_archE1201ELNS1_3gpuE5ELNS1_3repE0EEENS1_30default_config_static_selectorELNS0_4arch9wavefront6targetE1EEEvT1_.uses_vcc, 0
	.set _ZN7rocprim17ROCPRIM_400000_NS6detail17trampoline_kernelINS0_14default_configENS1_35adjacent_difference_config_selectorILb1EiEEZNS1_24adjacent_difference_implIS3_Lb1ELb0EPiN6thrust23THRUST_200600_302600_NS16discard_iteratorINS9_11use_defaultEEENS9_5minusIiEEEE10hipError_tPvRmT2_T3_mT4_P12ihipStream_tbEUlT_E_NS1_11comp_targetILNS1_3genE10ELNS1_11target_archE1201ELNS1_3gpuE5ELNS1_3repE0EEENS1_30default_config_static_selectorELNS0_4arch9wavefront6targetE1EEEvT1_.uses_flat_scratch, 0
	.set _ZN7rocprim17ROCPRIM_400000_NS6detail17trampoline_kernelINS0_14default_configENS1_35adjacent_difference_config_selectorILb1EiEEZNS1_24adjacent_difference_implIS3_Lb1ELb0EPiN6thrust23THRUST_200600_302600_NS16discard_iteratorINS9_11use_defaultEEENS9_5minusIiEEEE10hipError_tPvRmT2_T3_mT4_P12ihipStream_tbEUlT_E_NS1_11comp_targetILNS1_3genE10ELNS1_11target_archE1201ELNS1_3gpuE5ELNS1_3repE0EEENS1_30default_config_static_selectorELNS0_4arch9wavefront6targetE1EEEvT1_.has_dyn_sized_stack, 0
	.set _ZN7rocprim17ROCPRIM_400000_NS6detail17trampoline_kernelINS0_14default_configENS1_35adjacent_difference_config_selectorILb1EiEEZNS1_24adjacent_difference_implIS3_Lb1ELb0EPiN6thrust23THRUST_200600_302600_NS16discard_iteratorINS9_11use_defaultEEENS9_5minusIiEEEE10hipError_tPvRmT2_T3_mT4_P12ihipStream_tbEUlT_E_NS1_11comp_targetILNS1_3genE10ELNS1_11target_archE1201ELNS1_3gpuE5ELNS1_3repE0EEENS1_30default_config_static_selectorELNS0_4arch9wavefront6targetE1EEEvT1_.has_recursion, 0
	.set _ZN7rocprim17ROCPRIM_400000_NS6detail17trampoline_kernelINS0_14default_configENS1_35adjacent_difference_config_selectorILb1EiEEZNS1_24adjacent_difference_implIS3_Lb1ELb0EPiN6thrust23THRUST_200600_302600_NS16discard_iteratorINS9_11use_defaultEEENS9_5minusIiEEEE10hipError_tPvRmT2_T3_mT4_P12ihipStream_tbEUlT_E_NS1_11comp_targetILNS1_3genE10ELNS1_11target_archE1201ELNS1_3gpuE5ELNS1_3repE0EEENS1_30default_config_static_selectorELNS0_4arch9wavefront6targetE1EEEvT1_.has_indirect_call, 0
	.section	.AMDGPU.csdata,"",@progbits
; Kernel info:
; codeLenInByte = 0
; TotalNumSgprs: 4
; NumVgprs: 0
; ScratchSize: 0
; MemoryBound: 0
; FloatMode: 240
; IeeeMode: 1
; LDSByteSize: 0 bytes/workgroup (compile time only)
; SGPRBlocks: 0
; VGPRBlocks: 0
; NumSGPRsForWavesPerEU: 4
; NumVGPRsForWavesPerEU: 1
; Occupancy: 10
; WaveLimiterHint : 0
; COMPUTE_PGM_RSRC2:SCRATCH_EN: 0
; COMPUTE_PGM_RSRC2:USER_SGPR: 6
; COMPUTE_PGM_RSRC2:TRAP_HANDLER: 0
; COMPUTE_PGM_RSRC2:TGID_X_EN: 1
; COMPUTE_PGM_RSRC2:TGID_Y_EN: 0
; COMPUTE_PGM_RSRC2:TGID_Z_EN: 0
; COMPUTE_PGM_RSRC2:TIDIG_COMP_CNT: 0
	.section	.text._ZN7rocprim17ROCPRIM_400000_NS6detail17trampoline_kernelINS0_14default_configENS1_35adjacent_difference_config_selectorILb1EiEEZNS1_24adjacent_difference_implIS3_Lb1ELb0EPiN6thrust23THRUST_200600_302600_NS16discard_iteratorINS9_11use_defaultEEENS9_5minusIiEEEE10hipError_tPvRmT2_T3_mT4_P12ihipStream_tbEUlT_E_NS1_11comp_targetILNS1_3genE5ELNS1_11target_archE942ELNS1_3gpuE9ELNS1_3repE0EEENS1_30default_config_static_selectorELNS0_4arch9wavefront6targetE1EEEvT1_,"axG",@progbits,_ZN7rocprim17ROCPRIM_400000_NS6detail17trampoline_kernelINS0_14default_configENS1_35adjacent_difference_config_selectorILb1EiEEZNS1_24adjacent_difference_implIS3_Lb1ELb0EPiN6thrust23THRUST_200600_302600_NS16discard_iteratorINS9_11use_defaultEEENS9_5minusIiEEEE10hipError_tPvRmT2_T3_mT4_P12ihipStream_tbEUlT_E_NS1_11comp_targetILNS1_3genE5ELNS1_11target_archE942ELNS1_3gpuE9ELNS1_3repE0EEENS1_30default_config_static_selectorELNS0_4arch9wavefront6targetE1EEEvT1_,comdat
	.protected	_ZN7rocprim17ROCPRIM_400000_NS6detail17trampoline_kernelINS0_14default_configENS1_35adjacent_difference_config_selectorILb1EiEEZNS1_24adjacent_difference_implIS3_Lb1ELb0EPiN6thrust23THRUST_200600_302600_NS16discard_iteratorINS9_11use_defaultEEENS9_5minusIiEEEE10hipError_tPvRmT2_T3_mT4_P12ihipStream_tbEUlT_E_NS1_11comp_targetILNS1_3genE5ELNS1_11target_archE942ELNS1_3gpuE9ELNS1_3repE0EEENS1_30default_config_static_selectorELNS0_4arch9wavefront6targetE1EEEvT1_ ; -- Begin function _ZN7rocprim17ROCPRIM_400000_NS6detail17trampoline_kernelINS0_14default_configENS1_35adjacent_difference_config_selectorILb1EiEEZNS1_24adjacent_difference_implIS3_Lb1ELb0EPiN6thrust23THRUST_200600_302600_NS16discard_iteratorINS9_11use_defaultEEENS9_5minusIiEEEE10hipError_tPvRmT2_T3_mT4_P12ihipStream_tbEUlT_E_NS1_11comp_targetILNS1_3genE5ELNS1_11target_archE942ELNS1_3gpuE9ELNS1_3repE0EEENS1_30default_config_static_selectorELNS0_4arch9wavefront6targetE1EEEvT1_
	.globl	_ZN7rocprim17ROCPRIM_400000_NS6detail17trampoline_kernelINS0_14default_configENS1_35adjacent_difference_config_selectorILb1EiEEZNS1_24adjacent_difference_implIS3_Lb1ELb0EPiN6thrust23THRUST_200600_302600_NS16discard_iteratorINS9_11use_defaultEEENS9_5minusIiEEEE10hipError_tPvRmT2_T3_mT4_P12ihipStream_tbEUlT_E_NS1_11comp_targetILNS1_3genE5ELNS1_11target_archE942ELNS1_3gpuE9ELNS1_3repE0EEENS1_30default_config_static_selectorELNS0_4arch9wavefront6targetE1EEEvT1_
	.p2align	8
	.type	_ZN7rocprim17ROCPRIM_400000_NS6detail17trampoline_kernelINS0_14default_configENS1_35adjacent_difference_config_selectorILb1EiEEZNS1_24adjacent_difference_implIS3_Lb1ELb0EPiN6thrust23THRUST_200600_302600_NS16discard_iteratorINS9_11use_defaultEEENS9_5minusIiEEEE10hipError_tPvRmT2_T3_mT4_P12ihipStream_tbEUlT_E_NS1_11comp_targetILNS1_3genE5ELNS1_11target_archE942ELNS1_3gpuE9ELNS1_3repE0EEENS1_30default_config_static_selectorELNS0_4arch9wavefront6targetE1EEEvT1_,@function
_ZN7rocprim17ROCPRIM_400000_NS6detail17trampoline_kernelINS0_14default_configENS1_35adjacent_difference_config_selectorILb1EiEEZNS1_24adjacent_difference_implIS3_Lb1ELb0EPiN6thrust23THRUST_200600_302600_NS16discard_iteratorINS9_11use_defaultEEENS9_5minusIiEEEE10hipError_tPvRmT2_T3_mT4_P12ihipStream_tbEUlT_E_NS1_11comp_targetILNS1_3genE5ELNS1_11target_archE942ELNS1_3gpuE9ELNS1_3repE0EEENS1_30default_config_static_selectorELNS0_4arch9wavefront6targetE1EEEvT1_: ; @_ZN7rocprim17ROCPRIM_400000_NS6detail17trampoline_kernelINS0_14default_configENS1_35adjacent_difference_config_selectorILb1EiEEZNS1_24adjacent_difference_implIS3_Lb1ELb0EPiN6thrust23THRUST_200600_302600_NS16discard_iteratorINS9_11use_defaultEEENS9_5minusIiEEEE10hipError_tPvRmT2_T3_mT4_P12ihipStream_tbEUlT_E_NS1_11comp_targetILNS1_3genE5ELNS1_11target_archE942ELNS1_3gpuE9ELNS1_3repE0EEENS1_30default_config_static_selectorELNS0_4arch9wavefront6targetE1EEEvT1_
; %bb.0:
	.section	.rodata,"a",@progbits
	.p2align	6, 0x0
	.amdhsa_kernel _ZN7rocprim17ROCPRIM_400000_NS6detail17trampoline_kernelINS0_14default_configENS1_35adjacent_difference_config_selectorILb1EiEEZNS1_24adjacent_difference_implIS3_Lb1ELb0EPiN6thrust23THRUST_200600_302600_NS16discard_iteratorINS9_11use_defaultEEENS9_5minusIiEEEE10hipError_tPvRmT2_T3_mT4_P12ihipStream_tbEUlT_E_NS1_11comp_targetILNS1_3genE5ELNS1_11target_archE942ELNS1_3gpuE9ELNS1_3repE0EEENS1_30default_config_static_selectorELNS0_4arch9wavefront6targetE1EEEvT1_
		.amdhsa_group_segment_fixed_size 0
		.amdhsa_private_segment_fixed_size 0
		.amdhsa_kernarg_size 64
		.amdhsa_user_sgpr_count 6
		.amdhsa_user_sgpr_private_segment_buffer 1
		.amdhsa_user_sgpr_dispatch_ptr 0
		.amdhsa_user_sgpr_queue_ptr 0
		.amdhsa_user_sgpr_kernarg_segment_ptr 1
		.amdhsa_user_sgpr_dispatch_id 0
		.amdhsa_user_sgpr_flat_scratch_init 0
		.amdhsa_user_sgpr_private_segment_size 0
		.amdhsa_uses_dynamic_stack 0
		.amdhsa_system_sgpr_private_segment_wavefront_offset 0
		.amdhsa_system_sgpr_workgroup_id_x 1
		.amdhsa_system_sgpr_workgroup_id_y 0
		.amdhsa_system_sgpr_workgroup_id_z 0
		.amdhsa_system_sgpr_workgroup_info 0
		.amdhsa_system_vgpr_workitem_id 0
		.amdhsa_next_free_vgpr 1
		.amdhsa_next_free_sgpr 0
		.amdhsa_reserve_vcc 0
		.amdhsa_reserve_flat_scratch 0
		.amdhsa_float_round_mode_32 0
		.amdhsa_float_round_mode_16_64 0
		.amdhsa_float_denorm_mode_32 3
		.amdhsa_float_denorm_mode_16_64 3
		.amdhsa_dx10_clamp 1
		.amdhsa_ieee_mode 1
		.amdhsa_fp16_overflow 0
		.amdhsa_exception_fp_ieee_invalid_op 0
		.amdhsa_exception_fp_denorm_src 0
		.amdhsa_exception_fp_ieee_div_zero 0
		.amdhsa_exception_fp_ieee_overflow 0
		.amdhsa_exception_fp_ieee_underflow 0
		.amdhsa_exception_fp_ieee_inexact 0
		.amdhsa_exception_int_div_zero 0
	.end_amdhsa_kernel
	.section	.text._ZN7rocprim17ROCPRIM_400000_NS6detail17trampoline_kernelINS0_14default_configENS1_35adjacent_difference_config_selectorILb1EiEEZNS1_24adjacent_difference_implIS3_Lb1ELb0EPiN6thrust23THRUST_200600_302600_NS16discard_iteratorINS9_11use_defaultEEENS9_5minusIiEEEE10hipError_tPvRmT2_T3_mT4_P12ihipStream_tbEUlT_E_NS1_11comp_targetILNS1_3genE5ELNS1_11target_archE942ELNS1_3gpuE9ELNS1_3repE0EEENS1_30default_config_static_selectorELNS0_4arch9wavefront6targetE1EEEvT1_,"axG",@progbits,_ZN7rocprim17ROCPRIM_400000_NS6detail17trampoline_kernelINS0_14default_configENS1_35adjacent_difference_config_selectorILb1EiEEZNS1_24adjacent_difference_implIS3_Lb1ELb0EPiN6thrust23THRUST_200600_302600_NS16discard_iteratorINS9_11use_defaultEEENS9_5minusIiEEEE10hipError_tPvRmT2_T3_mT4_P12ihipStream_tbEUlT_E_NS1_11comp_targetILNS1_3genE5ELNS1_11target_archE942ELNS1_3gpuE9ELNS1_3repE0EEENS1_30default_config_static_selectorELNS0_4arch9wavefront6targetE1EEEvT1_,comdat
.Lfunc_end886:
	.size	_ZN7rocprim17ROCPRIM_400000_NS6detail17trampoline_kernelINS0_14default_configENS1_35adjacent_difference_config_selectorILb1EiEEZNS1_24adjacent_difference_implIS3_Lb1ELb0EPiN6thrust23THRUST_200600_302600_NS16discard_iteratorINS9_11use_defaultEEENS9_5minusIiEEEE10hipError_tPvRmT2_T3_mT4_P12ihipStream_tbEUlT_E_NS1_11comp_targetILNS1_3genE5ELNS1_11target_archE942ELNS1_3gpuE9ELNS1_3repE0EEENS1_30default_config_static_selectorELNS0_4arch9wavefront6targetE1EEEvT1_, .Lfunc_end886-_ZN7rocprim17ROCPRIM_400000_NS6detail17trampoline_kernelINS0_14default_configENS1_35adjacent_difference_config_selectorILb1EiEEZNS1_24adjacent_difference_implIS3_Lb1ELb0EPiN6thrust23THRUST_200600_302600_NS16discard_iteratorINS9_11use_defaultEEENS9_5minusIiEEEE10hipError_tPvRmT2_T3_mT4_P12ihipStream_tbEUlT_E_NS1_11comp_targetILNS1_3genE5ELNS1_11target_archE942ELNS1_3gpuE9ELNS1_3repE0EEENS1_30default_config_static_selectorELNS0_4arch9wavefront6targetE1EEEvT1_
                                        ; -- End function
	.set _ZN7rocprim17ROCPRIM_400000_NS6detail17trampoline_kernelINS0_14default_configENS1_35adjacent_difference_config_selectorILb1EiEEZNS1_24adjacent_difference_implIS3_Lb1ELb0EPiN6thrust23THRUST_200600_302600_NS16discard_iteratorINS9_11use_defaultEEENS9_5minusIiEEEE10hipError_tPvRmT2_T3_mT4_P12ihipStream_tbEUlT_E_NS1_11comp_targetILNS1_3genE5ELNS1_11target_archE942ELNS1_3gpuE9ELNS1_3repE0EEENS1_30default_config_static_selectorELNS0_4arch9wavefront6targetE1EEEvT1_.num_vgpr, 0
	.set _ZN7rocprim17ROCPRIM_400000_NS6detail17trampoline_kernelINS0_14default_configENS1_35adjacent_difference_config_selectorILb1EiEEZNS1_24adjacent_difference_implIS3_Lb1ELb0EPiN6thrust23THRUST_200600_302600_NS16discard_iteratorINS9_11use_defaultEEENS9_5minusIiEEEE10hipError_tPvRmT2_T3_mT4_P12ihipStream_tbEUlT_E_NS1_11comp_targetILNS1_3genE5ELNS1_11target_archE942ELNS1_3gpuE9ELNS1_3repE0EEENS1_30default_config_static_selectorELNS0_4arch9wavefront6targetE1EEEvT1_.num_agpr, 0
	.set _ZN7rocprim17ROCPRIM_400000_NS6detail17trampoline_kernelINS0_14default_configENS1_35adjacent_difference_config_selectorILb1EiEEZNS1_24adjacent_difference_implIS3_Lb1ELb0EPiN6thrust23THRUST_200600_302600_NS16discard_iteratorINS9_11use_defaultEEENS9_5minusIiEEEE10hipError_tPvRmT2_T3_mT4_P12ihipStream_tbEUlT_E_NS1_11comp_targetILNS1_3genE5ELNS1_11target_archE942ELNS1_3gpuE9ELNS1_3repE0EEENS1_30default_config_static_selectorELNS0_4arch9wavefront6targetE1EEEvT1_.numbered_sgpr, 0
	.set _ZN7rocprim17ROCPRIM_400000_NS6detail17trampoline_kernelINS0_14default_configENS1_35adjacent_difference_config_selectorILb1EiEEZNS1_24adjacent_difference_implIS3_Lb1ELb0EPiN6thrust23THRUST_200600_302600_NS16discard_iteratorINS9_11use_defaultEEENS9_5minusIiEEEE10hipError_tPvRmT2_T3_mT4_P12ihipStream_tbEUlT_E_NS1_11comp_targetILNS1_3genE5ELNS1_11target_archE942ELNS1_3gpuE9ELNS1_3repE0EEENS1_30default_config_static_selectorELNS0_4arch9wavefront6targetE1EEEvT1_.num_named_barrier, 0
	.set _ZN7rocprim17ROCPRIM_400000_NS6detail17trampoline_kernelINS0_14default_configENS1_35adjacent_difference_config_selectorILb1EiEEZNS1_24adjacent_difference_implIS3_Lb1ELb0EPiN6thrust23THRUST_200600_302600_NS16discard_iteratorINS9_11use_defaultEEENS9_5minusIiEEEE10hipError_tPvRmT2_T3_mT4_P12ihipStream_tbEUlT_E_NS1_11comp_targetILNS1_3genE5ELNS1_11target_archE942ELNS1_3gpuE9ELNS1_3repE0EEENS1_30default_config_static_selectorELNS0_4arch9wavefront6targetE1EEEvT1_.private_seg_size, 0
	.set _ZN7rocprim17ROCPRIM_400000_NS6detail17trampoline_kernelINS0_14default_configENS1_35adjacent_difference_config_selectorILb1EiEEZNS1_24adjacent_difference_implIS3_Lb1ELb0EPiN6thrust23THRUST_200600_302600_NS16discard_iteratorINS9_11use_defaultEEENS9_5minusIiEEEE10hipError_tPvRmT2_T3_mT4_P12ihipStream_tbEUlT_E_NS1_11comp_targetILNS1_3genE5ELNS1_11target_archE942ELNS1_3gpuE9ELNS1_3repE0EEENS1_30default_config_static_selectorELNS0_4arch9wavefront6targetE1EEEvT1_.uses_vcc, 0
	.set _ZN7rocprim17ROCPRIM_400000_NS6detail17trampoline_kernelINS0_14default_configENS1_35adjacent_difference_config_selectorILb1EiEEZNS1_24adjacent_difference_implIS3_Lb1ELb0EPiN6thrust23THRUST_200600_302600_NS16discard_iteratorINS9_11use_defaultEEENS9_5minusIiEEEE10hipError_tPvRmT2_T3_mT4_P12ihipStream_tbEUlT_E_NS1_11comp_targetILNS1_3genE5ELNS1_11target_archE942ELNS1_3gpuE9ELNS1_3repE0EEENS1_30default_config_static_selectorELNS0_4arch9wavefront6targetE1EEEvT1_.uses_flat_scratch, 0
	.set _ZN7rocprim17ROCPRIM_400000_NS6detail17trampoline_kernelINS0_14default_configENS1_35adjacent_difference_config_selectorILb1EiEEZNS1_24adjacent_difference_implIS3_Lb1ELb0EPiN6thrust23THRUST_200600_302600_NS16discard_iteratorINS9_11use_defaultEEENS9_5minusIiEEEE10hipError_tPvRmT2_T3_mT4_P12ihipStream_tbEUlT_E_NS1_11comp_targetILNS1_3genE5ELNS1_11target_archE942ELNS1_3gpuE9ELNS1_3repE0EEENS1_30default_config_static_selectorELNS0_4arch9wavefront6targetE1EEEvT1_.has_dyn_sized_stack, 0
	.set _ZN7rocprim17ROCPRIM_400000_NS6detail17trampoline_kernelINS0_14default_configENS1_35adjacent_difference_config_selectorILb1EiEEZNS1_24adjacent_difference_implIS3_Lb1ELb0EPiN6thrust23THRUST_200600_302600_NS16discard_iteratorINS9_11use_defaultEEENS9_5minusIiEEEE10hipError_tPvRmT2_T3_mT4_P12ihipStream_tbEUlT_E_NS1_11comp_targetILNS1_3genE5ELNS1_11target_archE942ELNS1_3gpuE9ELNS1_3repE0EEENS1_30default_config_static_selectorELNS0_4arch9wavefront6targetE1EEEvT1_.has_recursion, 0
	.set _ZN7rocprim17ROCPRIM_400000_NS6detail17trampoline_kernelINS0_14default_configENS1_35adjacent_difference_config_selectorILb1EiEEZNS1_24adjacent_difference_implIS3_Lb1ELb0EPiN6thrust23THRUST_200600_302600_NS16discard_iteratorINS9_11use_defaultEEENS9_5minusIiEEEE10hipError_tPvRmT2_T3_mT4_P12ihipStream_tbEUlT_E_NS1_11comp_targetILNS1_3genE5ELNS1_11target_archE942ELNS1_3gpuE9ELNS1_3repE0EEENS1_30default_config_static_selectorELNS0_4arch9wavefront6targetE1EEEvT1_.has_indirect_call, 0
	.section	.AMDGPU.csdata,"",@progbits
; Kernel info:
; codeLenInByte = 0
; TotalNumSgprs: 4
; NumVgprs: 0
; ScratchSize: 0
; MemoryBound: 0
; FloatMode: 240
; IeeeMode: 1
; LDSByteSize: 0 bytes/workgroup (compile time only)
; SGPRBlocks: 0
; VGPRBlocks: 0
; NumSGPRsForWavesPerEU: 4
; NumVGPRsForWavesPerEU: 1
; Occupancy: 10
; WaveLimiterHint : 0
; COMPUTE_PGM_RSRC2:SCRATCH_EN: 0
; COMPUTE_PGM_RSRC2:USER_SGPR: 6
; COMPUTE_PGM_RSRC2:TRAP_HANDLER: 0
; COMPUTE_PGM_RSRC2:TGID_X_EN: 1
; COMPUTE_PGM_RSRC2:TGID_Y_EN: 0
; COMPUTE_PGM_RSRC2:TGID_Z_EN: 0
; COMPUTE_PGM_RSRC2:TIDIG_COMP_CNT: 0
	.section	.text._ZN7rocprim17ROCPRIM_400000_NS6detail17trampoline_kernelINS0_14default_configENS1_35adjacent_difference_config_selectorILb1EiEEZNS1_24adjacent_difference_implIS3_Lb1ELb0EPiN6thrust23THRUST_200600_302600_NS16discard_iteratorINS9_11use_defaultEEENS9_5minusIiEEEE10hipError_tPvRmT2_T3_mT4_P12ihipStream_tbEUlT_E_NS1_11comp_targetILNS1_3genE4ELNS1_11target_archE910ELNS1_3gpuE8ELNS1_3repE0EEENS1_30default_config_static_selectorELNS0_4arch9wavefront6targetE1EEEvT1_,"axG",@progbits,_ZN7rocprim17ROCPRIM_400000_NS6detail17trampoline_kernelINS0_14default_configENS1_35adjacent_difference_config_selectorILb1EiEEZNS1_24adjacent_difference_implIS3_Lb1ELb0EPiN6thrust23THRUST_200600_302600_NS16discard_iteratorINS9_11use_defaultEEENS9_5minusIiEEEE10hipError_tPvRmT2_T3_mT4_P12ihipStream_tbEUlT_E_NS1_11comp_targetILNS1_3genE4ELNS1_11target_archE910ELNS1_3gpuE8ELNS1_3repE0EEENS1_30default_config_static_selectorELNS0_4arch9wavefront6targetE1EEEvT1_,comdat
	.protected	_ZN7rocprim17ROCPRIM_400000_NS6detail17trampoline_kernelINS0_14default_configENS1_35adjacent_difference_config_selectorILb1EiEEZNS1_24adjacent_difference_implIS3_Lb1ELb0EPiN6thrust23THRUST_200600_302600_NS16discard_iteratorINS9_11use_defaultEEENS9_5minusIiEEEE10hipError_tPvRmT2_T3_mT4_P12ihipStream_tbEUlT_E_NS1_11comp_targetILNS1_3genE4ELNS1_11target_archE910ELNS1_3gpuE8ELNS1_3repE0EEENS1_30default_config_static_selectorELNS0_4arch9wavefront6targetE1EEEvT1_ ; -- Begin function _ZN7rocprim17ROCPRIM_400000_NS6detail17trampoline_kernelINS0_14default_configENS1_35adjacent_difference_config_selectorILb1EiEEZNS1_24adjacent_difference_implIS3_Lb1ELb0EPiN6thrust23THRUST_200600_302600_NS16discard_iteratorINS9_11use_defaultEEENS9_5minusIiEEEE10hipError_tPvRmT2_T3_mT4_P12ihipStream_tbEUlT_E_NS1_11comp_targetILNS1_3genE4ELNS1_11target_archE910ELNS1_3gpuE8ELNS1_3repE0EEENS1_30default_config_static_selectorELNS0_4arch9wavefront6targetE1EEEvT1_
	.globl	_ZN7rocprim17ROCPRIM_400000_NS6detail17trampoline_kernelINS0_14default_configENS1_35adjacent_difference_config_selectorILb1EiEEZNS1_24adjacent_difference_implIS3_Lb1ELb0EPiN6thrust23THRUST_200600_302600_NS16discard_iteratorINS9_11use_defaultEEENS9_5minusIiEEEE10hipError_tPvRmT2_T3_mT4_P12ihipStream_tbEUlT_E_NS1_11comp_targetILNS1_3genE4ELNS1_11target_archE910ELNS1_3gpuE8ELNS1_3repE0EEENS1_30default_config_static_selectorELNS0_4arch9wavefront6targetE1EEEvT1_
	.p2align	8
	.type	_ZN7rocprim17ROCPRIM_400000_NS6detail17trampoline_kernelINS0_14default_configENS1_35adjacent_difference_config_selectorILb1EiEEZNS1_24adjacent_difference_implIS3_Lb1ELb0EPiN6thrust23THRUST_200600_302600_NS16discard_iteratorINS9_11use_defaultEEENS9_5minusIiEEEE10hipError_tPvRmT2_T3_mT4_P12ihipStream_tbEUlT_E_NS1_11comp_targetILNS1_3genE4ELNS1_11target_archE910ELNS1_3gpuE8ELNS1_3repE0EEENS1_30default_config_static_selectorELNS0_4arch9wavefront6targetE1EEEvT1_,@function
_ZN7rocprim17ROCPRIM_400000_NS6detail17trampoline_kernelINS0_14default_configENS1_35adjacent_difference_config_selectorILb1EiEEZNS1_24adjacent_difference_implIS3_Lb1ELb0EPiN6thrust23THRUST_200600_302600_NS16discard_iteratorINS9_11use_defaultEEENS9_5minusIiEEEE10hipError_tPvRmT2_T3_mT4_P12ihipStream_tbEUlT_E_NS1_11comp_targetILNS1_3genE4ELNS1_11target_archE910ELNS1_3gpuE8ELNS1_3repE0EEENS1_30default_config_static_selectorELNS0_4arch9wavefront6targetE1EEEvT1_: ; @_ZN7rocprim17ROCPRIM_400000_NS6detail17trampoline_kernelINS0_14default_configENS1_35adjacent_difference_config_selectorILb1EiEEZNS1_24adjacent_difference_implIS3_Lb1ELb0EPiN6thrust23THRUST_200600_302600_NS16discard_iteratorINS9_11use_defaultEEENS9_5minusIiEEEE10hipError_tPvRmT2_T3_mT4_P12ihipStream_tbEUlT_E_NS1_11comp_targetILNS1_3genE4ELNS1_11target_archE910ELNS1_3gpuE8ELNS1_3repE0EEENS1_30default_config_static_selectorELNS0_4arch9wavefront6targetE1EEEvT1_
; %bb.0:
	.section	.rodata,"a",@progbits
	.p2align	6, 0x0
	.amdhsa_kernel _ZN7rocprim17ROCPRIM_400000_NS6detail17trampoline_kernelINS0_14default_configENS1_35adjacent_difference_config_selectorILb1EiEEZNS1_24adjacent_difference_implIS3_Lb1ELb0EPiN6thrust23THRUST_200600_302600_NS16discard_iteratorINS9_11use_defaultEEENS9_5minusIiEEEE10hipError_tPvRmT2_T3_mT4_P12ihipStream_tbEUlT_E_NS1_11comp_targetILNS1_3genE4ELNS1_11target_archE910ELNS1_3gpuE8ELNS1_3repE0EEENS1_30default_config_static_selectorELNS0_4arch9wavefront6targetE1EEEvT1_
		.amdhsa_group_segment_fixed_size 0
		.amdhsa_private_segment_fixed_size 0
		.amdhsa_kernarg_size 64
		.amdhsa_user_sgpr_count 6
		.amdhsa_user_sgpr_private_segment_buffer 1
		.amdhsa_user_sgpr_dispatch_ptr 0
		.amdhsa_user_sgpr_queue_ptr 0
		.amdhsa_user_sgpr_kernarg_segment_ptr 1
		.amdhsa_user_sgpr_dispatch_id 0
		.amdhsa_user_sgpr_flat_scratch_init 0
		.amdhsa_user_sgpr_private_segment_size 0
		.amdhsa_uses_dynamic_stack 0
		.amdhsa_system_sgpr_private_segment_wavefront_offset 0
		.amdhsa_system_sgpr_workgroup_id_x 1
		.amdhsa_system_sgpr_workgroup_id_y 0
		.amdhsa_system_sgpr_workgroup_id_z 0
		.amdhsa_system_sgpr_workgroup_info 0
		.amdhsa_system_vgpr_workitem_id 0
		.amdhsa_next_free_vgpr 1
		.amdhsa_next_free_sgpr 0
		.amdhsa_reserve_vcc 0
		.amdhsa_reserve_flat_scratch 0
		.amdhsa_float_round_mode_32 0
		.amdhsa_float_round_mode_16_64 0
		.amdhsa_float_denorm_mode_32 3
		.amdhsa_float_denorm_mode_16_64 3
		.amdhsa_dx10_clamp 1
		.amdhsa_ieee_mode 1
		.amdhsa_fp16_overflow 0
		.amdhsa_exception_fp_ieee_invalid_op 0
		.amdhsa_exception_fp_denorm_src 0
		.amdhsa_exception_fp_ieee_div_zero 0
		.amdhsa_exception_fp_ieee_overflow 0
		.amdhsa_exception_fp_ieee_underflow 0
		.amdhsa_exception_fp_ieee_inexact 0
		.amdhsa_exception_int_div_zero 0
	.end_amdhsa_kernel
	.section	.text._ZN7rocprim17ROCPRIM_400000_NS6detail17trampoline_kernelINS0_14default_configENS1_35adjacent_difference_config_selectorILb1EiEEZNS1_24adjacent_difference_implIS3_Lb1ELb0EPiN6thrust23THRUST_200600_302600_NS16discard_iteratorINS9_11use_defaultEEENS9_5minusIiEEEE10hipError_tPvRmT2_T3_mT4_P12ihipStream_tbEUlT_E_NS1_11comp_targetILNS1_3genE4ELNS1_11target_archE910ELNS1_3gpuE8ELNS1_3repE0EEENS1_30default_config_static_selectorELNS0_4arch9wavefront6targetE1EEEvT1_,"axG",@progbits,_ZN7rocprim17ROCPRIM_400000_NS6detail17trampoline_kernelINS0_14default_configENS1_35adjacent_difference_config_selectorILb1EiEEZNS1_24adjacent_difference_implIS3_Lb1ELb0EPiN6thrust23THRUST_200600_302600_NS16discard_iteratorINS9_11use_defaultEEENS9_5minusIiEEEE10hipError_tPvRmT2_T3_mT4_P12ihipStream_tbEUlT_E_NS1_11comp_targetILNS1_3genE4ELNS1_11target_archE910ELNS1_3gpuE8ELNS1_3repE0EEENS1_30default_config_static_selectorELNS0_4arch9wavefront6targetE1EEEvT1_,comdat
.Lfunc_end887:
	.size	_ZN7rocprim17ROCPRIM_400000_NS6detail17trampoline_kernelINS0_14default_configENS1_35adjacent_difference_config_selectorILb1EiEEZNS1_24adjacent_difference_implIS3_Lb1ELb0EPiN6thrust23THRUST_200600_302600_NS16discard_iteratorINS9_11use_defaultEEENS9_5minusIiEEEE10hipError_tPvRmT2_T3_mT4_P12ihipStream_tbEUlT_E_NS1_11comp_targetILNS1_3genE4ELNS1_11target_archE910ELNS1_3gpuE8ELNS1_3repE0EEENS1_30default_config_static_selectorELNS0_4arch9wavefront6targetE1EEEvT1_, .Lfunc_end887-_ZN7rocprim17ROCPRIM_400000_NS6detail17trampoline_kernelINS0_14default_configENS1_35adjacent_difference_config_selectorILb1EiEEZNS1_24adjacent_difference_implIS3_Lb1ELb0EPiN6thrust23THRUST_200600_302600_NS16discard_iteratorINS9_11use_defaultEEENS9_5minusIiEEEE10hipError_tPvRmT2_T3_mT4_P12ihipStream_tbEUlT_E_NS1_11comp_targetILNS1_3genE4ELNS1_11target_archE910ELNS1_3gpuE8ELNS1_3repE0EEENS1_30default_config_static_selectorELNS0_4arch9wavefront6targetE1EEEvT1_
                                        ; -- End function
	.set _ZN7rocprim17ROCPRIM_400000_NS6detail17trampoline_kernelINS0_14default_configENS1_35adjacent_difference_config_selectorILb1EiEEZNS1_24adjacent_difference_implIS3_Lb1ELb0EPiN6thrust23THRUST_200600_302600_NS16discard_iteratorINS9_11use_defaultEEENS9_5minusIiEEEE10hipError_tPvRmT2_T3_mT4_P12ihipStream_tbEUlT_E_NS1_11comp_targetILNS1_3genE4ELNS1_11target_archE910ELNS1_3gpuE8ELNS1_3repE0EEENS1_30default_config_static_selectorELNS0_4arch9wavefront6targetE1EEEvT1_.num_vgpr, 0
	.set _ZN7rocprim17ROCPRIM_400000_NS6detail17trampoline_kernelINS0_14default_configENS1_35adjacent_difference_config_selectorILb1EiEEZNS1_24adjacent_difference_implIS3_Lb1ELb0EPiN6thrust23THRUST_200600_302600_NS16discard_iteratorINS9_11use_defaultEEENS9_5minusIiEEEE10hipError_tPvRmT2_T3_mT4_P12ihipStream_tbEUlT_E_NS1_11comp_targetILNS1_3genE4ELNS1_11target_archE910ELNS1_3gpuE8ELNS1_3repE0EEENS1_30default_config_static_selectorELNS0_4arch9wavefront6targetE1EEEvT1_.num_agpr, 0
	.set _ZN7rocprim17ROCPRIM_400000_NS6detail17trampoline_kernelINS0_14default_configENS1_35adjacent_difference_config_selectorILb1EiEEZNS1_24adjacent_difference_implIS3_Lb1ELb0EPiN6thrust23THRUST_200600_302600_NS16discard_iteratorINS9_11use_defaultEEENS9_5minusIiEEEE10hipError_tPvRmT2_T3_mT4_P12ihipStream_tbEUlT_E_NS1_11comp_targetILNS1_3genE4ELNS1_11target_archE910ELNS1_3gpuE8ELNS1_3repE0EEENS1_30default_config_static_selectorELNS0_4arch9wavefront6targetE1EEEvT1_.numbered_sgpr, 0
	.set _ZN7rocprim17ROCPRIM_400000_NS6detail17trampoline_kernelINS0_14default_configENS1_35adjacent_difference_config_selectorILb1EiEEZNS1_24adjacent_difference_implIS3_Lb1ELb0EPiN6thrust23THRUST_200600_302600_NS16discard_iteratorINS9_11use_defaultEEENS9_5minusIiEEEE10hipError_tPvRmT2_T3_mT4_P12ihipStream_tbEUlT_E_NS1_11comp_targetILNS1_3genE4ELNS1_11target_archE910ELNS1_3gpuE8ELNS1_3repE0EEENS1_30default_config_static_selectorELNS0_4arch9wavefront6targetE1EEEvT1_.num_named_barrier, 0
	.set _ZN7rocprim17ROCPRIM_400000_NS6detail17trampoline_kernelINS0_14default_configENS1_35adjacent_difference_config_selectorILb1EiEEZNS1_24adjacent_difference_implIS3_Lb1ELb0EPiN6thrust23THRUST_200600_302600_NS16discard_iteratorINS9_11use_defaultEEENS9_5minusIiEEEE10hipError_tPvRmT2_T3_mT4_P12ihipStream_tbEUlT_E_NS1_11comp_targetILNS1_3genE4ELNS1_11target_archE910ELNS1_3gpuE8ELNS1_3repE0EEENS1_30default_config_static_selectorELNS0_4arch9wavefront6targetE1EEEvT1_.private_seg_size, 0
	.set _ZN7rocprim17ROCPRIM_400000_NS6detail17trampoline_kernelINS0_14default_configENS1_35adjacent_difference_config_selectorILb1EiEEZNS1_24adjacent_difference_implIS3_Lb1ELb0EPiN6thrust23THRUST_200600_302600_NS16discard_iteratorINS9_11use_defaultEEENS9_5minusIiEEEE10hipError_tPvRmT2_T3_mT4_P12ihipStream_tbEUlT_E_NS1_11comp_targetILNS1_3genE4ELNS1_11target_archE910ELNS1_3gpuE8ELNS1_3repE0EEENS1_30default_config_static_selectorELNS0_4arch9wavefront6targetE1EEEvT1_.uses_vcc, 0
	.set _ZN7rocprim17ROCPRIM_400000_NS6detail17trampoline_kernelINS0_14default_configENS1_35adjacent_difference_config_selectorILb1EiEEZNS1_24adjacent_difference_implIS3_Lb1ELb0EPiN6thrust23THRUST_200600_302600_NS16discard_iteratorINS9_11use_defaultEEENS9_5minusIiEEEE10hipError_tPvRmT2_T3_mT4_P12ihipStream_tbEUlT_E_NS1_11comp_targetILNS1_3genE4ELNS1_11target_archE910ELNS1_3gpuE8ELNS1_3repE0EEENS1_30default_config_static_selectorELNS0_4arch9wavefront6targetE1EEEvT1_.uses_flat_scratch, 0
	.set _ZN7rocprim17ROCPRIM_400000_NS6detail17trampoline_kernelINS0_14default_configENS1_35adjacent_difference_config_selectorILb1EiEEZNS1_24adjacent_difference_implIS3_Lb1ELb0EPiN6thrust23THRUST_200600_302600_NS16discard_iteratorINS9_11use_defaultEEENS9_5minusIiEEEE10hipError_tPvRmT2_T3_mT4_P12ihipStream_tbEUlT_E_NS1_11comp_targetILNS1_3genE4ELNS1_11target_archE910ELNS1_3gpuE8ELNS1_3repE0EEENS1_30default_config_static_selectorELNS0_4arch9wavefront6targetE1EEEvT1_.has_dyn_sized_stack, 0
	.set _ZN7rocprim17ROCPRIM_400000_NS6detail17trampoline_kernelINS0_14default_configENS1_35adjacent_difference_config_selectorILb1EiEEZNS1_24adjacent_difference_implIS3_Lb1ELb0EPiN6thrust23THRUST_200600_302600_NS16discard_iteratorINS9_11use_defaultEEENS9_5minusIiEEEE10hipError_tPvRmT2_T3_mT4_P12ihipStream_tbEUlT_E_NS1_11comp_targetILNS1_3genE4ELNS1_11target_archE910ELNS1_3gpuE8ELNS1_3repE0EEENS1_30default_config_static_selectorELNS0_4arch9wavefront6targetE1EEEvT1_.has_recursion, 0
	.set _ZN7rocprim17ROCPRIM_400000_NS6detail17trampoline_kernelINS0_14default_configENS1_35adjacent_difference_config_selectorILb1EiEEZNS1_24adjacent_difference_implIS3_Lb1ELb0EPiN6thrust23THRUST_200600_302600_NS16discard_iteratorINS9_11use_defaultEEENS9_5minusIiEEEE10hipError_tPvRmT2_T3_mT4_P12ihipStream_tbEUlT_E_NS1_11comp_targetILNS1_3genE4ELNS1_11target_archE910ELNS1_3gpuE8ELNS1_3repE0EEENS1_30default_config_static_selectorELNS0_4arch9wavefront6targetE1EEEvT1_.has_indirect_call, 0
	.section	.AMDGPU.csdata,"",@progbits
; Kernel info:
; codeLenInByte = 0
; TotalNumSgprs: 4
; NumVgprs: 0
; ScratchSize: 0
; MemoryBound: 0
; FloatMode: 240
; IeeeMode: 1
; LDSByteSize: 0 bytes/workgroup (compile time only)
; SGPRBlocks: 0
; VGPRBlocks: 0
; NumSGPRsForWavesPerEU: 4
; NumVGPRsForWavesPerEU: 1
; Occupancy: 10
; WaveLimiterHint : 0
; COMPUTE_PGM_RSRC2:SCRATCH_EN: 0
; COMPUTE_PGM_RSRC2:USER_SGPR: 6
; COMPUTE_PGM_RSRC2:TRAP_HANDLER: 0
; COMPUTE_PGM_RSRC2:TGID_X_EN: 1
; COMPUTE_PGM_RSRC2:TGID_Y_EN: 0
; COMPUTE_PGM_RSRC2:TGID_Z_EN: 0
; COMPUTE_PGM_RSRC2:TIDIG_COMP_CNT: 0
	.section	.text._ZN7rocprim17ROCPRIM_400000_NS6detail17trampoline_kernelINS0_14default_configENS1_35adjacent_difference_config_selectorILb1EiEEZNS1_24adjacent_difference_implIS3_Lb1ELb0EPiN6thrust23THRUST_200600_302600_NS16discard_iteratorINS9_11use_defaultEEENS9_5minusIiEEEE10hipError_tPvRmT2_T3_mT4_P12ihipStream_tbEUlT_E_NS1_11comp_targetILNS1_3genE3ELNS1_11target_archE908ELNS1_3gpuE7ELNS1_3repE0EEENS1_30default_config_static_selectorELNS0_4arch9wavefront6targetE1EEEvT1_,"axG",@progbits,_ZN7rocprim17ROCPRIM_400000_NS6detail17trampoline_kernelINS0_14default_configENS1_35adjacent_difference_config_selectorILb1EiEEZNS1_24adjacent_difference_implIS3_Lb1ELb0EPiN6thrust23THRUST_200600_302600_NS16discard_iteratorINS9_11use_defaultEEENS9_5minusIiEEEE10hipError_tPvRmT2_T3_mT4_P12ihipStream_tbEUlT_E_NS1_11comp_targetILNS1_3genE3ELNS1_11target_archE908ELNS1_3gpuE7ELNS1_3repE0EEENS1_30default_config_static_selectorELNS0_4arch9wavefront6targetE1EEEvT1_,comdat
	.protected	_ZN7rocprim17ROCPRIM_400000_NS6detail17trampoline_kernelINS0_14default_configENS1_35adjacent_difference_config_selectorILb1EiEEZNS1_24adjacent_difference_implIS3_Lb1ELb0EPiN6thrust23THRUST_200600_302600_NS16discard_iteratorINS9_11use_defaultEEENS9_5minusIiEEEE10hipError_tPvRmT2_T3_mT4_P12ihipStream_tbEUlT_E_NS1_11comp_targetILNS1_3genE3ELNS1_11target_archE908ELNS1_3gpuE7ELNS1_3repE0EEENS1_30default_config_static_selectorELNS0_4arch9wavefront6targetE1EEEvT1_ ; -- Begin function _ZN7rocprim17ROCPRIM_400000_NS6detail17trampoline_kernelINS0_14default_configENS1_35adjacent_difference_config_selectorILb1EiEEZNS1_24adjacent_difference_implIS3_Lb1ELb0EPiN6thrust23THRUST_200600_302600_NS16discard_iteratorINS9_11use_defaultEEENS9_5minusIiEEEE10hipError_tPvRmT2_T3_mT4_P12ihipStream_tbEUlT_E_NS1_11comp_targetILNS1_3genE3ELNS1_11target_archE908ELNS1_3gpuE7ELNS1_3repE0EEENS1_30default_config_static_selectorELNS0_4arch9wavefront6targetE1EEEvT1_
	.globl	_ZN7rocprim17ROCPRIM_400000_NS6detail17trampoline_kernelINS0_14default_configENS1_35adjacent_difference_config_selectorILb1EiEEZNS1_24adjacent_difference_implIS3_Lb1ELb0EPiN6thrust23THRUST_200600_302600_NS16discard_iteratorINS9_11use_defaultEEENS9_5minusIiEEEE10hipError_tPvRmT2_T3_mT4_P12ihipStream_tbEUlT_E_NS1_11comp_targetILNS1_3genE3ELNS1_11target_archE908ELNS1_3gpuE7ELNS1_3repE0EEENS1_30default_config_static_selectorELNS0_4arch9wavefront6targetE1EEEvT1_
	.p2align	8
	.type	_ZN7rocprim17ROCPRIM_400000_NS6detail17trampoline_kernelINS0_14default_configENS1_35adjacent_difference_config_selectorILb1EiEEZNS1_24adjacent_difference_implIS3_Lb1ELb0EPiN6thrust23THRUST_200600_302600_NS16discard_iteratorINS9_11use_defaultEEENS9_5minusIiEEEE10hipError_tPvRmT2_T3_mT4_P12ihipStream_tbEUlT_E_NS1_11comp_targetILNS1_3genE3ELNS1_11target_archE908ELNS1_3gpuE7ELNS1_3repE0EEENS1_30default_config_static_selectorELNS0_4arch9wavefront6targetE1EEEvT1_,@function
_ZN7rocprim17ROCPRIM_400000_NS6detail17trampoline_kernelINS0_14default_configENS1_35adjacent_difference_config_selectorILb1EiEEZNS1_24adjacent_difference_implIS3_Lb1ELb0EPiN6thrust23THRUST_200600_302600_NS16discard_iteratorINS9_11use_defaultEEENS9_5minusIiEEEE10hipError_tPvRmT2_T3_mT4_P12ihipStream_tbEUlT_E_NS1_11comp_targetILNS1_3genE3ELNS1_11target_archE908ELNS1_3gpuE7ELNS1_3repE0EEENS1_30default_config_static_selectorELNS0_4arch9wavefront6targetE1EEEvT1_: ; @_ZN7rocprim17ROCPRIM_400000_NS6detail17trampoline_kernelINS0_14default_configENS1_35adjacent_difference_config_selectorILb1EiEEZNS1_24adjacent_difference_implIS3_Lb1ELb0EPiN6thrust23THRUST_200600_302600_NS16discard_iteratorINS9_11use_defaultEEENS9_5minusIiEEEE10hipError_tPvRmT2_T3_mT4_P12ihipStream_tbEUlT_E_NS1_11comp_targetILNS1_3genE3ELNS1_11target_archE908ELNS1_3gpuE7ELNS1_3repE0EEENS1_30default_config_static_selectorELNS0_4arch9wavefront6targetE1EEEvT1_
; %bb.0:
	.section	.rodata,"a",@progbits
	.p2align	6, 0x0
	.amdhsa_kernel _ZN7rocprim17ROCPRIM_400000_NS6detail17trampoline_kernelINS0_14default_configENS1_35adjacent_difference_config_selectorILb1EiEEZNS1_24adjacent_difference_implIS3_Lb1ELb0EPiN6thrust23THRUST_200600_302600_NS16discard_iteratorINS9_11use_defaultEEENS9_5minusIiEEEE10hipError_tPvRmT2_T3_mT4_P12ihipStream_tbEUlT_E_NS1_11comp_targetILNS1_3genE3ELNS1_11target_archE908ELNS1_3gpuE7ELNS1_3repE0EEENS1_30default_config_static_selectorELNS0_4arch9wavefront6targetE1EEEvT1_
		.amdhsa_group_segment_fixed_size 0
		.amdhsa_private_segment_fixed_size 0
		.amdhsa_kernarg_size 64
		.amdhsa_user_sgpr_count 6
		.amdhsa_user_sgpr_private_segment_buffer 1
		.amdhsa_user_sgpr_dispatch_ptr 0
		.amdhsa_user_sgpr_queue_ptr 0
		.amdhsa_user_sgpr_kernarg_segment_ptr 1
		.amdhsa_user_sgpr_dispatch_id 0
		.amdhsa_user_sgpr_flat_scratch_init 0
		.amdhsa_user_sgpr_private_segment_size 0
		.amdhsa_uses_dynamic_stack 0
		.amdhsa_system_sgpr_private_segment_wavefront_offset 0
		.amdhsa_system_sgpr_workgroup_id_x 1
		.amdhsa_system_sgpr_workgroup_id_y 0
		.amdhsa_system_sgpr_workgroup_id_z 0
		.amdhsa_system_sgpr_workgroup_info 0
		.amdhsa_system_vgpr_workitem_id 0
		.amdhsa_next_free_vgpr 1
		.amdhsa_next_free_sgpr 0
		.amdhsa_reserve_vcc 0
		.amdhsa_reserve_flat_scratch 0
		.amdhsa_float_round_mode_32 0
		.amdhsa_float_round_mode_16_64 0
		.amdhsa_float_denorm_mode_32 3
		.amdhsa_float_denorm_mode_16_64 3
		.amdhsa_dx10_clamp 1
		.amdhsa_ieee_mode 1
		.amdhsa_fp16_overflow 0
		.amdhsa_exception_fp_ieee_invalid_op 0
		.amdhsa_exception_fp_denorm_src 0
		.amdhsa_exception_fp_ieee_div_zero 0
		.amdhsa_exception_fp_ieee_overflow 0
		.amdhsa_exception_fp_ieee_underflow 0
		.amdhsa_exception_fp_ieee_inexact 0
		.amdhsa_exception_int_div_zero 0
	.end_amdhsa_kernel
	.section	.text._ZN7rocprim17ROCPRIM_400000_NS6detail17trampoline_kernelINS0_14default_configENS1_35adjacent_difference_config_selectorILb1EiEEZNS1_24adjacent_difference_implIS3_Lb1ELb0EPiN6thrust23THRUST_200600_302600_NS16discard_iteratorINS9_11use_defaultEEENS9_5minusIiEEEE10hipError_tPvRmT2_T3_mT4_P12ihipStream_tbEUlT_E_NS1_11comp_targetILNS1_3genE3ELNS1_11target_archE908ELNS1_3gpuE7ELNS1_3repE0EEENS1_30default_config_static_selectorELNS0_4arch9wavefront6targetE1EEEvT1_,"axG",@progbits,_ZN7rocprim17ROCPRIM_400000_NS6detail17trampoline_kernelINS0_14default_configENS1_35adjacent_difference_config_selectorILb1EiEEZNS1_24adjacent_difference_implIS3_Lb1ELb0EPiN6thrust23THRUST_200600_302600_NS16discard_iteratorINS9_11use_defaultEEENS9_5minusIiEEEE10hipError_tPvRmT2_T3_mT4_P12ihipStream_tbEUlT_E_NS1_11comp_targetILNS1_3genE3ELNS1_11target_archE908ELNS1_3gpuE7ELNS1_3repE0EEENS1_30default_config_static_selectorELNS0_4arch9wavefront6targetE1EEEvT1_,comdat
.Lfunc_end888:
	.size	_ZN7rocprim17ROCPRIM_400000_NS6detail17trampoline_kernelINS0_14default_configENS1_35adjacent_difference_config_selectorILb1EiEEZNS1_24adjacent_difference_implIS3_Lb1ELb0EPiN6thrust23THRUST_200600_302600_NS16discard_iteratorINS9_11use_defaultEEENS9_5minusIiEEEE10hipError_tPvRmT2_T3_mT4_P12ihipStream_tbEUlT_E_NS1_11comp_targetILNS1_3genE3ELNS1_11target_archE908ELNS1_3gpuE7ELNS1_3repE0EEENS1_30default_config_static_selectorELNS0_4arch9wavefront6targetE1EEEvT1_, .Lfunc_end888-_ZN7rocprim17ROCPRIM_400000_NS6detail17trampoline_kernelINS0_14default_configENS1_35adjacent_difference_config_selectorILb1EiEEZNS1_24adjacent_difference_implIS3_Lb1ELb0EPiN6thrust23THRUST_200600_302600_NS16discard_iteratorINS9_11use_defaultEEENS9_5minusIiEEEE10hipError_tPvRmT2_T3_mT4_P12ihipStream_tbEUlT_E_NS1_11comp_targetILNS1_3genE3ELNS1_11target_archE908ELNS1_3gpuE7ELNS1_3repE0EEENS1_30default_config_static_selectorELNS0_4arch9wavefront6targetE1EEEvT1_
                                        ; -- End function
	.set _ZN7rocprim17ROCPRIM_400000_NS6detail17trampoline_kernelINS0_14default_configENS1_35adjacent_difference_config_selectorILb1EiEEZNS1_24adjacent_difference_implIS3_Lb1ELb0EPiN6thrust23THRUST_200600_302600_NS16discard_iteratorINS9_11use_defaultEEENS9_5minusIiEEEE10hipError_tPvRmT2_T3_mT4_P12ihipStream_tbEUlT_E_NS1_11comp_targetILNS1_3genE3ELNS1_11target_archE908ELNS1_3gpuE7ELNS1_3repE0EEENS1_30default_config_static_selectorELNS0_4arch9wavefront6targetE1EEEvT1_.num_vgpr, 0
	.set _ZN7rocprim17ROCPRIM_400000_NS6detail17trampoline_kernelINS0_14default_configENS1_35adjacent_difference_config_selectorILb1EiEEZNS1_24adjacent_difference_implIS3_Lb1ELb0EPiN6thrust23THRUST_200600_302600_NS16discard_iteratorINS9_11use_defaultEEENS9_5minusIiEEEE10hipError_tPvRmT2_T3_mT4_P12ihipStream_tbEUlT_E_NS1_11comp_targetILNS1_3genE3ELNS1_11target_archE908ELNS1_3gpuE7ELNS1_3repE0EEENS1_30default_config_static_selectorELNS0_4arch9wavefront6targetE1EEEvT1_.num_agpr, 0
	.set _ZN7rocprim17ROCPRIM_400000_NS6detail17trampoline_kernelINS0_14default_configENS1_35adjacent_difference_config_selectorILb1EiEEZNS1_24adjacent_difference_implIS3_Lb1ELb0EPiN6thrust23THRUST_200600_302600_NS16discard_iteratorINS9_11use_defaultEEENS9_5minusIiEEEE10hipError_tPvRmT2_T3_mT4_P12ihipStream_tbEUlT_E_NS1_11comp_targetILNS1_3genE3ELNS1_11target_archE908ELNS1_3gpuE7ELNS1_3repE0EEENS1_30default_config_static_selectorELNS0_4arch9wavefront6targetE1EEEvT1_.numbered_sgpr, 0
	.set _ZN7rocprim17ROCPRIM_400000_NS6detail17trampoline_kernelINS0_14default_configENS1_35adjacent_difference_config_selectorILb1EiEEZNS1_24adjacent_difference_implIS3_Lb1ELb0EPiN6thrust23THRUST_200600_302600_NS16discard_iteratorINS9_11use_defaultEEENS9_5minusIiEEEE10hipError_tPvRmT2_T3_mT4_P12ihipStream_tbEUlT_E_NS1_11comp_targetILNS1_3genE3ELNS1_11target_archE908ELNS1_3gpuE7ELNS1_3repE0EEENS1_30default_config_static_selectorELNS0_4arch9wavefront6targetE1EEEvT1_.num_named_barrier, 0
	.set _ZN7rocprim17ROCPRIM_400000_NS6detail17trampoline_kernelINS0_14default_configENS1_35adjacent_difference_config_selectorILb1EiEEZNS1_24adjacent_difference_implIS3_Lb1ELb0EPiN6thrust23THRUST_200600_302600_NS16discard_iteratorINS9_11use_defaultEEENS9_5minusIiEEEE10hipError_tPvRmT2_T3_mT4_P12ihipStream_tbEUlT_E_NS1_11comp_targetILNS1_3genE3ELNS1_11target_archE908ELNS1_3gpuE7ELNS1_3repE0EEENS1_30default_config_static_selectorELNS0_4arch9wavefront6targetE1EEEvT1_.private_seg_size, 0
	.set _ZN7rocprim17ROCPRIM_400000_NS6detail17trampoline_kernelINS0_14default_configENS1_35adjacent_difference_config_selectorILb1EiEEZNS1_24adjacent_difference_implIS3_Lb1ELb0EPiN6thrust23THRUST_200600_302600_NS16discard_iteratorINS9_11use_defaultEEENS9_5minusIiEEEE10hipError_tPvRmT2_T3_mT4_P12ihipStream_tbEUlT_E_NS1_11comp_targetILNS1_3genE3ELNS1_11target_archE908ELNS1_3gpuE7ELNS1_3repE0EEENS1_30default_config_static_selectorELNS0_4arch9wavefront6targetE1EEEvT1_.uses_vcc, 0
	.set _ZN7rocprim17ROCPRIM_400000_NS6detail17trampoline_kernelINS0_14default_configENS1_35adjacent_difference_config_selectorILb1EiEEZNS1_24adjacent_difference_implIS3_Lb1ELb0EPiN6thrust23THRUST_200600_302600_NS16discard_iteratorINS9_11use_defaultEEENS9_5minusIiEEEE10hipError_tPvRmT2_T3_mT4_P12ihipStream_tbEUlT_E_NS1_11comp_targetILNS1_3genE3ELNS1_11target_archE908ELNS1_3gpuE7ELNS1_3repE0EEENS1_30default_config_static_selectorELNS0_4arch9wavefront6targetE1EEEvT1_.uses_flat_scratch, 0
	.set _ZN7rocprim17ROCPRIM_400000_NS6detail17trampoline_kernelINS0_14default_configENS1_35adjacent_difference_config_selectorILb1EiEEZNS1_24adjacent_difference_implIS3_Lb1ELb0EPiN6thrust23THRUST_200600_302600_NS16discard_iteratorINS9_11use_defaultEEENS9_5minusIiEEEE10hipError_tPvRmT2_T3_mT4_P12ihipStream_tbEUlT_E_NS1_11comp_targetILNS1_3genE3ELNS1_11target_archE908ELNS1_3gpuE7ELNS1_3repE0EEENS1_30default_config_static_selectorELNS0_4arch9wavefront6targetE1EEEvT1_.has_dyn_sized_stack, 0
	.set _ZN7rocprim17ROCPRIM_400000_NS6detail17trampoline_kernelINS0_14default_configENS1_35adjacent_difference_config_selectorILb1EiEEZNS1_24adjacent_difference_implIS3_Lb1ELb0EPiN6thrust23THRUST_200600_302600_NS16discard_iteratorINS9_11use_defaultEEENS9_5minusIiEEEE10hipError_tPvRmT2_T3_mT4_P12ihipStream_tbEUlT_E_NS1_11comp_targetILNS1_3genE3ELNS1_11target_archE908ELNS1_3gpuE7ELNS1_3repE0EEENS1_30default_config_static_selectorELNS0_4arch9wavefront6targetE1EEEvT1_.has_recursion, 0
	.set _ZN7rocprim17ROCPRIM_400000_NS6detail17trampoline_kernelINS0_14default_configENS1_35adjacent_difference_config_selectorILb1EiEEZNS1_24adjacent_difference_implIS3_Lb1ELb0EPiN6thrust23THRUST_200600_302600_NS16discard_iteratorINS9_11use_defaultEEENS9_5minusIiEEEE10hipError_tPvRmT2_T3_mT4_P12ihipStream_tbEUlT_E_NS1_11comp_targetILNS1_3genE3ELNS1_11target_archE908ELNS1_3gpuE7ELNS1_3repE0EEENS1_30default_config_static_selectorELNS0_4arch9wavefront6targetE1EEEvT1_.has_indirect_call, 0
	.section	.AMDGPU.csdata,"",@progbits
; Kernel info:
; codeLenInByte = 0
; TotalNumSgprs: 4
; NumVgprs: 0
; ScratchSize: 0
; MemoryBound: 0
; FloatMode: 240
; IeeeMode: 1
; LDSByteSize: 0 bytes/workgroup (compile time only)
; SGPRBlocks: 0
; VGPRBlocks: 0
; NumSGPRsForWavesPerEU: 4
; NumVGPRsForWavesPerEU: 1
; Occupancy: 10
; WaveLimiterHint : 0
; COMPUTE_PGM_RSRC2:SCRATCH_EN: 0
; COMPUTE_PGM_RSRC2:USER_SGPR: 6
; COMPUTE_PGM_RSRC2:TRAP_HANDLER: 0
; COMPUTE_PGM_RSRC2:TGID_X_EN: 1
; COMPUTE_PGM_RSRC2:TGID_Y_EN: 0
; COMPUTE_PGM_RSRC2:TGID_Z_EN: 0
; COMPUTE_PGM_RSRC2:TIDIG_COMP_CNT: 0
	.section	.text._ZN7rocprim17ROCPRIM_400000_NS6detail17trampoline_kernelINS0_14default_configENS1_35adjacent_difference_config_selectorILb1EiEEZNS1_24adjacent_difference_implIS3_Lb1ELb0EPiN6thrust23THRUST_200600_302600_NS16discard_iteratorINS9_11use_defaultEEENS9_5minusIiEEEE10hipError_tPvRmT2_T3_mT4_P12ihipStream_tbEUlT_E_NS1_11comp_targetILNS1_3genE2ELNS1_11target_archE906ELNS1_3gpuE6ELNS1_3repE0EEENS1_30default_config_static_selectorELNS0_4arch9wavefront6targetE1EEEvT1_,"axG",@progbits,_ZN7rocprim17ROCPRIM_400000_NS6detail17trampoline_kernelINS0_14default_configENS1_35adjacent_difference_config_selectorILb1EiEEZNS1_24adjacent_difference_implIS3_Lb1ELb0EPiN6thrust23THRUST_200600_302600_NS16discard_iteratorINS9_11use_defaultEEENS9_5minusIiEEEE10hipError_tPvRmT2_T3_mT4_P12ihipStream_tbEUlT_E_NS1_11comp_targetILNS1_3genE2ELNS1_11target_archE906ELNS1_3gpuE6ELNS1_3repE0EEENS1_30default_config_static_selectorELNS0_4arch9wavefront6targetE1EEEvT1_,comdat
	.protected	_ZN7rocprim17ROCPRIM_400000_NS6detail17trampoline_kernelINS0_14default_configENS1_35adjacent_difference_config_selectorILb1EiEEZNS1_24adjacent_difference_implIS3_Lb1ELb0EPiN6thrust23THRUST_200600_302600_NS16discard_iteratorINS9_11use_defaultEEENS9_5minusIiEEEE10hipError_tPvRmT2_T3_mT4_P12ihipStream_tbEUlT_E_NS1_11comp_targetILNS1_3genE2ELNS1_11target_archE906ELNS1_3gpuE6ELNS1_3repE0EEENS1_30default_config_static_selectorELNS0_4arch9wavefront6targetE1EEEvT1_ ; -- Begin function _ZN7rocprim17ROCPRIM_400000_NS6detail17trampoline_kernelINS0_14default_configENS1_35adjacent_difference_config_selectorILb1EiEEZNS1_24adjacent_difference_implIS3_Lb1ELb0EPiN6thrust23THRUST_200600_302600_NS16discard_iteratorINS9_11use_defaultEEENS9_5minusIiEEEE10hipError_tPvRmT2_T3_mT4_P12ihipStream_tbEUlT_E_NS1_11comp_targetILNS1_3genE2ELNS1_11target_archE906ELNS1_3gpuE6ELNS1_3repE0EEENS1_30default_config_static_selectorELNS0_4arch9wavefront6targetE1EEEvT1_
	.globl	_ZN7rocprim17ROCPRIM_400000_NS6detail17trampoline_kernelINS0_14default_configENS1_35adjacent_difference_config_selectorILb1EiEEZNS1_24adjacent_difference_implIS3_Lb1ELb0EPiN6thrust23THRUST_200600_302600_NS16discard_iteratorINS9_11use_defaultEEENS9_5minusIiEEEE10hipError_tPvRmT2_T3_mT4_P12ihipStream_tbEUlT_E_NS1_11comp_targetILNS1_3genE2ELNS1_11target_archE906ELNS1_3gpuE6ELNS1_3repE0EEENS1_30default_config_static_selectorELNS0_4arch9wavefront6targetE1EEEvT1_
	.p2align	8
	.type	_ZN7rocprim17ROCPRIM_400000_NS6detail17trampoline_kernelINS0_14default_configENS1_35adjacent_difference_config_selectorILb1EiEEZNS1_24adjacent_difference_implIS3_Lb1ELb0EPiN6thrust23THRUST_200600_302600_NS16discard_iteratorINS9_11use_defaultEEENS9_5minusIiEEEE10hipError_tPvRmT2_T3_mT4_P12ihipStream_tbEUlT_E_NS1_11comp_targetILNS1_3genE2ELNS1_11target_archE906ELNS1_3gpuE6ELNS1_3repE0EEENS1_30default_config_static_selectorELNS0_4arch9wavefront6targetE1EEEvT1_,@function
_ZN7rocprim17ROCPRIM_400000_NS6detail17trampoline_kernelINS0_14default_configENS1_35adjacent_difference_config_selectorILb1EiEEZNS1_24adjacent_difference_implIS3_Lb1ELb0EPiN6thrust23THRUST_200600_302600_NS16discard_iteratorINS9_11use_defaultEEENS9_5minusIiEEEE10hipError_tPvRmT2_T3_mT4_P12ihipStream_tbEUlT_E_NS1_11comp_targetILNS1_3genE2ELNS1_11target_archE906ELNS1_3gpuE6ELNS1_3repE0EEENS1_30default_config_static_selectorELNS0_4arch9wavefront6targetE1EEEvT1_: ; @_ZN7rocprim17ROCPRIM_400000_NS6detail17trampoline_kernelINS0_14default_configENS1_35adjacent_difference_config_selectorILb1EiEEZNS1_24adjacent_difference_implIS3_Lb1ELb0EPiN6thrust23THRUST_200600_302600_NS16discard_iteratorINS9_11use_defaultEEENS9_5minusIiEEEE10hipError_tPvRmT2_T3_mT4_P12ihipStream_tbEUlT_E_NS1_11comp_targetILNS1_3genE2ELNS1_11target_archE906ELNS1_3gpuE6ELNS1_3repE0EEENS1_30default_config_static_selectorELNS0_4arch9wavefront6targetE1EEEvT1_
; %bb.0:
	s_load_dwordx4 s[0:3], s[4:5], 0x0
	s_load_dwordx2 s[22:23], s[4:5], 0x20
	s_load_dwordx4 s[8:11], s[4:5], 0x30
	s_mul_i32 s14, s6, 0xb00
	s_mov_b32 s7, 0
	s_waitcnt lgkmcnt(0)
	s_lshl_b64 s[2:3], s[2:3], 2
	s_add_u32 s20, s0, s2
	s_addc_u32 s21, s1, s3
	s_mul_i32 s3, s23, 0xba2e8ba3
	s_mul_hi_u32 s4, s22, 0xba2e8ba3
	s_mul_hi_u32 s2, s23, 0xba2e8ba3
	s_add_u32 s3, s3, s4
	s_mul_i32 s1, s22, 0x2e8ba2e8
	s_addc_u32 s2, s2, 0
	s_mul_hi_u32 s0, s22, 0x2e8ba2e8
	s_add_u32 s1, s1, s3
	s_addc_u32 s0, s0, 0
	s_add_u32 s0, s2, s0
	s_addc_u32 s1, 0, 0
	s_mul_i32 s3, s23, 0x2e8ba2e8
	s_mul_hi_u32 s2, s23, 0x2e8ba2e8
	s_add_u32 s0, s3, s0
	s_addc_u32 s1, s2, s1
	s_lshr_b64 s[2:3], s[0:1], 9
	s_lshr_b32 s0, s1, 9
	s_mulk_i32 s0, 0xb00
	s_mul_hi_u32 s1, s2, 0xb00
	s_add_i32 s1, s1, s0
	s_mul_i32 s0, s2, 0xb00
	s_sub_u32 s0, s22, s0
	s_subb_u32 s1, s23, s1
	s_cmp_lg_u64 s[0:1], 0
	s_cselect_b64 s[0:1], -1, 0
	v_cndmask_b32_e64 v1, 0, 1, s[0:1]
	v_readfirstlane_b32 s0, v1
	s_add_u32 s2, s2, s0
	s_addc_u32 s3, s3, 0
	s_add_u32 s4, s10, s6
	s_addc_u32 s5, s11, 0
	s_add_u32 s12, s2, -1
	s_addc_u32 s13, s3, -1
	v_mov_b32_e32 v1, s12
	v_mov_b32_e32 v2, s13
	v_cmp_ge_u64_e64 s[0:1], s[4:5], v[1:2]
	s_mov_b64 s[16:17], -1
	s_and_b64 vcc, exec, s[0:1]
	s_cbranch_vccz .LBB889_24
; %bb.1:
	s_mul_i32 s23, s12, 0xfffff500
	s_mov_b32 s15, s7
	s_add_i32 s23, s23, s22
	s_lshl_b64 s[16:17], s[14:15], 2
	s_add_u32 s16, s20, s16
	v_mov_b32_e32 v1, 0
	s_addc_u32 s17, s21, s17
	v_cmp_gt_u32_e32 vcc, s23, v0
	v_mov_b32_e32 v2, v1
	v_mov_b32_e32 v3, v1
	;; [unrolled: 1-line block ×10, first 2 shown]
	s_and_saveexec_b64 s[18:19], vcc
	s_cbranch_execz .LBB889_3
; %bb.2:
	v_lshlrev_b32_e32 v2, 2, v0
	global_load_dword v2, v2, s[16:17]
	v_mov_b32_e32 v3, v1
	v_mov_b32_e32 v4, v1
	v_mov_b32_e32 v5, v1
	v_mov_b32_e32 v6, v1
	v_mov_b32_e32 v7, v1
	v_mov_b32_e32 v8, v1
	v_mov_b32_e32 v9, v1
	v_mov_b32_e32 v10, v1
	v_mov_b32_e32 v11, v1
	v_mov_b32_e32 v12, v1
	s_waitcnt vmcnt(0)
	v_mov_b32_e32 v1, v2
	v_mov_b32_e32 v2, v3
	;; [unrolled: 1-line block ×11, first 2 shown]
.LBB889_3:
	s_or_b64 exec, exec, s[18:19]
	v_or_b32_e32 v12, 0x100, v0
	v_cmp_gt_u32_e32 vcc, s23, v12
	s_and_saveexec_b64 s[18:19], vcc
	s_cbranch_execz .LBB889_5
; %bb.4:
	v_lshlrev_b32_e32 v2, 2, v0
	global_load_dword v2, v2, s[16:17] offset:1024
.LBB889_5:
	s_or_b64 exec, exec, s[18:19]
	v_or_b32_e32 v12, 0x200, v0
	v_cmp_gt_u32_e32 vcc, s23, v12
	s_and_saveexec_b64 s[18:19], vcc
	s_cbranch_execz .LBB889_7
; %bb.6:
	v_lshlrev_b32_e32 v3, 2, v0
	global_load_dword v3, v3, s[16:17] offset:2048
.LBB889_7:
	;; [unrolled: 9-line block ×3, first 2 shown]
	s_or_b64 exec, exec, s[18:19]
	v_or_b32_e32 v12, 0x400, v0
	v_cmp_gt_u32_e32 vcc, s23, v12
	s_and_saveexec_b64 s[18:19], vcc
	s_cbranch_execz .LBB889_11
; %bb.10:
	v_lshlrev_b32_e32 v5, 2, v12
	global_load_dword v5, v5, s[16:17]
.LBB889_11:
	s_or_b64 exec, exec, s[18:19]
	v_or_b32_e32 v12, 0x500, v0
	v_cmp_gt_u32_e32 vcc, s23, v12
	s_and_saveexec_b64 s[18:19], vcc
	s_cbranch_execz .LBB889_13
; %bb.12:
	v_lshlrev_b32_e32 v6, 2, v12
	global_load_dword v6, v6, s[16:17]
.LBB889_13:
	;; [unrolled: 9-line block ×7, first 2 shown]
	s_or_b64 exec, exec, s[18:19]
	v_lshlrev_b32_e32 v12, 2, v0
	s_mov_b64 s[16:17], 0
	s_waitcnt vmcnt(0)
	ds_write2st64_b32 v12, v1, v2 offset1:4
	ds_write2st64_b32 v12, v3, v4 offset0:8 offset1:12
	ds_write2st64_b32 v12, v5, v6 offset0:16 offset1:20
	;; [unrolled: 1-line block ×4, first 2 shown]
	ds_write_b32 v12, v11 offset:10240
	s_waitcnt lgkmcnt(0)
	s_barrier
.LBB889_24:
	s_and_b64 vcc, exec, s[16:17]
	v_lshlrev_b32_e32 v12, 2, v0
	s_cbranch_vccz .LBB889_26
; %bb.25:
	s_mov_b32 s15, 0
	s_lshl_b64 s[14:15], s[14:15], 2
	s_add_u32 s14, s20, s14
	s_addc_u32 s15, s21, s15
	v_mov_b32_e32 v1, s15
	v_add_co_u32_e32 v3, vcc, s14, v12
	v_addc_co_u32_e32 v4, vcc, 0, v1, vcc
	v_add_co_u32_e32 v1, vcc, 0x1000, v3
	v_addc_co_u32_e32 v2, vcc, 0, v4, vcc
	v_add_co_u32_e32 v3, vcc, 0x2000, v3
	global_load_dword v5, v12, s[14:15] offset:1024
	global_load_dword v6, v12, s[14:15] offset:2048
	;; [unrolled: 1-line block ×3, first 2 shown]
	v_addc_co_u32_e32 v4, vcc, 0, v4, vcc
	global_load_dword v8, v12, s[14:15]
	global_load_dword v9, v[1:2], off
	global_load_dword v10, v[1:2], off offset:1024
	global_load_dword v11, v[1:2], off offset:2048
	;; [unrolled: 1-line block ×3, first 2 shown]
	global_load_dword v14, v[3:4], off
	global_load_dword v15, v[3:4], off offset:1024
	global_load_dword v16, v[3:4], off offset:2048
	s_waitcnt vmcnt(7)
	ds_write2st64_b32 v12, v8, v5 offset1:4
	ds_write2st64_b32 v12, v6, v7 offset0:8 offset1:12
	s_waitcnt vmcnt(5)
	ds_write2st64_b32 v12, v9, v10 offset0:16 offset1:20
	s_waitcnt vmcnt(3)
	;; [unrolled: 2-line block ×4, first 2 shown]
	ds_write_b32 v12, v16 offset:10240
	s_waitcnt lgkmcnt(0)
	s_barrier
.LBB889_26:
	v_mul_u32_u24_e32 v11, 44, v0
	ds_read2_b32 v[1:2], v11 offset1:1
	ds_read2_b32 v[3:4], v11 offset0:2 offset1:3
	ds_read2_b32 v[5:6], v11 offset0:4 offset1:5
	ds_read2_b32 v[7:8], v11 offset0:6 offset1:7
	ds_read2_b32 v[9:10], v11 offset0:8 offset1:9
	ds_read_b32 v11, v11 offset:40
	s_cmp_eq_u64 s[4:5], 0
	s_waitcnt lgkmcnt(0)
	s_barrier
	s_cbranch_scc1 .LBB889_31
; %bb.27:
	s_lshl_b64 s[10:11], s[10:11], 2
	s_add_u32 s8, s8, s10
	s_addc_u32 s9, s9, s11
	s_lshl_b64 s[6:7], s[6:7], 2
	s_add_u32 s6, s8, s6
	s_addc_u32 s7, s9, s7
	s_add_u32 s6, s6, -4
	s_addc_u32 s7, s7, -1
	s_load_dword s8, s[6:7], 0x0
	s_cmp_eq_u64 s[4:5], s[12:13]
	s_cbranch_scc1 .LBB889_32
; %bb.28:
	v_cmp_ne_u32_e32 vcc, 0, v0
	s_waitcnt lgkmcnt(0)
	v_mov_b32_e32 v13, s8
	ds_write_b32 v12, v11
	s_waitcnt lgkmcnt(0)
	s_barrier
	s_and_saveexec_b64 s[6:7], vcc
; %bb.29:
	v_add_u32_e32 v13, -4, v12
	ds_read_b32 v13, v13
; %bb.30:
	s_or_b64 exec, exec, s[6:7]
	s_waitcnt lgkmcnt(0)
	v_sub_u32_e32 v13, v1, v13
	s_mov_b64 s[6:7], 0
	s_branch .LBB889_33
.LBB889_31:
                                        ; implicit-def: $vgpr13
                                        ; implicit-def: $vgpr23
                                        ; implicit-def: $vgpr22
                                        ; implicit-def: $vgpr21
                                        ; implicit-def: $vgpr20
                                        ; implicit-def: $vgpr19
                                        ; implicit-def: $vgpr18
                                        ; implicit-def: $vgpr17
                                        ; implicit-def: $vgpr16
                                        ; implicit-def: $vgpr15
                                        ; implicit-def: $vgpr14
	s_branch .LBB889_38
.LBB889_32:
	s_mov_b64 s[6:7], -1
                                        ; implicit-def: $vgpr13
.LBB889_33:
	s_and_b64 vcc, exec, s[6:7]
	v_mov_b32_e32 v23, v1
	v_mov_b32_e32 v22, v2
	;; [unrolled: 1-line block ×10, first 2 shown]
	s_cbranch_vccz .LBB889_37
; %bb.34:
	v_mul_u32_u24_e32 v13, 11, v0
	v_cmp_ne_u32_e32 vcc, 0, v0
	s_waitcnt lgkmcnt(0)
	v_mov_b32_e32 v24, s8
	ds_write_b32 v12, v11
	s_waitcnt lgkmcnt(0)
	s_barrier
	s_and_saveexec_b64 s[6:7], vcc
; %bb.35:
	v_add_u32_e32 v14, -4, v12
	ds_read_b32 v24, v14
; %bb.36:
	s_or_b64 exec, exec, s[6:7]
	s_mulk_i32 s4, 0xf500
	s_add_i32 s4, s4, s22
	v_add_u32_e32 v14, 10, v13
	v_cmp_gt_u32_e32 vcc, s4, v14
	v_add_u32_e32 v15, 9, v13
	v_cndmask_b32_e32 v14, 0, v10, vcc
	v_cmp_gt_u32_e32 vcc, s4, v15
	v_add_u32_e32 v16, 8, v13
	v_cndmask_b32_e32 v15, 0, v9, vcc
	v_cmp_gt_u32_e32 vcc, s4, v16
	v_add_u32_e32 v17, 7, v13
	v_cndmask_b32_e32 v16, 0, v8, vcc
	v_cmp_gt_u32_e32 vcc, s4, v17
	v_add_u32_e32 v18, 6, v13
	v_cndmask_b32_e32 v17, 0, v7, vcc
	v_cmp_gt_u32_e32 vcc, s4, v18
	v_add_u32_e32 v19, 5, v13
	v_cndmask_b32_e32 v18, 0, v6, vcc
	v_cmp_gt_u32_e32 vcc, s4, v19
	v_add_u32_e32 v20, 4, v13
	v_cndmask_b32_e32 v19, 0, v5, vcc
	v_cmp_gt_u32_e32 vcc, s4, v20
	v_add_u32_e32 v21, 3, v13
	v_cndmask_b32_e32 v20, 0, v4, vcc
	v_cmp_gt_u32_e32 vcc, s4, v21
	v_add_u32_e32 v22, 2, v13
	v_cndmask_b32_e32 v21, 0, v3, vcc
	v_cmp_gt_u32_e32 vcc, s4, v22
	v_add_u32_e32 v23, 1, v13
	v_cndmask_b32_e32 v22, 0, v2, vcc
	v_cmp_gt_u32_e32 vcc, s4, v23
	v_cndmask_b32_e32 v23, 0, v1, vcc
	v_cmp_gt_u32_e32 vcc, s4, v13
	s_waitcnt lgkmcnt(0)
	v_cndmask_b32_e32 v13, 0, v24, vcc
	v_sub_u32_e32 v13, v1, v13
.LBB889_37:
	s_cbranch_execnz .LBB889_48
.LBB889_38:
	s_cmp_eq_u64 s[2:3], 1
	v_cmp_ne_u32_e32 vcc, 0, v0
	s_cbranch_scc1 .LBB889_43
; %bb.39:
	v_mov_b32_e32 v23, 0
	v_mov_b32_e32 v13, v1
	ds_write_b32 v12, v11
	s_waitcnt lgkmcnt(0)
	s_barrier
	s_and_saveexec_b64 s[2:3], vcc
	s_cbranch_execz .LBB889_41
; %bb.40:
	v_add_u32_e32 v13, -4, v12
	ds_read_b32 v13, v13
	v_mov_b32_e32 v23, v0
	s_waitcnt lgkmcnt(0)
	v_sub_u32_e32 v13, v1, v13
.LBB889_41:
	s_or_b64 exec, exec, s[2:3]
	s_cbranch_execz .LBB889_44
; %bb.42:
	v_mov_b32_e32 v22, v2
	v_mov_b32_e32 v21, v3
	;; [unrolled: 1-line block ×10, first 2 shown]
	s_branch .LBB889_47
.LBB889_43:
                                        ; implicit-def: $vgpr13
                                        ; implicit-def: $vgpr23
.LBB889_44:
	v_mad_u32_u24 v14, v0, 11, 10
	v_cmp_gt_u32_e32 vcc, s22, v14
	v_mad_u32_u24 v14, v0, 11, 9
	v_cmp_gt_u32_e64 s[2:3], s22, v14
	v_mad_u32_u24 v14, v0, 11, 8
	v_cmp_gt_u32_e64 s[4:5], s22, v14
	;; [unrolled: 2-line block ×3, first 2 shown]
	v_mad_u32_u24 v14, v0, 11, 6
	s_waitcnt lgkmcnt(0)
	v_cmp_gt_u32_e64 s[8:9], s22, v14
	v_mad_u32_u24 v14, v0, 11, 5
	v_cmp_gt_u32_e64 s[10:11], s22, v14
	v_mad_u32_u24 v14, v0, 11, 4
	;; [unrolled: 2-line block ×4, first 2 shown]
	v_mul_u32_u24_e32 v13, 11, v0
	v_cmp_gt_u32_e64 s[16:17], s22, v14
	v_mad_u32_u24 v14, v0, 11, 1
	v_cmp_gt_u32_e64 s[18:19], s22, v14
	v_cmp_ne_u32_e64 s[20:21], 0, v0
	v_cmp_gt_u32_e64 s[22:23], s22, v13
	s_and_b64 s[22:23], s[20:21], s[22:23]
	v_mov_b32_e32 v13, v1
	ds_write_b32 v12, v11
	s_waitcnt lgkmcnt(0)
	s_barrier
	s_and_saveexec_b64 s[20:21], s[22:23]
	s_cbranch_execz .LBB889_46
; %bb.45:
	v_add_u32_e32 v12, -4, v12
	ds_read_b32 v12, v12
	s_waitcnt lgkmcnt(0)
	v_sub_u32_e32 v13, v1, v12
.LBB889_46:
	s_or_b64 exec, exec, s[20:21]
	v_cndmask_b32_e32 v14, 0, v10, vcc
	v_cndmask_b32_e64 v15, 0, v9, s[2:3]
	v_cndmask_b32_e64 v16, 0, v8, s[4:5]
	;; [unrolled: 1-line block ×9, first 2 shown]
.LBB889_47:
	v_mov_b32_e32 v23, v1
.LBB889_48:
	v_sub_u32_e32 v1, v2, v23
	v_mul_u32_u24_e32 v0, 44, v0
	s_mov_b64 s[2:3], -1
	s_and_b64 vcc, exec, s[0:1]
	v_sub_u32_e32 v2, v3, v22
	v_sub_u32_e32 v3, v4, v21
	;; [unrolled: 1-line block ×9, first 2 shown]
	s_waitcnt lgkmcnt(0)
	s_barrier
	ds_write2_b32 v0, v13, v1 offset1:1
	ds_write2_b32 v0, v2, v3 offset0:2 offset1:3
	ds_write2_b32 v0, v4, v5 offset0:4 offset1:5
	;; [unrolled: 1-line block ×4, first 2 shown]
	ds_write_b32 v0, v10 offset:40
	s_waitcnt lgkmcnt(0)
	s_cbranch_vccnz .LBB889_51
; %bb.49:
	s_andn2_b64 vcc, exec, s[2:3]
	s_cbranch_vccz .LBB889_52
.LBB889_50:
	s_endpgm
.LBB889_51:
	s_barrier
	s_cbranch_execnz .LBB889_50
.LBB889_52:
	s_barrier
	s_endpgm
	.section	.rodata,"a",@progbits
	.p2align	6, 0x0
	.amdhsa_kernel _ZN7rocprim17ROCPRIM_400000_NS6detail17trampoline_kernelINS0_14default_configENS1_35adjacent_difference_config_selectorILb1EiEEZNS1_24adjacent_difference_implIS3_Lb1ELb0EPiN6thrust23THRUST_200600_302600_NS16discard_iteratorINS9_11use_defaultEEENS9_5minusIiEEEE10hipError_tPvRmT2_T3_mT4_P12ihipStream_tbEUlT_E_NS1_11comp_targetILNS1_3genE2ELNS1_11target_archE906ELNS1_3gpuE6ELNS1_3repE0EEENS1_30default_config_static_selectorELNS0_4arch9wavefront6targetE1EEEvT1_
		.amdhsa_group_segment_fixed_size 11264
		.amdhsa_private_segment_fixed_size 0
		.amdhsa_kernarg_size 64
		.amdhsa_user_sgpr_count 6
		.amdhsa_user_sgpr_private_segment_buffer 1
		.amdhsa_user_sgpr_dispatch_ptr 0
		.amdhsa_user_sgpr_queue_ptr 0
		.amdhsa_user_sgpr_kernarg_segment_ptr 1
		.amdhsa_user_sgpr_dispatch_id 0
		.amdhsa_user_sgpr_flat_scratch_init 0
		.amdhsa_user_sgpr_private_segment_size 0
		.amdhsa_uses_dynamic_stack 0
		.amdhsa_system_sgpr_private_segment_wavefront_offset 0
		.amdhsa_system_sgpr_workgroup_id_x 1
		.amdhsa_system_sgpr_workgroup_id_y 0
		.amdhsa_system_sgpr_workgroup_id_z 0
		.amdhsa_system_sgpr_workgroup_info 0
		.amdhsa_system_vgpr_workitem_id 0
		.amdhsa_next_free_vgpr 41
		.amdhsa_next_free_sgpr 98
		.amdhsa_reserve_vcc 1
		.amdhsa_reserve_flat_scratch 0
		.amdhsa_float_round_mode_32 0
		.amdhsa_float_round_mode_16_64 0
		.amdhsa_float_denorm_mode_32 3
		.amdhsa_float_denorm_mode_16_64 3
		.amdhsa_dx10_clamp 1
		.amdhsa_ieee_mode 1
		.amdhsa_fp16_overflow 0
		.amdhsa_exception_fp_ieee_invalid_op 0
		.amdhsa_exception_fp_denorm_src 0
		.amdhsa_exception_fp_ieee_div_zero 0
		.amdhsa_exception_fp_ieee_overflow 0
		.amdhsa_exception_fp_ieee_underflow 0
		.amdhsa_exception_fp_ieee_inexact 0
		.amdhsa_exception_int_div_zero 0
	.end_amdhsa_kernel
	.section	.text._ZN7rocprim17ROCPRIM_400000_NS6detail17trampoline_kernelINS0_14default_configENS1_35adjacent_difference_config_selectorILb1EiEEZNS1_24adjacent_difference_implIS3_Lb1ELb0EPiN6thrust23THRUST_200600_302600_NS16discard_iteratorINS9_11use_defaultEEENS9_5minusIiEEEE10hipError_tPvRmT2_T3_mT4_P12ihipStream_tbEUlT_E_NS1_11comp_targetILNS1_3genE2ELNS1_11target_archE906ELNS1_3gpuE6ELNS1_3repE0EEENS1_30default_config_static_selectorELNS0_4arch9wavefront6targetE1EEEvT1_,"axG",@progbits,_ZN7rocprim17ROCPRIM_400000_NS6detail17trampoline_kernelINS0_14default_configENS1_35adjacent_difference_config_selectorILb1EiEEZNS1_24adjacent_difference_implIS3_Lb1ELb0EPiN6thrust23THRUST_200600_302600_NS16discard_iteratorINS9_11use_defaultEEENS9_5minusIiEEEE10hipError_tPvRmT2_T3_mT4_P12ihipStream_tbEUlT_E_NS1_11comp_targetILNS1_3genE2ELNS1_11target_archE906ELNS1_3gpuE6ELNS1_3repE0EEENS1_30default_config_static_selectorELNS0_4arch9wavefront6targetE1EEEvT1_,comdat
.Lfunc_end889:
	.size	_ZN7rocprim17ROCPRIM_400000_NS6detail17trampoline_kernelINS0_14default_configENS1_35adjacent_difference_config_selectorILb1EiEEZNS1_24adjacent_difference_implIS3_Lb1ELb0EPiN6thrust23THRUST_200600_302600_NS16discard_iteratorINS9_11use_defaultEEENS9_5minusIiEEEE10hipError_tPvRmT2_T3_mT4_P12ihipStream_tbEUlT_E_NS1_11comp_targetILNS1_3genE2ELNS1_11target_archE906ELNS1_3gpuE6ELNS1_3repE0EEENS1_30default_config_static_selectorELNS0_4arch9wavefront6targetE1EEEvT1_, .Lfunc_end889-_ZN7rocprim17ROCPRIM_400000_NS6detail17trampoline_kernelINS0_14default_configENS1_35adjacent_difference_config_selectorILb1EiEEZNS1_24adjacent_difference_implIS3_Lb1ELb0EPiN6thrust23THRUST_200600_302600_NS16discard_iteratorINS9_11use_defaultEEENS9_5minusIiEEEE10hipError_tPvRmT2_T3_mT4_P12ihipStream_tbEUlT_E_NS1_11comp_targetILNS1_3genE2ELNS1_11target_archE906ELNS1_3gpuE6ELNS1_3repE0EEENS1_30default_config_static_selectorELNS0_4arch9wavefront6targetE1EEEvT1_
                                        ; -- End function
	.set _ZN7rocprim17ROCPRIM_400000_NS6detail17trampoline_kernelINS0_14default_configENS1_35adjacent_difference_config_selectorILb1EiEEZNS1_24adjacent_difference_implIS3_Lb1ELb0EPiN6thrust23THRUST_200600_302600_NS16discard_iteratorINS9_11use_defaultEEENS9_5minusIiEEEE10hipError_tPvRmT2_T3_mT4_P12ihipStream_tbEUlT_E_NS1_11comp_targetILNS1_3genE2ELNS1_11target_archE906ELNS1_3gpuE6ELNS1_3repE0EEENS1_30default_config_static_selectorELNS0_4arch9wavefront6targetE1EEEvT1_.num_vgpr, 25
	.set _ZN7rocprim17ROCPRIM_400000_NS6detail17trampoline_kernelINS0_14default_configENS1_35adjacent_difference_config_selectorILb1EiEEZNS1_24adjacent_difference_implIS3_Lb1ELb0EPiN6thrust23THRUST_200600_302600_NS16discard_iteratorINS9_11use_defaultEEENS9_5minusIiEEEE10hipError_tPvRmT2_T3_mT4_P12ihipStream_tbEUlT_E_NS1_11comp_targetILNS1_3genE2ELNS1_11target_archE906ELNS1_3gpuE6ELNS1_3repE0EEENS1_30default_config_static_selectorELNS0_4arch9wavefront6targetE1EEEvT1_.num_agpr, 0
	.set _ZN7rocprim17ROCPRIM_400000_NS6detail17trampoline_kernelINS0_14default_configENS1_35adjacent_difference_config_selectorILb1EiEEZNS1_24adjacent_difference_implIS3_Lb1ELb0EPiN6thrust23THRUST_200600_302600_NS16discard_iteratorINS9_11use_defaultEEENS9_5minusIiEEEE10hipError_tPvRmT2_T3_mT4_P12ihipStream_tbEUlT_E_NS1_11comp_targetILNS1_3genE2ELNS1_11target_archE906ELNS1_3gpuE6ELNS1_3repE0EEENS1_30default_config_static_selectorELNS0_4arch9wavefront6targetE1EEEvT1_.numbered_sgpr, 24
	.set _ZN7rocprim17ROCPRIM_400000_NS6detail17trampoline_kernelINS0_14default_configENS1_35adjacent_difference_config_selectorILb1EiEEZNS1_24adjacent_difference_implIS3_Lb1ELb0EPiN6thrust23THRUST_200600_302600_NS16discard_iteratorINS9_11use_defaultEEENS9_5minusIiEEEE10hipError_tPvRmT2_T3_mT4_P12ihipStream_tbEUlT_E_NS1_11comp_targetILNS1_3genE2ELNS1_11target_archE906ELNS1_3gpuE6ELNS1_3repE0EEENS1_30default_config_static_selectorELNS0_4arch9wavefront6targetE1EEEvT1_.num_named_barrier, 0
	.set _ZN7rocprim17ROCPRIM_400000_NS6detail17trampoline_kernelINS0_14default_configENS1_35adjacent_difference_config_selectorILb1EiEEZNS1_24adjacent_difference_implIS3_Lb1ELb0EPiN6thrust23THRUST_200600_302600_NS16discard_iteratorINS9_11use_defaultEEENS9_5minusIiEEEE10hipError_tPvRmT2_T3_mT4_P12ihipStream_tbEUlT_E_NS1_11comp_targetILNS1_3genE2ELNS1_11target_archE906ELNS1_3gpuE6ELNS1_3repE0EEENS1_30default_config_static_selectorELNS0_4arch9wavefront6targetE1EEEvT1_.private_seg_size, 0
	.set _ZN7rocprim17ROCPRIM_400000_NS6detail17trampoline_kernelINS0_14default_configENS1_35adjacent_difference_config_selectorILb1EiEEZNS1_24adjacent_difference_implIS3_Lb1ELb0EPiN6thrust23THRUST_200600_302600_NS16discard_iteratorINS9_11use_defaultEEENS9_5minusIiEEEE10hipError_tPvRmT2_T3_mT4_P12ihipStream_tbEUlT_E_NS1_11comp_targetILNS1_3genE2ELNS1_11target_archE906ELNS1_3gpuE6ELNS1_3repE0EEENS1_30default_config_static_selectorELNS0_4arch9wavefront6targetE1EEEvT1_.uses_vcc, 1
	.set _ZN7rocprim17ROCPRIM_400000_NS6detail17trampoline_kernelINS0_14default_configENS1_35adjacent_difference_config_selectorILb1EiEEZNS1_24adjacent_difference_implIS3_Lb1ELb0EPiN6thrust23THRUST_200600_302600_NS16discard_iteratorINS9_11use_defaultEEENS9_5minusIiEEEE10hipError_tPvRmT2_T3_mT4_P12ihipStream_tbEUlT_E_NS1_11comp_targetILNS1_3genE2ELNS1_11target_archE906ELNS1_3gpuE6ELNS1_3repE0EEENS1_30default_config_static_selectorELNS0_4arch9wavefront6targetE1EEEvT1_.uses_flat_scratch, 0
	.set _ZN7rocprim17ROCPRIM_400000_NS6detail17trampoline_kernelINS0_14default_configENS1_35adjacent_difference_config_selectorILb1EiEEZNS1_24adjacent_difference_implIS3_Lb1ELb0EPiN6thrust23THRUST_200600_302600_NS16discard_iteratorINS9_11use_defaultEEENS9_5minusIiEEEE10hipError_tPvRmT2_T3_mT4_P12ihipStream_tbEUlT_E_NS1_11comp_targetILNS1_3genE2ELNS1_11target_archE906ELNS1_3gpuE6ELNS1_3repE0EEENS1_30default_config_static_selectorELNS0_4arch9wavefront6targetE1EEEvT1_.has_dyn_sized_stack, 0
	.set _ZN7rocprim17ROCPRIM_400000_NS6detail17trampoline_kernelINS0_14default_configENS1_35adjacent_difference_config_selectorILb1EiEEZNS1_24adjacent_difference_implIS3_Lb1ELb0EPiN6thrust23THRUST_200600_302600_NS16discard_iteratorINS9_11use_defaultEEENS9_5minusIiEEEE10hipError_tPvRmT2_T3_mT4_P12ihipStream_tbEUlT_E_NS1_11comp_targetILNS1_3genE2ELNS1_11target_archE906ELNS1_3gpuE6ELNS1_3repE0EEENS1_30default_config_static_selectorELNS0_4arch9wavefront6targetE1EEEvT1_.has_recursion, 0
	.set _ZN7rocprim17ROCPRIM_400000_NS6detail17trampoline_kernelINS0_14default_configENS1_35adjacent_difference_config_selectorILb1EiEEZNS1_24adjacent_difference_implIS3_Lb1ELb0EPiN6thrust23THRUST_200600_302600_NS16discard_iteratorINS9_11use_defaultEEENS9_5minusIiEEEE10hipError_tPvRmT2_T3_mT4_P12ihipStream_tbEUlT_E_NS1_11comp_targetILNS1_3genE2ELNS1_11target_archE906ELNS1_3gpuE6ELNS1_3repE0EEENS1_30default_config_static_selectorELNS0_4arch9wavefront6targetE1EEEvT1_.has_indirect_call, 0
	.section	.AMDGPU.csdata,"",@progbits
; Kernel info:
; codeLenInByte = 2112
; TotalNumSgprs: 28
; NumVgprs: 25
; ScratchSize: 0
; MemoryBound: 0
; FloatMode: 240
; IeeeMode: 1
; LDSByteSize: 11264 bytes/workgroup (compile time only)
; SGPRBlocks: 12
; VGPRBlocks: 10
; NumSGPRsForWavesPerEU: 102
; NumVGPRsForWavesPerEU: 41
; Occupancy: 5
; WaveLimiterHint : 1
; COMPUTE_PGM_RSRC2:SCRATCH_EN: 0
; COMPUTE_PGM_RSRC2:USER_SGPR: 6
; COMPUTE_PGM_RSRC2:TRAP_HANDLER: 0
; COMPUTE_PGM_RSRC2:TGID_X_EN: 1
; COMPUTE_PGM_RSRC2:TGID_Y_EN: 0
; COMPUTE_PGM_RSRC2:TGID_Z_EN: 0
; COMPUTE_PGM_RSRC2:TIDIG_COMP_CNT: 0
	.section	.text._ZN7rocprim17ROCPRIM_400000_NS6detail17trampoline_kernelINS0_14default_configENS1_35adjacent_difference_config_selectorILb1EiEEZNS1_24adjacent_difference_implIS3_Lb1ELb0EPiN6thrust23THRUST_200600_302600_NS16discard_iteratorINS9_11use_defaultEEENS9_5minusIiEEEE10hipError_tPvRmT2_T3_mT4_P12ihipStream_tbEUlT_E_NS1_11comp_targetILNS1_3genE9ELNS1_11target_archE1100ELNS1_3gpuE3ELNS1_3repE0EEENS1_30default_config_static_selectorELNS0_4arch9wavefront6targetE1EEEvT1_,"axG",@progbits,_ZN7rocprim17ROCPRIM_400000_NS6detail17trampoline_kernelINS0_14default_configENS1_35adjacent_difference_config_selectorILb1EiEEZNS1_24adjacent_difference_implIS3_Lb1ELb0EPiN6thrust23THRUST_200600_302600_NS16discard_iteratorINS9_11use_defaultEEENS9_5minusIiEEEE10hipError_tPvRmT2_T3_mT4_P12ihipStream_tbEUlT_E_NS1_11comp_targetILNS1_3genE9ELNS1_11target_archE1100ELNS1_3gpuE3ELNS1_3repE0EEENS1_30default_config_static_selectorELNS0_4arch9wavefront6targetE1EEEvT1_,comdat
	.protected	_ZN7rocprim17ROCPRIM_400000_NS6detail17trampoline_kernelINS0_14default_configENS1_35adjacent_difference_config_selectorILb1EiEEZNS1_24adjacent_difference_implIS3_Lb1ELb0EPiN6thrust23THRUST_200600_302600_NS16discard_iteratorINS9_11use_defaultEEENS9_5minusIiEEEE10hipError_tPvRmT2_T3_mT4_P12ihipStream_tbEUlT_E_NS1_11comp_targetILNS1_3genE9ELNS1_11target_archE1100ELNS1_3gpuE3ELNS1_3repE0EEENS1_30default_config_static_selectorELNS0_4arch9wavefront6targetE1EEEvT1_ ; -- Begin function _ZN7rocprim17ROCPRIM_400000_NS6detail17trampoline_kernelINS0_14default_configENS1_35adjacent_difference_config_selectorILb1EiEEZNS1_24adjacent_difference_implIS3_Lb1ELb0EPiN6thrust23THRUST_200600_302600_NS16discard_iteratorINS9_11use_defaultEEENS9_5minusIiEEEE10hipError_tPvRmT2_T3_mT4_P12ihipStream_tbEUlT_E_NS1_11comp_targetILNS1_3genE9ELNS1_11target_archE1100ELNS1_3gpuE3ELNS1_3repE0EEENS1_30default_config_static_selectorELNS0_4arch9wavefront6targetE1EEEvT1_
	.globl	_ZN7rocprim17ROCPRIM_400000_NS6detail17trampoline_kernelINS0_14default_configENS1_35adjacent_difference_config_selectorILb1EiEEZNS1_24adjacent_difference_implIS3_Lb1ELb0EPiN6thrust23THRUST_200600_302600_NS16discard_iteratorINS9_11use_defaultEEENS9_5minusIiEEEE10hipError_tPvRmT2_T3_mT4_P12ihipStream_tbEUlT_E_NS1_11comp_targetILNS1_3genE9ELNS1_11target_archE1100ELNS1_3gpuE3ELNS1_3repE0EEENS1_30default_config_static_selectorELNS0_4arch9wavefront6targetE1EEEvT1_
	.p2align	8
	.type	_ZN7rocprim17ROCPRIM_400000_NS6detail17trampoline_kernelINS0_14default_configENS1_35adjacent_difference_config_selectorILb1EiEEZNS1_24adjacent_difference_implIS3_Lb1ELb0EPiN6thrust23THRUST_200600_302600_NS16discard_iteratorINS9_11use_defaultEEENS9_5minusIiEEEE10hipError_tPvRmT2_T3_mT4_P12ihipStream_tbEUlT_E_NS1_11comp_targetILNS1_3genE9ELNS1_11target_archE1100ELNS1_3gpuE3ELNS1_3repE0EEENS1_30default_config_static_selectorELNS0_4arch9wavefront6targetE1EEEvT1_,@function
_ZN7rocprim17ROCPRIM_400000_NS6detail17trampoline_kernelINS0_14default_configENS1_35adjacent_difference_config_selectorILb1EiEEZNS1_24adjacent_difference_implIS3_Lb1ELb0EPiN6thrust23THRUST_200600_302600_NS16discard_iteratorINS9_11use_defaultEEENS9_5minusIiEEEE10hipError_tPvRmT2_T3_mT4_P12ihipStream_tbEUlT_E_NS1_11comp_targetILNS1_3genE9ELNS1_11target_archE1100ELNS1_3gpuE3ELNS1_3repE0EEENS1_30default_config_static_selectorELNS0_4arch9wavefront6targetE1EEEvT1_: ; @_ZN7rocprim17ROCPRIM_400000_NS6detail17trampoline_kernelINS0_14default_configENS1_35adjacent_difference_config_selectorILb1EiEEZNS1_24adjacent_difference_implIS3_Lb1ELb0EPiN6thrust23THRUST_200600_302600_NS16discard_iteratorINS9_11use_defaultEEENS9_5minusIiEEEE10hipError_tPvRmT2_T3_mT4_P12ihipStream_tbEUlT_E_NS1_11comp_targetILNS1_3genE9ELNS1_11target_archE1100ELNS1_3gpuE3ELNS1_3repE0EEENS1_30default_config_static_selectorELNS0_4arch9wavefront6targetE1EEEvT1_
; %bb.0:
	.section	.rodata,"a",@progbits
	.p2align	6, 0x0
	.amdhsa_kernel _ZN7rocprim17ROCPRIM_400000_NS6detail17trampoline_kernelINS0_14default_configENS1_35adjacent_difference_config_selectorILb1EiEEZNS1_24adjacent_difference_implIS3_Lb1ELb0EPiN6thrust23THRUST_200600_302600_NS16discard_iteratorINS9_11use_defaultEEENS9_5minusIiEEEE10hipError_tPvRmT2_T3_mT4_P12ihipStream_tbEUlT_E_NS1_11comp_targetILNS1_3genE9ELNS1_11target_archE1100ELNS1_3gpuE3ELNS1_3repE0EEENS1_30default_config_static_selectorELNS0_4arch9wavefront6targetE1EEEvT1_
		.amdhsa_group_segment_fixed_size 0
		.amdhsa_private_segment_fixed_size 0
		.amdhsa_kernarg_size 64
		.amdhsa_user_sgpr_count 6
		.amdhsa_user_sgpr_private_segment_buffer 1
		.amdhsa_user_sgpr_dispatch_ptr 0
		.amdhsa_user_sgpr_queue_ptr 0
		.amdhsa_user_sgpr_kernarg_segment_ptr 1
		.amdhsa_user_sgpr_dispatch_id 0
		.amdhsa_user_sgpr_flat_scratch_init 0
		.amdhsa_user_sgpr_private_segment_size 0
		.amdhsa_uses_dynamic_stack 0
		.amdhsa_system_sgpr_private_segment_wavefront_offset 0
		.amdhsa_system_sgpr_workgroup_id_x 1
		.amdhsa_system_sgpr_workgroup_id_y 0
		.amdhsa_system_sgpr_workgroup_id_z 0
		.amdhsa_system_sgpr_workgroup_info 0
		.amdhsa_system_vgpr_workitem_id 0
		.amdhsa_next_free_vgpr 1
		.amdhsa_next_free_sgpr 0
		.amdhsa_reserve_vcc 0
		.amdhsa_reserve_flat_scratch 0
		.amdhsa_float_round_mode_32 0
		.amdhsa_float_round_mode_16_64 0
		.amdhsa_float_denorm_mode_32 3
		.amdhsa_float_denorm_mode_16_64 3
		.amdhsa_dx10_clamp 1
		.amdhsa_ieee_mode 1
		.amdhsa_fp16_overflow 0
		.amdhsa_exception_fp_ieee_invalid_op 0
		.amdhsa_exception_fp_denorm_src 0
		.amdhsa_exception_fp_ieee_div_zero 0
		.amdhsa_exception_fp_ieee_overflow 0
		.amdhsa_exception_fp_ieee_underflow 0
		.amdhsa_exception_fp_ieee_inexact 0
		.amdhsa_exception_int_div_zero 0
	.end_amdhsa_kernel
	.section	.text._ZN7rocprim17ROCPRIM_400000_NS6detail17trampoline_kernelINS0_14default_configENS1_35adjacent_difference_config_selectorILb1EiEEZNS1_24adjacent_difference_implIS3_Lb1ELb0EPiN6thrust23THRUST_200600_302600_NS16discard_iteratorINS9_11use_defaultEEENS9_5minusIiEEEE10hipError_tPvRmT2_T3_mT4_P12ihipStream_tbEUlT_E_NS1_11comp_targetILNS1_3genE9ELNS1_11target_archE1100ELNS1_3gpuE3ELNS1_3repE0EEENS1_30default_config_static_selectorELNS0_4arch9wavefront6targetE1EEEvT1_,"axG",@progbits,_ZN7rocprim17ROCPRIM_400000_NS6detail17trampoline_kernelINS0_14default_configENS1_35adjacent_difference_config_selectorILb1EiEEZNS1_24adjacent_difference_implIS3_Lb1ELb0EPiN6thrust23THRUST_200600_302600_NS16discard_iteratorINS9_11use_defaultEEENS9_5minusIiEEEE10hipError_tPvRmT2_T3_mT4_P12ihipStream_tbEUlT_E_NS1_11comp_targetILNS1_3genE9ELNS1_11target_archE1100ELNS1_3gpuE3ELNS1_3repE0EEENS1_30default_config_static_selectorELNS0_4arch9wavefront6targetE1EEEvT1_,comdat
.Lfunc_end890:
	.size	_ZN7rocprim17ROCPRIM_400000_NS6detail17trampoline_kernelINS0_14default_configENS1_35adjacent_difference_config_selectorILb1EiEEZNS1_24adjacent_difference_implIS3_Lb1ELb0EPiN6thrust23THRUST_200600_302600_NS16discard_iteratorINS9_11use_defaultEEENS9_5minusIiEEEE10hipError_tPvRmT2_T3_mT4_P12ihipStream_tbEUlT_E_NS1_11comp_targetILNS1_3genE9ELNS1_11target_archE1100ELNS1_3gpuE3ELNS1_3repE0EEENS1_30default_config_static_selectorELNS0_4arch9wavefront6targetE1EEEvT1_, .Lfunc_end890-_ZN7rocprim17ROCPRIM_400000_NS6detail17trampoline_kernelINS0_14default_configENS1_35adjacent_difference_config_selectorILb1EiEEZNS1_24adjacent_difference_implIS3_Lb1ELb0EPiN6thrust23THRUST_200600_302600_NS16discard_iteratorINS9_11use_defaultEEENS9_5minusIiEEEE10hipError_tPvRmT2_T3_mT4_P12ihipStream_tbEUlT_E_NS1_11comp_targetILNS1_3genE9ELNS1_11target_archE1100ELNS1_3gpuE3ELNS1_3repE0EEENS1_30default_config_static_selectorELNS0_4arch9wavefront6targetE1EEEvT1_
                                        ; -- End function
	.set _ZN7rocprim17ROCPRIM_400000_NS6detail17trampoline_kernelINS0_14default_configENS1_35adjacent_difference_config_selectorILb1EiEEZNS1_24adjacent_difference_implIS3_Lb1ELb0EPiN6thrust23THRUST_200600_302600_NS16discard_iteratorINS9_11use_defaultEEENS9_5minusIiEEEE10hipError_tPvRmT2_T3_mT4_P12ihipStream_tbEUlT_E_NS1_11comp_targetILNS1_3genE9ELNS1_11target_archE1100ELNS1_3gpuE3ELNS1_3repE0EEENS1_30default_config_static_selectorELNS0_4arch9wavefront6targetE1EEEvT1_.num_vgpr, 0
	.set _ZN7rocprim17ROCPRIM_400000_NS6detail17trampoline_kernelINS0_14default_configENS1_35adjacent_difference_config_selectorILb1EiEEZNS1_24adjacent_difference_implIS3_Lb1ELb0EPiN6thrust23THRUST_200600_302600_NS16discard_iteratorINS9_11use_defaultEEENS9_5minusIiEEEE10hipError_tPvRmT2_T3_mT4_P12ihipStream_tbEUlT_E_NS1_11comp_targetILNS1_3genE9ELNS1_11target_archE1100ELNS1_3gpuE3ELNS1_3repE0EEENS1_30default_config_static_selectorELNS0_4arch9wavefront6targetE1EEEvT1_.num_agpr, 0
	.set _ZN7rocprim17ROCPRIM_400000_NS6detail17trampoline_kernelINS0_14default_configENS1_35adjacent_difference_config_selectorILb1EiEEZNS1_24adjacent_difference_implIS3_Lb1ELb0EPiN6thrust23THRUST_200600_302600_NS16discard_iteratorINS9_11use_defaultEEENS9_5minusIiEEEE10hipError_tPvRmT2_T3_mT4_P12ihipStream_tbEUlT_E_NS1_11comp_targetILNS1_3genE9ELNS1_11target_archE1100ELNS1_3gpuE3ELNS1_3repE0EEENS1_30default_config_static_selectorELNS0_4arch9wavefront6targetE1EEEvT1_.numbered_sgpr, 0
	.set _ZN7rocprim17ROCPRIM_400000_NS6detail17trampoline_kernelINS0_14default_configENS1_35adjacent_difference_config_selectorILb1EiEEZNS1_24adjacent_difference_implIS3_Lb1ELb0EPiN6thrust23THRUST_200600_302600_NS16discard_iteratorINS9_11use_defaultEEENS9_5minusIiEEEE10hipError_tPvRmT2_T3_mT4_P12ihipStream_tbEUlT_E_NS1_11comp_targetILNS1_3genE9ELNS1_11target_archE1100ELNS1_3gpuE3ELNS1_3repE0EEENS1_30default_config_static_selectorELNS0_4arch9wavefront6targetE1EEEvT1_.num_named_barrier, 0
	.set _ZN7rocprim17ROCPRIM_400000_NS6detail17trampoline_kernelINS0_14default_configENS1_35adjacent_difference_config_selectorILb1EiEEZNS1_24adjacent_difference_implIS3_Lb1ELb0EPiN6thrust23THRUST_200600_302600_NS16discard_iteratorINS9_11use_defaultEEENS9_5minusIiEEEE10hipError_tPvRmT2_T3_mT4_P12ihipStream_tbEUlT_E_NS1_11comp_targetILNS1_3genE9ELNS1_11target_archE1100ELNS1_3gpuE3ELNS1_3repE0EEENS1_30default_config_static_selectorELNS0_4arch9wavefront6targetE1EEEvT1_.private_seg_size, 0
	.set _ZN7rocprim17ROCPRIM_400000_NS6detail17trampoline_kernelINS0_14default_configENS1_35adjacent_difference_config_selectorILb1EiEEZNS1_24adjacent_difference_implIS3_Lb1ELb0EPiN6thrust23THRUST_200600_302600_NS16discard_iteratorINS9_11use_defaultEEENS9_5minusIiEEEE10hipError_tPvRmT2_T3_mT4_P12ihipStream_tbEUlT_E_NS1_11comp_targetILNS1_3genE9ELNS1_11target_archE1100ELNS1_3gpuE3ELNS1_3repE0EEENS1_30default_config_static_selectorELNS0_4arch9wavefront6targetE1EEEvT1_.uses_vcc, 0
	.set _ZN7rocprim17ROCPRIM_400000_NS6detail17trampoline_kernelINS0_14default_configENS1_35adjacent_difference_config_selectorILb1EiEEZNS1_24adjacent_difference_implIS3_Lb1ELb0EPiN6thrust23THRUST_200600_302600_NS16discard_iteratorINS9_11use_defaultEEENS9_5minusIiEEEE10hipError_tPvRmT2_T3_mT4_P12ihipStream_tbEUlT_E_NS1_11comp_targetILNS1_3genE9ELNS1_11target_archE1100ELNS1_3gpuE3ELNS1_3repE0EEENS1_30default_config_static_selectorELNS0_4arch9wavefront6targetE1EEEvT1_.uses_flat_scratch, 0
	.set _ZN7rocprim17ROCPRIM_400000_NS6detail17trampoline_kernelINS0_14default_configENS1_35adjacent_difference_config_selectorILb1EiEEZNS1_24adjacent_difference_implIS3_Lb1ELb0EPiN6thrust23THRUST_200600_302600_NS16discard_iteratorINS9_11use_defaultEEENS9_5minusIiEEEE10hipError_tPvRmT2_T3_mT4_P12ihipStream_tbEUlT_E_NS1_11comp_targetILNS1_3genE9ELNS1_11target_archE1100ELNS1_3gpuE3ELNS1_3repE0EEENS1_30default_config_static_selectorELNS0_4arch9wavefront6targetE1EEEvT1_.has_dyn_sized_stack, 0
	.set _ZN7rocprim17ROCPRIM_400000_NS6detail17trampoline_kernelINS0_14default_configENS1_35adjacent_difference_config_selectorILb1EiEEZNS1_24adjacent_difference_implIS3_Lb1ELb0EPiN6thrust23THRUST_200600_302600_NS16discard_iteratorINS9_11use_defaultEEENS9_5minusIiEEEE10hipError_tPvRmT2_T3_mT4_P12ihipStream_tbEUlT_E_NS1_11comp_targetILNS1_3genE9ELNS1_11target_archE1100ELNS1_3gpuE3ELNS1_3repE0EEENS1_30default_config_static_selectorELNS0_4arch9wavefront6targetE1EEEvT1_.has_recursion, 0
	.set _ZN7rocprim17ROCPRIM_400000_NS6detail17trampoline_kernelINS0_14default_configENS1_35adjacent_difference_config_selectorILb1EiEEZNS1_24adjacent_difference_implIS3_Lb1ELb0EPiN6thrust23THRUST_200600_302600_NS16discard_iteratorINS9_11use_defaultEEENS9_5minusIiEEEE10hipError_tPvRmT2_T3_mT4_P12ihipStream_tbEUlT_E_NS1_11comp_targetILNS1_3genE9ELNS1_11target_archE1100ELNS1_3gpuE3ELNS1_3repE0EEENS1_30default_config_static_selectorELNS0_4arch9wavefront6targetE1EEEvT1_.has_indirect_call, 0
	.section	.AMDGPU.csdata,"",@progbits
; Kernel info:
; codeLenInByte = 0
; TotalNumSgprs: 4
; NumVgprs: 0
; ScratchSize: 0
; MemoryBound: 0
; FloatMode: 240
; IeeeMode: 1
; LDSByteSize: 0 bytes/workgroup (compile time only)
; SGPRBlocks: 0
; VGPRBlocks: 0
; NumSGPRsForWavesPerEU: 4
; NumVGPRsForWavesPerEU: 1
; Occupancy: 10
; WaveLimiterHint : 0
; COMPUTE_PGM_RSRC2:SCRATCH_EN: 0
; COMPUTE_PGM_RSRC2:USER_SGPR: 6
; COMPUTE_PGM_RSRC2:TRAP_HANDLER: 0
; COMPUTE_PGM_RSRC2:TGID_X_EN: 1
; COMPUTE_PGM_RSRC2:TGID_Y_EN: 0
; COMPUTE_PGM_RSRC2:TGID_Z_EN: 0
; COMPUTE_PGM_RSRC2:TIDIG_COMP_CNT: 0
	.section	.text._ZN7rocprim17ROCPRIM_400000_NS6detail17trampoline_kernelINS0_14default_configENS1_35adjacent_difference_config_selectorILb1EiEEZNS1_24adjacent_difference_implIS3_Lb1ELb0EPiN6thrust23THRUST_200600_302600_NS16discard_iteratorINS9_11use_defaultEEENS9_5minusIiEEEE10hipError_tPvRmT2_T3_mT4_P12ihipStream_tbEUlT_E_NS1_11comp_targetILNS1_3genE8ELNS1_11target_archE1030ELNS1_3gpuE2ELNS1_3repE0EEENS1_30default_config_static_selectorELNS0_4arch9wavefront6targetE1EEEvT1_,"axG",@progbits,_ZN7rocprim17ROCPRIM_400000_NS6detail17trampoline_kernelINS0_14default_configENS1_35adjacent_difference_config_selectorILb1EiEEZNS1_24adjacent_difference_implIS3_Lb1ELb0EPiN6thrust23THRUST_200600_302600_NS16discard_iteratorINS9_11use_defaultEEENS9_5minusIiEEEE10hipError_tPvRmT2_T3_mT4_P12ihipStream_tbEUlT_E_NS1_11comp_targetILNS1_3genE8ELNS1_11target_archE1030ELNS1_3gpuE2ELNS1_3repE0EEENS1_30default_config_static_selectorELNS0_4arch9wavefront6targetE1EEEvT1_,comdat
	.protected	_ZN7rocprim17ROCPRIM_400000_NS6detail17trampoline_kernelINS0_14default_configENS1_35adjacent_difference_config_selectorILb1EiEEZNS1_24adjacent_difference_implIS3_Lb1ELb0EPiN6thrust23THRUST_200600_302600_NS16discard_iteratorINS9_11use_defaultEEENS9_5minusIiEEEE10hipError_tPvRmT2_T3_mT4_P12ihipStream_tbEUlT_E_NS1_11comp_targetILNS1_3genE8ELNS1_11target_archE1030ELNS1_3gpuE2ELNS1_3repE0EEENS1_30default_config_static_selectorELNS0_4arch9wavefront6targetE1EEEvT1_ ; -- Begin function _ZN7rocprim17ROCPRIM_400000_NS6detail17trampoline_kernelINS0_14default_configENS1_35adjacent_difference_config_selectorILb1EiEEZNS1_24adjacent_difference_implIS3_Lb1ELb0EPiN6thrust23THRUST_200600_302600_NS16discard_iteratorINS9_11use_defaultEEENS9_5minusIiEEEE10hipError_tPvRmT2_T3_mT4_P12ihipStream_tbEUlT_E_NS1_11comp_targetILNS1_3genE8ELNS1_11target_archE1030ELNS1_3gpuE2ELNS1_3repE0EEENS1_30default_config_static_selectorELNS0_4arch9wavefront6targetE1EEEvT1_
	.globl	_ZN7rocprim17ROCPRIM_400000_NS6detail17trampoline_kernelINS0_14default_configENS1_35adjacent_difference_config_selectorILb1EiEEZNS1_24adjacent_difference_implIS3_Lb1ELb0EPiN6thrust23THRUST_200600_302600_NS16discard_iteratorINS9_11use_defaultEEENS9_5minusIiEEEE10hipError_tPvRmT2_T3_mT4_P12ihipStream_tbEUlT_E_NS1_11comp_targetILNS1_3genE8ELNS1_11target_archE1030ELNS1_3gpuE2ELNS1_3repE0EEENS1_30default_config_static_selectorELNS0_4arch9wavefront6targetE1EEEvT1_
	.p2align	8
	.type	_ZN7rocprim17ROCPRIM_400000_NS6detail17trampoline_kernelINS0_14default_configENS1_35adjacent_difference_config_selectorILb1EiEEZNS1_24adjacent_difference_implIS3_Lb1ELb0EPiN6thrust23THRUST_200600_302600_NS16discard_iteratorINS9_11use_defaultEEENS9_5minusIiEEEE10hipError_tPvRmT2_T3_mT4_P12ihipStream_tbEUlT_E_NS1_11comp_targetILNS1_3genE8ELNS1_11target_archE1030ELNS1_3gpuE2ELNS1_3repE0EEENS1_30default_config_static_selectorELNS0_4arch9wavefront6targetE1EEEvT1_,@function
_ZN7rocprim17ROCPRIM_400000_NS6detail17trampoline_kernelINS0_14default_configENS1_35adjacent_difference_config_selectorILb1EiEEZNS1_24adjacent_difference_implIS3_Lb1ELb0EPiN6thrust23THRUST_200600_302600_NS16discard_iteratorINS9_11use_defaultEEENS9_5minusIiEEEE10hipError_tPvRmT2_T3_mT4_P12ihipStream_tbEUlT_E_NS1_11comp_targetILNS1_3genE8ELNS1_11target_archE1030ELNS1_3gpuE2ELNS1_3repE0EEENS1_30default_config_static_selectorELNS0_4arch9wavefront6targetE1EEEvT1_: ; @_ZN7rocprim17ROCPRIM_400000_NS6detail17trampoline_kernelINS0_14default_configENS1_35adjacent_difference_config_selectorILb1EiEEZNS1_24adjacent_difference_implIS3_Lb1ELb0EPiN6thrust23THRUST_200600_302600_NS16discard_iteratorINS9_11use_defaultEEENS9_5minusIiEEEE10hipError_tPvRmT2_T3_mT4_P12ihipStream_tbEUlT_E_NS1_11comp_targetILNS1_3genE8ELNS1_11target_archE1030ELNS1_3gpuE2ELNS1_3repE0EEENS1_30default_config_static_selectorELNS0_4arch9wavefront6targetE1EEEvT1_
; %bb.0:
	.section	.rodata,"a",@progbits
	.p2align	6, 0x0
	.amdhsa_kernel _ZN7rocprim17ROCPRIM_400000_NS6detail17trampoline_kernelINS0_14default_configENS1_35adjacent_difference_config_selectorILb1EiEEZNS1_24adjacent_difference_implIS3_Lb1ELb0EPiN6thrust23THRUST_200600_302600_NS16discard_iteratorINS9_11use_defaultEEENS9_5minusIiEEEE10hipError_tPvRmT2_T3_mT4_P12ihipStream_tbEUlT_E_NS1_11comp_targetILNS1_3genE8ELNS1_11target_archE1030ELNS1_3gpuE2ELNS1_3repE0EEENS1_30default_config_static_selectorELNS0_4arch9wavefront6targetE1EEEvT1_
		.amdhsa_group_segment_fixed_size 0
		.amdhsa_private_segment_fixed_size 0
		.amdhsa_kernarg_size 64
		.amdhsa_user_sgpr_count 6
		.amdhsa_user_sgpr_private_segment_buffer 1
		.amdhsa_user_sgpr_dispatch_ptr 0
		.amdhsa_user_sgpr_queue_ptr 0
		.amdhsa_user_sgpr_kernarg_segment_ptr 1
		.amdhsa_user_sgpr_dispatch_id 0
		.amdhsa_user_sgpr_flat_scratch_init 0
		.amdhsa_user_sgpr_private_segment_size 0
		.amdhsa_uses_dynamic_stack 0
		.amdhsa_system_sgpr_private_segment_wavefront_offset 0
		.amdhsa_system_sgpr_workgroup_id_x 1
		.amdhsa_system_sgpr_workgroup_id_y 0
		.amdhsa_system_sgpr_workgroup_id_z 0
		.amdhsa_system_sgpr_workgroup_info 0
		.amdhsa_system_vgpr_workitem_id 0
		.amdhsa_next_free_vgpr 1
		.amdhsa_next_free_sgpr 0
		.amdhsa_reserve_vcc 0
		.amdhsa_reserve_flat_scratch 0
		.amdhsa_float_round_mode_32 0
		.amdhsa_float_round_mode_16_64 0
		.amdhsa_float_denorm_mode_32 3
		.amdhsa_float_denorm_mode_16_64 3
		.amdhsa_dx10_clamp 1
		.amdhsa_ieee_mode 1
		.amdhsa_fp16_overflow 0
		.amdhsa_exception_fp_ieee_invalid_op 0
		.amdhsa_exception_fp_denorm_src 0
		.amdhsa_exception_fp_ieee_div_zero 0
		.amdhsa_exception_fp_ieee_overflow 0
		.amdhsa_exception_fp_ieee_underflow 0
		.amdhsa_exception_fp_ieee_inexact 0
		.amdhsa_exception_int_div_zero 0
	.end_amdhsa_kernel
	.section	.text._ZN7rocprim17ROCPRIM_400000_NS6detail17trampoline_kernelINS0_14default_configENS1_35adjacent_difference_config_selectorILb1EiEEZNS1_24adjacent_difference_implIS3_Lb1ELb0EPiN6thrust23THRUST_200600_302600_NS16discard_iteratorINS9_11use_defaultEEENS9_5minusIiEEEE10hipError_tPvRmT2_T3_mT4_P12ihipStream_tbEUlT_E_NS1_11comp_targetILNS1_3genE8ELNS1_11target_archE1030ELNS1_3gpuE2ELNS1_3repE0EEENS1_30default_config_static_selectorELNS0_4arch9wavefront6targetE1EEEvT1_,"axG",@progbits,_ZN7rocprim17ROCPRIM_400000_NS6detail17trampoline_kernelINS0_14default_configENS1_35adjacent_difference_config_selectorILb1EiEEZNS1_24adjacent_difference_implIS3_Lb1ELb0EPiN6thrust23THRUST_200600_302600_NS16discard_iteratorINS9_11use_defaultEEENS9_5minusIiEEEE10hipError_tPvRmT2_T3_mT4_P12ihipStream_tbEUlT_E_NS1_11comp_targetILNS1_3genE8ELNS1_11target_archE1030ELNS1_3gpuE2ELNS1_3repE0EEENS1_30default_config_static_selectorELNS0_4arch9wavefront6targetE1EEEvT1_,comdat
.Lfunc_end891:
	.size	_ZN7rocprim17ROCPRIM_400000_NS6detail17trampoline_kernelINS0_14default_configENS1_35adjacent_difference_config_selectorILb1EiEEZNS1_24adjacent_difference_implIS3_Lb1ELb0EPiN6thrust23THRUST_200600_302600_NS16discard_iteratorINS9_11use_defaultEEENS9_5minusIiEEEE10hipError_tPvRmT2_T3_mT4_P12ihipStream_tbEUlT_E_NS1_11comp_targetILNS1_3genE8ELNS1_11target_archE1030ELNS1_3gpuE2ELNS1_3repE0EEENS1_30default_config_static_selectorELNS0_4arch9wavefront6targetE1EEEvT1_, .Lfunc_end891-_ZN7rocprim17ROCPRIM_400000_NS6detail17trampoline_kernelINS0_14default_configENS1_35adjacent_difference_config_selectorILb1EiEEZNS1_24adjacent_difference_implIS3_Lb1ELb0EPiN6thrust23THRUST_200600_302600_NS16discard_iteratorINS9_11use_defaultEEENS9_5minusIiEEEE10hipError_tPvRmT2_T3_mT4_P12ihipStream_tbEUlT_E_NS1_11comp_targetILNS1_3genE8ELNS1_11target_archE1030ELNS1_3gpuE2ELNS1_3repE0EEENS1_30default_config_static_selectorELNS0_4arch9wavefront6targetE1EEEvT1_
                                        ; -- End function
	.set _ZN7rocprim17ROCPRIM_400000_NS6detail17trampoline_kernelINS0_14default_configENS1_35adjacent_difference_config_selectorILb1EiEEZNS1_24adjacent_difference_implIS3_Lb1ELb0EPiN6thrust23THRUST_200600_302600_NS16discard_iteratorINS9_11use_defaultEEENS9_5minusIiEEEE10hipError_tPvRmT2_T3_mT4_P12ihipStream_tbEUlT_E_NS1_11comp_targetILNS1_3genE8ELNS1_11target_archE1030ELNS1_3gpuE2ELNS1_3repE0EEENS1_30default_config_static_selectorELNS0_4arch9wavefront6targetE1EEEvT1_.num_vgpr, 0
	.set _ZN7rocprim17ROCPRIM_400000_NS6detail17trampoline_kernelINS0_14default_configENS1_35adjacent_difference_config_selectorILb1EiEEZNS1_24adjacent_difference_implIS3_Lb1ELb0EPiN6thrust23THRUST_200600_302600_NS16discard_iteratorINS9_11use_defaultEEENS9_5minusIiEEEE10hipError_tPvRmT2_T3_mT4_P12ihipStream_tbEUlT_E_NS1_11comp_targetILNS1_3genE8ELNS1_11target_archE1030ELNS1_3gpuE2ELNS1_3repE0EEENS1_30default_config_static_selectorELNS0_4arch9wavefront6targetE1EEEvT1_.num_agpr, 0
	.set _ZN7rocprim17ROCPRIM_400000_NS6detail17trampoline_kernelINS0_14default_configENS1_35adjacent_difference_config_selectorILb1EiEEZNS1_24adjacent_difference_implIS3_Lb1ELb0EPiN6thrust23THRUST_200600_302600_NS16discard_iteratorINS9_11use_defaultEEENS9_5minusIiEEEE10hipError_tPvRmT2_T3_mT4_P12ihipStream_tbEUlT_E_NS1_11comp_targetILNS1_3genE8ELNS1_11target_archE1030ELNS1_3gpuE2ELNS1_3repE0EEENS1_30default_config_static_selectorELNS0_4arch9wavefront6targetE1EEEvT1_.numbered_sgpr, 0
	.set _ZN7rocprim17ROCPRIM_400000_NS6detail17trampoline_kernelINS0_14default_configENS1_35adjacent_difference_config_selectorILb1EiEEZNS1_24adjacent_difference_implIS3_Lb1ELb0EPiN6thrust23THRUST_200600_302600_NS16discard_iteratorINS9_11use_defaultEEENS9_5minusIiEEEE10hipError_tPvRmT2_T3_mT4_P12ihipStream_tbEUlT_E_NS1_11comp_targetILNS1_3genE8ELNS1_11target_archE1030ELNS1_3gpuE2ELNS1_3repE0EEENS1_30default_config_static_selectorELNS0_4arch9wavefront6targetE1EEEvT1_.num_named_barrier, 0
	.set _ZN7rocprim17ROCPRIM_400000_NS6detail17trampoline_kernelINS0_14default_configENS1_35adjacent_difference_config_selectorILb1EiEEZNS1_24adjacent_difference_implIS3_Lb1ELb0EPiN6thrust23THRUST_200600_302600_NS16discard_iteratorINS9_11use_defaultEEENS9_5minusIiEEEE10hipError_tPvRmT2_T3_mT4_P12ihipStream_tbEUlT_E_NS1_11comp_targetILNS1_3genE8ELNS1_11target_archE1030ELNS1_3gpuE2ELNS1_3repE0EEENS1_30default_config_static_selectorELNS0_4arch9wavefront6targetE1EEEvT1_.private_seg_size, 0
	.set _ZN7rocprim17ROCPRIM_400000_NS6detail17trampoline_kernelINS0_14default_configENS1_35adjacent_difference_config_selectorILb1EiEEZNS1_24adjacent_difference_implIS3_Lb1ELb0EPiN6thrust23THRUST_200600_302600_NS16discard_iteratorINS9_11use_defaultEEENS9_5minusIiEEEE10hipError_tPvRmT2_T3_mT4_P12ihipStream_tbEUlT_E_NS1_11comp_targetILNS1_3genE8ELNS1_11target_archE1030ELNS1_3gpuE2ELNS1_3repE0EEENS1_30default_config_static_selectorELNS0_4arch9wavefront6targetE1EEEvT1_.uses_vcc, 0
	.set _ZN7rocprim17ROCPRIM_400000_NS6detail17trampoline_kernelINS0_14default_configENS1_35adjacent_difference_config_selectorILb1EiEEZNS1_24adjacent_difference_implIS3_Lb1ELb0EPiN6thrust23THRUST_200600_302600_NS16discard_iteratorINS9_11use_defaultEEENS9_5minusIiEEEE10hipError_tPvRmT2_T3_mT4_P12ihipStream_tbEUlT_E_NS1_11comp_targetILNS1_3genE8ELNS1_11target_archE1030ELNS1_3gpuE2ELNS1_3repE0EEENS1_30default_config_static_selectorELNS0_4arch9wavefront6targetE1EEEvT1_.uses_flat_scratch, 0
	.set _ZN7rocprim17ROCPRIM_400000_NS6detail17trampoline_kernelINS0_14default_configENS1_35adjacent_difference_config_selectorILb1EiEEZNS1_24adjacent_difference_implIS3_Lb1ELb0EPiN6thrust23THRUST_200600_302600_NS16discard_iteratorINS9_11use_defaultEEENS9_5minusIiEEEE10hipError_tPvRmT2_T3_mT4_P12ihipStream_tbEUlT_E_NS1_11comp_targetILNS1_3genE8ELNS1_11target_archE1030ELNS1_3gpuE2ELNS1_3repE0EEENS1_30default_config_static_selectorELNS0_4arch9wavefront6targetE1EEEvT1_.has_dyn_sized_stack, 0
	.set _ZN7rocprim17ROCPRIM_400000_NS6detail17trampoline_kernelINS0_14default_configENS1_35adjacent_difference_config_selectorILb1EiEEZNS1_24adjacent_difference_implIS3_Lb1ELb0EPiN6thrust23THRUST_200600_302600_NS16discard_iteratorINS9_11use_defaultEEENS9_5minusIiEEEE10hipError_tPvRmT2_T3_mT4_P12ihipStream_tbEUlT_E_NS1_11comp_targetILNS1_3genE8ELNS1_11target_archE1030ELNS1_3gpuE2ELNS1_3repE0EEENS1_30default_config_static_selectorELNS0_4arch9wavefront6targetE1EEEvT1_.has_recursion, 0
	.set _ZN7rocprim17ROCPRIM_400000_NS6detail17trampoline_kernelINS0_14default_configENS1_35adjacent_difference_config_selectorILb1EiEEZNS1_24adjacent_difference_implIS3_Lb1ELb0EPiN6thrust23THRUST_200600_302600_NS16discard_iteratorINS9_11use_defaultEEENS9_5minusIiEEEE10hipError_tPvRmT2_T3_mT4_P12ihipStream_tbEUlT_E_NS1_11comp_targetILNS1_3genE8ELNS1_11target_archE1030ELNS1_3gpuE2ELNS1_3repE0EEENS1_30default_config_static_selectorELNS0_4arch9wavefront6targetE1EEEvT1_.has_indirect_call, 0
	.section	.AMDGPU.csdata,"",@progbits
; Kernel info:
; codeLenInByte = 0
; TotalNumSgprs: 4
; NumVgprs: 0
; ScratchSize: 0
; MemoryBound: 0
; FloatMode: 240
; IeeeMode: 1
; LDSByteSize: 0 bytes/workgroup (compile time only)
; SGPRBlocks: 0
; VGPRBlocks: 0
; NumSGPRsForWavesPerEU: 4
; NumVGPRsForWavesPerEU: 1
; Occupancy: 10
; WaveLimiterHint : 0
; COMPUTE_PGM_RSRC2:SCRATCH_EN: 0
; COMPUTE_PGM_RSRC2:USER_SGPR: 6
; COMPUTE_PGM_RSRC2:TRAP_HANDLER: 0
; COMPUTE_PGM_RSRC2:TGID_X_EN: 1
; COMPUTE_PGM_RSRC2:TGID_Y_EN: 0
; COMPUTE_PGM_RSRC2:TGID_Z_EN: 0
; COMPUTE_PGM_RSRC2:TIDIG_COMP_CNT: 0
	.section	.text._ZN7rocprim17ROCPRIM_400000_NS6detail17trampoline_kernelINS0_14default_configENS1_25transform_config_selectorIsLb0EEEZNS1_14transform_implILb0ES3_S5_NS0_18transform_iteratorINS0_17counting_iteratorImlEEZNS1_24adjacent_difference_implIS3_Lb1ELb0EPsN6thrust23THRUST_200600_302600_NS16discard_iteratorINSD_11use_defaultEEENSD_5minusIsEEEE10hipError_tPvRmT2_T3_mT4_P12ihipStream_tbEUlmE_sEESB_NS0_8identityIvEEEESJ_SM_SN_mSO_SQ_bEUlT_E_NS1_11comp_targetILNS1_3genE0ELNS1_11target_archE4294967295ELNS1_3gpuE0ELNS1_3repE0EEENS1_30default_config_static_selectorELNS0_4arch9wavefront6targetE1EEEvT1_,"axG",@progbits,_ZN7rocprim17ROCPRIM_400000_NS6detail17trampoline_kernelINS0_14default_configENS1_25transform_config_selectorIsLb0EEEZNS1_14transform_implILb0ES3_S5_NS0_18transform_iteratorINS0_17counting_iteratorImlEEZNS1_24adjacent_difference_implIS3_Lb1ELb0EPsN6thrust23THRUST_200600_302600_NS16discard_iteratorINSD_11use_defaultEEENSD_5minusIsEEEE10hipError_tPvRmT2_T3_mT4_P12ihipStream_tbEUlmE_sEESB_NS0_8identityIvEEEESJ_SM_SN_mSO_SQ_bEUlT_E_NS1_11comp_targetILNS1_3genE0ELNS1_11target_archE4294967295ELNS1_3gpuE0ELNS1_3repE0EEENS1_30default_config_static_selectorELNS0_4arch9wavefront6targetE1EEEvT1_,comdat
	.protected	_ZN7rocprim17ROCPRIM_400000_NS6detail17trampoline_kernelINS0_14default_configENS1_25transform_config_selectorIsLb0EEEZNS1_14transform_implILb0ES3_S5_NS0_18transform_iteratorINS0_17counting_iteratorImlEEZNS1_24adjacent_difference_implIS3_Lb1ELb0EPsN6thrust23THRUST_200600_302600_NS16discard_iteratorINSD_11use_defaultEEENSD_5minusIsEEEE10hipError_tPvRmT2_T3_mT4_P12ihipStream_tbEUlmE_sEESB_NS0_8identityIvEEEESJ_SM_SN_mSO_SQ_bEUlT_E_NS1_11comp_targetILNS1_3genE0ELNS1_11target_archE4294967295ELNS1_3gpuE0ELNS1_3repE0EEENS1_30default_config_static_selectorELNS0_4arch9wavefront6targetE1EEEvT1_ ; -- Begin function _ZN7rocprim17ROCPRIM_400000_NS6detail17trampoline_kernelINS0_14default_configENS1_25transform_config_selectorIsLb0EEEZNS1_14transform_implILb0ES3_S5_NS0_18transform_iteratorINS0_17counting_iteratorImlEEZNS1_24adjacent_difference_implIS3_Lb1ELb0EPsN6thrust23THRUST_200600_302600_NS16discard_iteratorINSD_11use_defaultEEENSD_5minusIsEEEE10hipError_tPvRmT2_T3_mT4_P12ihipStream_tbEUlmE_sEESB_NS0_8identityIvEEEESJ_SM_SN_mSO_SQ_bEUlT_E_NS1_11comp_targetILNS1_3genE0ELNS1_11target_archE4294967295ELNS1_3gpuE0ELNS1_3repE0EEENS1_30default_config_static_selectorELNS0_4arch9wavefront6targetE1EEEvT1_
	.globl	_ZN7rocprim17ROCPRIM_400000_NS6detail17trampoline_kernelINS0_14default_configENS1_25transform_config_selectorIsLb0EEEZNS1_14transform_implILb0ES3_S5_NS0_18transform_iteratorINS0_17counting_iteratorImlEEZNS1_24adjacent_difference_implIS3_Lb1ELb0EPsN6thrust23THRUST_200600_302600_NS16discard_iteratorINSD_11use_defaultEEENSD_5minusIsEEEE10hipError_tPvRmT2_T3_mT4_P12ihipStream_tbEUlmE_sEESB_NS0_8identityIvEEEESJ_SM_SN_mSO_SQ_bEUlT_E_NS1_11comp_targetILNS1_3genE0ELNS1_11target_archE4294967295ELNS1_3gpuE0ELNS1_3repE0EEENS1_30default_config_static_selectorELNS0_4arch9wavefront6targetE1EEEvT1_
	.p2align	8
	.type	_ZN7rocprim17ROCPRIM_400000_NS6detail17trampoline_kernelINS0_14default_configENS1_25transform_config_selectorIsLb0EEEZNS1_14transform_implILb0ES3_S5_NS0_18transform_iteratorINS0_17counting_iteratorImlEEZNS1_24adjacent_difference_implIS3_Lb1ELb0EPsN6thrust23THRUST_200600_302600_NS16discard_iteratorINSD_11use_defaultEEENSD_5minusIsEEEE10hipError_tPvRmT2_T3_mT4_P12ihipStream_tbEUlmE_sEESB_NS0_8identityIvEEEESJ_SM_SN_mSO_SQ_bEUlT_E_NS1_11comp_targetILNS1_3genE0ELNS1_11target_archE4294967295ELNS1_3gpuE0ELNS1_3repE0EEENS1_30default_config_static_selectorELNS0_4arch9wavefront6targetE1EEEvT1_,@function
_ZN7rocprim17ROCPRIM_400000_NS6detail17trampoline_kernelINS0_14default_configENS1_25transform_config_selectorIsLb0EEEZNS1_14transform_implILb0ES3_S5_NS0_18transform_iteratorINS0_17counting_iteratorImlEEZNS1_24adjacent_difference_implIS3_Lb1ELb0EPsN6thrust23THRUST_200600_302600_NS16discard_iteratorINSD_11use_defaultEEENSD_5minusIsEEEE10hipError_tPvRmT2_T3_mT4_P12ihipStream_tbEUlmE_sEESB_NS0_8identityIvEEEESJ_SM_SN_mSO_SQ_bEUlT_E_NS1_11comp_targetILNS1_3genE0ELNS1_11target_archE4294967295ELNS1_3gpuE0ELNS1_3repE0EEENS1_30default_config_static_selectorELNS0_4arch9wavefront6targetE1EEEvT1_: ; @_ZN7rocprim17ROCPRIM_400000_NS6detail17trampoline_kernelINS0_14default_configENS1_25transform_config_selectorIsLb0EEEZNS1_14transform_implILb0ES3_S5_NS0_18transform_iteratorINS0_17counting_iteratorImlEEZNS1_24adjacent_difference_implIS3_Lb1ELb0EPsN6thrust23THRUST_200600_302600_NS16discard_iteratorINSD_11use_defaultEEENSD_5minusIsEEEE10hipError_tPvRmT2_T3_mT4_P12ihipStream_tbEUlmE_sEESB_NS0_8identityIvEEEESJ_SM_SN_mSO_SQ_bEUlT_E_NS1_11comp_targetILNS1_3genE0ELNS1_11target_archE4294967295ELNS1_3gpuE0ELNS1_3repE0EEENS1_30default_config_static_selectorELNS0_4arch9wavefront6targetE1EEEvT1_
; %bb.0:
	.section	.rodata,"a",@progbits
	.p2align	6, 0x0
	.amdhsa_kernel _ZN7rocprim17ROCPRIM_400000_NS6detail17trampoline_kernelINS0_14default_configENS1_25transform_config_selectorIsLb0EEEZNS1_14transform_implILb0ES3_S5_NS0_18transform_iteratorINS0_17counting_iteratorImlEEZNS1_24adjacent_difference_implIS3_Lb1ELb0EPsN6thrust23THRUST_200600_302600_NS16discard_iteratorINSD_11use_defaultEEENSD_5minusIsEEEE10hipError_tPvRmT2_T3_mT4_P12ihipStream_tbEUlmE_sEESB_NS0_8identityIvEEEESJ_SM_SN_mSO_SQ_bEUlT_E_NS1_11comp_targetILNS1_3genE0ELNS1_11target_archE4294967295ELNS1_3gpuE0ELNS1_3repE0EEENS1_30default_config_static_selectorELNS0_4arch9wavefront6targetE1EEEvT1_
		.amdhsa_group_segment_fixed_size 0
		.amdhsa_private_segment_fixed_size 0
		.amdhsa_kernarg_size 56
		.amdhsa_user_sgpr_count 6
		.amdhsa_user_sgpr_private_segment_buffer 1
		.amdhsa_user_sgpr_dispatch_ptr 0
		.amdhsa_user_sgpr_queue_ptr 0
		.amdhsa_user_sgpr_kernarg_segment_ptr 1
		.amdhsa_user_sgpr_dispatch_id 0
		.amdhsa_user_sgpr_flat_scratch_init 0
		.amdhsa_user_sgpr_private_segment_size 0
		.amdhsa_uses_dynamic_stack 0
		.amdhsa_system_sgpr_private_segment_wavefront_offset 0
		.amdhsa_system_sgpr_workgroup_id_x 1
		.amdhsa_system_sgpr_workgroup_id_y 0
		.amdhsa_system_sgpr_workgroup_id_z 0
		.amdhsa_system_sgpr_workgroup_info 0
		.amdhsa_system_vgpr_workitem_id 0
		.amdhsa_next_free_vgpr 1
		.amdhsa_next_free_sgpr 0
		.amdhsa_reserve_vcc 0
		.amdhsa_reserve_flat_scratch 0
		.amdhsa_float_round_mode_32 0
		.amdhsa_float_round_mode_16_64 0
		.amdhsa_float_denorm_mode_32 3
		.amdhsa_float_denorm_mode_16_64 3
		.amdhsa_dx10_clamp 1
		.amdhsa_ieee_mode 1
		.amdhsa_fp16_overflow 0
		.amdhsa_exception_fp_ieee_invalid_op 0
		.amdhsa_exception_fp_denorm_src 0
		.amdhsa_exception_fp_ieee_div_zero 0
		.amdhsa_exception_fp_ieee_overflow 0
		.amdhsa_exception_fp_ieee_underflow 0
		.amdhsa_exception_fp_ieee_inexact 0
		.amdhsa_exception_int_div_zero 0
	.end_amdhsa_kernel
	.section	.text._ZN7rocprim17ROCPRIM_400000_NS6detail17trampoline_kernelINS0_14default_configENS1_25transform_config_selectorIsLb0EEEZNS1_14transform_implILb0ES3_S5_NS0_18transform_iteratorINS0_17counting_iteratorImlEEZNS1_24adjacent_difference_implIS3_Lb1ELb0EPsN6thrust23THRUST_200600_302600_NS16discard_iteratorINSD_11use_defaultEEENSD_5minusIsEEEE10hipError_tPvRmT2_T3_mT4_P12ihipStream_tbEUlmE_sEESB_NS0_8identityIvEEEESJ_SM_SN_mSO_SQ_bEUlT_E_NS1_11comp_targetILNS1_3genE0ELNS1_11target_archE4294967295ELNS1_3gpuE0ELNS1_3repE0EEENS1_30default_config_static_selectorELNS0_4arch9wavefront6targetE1EEEvT1_,"axG",@progbits,_ZN7rocprim17ROCPRIM_400000_NS6detail17trampoline_kernelINS0_14default_configENS1_25transform_config_selectorIsLb0EEEZNS1_14transform_implILb0ES3_S5_NS0_18transform_iteratorINS0_17counting_iteratorImlEEZNS1_24adjacent_difference_implIS3_Lb1ELb0EPsN6thrust23THRUST_200600_302600_NS16discard_iteratorINSD_11use_defaultEEENSD_5minusIsEEEE10hipError_tPvRmT2_T3_mT4_P12ihipStream_tbEUlmE_sEESB_NS0_8identityIvEEEESJ_SM_SN_mSO_SQ_bEUlT_E_NS1_11comp_targetILNS1_3genE0ELNS1_11target_archE4294967295ELNS1_3gpuE0ELNS1_3repE0EEENS1_30default_config_static_selectorELNS0_4arch9wavefront6targetE1EEEvT1_,comdat
.Lfunc_end892:
	.size	_ZN7rocprim17ROCPRIM_400000_NS6detail17trampoline_kernelINS0_14default_configENS1_25transform_config_selectorIsLb0EEEZNS1_14transform_implILb0ES3_S5_NS0_18transform_iteratorINS0_17counting_iteratorImlEEZNS1_24adjacent_difference_implIS3_Lb1ELb0EPsN6thrust23THRUST_200600_302600_NS16discard_iteratorINSD_11use_defaultEEENSD_5minusIsEEEE10hipError_tPvRmT2_T3_mT4_P12ihipStream_tbEUlmE_sEESB_NS0_8identityIvEEEESJ_SM_SN_mSO_SQ_bEUlT_E_NS1_11comp_targetILNS1_3genE0ELNS1_11target_archE4294967295ELNS1_3gpuE0ELNS1_3repE0EEENS1_30default_config_static_selectorELNS0_4arch9wavefront6targetE1EEEvT1_, .Lfunc_end892-_ZN7rocprim17ROCPRIM_400000_NS6detail17trampoline_kernelINS0_14default_configENS1_25transform_config_selectorIsLb0EEEZNS1_14transform_implILb0ES3_S5_NS0_18transform_iteratorINS0_17counting_iteratorImlEEZNS1_24adjacent_difference_implIS3_Lb1ELb0EPsN6thrust23THRUST_200600_302600_NS16discard_iteratorINSD_11use_defaultEEENSD_5minusIsEEEE10hipError_tPvRmT2_T3_mT4_P12ihipStream_tbEUlmE_sEESB_NS0_8identityIvEEEESJ_SM_SN_mSO_SQ_bEUlT_E_NS1_11comp_targetILNS1_3genE0ELNS1_11target_archE4294967295ELNS1_3gpuE0ELNS1_3repE0EEENS1_30default_config_static_selectorELNS0_4arch9wavefront6targetE1EEEvT1_
                                        ; -- End function
	.set _ZN7rocprim17ROCPRIM_400000_NS6detail17trampoline_kernelINS0_14default_configENS1_25transform_config_selectorIsLb0EEEZNS1_14transform_implILb0ES3_S5_NS0_18transform_iteratorINS0_17counting_iteratorImlEEZNS1_24adjacent_difference_implIS3_Lb1ELb0EPsN6thrust23THRUST_200600_302600_NS16discard_iteratorINSD_11use_defaultEEENSD_5minusIsEEEE10hipError_tPvRmT2_T3_mT4_P12ihipStream_tbEUlmE_sEESB_NS0_8identityIvEEEESJ_SM_SN_mSO_SQ_bEUlT_E_NS1_11comp_targetILNS1_3genE0ELNS1_11target_archE4294967295ELNS1_3gpuE0ELNS1_3repE0EEENS1_30default_config_static_selectorELNS0_4arch9wavefront6targetE1EEEvT1_.num_vgpr, 0
	.set _ZN7rocprim17ROCPRIM_400000_NS6detail17trampoline_kernelINS0_14default_configENS1_25transform_config_selectorIsLb0EEEZNS1_14transform_implILb0ES3_S5_NS0_18transform_iteratorINS0_17counting_iteratorImlEEZNS1_24adjacent_difference_implIS3_Lb1ELb0EPsN6thrust23THRUST_200600_302600_NS16discard_iteratorINSD_11use_defaultEEENSD_5minusIsEEEE10hipError_tPvRmT2_T3_mT4_P12ihipStream_tbEUlmE_sEESB_NS0_8identityIvEEEESJ_SM_SN_mSO_SQ_bEUlT_E_NS1_11comp_targetILNS1_3genE0ELNS1_11target_archE4294967295ELNS1_3gpuE0ELNS1_3repE0EEENS1_30default_config_static_selectorELNS0_4arch9wavefront6targetE1EEEvT1_.num_agpr, 0
	.set _ZN7rocprim17ROCPRIM_400000_NS6detail17trampoline_kernelINS0_14default_configENS1_25transform_config_selectorIsLb0EEEZNS1_14transform_implILb0ES3_S5_NS0_18transform_iteratorINS0_17counting_iteratorImlEEZNS1_24adjacent_difference_implIS3_Lb1ELb0EPsN6thrust23THRUST_200600_302600_NS16discard_iteratorINSD_11use_defaultEEENSD_5minusIsEEEE10hipError_tPvRmT2_T3_mT4_P12ihipStream_tbEUlmE_sEESB_NS0_8identityIvEEEESJ_SM_SN_mSO_SQ_bEUlT_E_NS1_11comp_targetILNS1_3genE0ELNS1_11target_archE4294967295ELNS1_3gpuE0ELNS1_3repE0EEENS1_30default_config_static_selectorELNS0_4arch9wavefront6targetE1EEEvT1_.numbered_sgpr, 0
	.set _ZN7rocprim17ROCPRIM_400000_NS6detail17trampoline_kernelINS0_14default_configENS1_25transform_config_selectorIsLb0EEEZNS1_14transform_implILb0ES3_S5_NS0_18transform_iteratorINS0_17counting_iteratorImlEEZNS1_24adjacent_difference_implIS3_Lb1ELb0EPsN6thrust23THRUST_200600_302600_NS16discard_iteratorINSD_11use_defaultEEENSD_5minusIsEEEE10hipError_tPvRmT2_T3_mT4_P12ihipStream_tbEUlmE_sEESB_NS0_8identityIvEEEESJ_SM_SN_mSO_SQ_bEUlT_E_NS1_11comp_targetILNS1_3genE0ELNS1_11target_archE4294967295ELNS1_3gpuE0ELNS1_3repE0EEENS1_30default_config_static_selectorELNS0_4arch9wavefront6targetE1EEEvT1_.num_named_barrier, 0
	.set _ZN7rocprim17ROCPRIM_400000_NS6detail17trampoline_kernelINS0_14default_configENS1_25transform_config_selectorIsLb0EEEZNS1_14transform_implILb0ES3_S5_NS0_18transform_iteratorINS0_17counting_iteratorImlEEZNS1_24adjacent_difference_implIS3_Lb1ELb0EPsN6thrust23THRUST_200600_302600_NS16discard_iteratorINSD_11use_defaultEEENSD_5minusIsEEEE10hipError_tPvRmT2_T3_mT4_P12ihipStream_tbEUlmE_sEESB_NS0_8identityIvEEEESJ_SM_SN_mSO_SQ_bEUlT_E_NS1_11comp_targetILNS1_3genE0ELNS1_11target_archE4294967295ELNS1_3gpuE0ELNS1_3repE0EEENS1_30default_config_static_selectorELNS0_4arch9wavefront6targetE1EEEvT1_.private_seg_size, 0
	.set _ZN7rocprim17ROCPRIM_400000_NS6detail17trampoline_kernelINS0_14default_configENS1_25transform_config_selectorIsLb0EEEZNS1_14transform_implILb0ES3_S5_NS0_18transform_iteratorINS0_17counting_iteratorImlEEZNS1_24adjacent_difference_implIS3_Lb1ELb0EPsN6thrust23THRUST_200600_302600_NS16discard_iteratorINSD_11use_defaultEEENSD_5minusIsEEEE10hipError_tPvRmT2_T3_mT4_P12ihipStream_tbEUlmE_sEESB_NS0_8identityIvEEEESJ_SM_SN_mSO_SQ_bEUlT_E_NS1_11comp_targetILNS1_3genE0ELNS1_11target_archE4294967295ELNS1_3gpuE0ELNS1_3repE0EEENS1_30default_config_static_selectorELNS0_4arch9wavefront6targetE1EEEvT1_.uses_vcc, 0
	.set _ZN7rocprim17ROCPRIM_400000_NS6detail17trampoline_kernelINS0_14default_configENS1_25transform_config_selectorIsLb0EEEZNS1_14transform_implILb0ES3_S5_NS0_18transform_iteratorINS0_17counting_iteratorImlEEZNS1_24adjacent_difference_implIS3_Lb1ELb0EPsN6thrust23THRUST_200600_302600_NS16discard_iteratorINSD_11use_defaultEEENSD_5minusIsEEEE10hipError_tPvRmT2_T3_mT4_P12ihipStream_tbEUlmE_sEESB_NS0_8identityIvEEEESJ_SM_SN_mSO_SQ_bEUlT_E_NS1_11comp_targetILNS1_3genE0ELNS1_11target_archE4294967295ELNS1_3gpuE0ELNS1_3repE0EEENS1_30default_config_static_selectorELNS0_4arch9wavefront6targetE1EEEvT1_.uses_flat_scratch, 0
	.set _ZN7rocprim17ROCPRIM_400000_NS6detail17trampoline_kernelINS0_14default_configENS1_25transform_config_selectorIsLb0EEEZNS1_14transform_implILb0ES3_S5_NS0_18transform_iteratorINS0_17counting_iteratorImlEEZNS1_24adjacent_difference_implIS3_Lb1ELb0EPsN6thrust23THRUST_200600_302600_NS16discard_iteratorINSD_11use_defaultEEENSD_5minusIsEEEE10hipError_tPvRmT2_T3_mT4_P12ihipStream_tbEUlmE_sEESB_NS0_8identityIvEEEESJ_SM_SN_mSO_SQ_bEUlT_E_NS1_11comp_targetILNS1_3genE0ELNS1_11target_archE4294967295ELNS1_3gpuE0ELNS1_3repE0EEENS1_30default_config_static_selectorELNS0_4arch9wavefront6targetE1EEEvT1_.has_dyn_sized_stack, 0
	.set _ZN7rocprim17ROCPRIM_400000_NS6detail17trampoline_kernelINS0_14default_configENS1_25transform_config_selectorIsLb0EEEZNS1_14transform_implILb0ES3_S5_NS0_18transform_iteratorINS0_17counting_iteratorImlEEZNS1_24adjacent_difference_implIS3_Lb1ELb0EPsN6thrust23THRUST_200600_302600_NS16discard_iteratorINSD_11use_defaultEEENSD_5minusIsEEEE10hipError_tPvRmT2_T3_mT4_P12ihipStream_tbEUlmE_sEESB_NS0_8identityIvEEEESJ_SM_SN_mSO_SQ_bEUlT_E_NS1_11comp_targetILNS1_3genE0ELNS1_11target_archE4294967295ELNS1_3gpuE0ELNS1_3repE0EEENS1_30default_config_static_selectorELNS0_4arch9wavefront6targetE1EEEvT1_.has_recursion, 0
	.set _ZN7rocprim17ROCPRIM_400000_NS6detail17trampoline_kernelINS0_14default_configENS1_25transform_config_selectorIsLb0EEEZNS1_14transform_implILb0ES3_S5_NS0_18transform_iteratorINS0_17counting_iteratorImlEEZNS1_24adjacent_difference_implIS3_Lb1ELb0EPsN6thrust23THRUST_200600_302600_NS16discard_iteratorINSD_11use_defaultEEENSD_5minusIsEEEE10hipError_tPvRmT2_T3_mT4_P12ihipStream_tbEUlmE_sEESB_NS0_8identityIvEEEESJ_SM_SN_mSO_SQ_bEUlT_E_NS1_11comp_targetILNS1_3genE0ELNS1_11target_archE4294967295ELNS1_3gpuE0ELNS1_3repE0EEENS1_30default_config_static_selectorELNS0_4arch9wavefront6targetE1EEEvT1_.has_indirect_call, 0
	.section	.AMDGPU.csdata,"",@progbits
; Kernel info:
; codeLenInByte = 0
; TotalNumSgprs: 4
; NumVgprs: 0
; ScratchSize: 0
; MemoryBound: 0
; FloatMode: 240
; IeeeMode: 1
; LDSByteSize: 0 bytes/workgroup (compile time only)
; SGPRBlocks: 0
; VGPRBlocks: 0
; NumSGPRsForWavesPerEU: 4
; NumVGPRsForWavesPerEU: 1
; Occupancy: 10
; WaveLimiterHint : 0
; COMPUTE_PGM_RSRC2:SCRATCH_EN: 0
; COMPUTE_PGM_RSRC2:USER_SGPR: 6
; COMPUTE_PGM_RSRC2:TRAP_HANDLER: 0
; COMPUTE_PGM_RSRC2:TGID_X_EN: 1
; COMPUTE_PGM_RSRC2:TGID_Y_EN: 0
; COMPUTE_PGM_RSRC2:TGID_Z_EN: 0
; COMPUTE_PGM_RSRC2:TIDIG_COMP_CNT: 0
	.section	.text._ZN7rocprim17ROCPRIM_400000_NS6detail17trampoline_kernelINS0_14default_configENS1_25transform_config_selectorIsLb0EEEZNS1_14transform_implILb0ES3_S5_NS0_18transform_iteratorINS0_17counting_iteratorImlEEZNS1_24adjacent_difference_implIS3_Lb1ELb0EPsN6thrust23THRUST_200600_302600_NS16discard_iteratorINSD_11use_defaultEEENSD_5minusIsEEEE10hipError_tPvRmT2_T3_mT4_P12ihipStream_tbEUlmE_sEESB_NS0_8identityIvEEEESJ_SM_SN_mSO_SQ_bEUlT_E_NS1_11comp_targetILNS1_3genE5ELNS1_11target_archE942ELNS1_3gpuE9ELNS1_3repE0EEENS1_30default_config_static_selectorELNS0_4arch9wavefront6targetE1EEEvT1_,"axG",@progbits,_ZN7rocprim17ROCPRIM_400000_NS6detail17trampoline_kernelINS0_14default_configENS1_25transform_config_selectorIsLb0EEEZNS1_14transform_implILb0ES3_S5_NS0_18transform_iteratorINS0_17counting_iteratorImlEEZNS1_24adjacent_difference_implIS3_Lb1ELb0EPsN6thrust23THRUST_200600_302600_NS16discard_iteratorINSD_11use_defaultEEENSD_5minusIsEEEE10hipError_tPvRmT2_T3_mT4_P12ihipStream_tbEUlmE_sEESB_NS0_8identityIvEEEESJ_SM_SN_mSO_SQ_bEUlT_E_NS1_11comp_targetILNS1_3genE5ELNS1_11target_archE942ELNS1_3gpuE9ELNS1_3repE0EEENS1_30default_config_static_selectorELNS0_4arch9wavefront6targetE1EEEvT1_,comdat
	.protected	_ZN7rocprim17ROCPRIM_400000_NS6detail17trampoline_kernelINS0_14default_configENS1_25transform_config_selectorIsLb0EEEZNS1_14transform_implILb0ES3_S5_NS0_18transform_iteratorINS0_17counting_iteratorImlEEZNS1_24adjacent_difference_implIS3_Lb1ELb0EPsN6thrust23THRUST_200600_302600_NS16discard_iteratorINSD_11use_defaultEEENSD_5minusIsEEEE10hipError_tPvRmT2_T3_mT4_P12ihipStream_tbEUlmE_sEESB_NS0_8identityIvEEEESJ_SM_SN_mSO_SQ_bEUlT_E_NS1_11comp_targetILNS1_3genE5ELNS1_11target_archE942ELNS1_3gpuE9ELNS1_3repE0EEENS1_30default_config_static_selectorELNS0_4arch9wavefront6targetE1EEEvT1_ ; -- Begin function _ZN7rocprim17ROCPRIM_400000_NS6detail17trampoline_kernelINS0_14default_configENS1_25transform_config_selectorIsLb0EEEZNS1_14transform_implILb0ES3_S5_NS0_18transform_iteratorINS0_17counting_iteratorImlEEZNS1_24adjacent_difference_implIS3_Lb1ELb0EPsN6thrust23THRUST_200600_302600_NS16discard_iteratorINSD_11use_defaultEEENSD_5minusIsEEEE10hipError_tPvRmT2_T3_mT4_P12ihipStream_tbEUlmE_sEESB_NS0_8identityIvEEEESJ_SM_SN_mSO_SQ_bEUlT_E_NS1_11comp_targetILNS1_3genE5ELNS1_11target_archE942ELNS1_3gpuE9ELNS1_3repE0EEENS1_30default_config_static_selectorELNS0_4arch9wavefront6targetE1EEEvT1_
	.globl	_ZN7rocprim17ROCPRIM_400000_NS6detail17trampoline_kernelINS0_14default_configENS1_25transform_config_selectorIsLb0EEEZNS1_14transform_implILb0ES3_S5_NS0_18transform_iteratorINS0_17counting_iteratorImlEEZNS1_24adjacent_difference_implIS3_Lb1ELb0EPsN6thrust23THRUST_200600_302600_NS16discard_iteratorINSD_11use_defaultEEENSD_5minusIsEEEE10hipError_tPvRmT2_T3_mT4_P12ihipStream_tbEUlmE_sEESB_NS0_8identityIvEEEESJ_SM_SN_mSO_SQ_bEUlT_E_NS1_11comp_targetILNS1_3genE5ELNS1_11target_archE942ELNS1_3gpuE9ELNS1_3repE0EEENS1_30default_config_static_selectorELNS0_4arch9wavefront6targetE1EEEvT1_
	.p2align	8
	.type	_ZN7rocprim17ROCPRIM_400000_NS6detail17trampoline_kernelINS0_14default_configENS1_25transform_config_selectorIsLb0EEEZNS1_14transform_implILb0ES3_S5_NS0_18transform_iteratorINS0_17counting_iteratorImlEEZNS1_24adjacent_difference_implIS3_Lb1ELb0EPsN6thrust23THRUST_200600_302600_NS16discard_iteratorINSD_11use_defaultEEENSD_5minusIsEEEE10hipError_tPvRmT2_T3_mT4_P12ihipStream_tbEUlmE_sEESB_NS0_8identityIvEEEESJ_SM_SN_mSO_SQ_bEUlT_E_NS1_11comp_targetILNS1_3genE5ELNS1_11target_archE942ELNS1_3gpuE9ELNS1_3repE0EEENS1_30default_config_static_selectorELNS0_4arch9wavefront6targetE1EEEvT1_,@function
_ZN7rocprim17ROCPRIM_400000_NS6detail17trampoline_kernelINS0_14default_configENS1_25transform_config_selectorIsLb0EEEZNS1_14transform_implILb0ES3_S5_NS0_18transform_iteratorINS0_17counting_iteratorImlEEZNS1_24adjacent_difference_implIS3_Lb1ELb0EPsN6thrust23THRUST_200600_302600_NS16discard_iteratorINSD_11use_defaultEEENSD_5minusIsEEEE10hipError_tPvRmT2_T3_mT4_P12ihipStream_tbEUlmE_sEESB_NS0_8identityIvEEEESJ_SM_SN_mSO_SQ_bEUlT_E_NS1_11comp_targetILNS1_3genE5ELNS1_11target_archE942ELNS1_3gpuE9ELNS1_3repE0EEENS1_30default_config_static_selectorELNS0_4arch9wavefront6targetE1EEEvT1_: ; @_ZN7rocprim17ROCPRIM_400000_NS6detail17trampoline_kernelINS0_14default_configENS1_25transform_config_selectorIsLb0EEEZNS1_14transform_implILb0ES3_S5_NS0_18transform_iteratorINS0_17counting_iteratorImlEEZNS1_24adjacent_difference_implIS3_Lb1ELb0EPsN6thrust23THRUST_200600_302600_NS16discard_iteratorINSD_11use_defaultEEENSD_5minusIsEEEE10hipError_tPvRmT2_T3_mT4_P12ihipStream_tbEUlmE_sEESB_NS0_8identityIvEEEESJ_SM_SN_mSO_SQ_bEUlT_E_NS1_11comp_targetILNS1_3genE5ELNS1_11target_archE942ELNS1_3gpuE9ELNS1_3repE0EEENS1_30default_config_static_selectorELNS0_4arch9wavefront6targetE1EEEvT1_
; %bb.0:
	.section	.rodata,"a",@progbits
	.p2align	6, 0x0
	.amdhsa_kernel _ZN7rocprim17ROCPRIM_400000_NS6detail17trampoline_kernelINS0_14default_configENS1_25transform_config_selectorIsLb0EEEZNS1_14transform_implILb0ES3_S5_NS0_18transform_iteratorINS0_17counting_iteratorImlEEZNS1_24adjacent_difference_implIS3_Lb1ELb0EPsN6thrust23THRUST_200600_302600_NS16discard_iteratorINSD_11use_defaultEEENSD_5minusIsEEEE10hipError_tPvRmT2_T3_mT4_P12ihipStream_tbEUlmE_sEESB_NS0_8identityIvEEEESJ_SM_SN_mSO_SQ_bEUlT_E_NS1_11comp_targetILNS1_3genE5ELNS1_11target_archE942ELNS1_3gpuE9ELNS1_3repE0EEENS1_30default_config_static_selectorELNS0_4arch9wavefront6targetE1EEEvT1_
		.amdhsa_group_segment_fixed_size 0
		.amdhsa_private_segment_fixed_size 0
		.amdhsa_kernarg_size 56
		.amdhsa_user_sgpr_count 6
		.amdhsa_user_sgpr_private_segment_buffer 1
		.amdhsa_user_sgpr_dispatch_ptr 0
		.amdhsa_user_sgpr_queue_ptr 0
		.amdhsa_user_sgpr_kernarg_segment_ptr 1
		.amdhsa_user_sgpr_dispatch_id 0
		.amdhsa_user_sgpr_flat_scratch_init 0
		.amdhsa_user_sgpr_private_segment_size 0
		.amdhsa_uses_dynamic_stack 0
		.amdhsa_system_sgpr_private_segment_wavefront_offset 0
		.amdhsa_system_sgpr_workgroup_id_x 1
		.amdhsa_system_sgpr_workgroup_id_y 0
		.amdhsa_system_sgpr_workgroup_id_z 0
		.amdhsa_system_sgpr_workgroup_info 0
		.amdhsa_system_vgpr_workitem_id 0
		.amdhsa_next_free_vgpr 1
		.amdhsa_next_free_sgpr 0
		.amdhsa_reserve_vcc 0
		.amdhsa_reserve_flat_scratch 0
		.amdhsa_float_round_mode_32 0
		.amdhsa_float_round_mode_16_64 0
		.amdhsa_float_denorm_mode_32 3
		.amdhsa_float_denorm_mode_16_64 3
		.amdhsa_dx10_clamp 1
		.amdhsa_ieee_mode 1
		.amdhsa_fp16_overflow 0
		.amdhsa_exception_fp_ieee_invalid_op 0
		.amdhsa_exception_fp_denorm_src 0
		.amdhsa_exception_fp_ieee_div_zero 0
		.amdhsa_exception_fp_ieee_overflow 0
		.amdhsa_exception_fp_ieee_underflow 0
		.amdhsa_exception_fp_ieee_inexact 0
		.amdhsa_exception_int_div_zero 0
	.end_amdhsa_kernel
	.section	.text._ZN7rocprim17ROCPRIM_400000_NS6detail17trampoline_kernelINS0_14default_configENS1_25transform_config_selectorIsLb0EEEZNS1_14transform_implILb0ES3_S5_NS0_18transform_iteratorINS0_17counting_iteratorImlEEZNS1_24adjacent_difference_implIS3_Lb1ELb0EPsN6thrust23THRUST_200600_302600_NS16discard_iteratorINSD_11use_defaultEEENSD_5minusIsEEEE10hipError_tPvRmT2_T3_mT4_P12ihipStream_tbEUlmE_sEESB_NS0_8identityIvEEEESJ_SM_SN_mSO_SQ_bEUlT_E_NS1_11comp_targetILNS1_3genE5ELNS1_11target_archE942ELNS1_3gpuE9ELNS1_3repE0EEENS1_30default_config_static_selectorELNS0_4arch9wavefront6targetE1EEEvT1_,"axG",@progbits,_ZN7rocprim17ROCPRIM_400000_NS6detail17trampoline_kernelINS0_14default_configENS1_25transform_config_selectorIsLb0EEEZNS1_14transform_implILb0ES3_S5_NS0_18transform_iteratorINS0_17counting_iteratorImlEEZNS1_24adjacent_difference_implIS3_Lb1ELb0EPsN6thrust23THRUST_200600_302600_NS16discard_iteratorINSD_11use_defaultEEENSD_5minusIsEEEE10hipError_tPvRmT2_T3_mT4_P12ihipStream_tbEUlmE_sEESB_NS0_8identityIvEEEESJ_SM_SN_mSO_SQ_bEUlT_E_NS1_11comp_targetILNS1_3genE5ELNS1_11target_archE942ELNS1_3gpuE9ELNS1_3repE0EEENS1_30default_config_static_selectorELNS0_4arch9wavefront6targetE1EEEvT1_,comdat
.Lfunc_end893:
	.size	_ZN7rocprim17ROCPRIM_400000_NS6detail17trampoline_kernelINS0_14default_configENS1_25transform_config_selectorIsLb0EEEZNS1_14transform_implILb0ES3_S5_NS0_18transform_iteratorINS0_17counting_iteratorImlEEZNS1_24adjacent_difference_implIS3_Lb1ELb0EPsN6thrust23THRUST_200600_302600_NS16discard_iteratorINSD_11use_defaultEEENSD_5minusIsEEEE10hipError_tPvRmT2_T3_mT4_P12ihipStream_tbEUlmE_sEESB_NS0_8identityIvEEEESJ_SM_SN_mSO_SQ_bEUlT_E_NS1_11comp_targetILNS1_3genE5ELNS1_11target_archE942ELNS1_3gpuE9ELNS1_3repE0EEENS1_30default_config_static_selectorELNS0_4arch9wavefront6targetE1EEEvT1_, .Lfunc_end893-_ZN7rocprim17ROCPRIM_400000_NS6detail17trampoline_kernelINS0_14default_configENS1_25transform_config_selectorIsLb0EEEZNS1_14transform_implILb0ES3_S5_NS0_18transform_iteratorINS0_17counting_iteratorImlEEZNS1_24adjacent_difference_implIS3_Lb1ELb0EPsN6thrust23THRUST_200600_302600_NS16discard_iteratorINSD_11use_defaultEEENSD_5minusIsEEEE10hipError_tPvRmT2_T3_mT4_P12ihipStream_tbEUlmE_sEESB_NS0_8identityIvEEEESJ_SM_SN_mSO_SQ_bEUlT_E_NS1_11comp_targetILNS1_3genE5ELNS1_11target_archE942ELNS1_3gpuE9ELNS1_3repE0EEENS1_30default_config_static_selectorELNS0_4arch9wavefront6targetE1EEEvT1_
                                        ; -- End function
	.set _ZN7rocprim17ROCPRIM_400000_NS6detail17trampoline_kernelINS0_14default_configENS1_25transform_config_selectorIsLb0EEEZNS1_14transform_implILb0ES3_S5_NS0_18transform_iteratorINS0_17counting_iteratorImlEEZNS1_24adjacent_difference_implIS3_Lb1ELb0EPsN6thrust23THRUST_200600_302600_NS16discard_iteratorINSD_11use_defaultEEENSD_5minusIsEEEE10hipError_tPvRmT2_T3_mT4_P12ihipStream_tbEUlmE_sEESB_NS0_8identityIvEEEESJ_SM_SN_mSO_SQ_bEUlT_E_NS1_11comp_targetILNS1_3genE5ELNS1_11target_archE942ELNS1_3gpuE9ELNS1_3repE0EEENS1_30default_config_static_selectorELNS0_4arch9wavefront6targetE1EEEvT1_.num_vgpr, 0
	.set _ZN7rocprim17ROCPRIM_400000_NS6detail17trampoline_kernelINS0_14default_configENS1_25transform_config_selectorIsLb0EEEZNS1_14transform_implILb0ES3_S5_NS0_18transform_iteratorINS0_17counting_iteratorImlEEZNS1_24adjacent_difference_implIS3_Lb1ELb0EPsN6thrust23THRUST_200600_302600_NS16discard_iteratorINSD_11use_defaultEEENSD_5minusIsEEEE10hipError_tPvRmT2_T3_mT4_P12ihipStream_tbEUlmE_sEESB_NS0_8identityIvEEEESJ_SM_SN_mSO_SQ_bEUlT_E_NS1_11comp_targetILNS1_3genE5ELNS1_11target_archE942ELNS1_3gpuE9ELNS1_3repE0EEENS1_30default_config_static_selectorELNS0_4arch9wavefront6targetE1EEEvT1_.num_agpr, 0
	.set _ZN7rocprim17ROCPRIM_400000_NS6detail17trampoline_kernelINS0_14default_configENS1_25transform_config_selectorIsLb0EEEZNS1_14transform_implILb0ES3_S5_NS0_18transform_iteratorINS0_17counting_iteratorImlEEZNS1_24adjacent_difference_implIS3_Lb1ELb0EPsN6thrust23THRUST_200600_302600_NS16discard_iteratorINSD_11use_defaultEEENSD_5minusIsEEEE10hipError_tPvRmT2_T3_mT4_P12ihipStream_tbEUlmE_sEESB_NS0_8identityIvEEEESJ_SM_SN_mSO_SQ_bEUlT_E_NS1_11comp_targetILNS1_3genE5ELNS1_11target_archE942ELNS1_3gpuE9ELNS1_3repE0EEENS1_30default_config_static_selectorELNS0_4arch9wavefront6targetE1EEEvT1_.numbered_sgpr, 0
	.set _ZN7rocprim17ROCPRIM_400000_NS6detail17trampoline_kernelINS0_14default_configENS1_25transform_config_selectorIsLb0EEEZNS1_14transform_implILb0ES3_S5_NS0_18transform_iteratorINS0_17counting_iteratorImlEEZNS1_24adjacent_difference_implIS3_Lb1ELb0EPsN6thrust23THRUST_200600_302600_NS16discard_iteratorINSD_11use_defaultEEENSD_5minusIsEEEE10hipError_tPvRmT2_T3_mT4_P12ihipStream_tbEUlmE_sEESB_NS0_8identityIvEEEESJ_SM_SN_mSO_SQ_bEUlT_E_NS1_11comp_targetILNS1_3genE5ELNS1_11target_archE942ELNS1_3gpuE9ELNS1_3repE0EEENS1_30default_config_static_selectorELNS0_4arch9wavefront6targetE1EEEvT1_.num_named_barrier, 0
	.set _ZN7rocprim17ROCPRIM_400000_NS6detail17trampoline_kernelINS0_14default_configENS1_25transform_config_selectorIsLb0EEEZNS1_14transform_implILb0ES3_S5_NS0_18transform_iteratorINS0_17counting_iteratorImlEEZNS1_24adjacent_difference_implIS3_Lb1ELb0EPsN6thrust23THRUST_200600_302600_NS16discard_iteratorINSD_11use_defaultEEENSD_5minusIsEEEE10hipError_tPvRmT2_T3_mT4_P12ihipStream_tbEUlmE_sEESB_NS0_8identityIvEEEESJ_SM_SN_mSO_SQ_bEUlT_E_NS1_11comp_targetILNS1_3genE5ELNS1_11target_archE942ELNS1_3gpuE9ELNS1_3repE0EEENS1_30default_config_static_selectorELNS0_4arch9wavefront6targetE1EEEvT1_.private_seg_size, 0
	.set _ZN7rocprim17ROCPRIM_400000_NS6detail17trampoline_kernelINS0_14default_configENS1_25transform_config_selectorIsLb0EEEZNS1_14transform_implILb0ES3_S5_NS0_18transform_iteratorINS0_17counting_iteratorImlEEZNS1_24adjacent_difference_implIS3_Lb1ELb0EPsN6thrust23THRUST_200600_302600_NS16discard_iteratorINSD_11use_defaultEEENSD_5minusIsEEEE10hipError_tPvRmT2_T3_mT4_P12ihipStream_tbEUlmE_sEESB_NS0_8identityIvEEEESJ_SM_SN_mSO_SQ_bEUlT_E_NS1_11comp_targetILNS1_3genE5ELNS1_11target_archE942ELNS1_3gpuE9ELNS1_3repE0EEENS1_30default_config_static_selectorELNS0_4arch9wavefront6targetE1EEEvT1_.uses_vcc, 0
	.set _ZN7rocprim17ROCPRIM_400000_NS6detail17trampoline_kernelINS0_14default_configENS1_25transform_config_selectorIsLb0EEEZNS1_14transform_implILb0ES3_S5_NS0_18transform_iteratorINS0_17counting_iteratorImlEEZNS1_24adjacent_difference_implIS3_Lb1ELb0EPsN6thrust23THRUST_200600_302600_NS16discard_iteratorINSD_11use_defaultEEENSD_5minusIsEEEE10hipError_tPvRmT2_T3_mT4_P12ihipStream_tbEUlmE_sEESB_NS0_8identityIvEEEESJ_SM_SN_mSO_SQ_bEUlT_E_NS1_11comp_targetILNS1_3genE5ELNS1_11target_archE942ELNS1_3gpuE9ELNS1_3repE0EEENS1_30default_config_static_selectorELNS0_4arch9wavefront6targetE1EEEvT1_.uses_flat_scratch, 0
	.set _ZN7rocprim17ROCPRIM_400000_NS6detail17trampoline_kernelINS0_14default_configENS1_25transform_config_selectorIsLb0EEEZNS1_14transform_implILb0ES3_S5_NS0_18transform_iteratorINS0_17counting_iteratorImlEEZNS1_24adjacent_difference_implIS3_Lb1ELb0EPsN6thrust23THRUST_200600_302600_NS16discard_iteratorINSD_11use_defaultEEENSD_5minusIsEEEE10hipError_tPvRmT2_T3_mT4_P12ihipStream_tbEUlmE_sEESB_NS0_8identityIvEEEESJ_SM_SN_mSO_SQ_bEUlT_E_NS1_11comp_targetILNS1_3genE5ELNS1_11target_archE942ELNS1_3gpuE9ELNS1_3repE0EEENS1_30default_config_static_selectorELNS0_4arch9wavefront6targetE1EEEvT1_.has_dyn_sized_stack, 0
	.set _ZN7rocprim17ROCPRIM_400000_NS6detail17trampoline_kernelINS0_14default_configENS1_25transform_config_selectorIsLb0EEEZNS1_14transform_implILb0ES3_S5_NS0_18transform_iteratorINS0_17counting_iteratorImlEEZNS1_24adjacent_difference_implIS3_Lb1ELb0EPsN6thrust23THRUST_200600_302600_NS16discard_iteratorINSD_11use_defaultEEENSD_5minusIsEEEE10hipError_tPvRmT2_T3_mT4_P12ihipStream_tbEUlmE_sEESB_NS0_8identityIvEEEESJ_SM_SN_mSO_SQ_bEUlT_E_NS1_11comp_targetILNS1_3genE5ELNS1_11target_archE942ELNS1_3gpuE9ELNS1_3repE0EEENS1_30default_config_static_selectorELNS0_4arch9wavefront6targetE1EEEvT1_.has_recursion, 0
	.set _ZN7rocprim17ROCPRIM_400000_NS6detail17trampoline_kernelINS0_14default_configENS1_25transform_config_selectorIsLb0EEEZNS1_14transform_implILb0ES3_S5_NS0_18transform_iteratorINS0_17counting_iteratorImlEEZNS1_24adjacent_difference_implIS3_Lb1ELb0EPsN6thrust23THRUST_200600_302600_NS16discard_iteratorINSD_11use_defaultEEENSD_5minusIsEEEE10hipError_tPvRmT2_T3_mT4_P12ihipStream_tbEUlmE_sEESB_NS0_8identityIvEEEESJ_SM_SN_mSO_SQ_bEUlT_E_NS1_11comp_targetILNS1_3genE5ELNS1_11target_archE942ELNS1_3gpuE9ELNS1_3repE0EEENS1_30default_config_static_selectorELNS0_4arch9wavefront6targetE1EEEvT1_.has_indirect_call, 0
	.section	.AMDGPU.csdata,"",@progbits
; Kernel info:
; codeLenInByte = 0
; TotalNumSgprs: 4
; NumVgprs: 0
; ScratchSize: 0
; MemoryBound: 0
; FloatMode: 240
; IeeeMode: 1
; LDSByteSize: 0 bytes/workgroup (compile time only)
; SGPRBlocks: 0
; VGPRBlocks: 0
; NumSGPRsForWavesPerEU: 4
; NumVGPRsForWavesPerEU: 1
; Occupancy: 10
; WaveLimiterHint : 0
; COMPUTE_PGM_RSRC2:SCRATCH_EN: 0
; COMPUTE_PGM_RSRC2:USER_SGPR: 6
; COMPUTE_PGM_RSRC2:TRAP_HANDLER: 0
; COMPUTE_PGM_RSRC2:TGID_X_EN: 1
; COMPUTE_PGM_RSRC2:TGID_Y_EN: 0
; COMPUTE_PGM_RSRC2:TGID_Z_EN: 0
; COMPUTE_PGM_RSRC2:TIDIG_COMP_CNT: 0
	.section	.text._ZN7rocprim17ROCPRIM_400000_NS6detail17trampoline_kernelINS0_14default_configENS1_25transform_config_selectorIsLb0EEEZNS1_14transform_implILb0ES3_S5_NS0_18transform_iteratorINS0_17counting_iteratorImlEEZNS1_24adjacent_difference_implIS3_Lb1ELb0EPsN6thrust23THRUST_200600_302600_NS16discard_iteratorINSD_11use_defaultEEENSD_5minusIsEEEE10hipError_tPvRmT2_T3_mT4_P12ihipStream_tbEUlmE_sEESB_NS0_8identityIvEEEESJ_SM_SN_mSO_SQ_bEUlT_E_NS1_11comp_targetILNS1_3genE4ELNS1_11target_archE910ELNS1_3gpuE8ELNS1_3repE0EEENS1_30default_config_static_selectorELNS0_4arch9wavefront6targetE1EEEvT1_,"axG",@progbits,_ZN7rocprim17ROCPRIM_400000_NS6detail17trampoline_kernelINS0_14default_configENS1_25transform_config_selectorIsLb0EEEZNS1_14transform_implILb0ES3_S5_NS0_18transform_iteratorINS0_17counting_iteratorImlEEZNS1_24adjacent_difference_implIS3_Lb1ELb0EPsN6thrust23THRUST_200600_302600_NS16discard_iteratorINSD_11use_defaultEEENSD_5minusIsEEEE10hipError_tPvRmT2_T3_mT4_P12ihipStream_tbEUlmE_sEESB_NS0_8identityIvEEEESJ_SM_SN_mSO_SQ_bEUlT_E_NS1_11comp_targetILNS1_3genE4ELNS1_11target_archE910ELNS1_3gpuE8ELNS1_3repE0EEENS1_30default_config_static_selectorELNS0_4arch9wavefront6targetE1EEEvT1_,comdat
	.protected	_ZN7rocprim17ROCPRIM_400000_NS6detail17trampoline_kernelINS0_14default_configENS1_25transform_config_selectorIsLb0EEEZNS1_14transform_implILb0ES3_S5_NS0_18transform_iteratorINS0_17counting_iteratorImlEEZNS1_24adjacent_difference_implIS3_Lb1ELb0EPsN6thrust23THRUST_200600_302600_NS16discard_iteratorINSD_11use_defaultEEENSD_5minusIsEEEE10hipError_tPvRmT2_T3_mT4_P12ihipStream_tbEUlmE_sEESB_NS0_8identityIvEEEESJ_SM_SN_mSO_SQ_bEUlT_E_NS1_11comp_targetILNS1_3genE4ELNS1_11target_archE910ELNS1_3gpuE8ELNS1_3repE0EEENS1_30default_config_static_selectorELNS0_4arch9wavefront6targetE1EEEvT1_ ; -- Begin function _ZN7rocprim17ROCPRIM_400000_NS6detail17trampoline_kernelINS0_14default_configENS1_25transform_config_selectorIsLb0EEEZNS1_14transform_implILb0ES3_S5_NS0_18transform_iteratorINS0_17counting_iteratorImlEEZNS1_24adjacent_difference_implIS3_Lb1ELb0EPsN6thrust23THRUST_200600_302600_NS16discard_iteratorINSD_11use_defaultEEENSD_5minusIsEEEE10hipError_tPvRmT2_T3_mT4_P12ihipStream_tbEUlmE_sEESB_NS0_8identityIvEEEESJ_SM_SN_mSO_SQ_bEUlT_E_NS1_11comp_targetILNS1_3genE4ELNS1_11target_archE910ELNS1_3gpuE8ELNS1_3repE0EEENS1_30default_config_static_selectorELNS0_4arch9wavefront6targetE1EEEvT1_
	.globl	_ZN7rocprim17ROCPRIM_400000_NS6detail17trampoline_kernelINS0_14default_configENS1_25transform_config_selectorIsLb0EEEZNS1_14transform_implILb0ES3_S5_NS0_18transform_iteratorINS0_17counting_iteratorImlEEZNS1_24adjacent_difference_implIS3_Lb1ELb0EPsN6thrust23THRUST_200600_302600_NS16discard_iteratorINSD_11use_defaultEEENSD_5minusIsEEEE10hipError_tPvRmT2_T3_mT4_P12ihipStream_tbEUlmE_sEESB_NS0_8identityIvEEEESJ_SM_SN_mSO_SQ_bEUlT_E_NS1_11comp_targetILNS1_3genE4ELNS1_11target_archE910ELNS1_3gpuE8ELNS1_3repE0EEENS1_30default_config_static_selectorELNS0_4arch9wavefront6targetE1EEEvT1_
	.p2align	8
	.type	_ZN7rocprim17ROCPRIM_400000_NS6detail17trampoline_kernelINS0_14default_configENS1_25transform_config_selectorIsLb0EEEZNS1_14transform_implILb0ES3_S5_NS0_18transform_iteratorINS0_17counting_iteratorImlEEZNS1_24adjacent_difference_implIS3_Lb1ELb0EPsN6thrust23THRUST_200600_302600_NS16discard_iteratorINSD_11use_defaultEEENSD_5minusIsEEEE10hipError_tPvRmT2_T3_mT4_P12ihipStream_tbEUlmE_sEESB_NS0_8identityIvEEEESJ_SM_SN_mSO_SQ_bEUlT_E_NS1_11comp_targetILNS1_3genE4ELNS1_11target_archE910ELNS1_3gpuE8ELNS1_3repE0EEENS1_30default_config_static_selectorELNS0_4arch9wavefront6targetE1EEEvT1_,@function
_ZN7rocprim17ROCPRIM_400000_NS6detail17trampoline_kernelINS0_14default_configENS1_25transform_config_selectorIsLb0EEEZNS1_14transform_implILb0ES3_S5_NS0_18transform_iteratorINS0_17counting_iteratorImlEEZNS1_24adjacent_difference_implIS3_Lb1ELb0EPsN6thrust23THRUST_200600_302600_NS16discard_iteratorINSD_11use_defaultEEENSD_5minusIsEEEE10hipError_tPvRmT2_T3_mT4_P12ihipStream_tbEUlmE_sEESB_NS0_8identityIvEEEESJ_SM_SN_mSO_SQ_bEUlT_E_NS1_11comp_targetILNS1_3genE4ELNS1_11target_archE910ELNS1_3gpuE8ELNS1_3repE0EEENS1_30default_config_static_selectorELNS0_4arch9wavefront6targetE1EEEvT1_: ; @_ZN7rocprim17ROCPRIM_400000_NS6detail17trampoline_kernelINS0_14default_configENS1_25transform_config_selectorIsLb0EEEZNS1_14transform_implILb0ES3_S5_NS0_18transform_iteratorINS0_17counting_iteratorImlEEZNS1_24adjacent_difference_implIS3_Lb1ELb0EPsN6thrust23THRUST_200600_302600_NS16discard_iteratorINSD_11use_defaultEEENSD_5minusIsEEEE10hipError_tPvRmT2_T3_mT4_P12ihipStream_tbEUlmE_sEESB_NS0_8identityIvEEEESJ_SM_SN_mSO_SQ_bEUlT_E_NS1_11comp_targetILNS1_3genE4ELNS1_11target_archE910ELNS1_3gpuE8ELNS1_3repE0EEENS1_30default_config_static_selectorELNS0_4arch9wavefront6targetE1EEEvT1_
; %bb.0:
	.section	.rodata,"a",@progbits
	.p2align	6, 0x0
	.amdhsa_kernel _ZN7rocprim17ROCPRIM_400000_NS6detail17trampoline_kernelINS0_14default_configENS1_25transform_config_selectorIsLb0EEEZNS1_14transform_implILb0ES3_S5_NS0_18transform_iteratorINS0_17counting_iteratorImlEEZNS1_24adjacent_difference_implIS3_Lb1ELb0EPsN6thrust23THRUST_200600_302600_NS16discard_iteratorINSD_11use_defaultEEENSD_5minusIsEEEE10hipError_tPvRmT2_T3_mT4_P12ihipStream_tbEUlmE_sEESB_NS0_8identityIvEEEESJ_SM_SN_mSO_SQ_bEUlT_E_NS1_11comp_targetILNS1_3genE4ELNS1_11target_archE910ELNS1_3gpuE8ELNS1_3repE0EEENS1_30default_config_static_selectorELNS0_4arch9wavefront6targetE1EEEvT1_
		.amdhsa_group_segment_fixed_size 0
		.amdhsa_private_segment_fixed_size 0
		.amdhsa_kernarg_size 56
		.amdhsa_user_sgpr_count 6
		.amdhsa_user_sgpr_private_segment_buffer 1
		.amdhsa_user_sgpr_dispatch_ptr 0
		.amdhsa_user_sgpr_queue_ptr 0
		.amdhsa_user_sgpr_kernarg_segment_ptr 1
		.amdhsa_user_sgpr_dispatch_id 0
		.amdhsa_user_sgpr_flat_scratch_init 0
		.amdhsa_user_sgpr_private_segment_size 0
		.amdhsa_uses_dynamic_stack 0
		.amdhsa_system_sgpr_private_segment_wavefront_offset 0
		.amdhsa_system_sgpr_workgroup_id_x 1
		.amdhsa_system_sgpr_workgroup_id_y 0
		.amdhsa_system_sgpr_workgroup_id_z 0
		.amdhsa_system_sgpr_workgroup_info 0
		.amdhsa_system_vgpr_workitem_id 0
		.amdhsa_next_free_vgpr 1
		.amdhsa_next_free_sgpr 0
		.amdhsa_reserve_vcc 0
		.amdhsa_reserve_flat_scratch 0
		.amdhsa_float_round_mode_32 0
		.amdhsa_float_round_mode_16_64 0
		.amdhsa_float_denorm_mode_32 3
		.amdhsa_float_denorm_mode_16_64 3
		.amdhsa_dx10_clamp 1
		.amdhsa_ieee_mode 1
		.amdhsa_fp16_overflow 0
		.amdhsa_exception_fp_ieee_invalid_op 0
		.amdhsa_exception_fp_denorm_src 0
		.amdhsa_exception_fp_ieee_div_zero 0
		.amdhsa_exception_fp_ieee_overflow 0
		.amdhsa_exception_fp_ieee_underflow 0
		.amdhsa_exception_fp_ieee_inexact 0
		.amdhsa_exception_int_div_zero 0
	.end_amdhsa_kernel
	.section	.text._ZN7rocprim17ROCPRIM_400000_NS6detail17trampoline_kernelINS0_14default_configENS1_25transform_config_selectorIsLb0EEEZNS1_14transform_implILb0ES3_S5_NS0_18transform_iteratorINS0_17counting_iteratorImlEEZNS1_24adjacent_difference_implIS3_Lb1ELb0EPsN6thrust23THRUST_200600_302600_NS16discard_iteratorINSD_11use_defaultEEENSD_5minusIsEEEE10hipError_tPvRmT2_T3_mT4_P12ihipStream_tbEUlmE_sEESB_NS0_8identityIvEEEESJ_SM_SN_mSO_SQ_bEUlT_E_NS1_11comp_targetILNS1_3genE4ELNS1_11target_archE910ELNS1_3gpuE8ELNS1_3repE0EEENS1_30default_config_static_selectorELNS0_4arch9wavefront6targetE1EEEvT1_,"axG",@progbits,_ZN7rocprim17ROCPRIM_400000_NS6detail17trampoline_kernelINS0_14default_configENS1_25transform_config_selectorIsLb0EEEZNS1_14transform_implILb0ES3_S5_NS0_18transform_iteratorINS0_17counting_iteratorImlEEZNS1_24adjacent_difference_implIS3_Lb1ELb0EPsN6thrust23THRUST_200600_302600_NS16discard_iteratorINSD_11use_defaultEEENSD_5minusIsEEEE10hipError_tPvRmT2_T3_mT4_P12ihipStream_tbEUlmE_sEESB_NS0_8identityIvEEEESJ_SM_SN_mSO_SQ_bEUlT_E_NS1_11comp_targetILNS1_3genE4ELNS1_11target_archE910ELNS1_3gpuE8ELNS1_3repE0EEENS1_30default_config_static_selectorELNS0_4arch9wavefront6targetE1EEEvT1_,comdat
.Lfunc_end894:
	.size	_ZN7rocprim17ROCPRIM_400000_NS6detail17trampoline_kernelINS0_14default_configENS1_25transform_config_selectorIsLb0EEEZNS1_14transform_implILb0ES3_S5_NS0_18transform_iteratorINS0_17counting_iteratorImlEEZNS1_24adjacent_difference_implIS3_Lb1ELb0EPsN6thrust23THRUST_200600_302600_NS16discard_iteratorINSD_11use_defaultEEENSD_5minusIsEEEE10hipError_tPvRmT2_T3_mT4_P12ihipStream_tbEUlmE_sEESB_NS0_8identityIvEEEESJ_SM_SN_mSO_SQ_bEUlT_E_NS1_11comp_targetILNS1_3genE4ELNS1_11target_archE910ELNS1_3gpuE8ELNS1_3repE0EEENS1_30default_config_static_selectorELNS0_4arch9wavefront6targetE1EEEvT1_, .Lfunc_end894-_ZN7rocprim17ROCPRIM_400000_NS6detail17trampoline_kernelINS0_14default_configENS1_25transform_config_selectorIsLb0EEEZNS1_14transform_implILb0ES3_S5_NS0_18transform_iteratorINS0_17counting_iteratorImlEEZNS1_24adjacent_difference_implIS3_Lb1ELb0EPsN6thrust23THRUST_200600_302600_NS16discard_iteratorINSD_11use_defaultEEENSD_5minusIsEEEE10hipError_tPvRmT2_T3_mT4_P12ihipStream_tbEUlmE_sEESB_NS0_8identityIvEEEESJ_SM_SN_mSO_SQ_bEUlT_E_NS1_11comp_targetILNS1_3genE4ELNS1_11target_archE910ELNS1_3gpuE8ELNS1_3repE0EEENS1_30default_config_static_selectorELNS0_4arch9wavefront6targetE1EEEvT1_
                                        ; -- End function
	.set _ZN7rocprim17ROCPRIM_400000_NS6detail17trampoline_kernelINS0_14default_configENS1_25transform_config_selectorIsLb0EEEZNS1_14transform_implILb0ES3_S5_NS0_18transform_iteratorINS0_17counting_iteratorImlEEZNS1_24adjacent_difference_implIS3_Lb1ELb0EPsN6thrust23THRUST_200600_302600_NS16discard_iteratorINSD_11use_defaultEEENSD_5minusIsEEEE10hipError_tPvRmT2_T3_mT4_P12ihipStream_tbEUlmE_sEESB_NS0_8identityIvEEEESJ_SM_SN_mSO_SQ_bEUlT_E_NS1_11comp_targetILNS1_3genE4ELNS1_11target_archE910ELNS1_3gpuE8ELNS1_3repE0EEENS1_30default_config_static_selectorELNS0_4arch9wavefront6targetE1EEEvT1_.num_vgpr, 0
	.set _ZN7rocprim17ROCPRIM_400000_NS6detail17trampoline_kernelINS0_14default_configENS1_25transform_config_selectorIsLb0EEEZNS1_14transform_implILb0ES3_S5_NS0_18transform_iteratorINS0_17counting_iteratorImlEEZNS1_24adjacent_difference_implIS3_Lb1ELb0EPsN6thrust23THRUST_200600_302600_NS16discard_iteratorINSD_11use_defaultEEENSD_5minusIsEEEE10hipError_tPvRmT2_T3_mT4_P12ihipStream_tbEUlmE_sEESB_NS0_8identityIvEEEESJ_SM_SN_mSO_SQ_bEUlT_E_NS1_11comp_targetILNS1_3genE4ELNS1_11target_archE910ELNS1_3gpuE8ELNS1_3repE0EEENS1_30default_config_static_selectorELNS0_4arch9wavefront6targetE1EEEvT1_.num_agpr, 0
	.set _ZN7rocprim17ROCPRIM_400000_NS6detail17trampoline_kernelINS0_14default_configENS1_25transform_config_selectorIsLb0EEEZNS1_14transform_implILb0ES3_S5_NS0_18transform_iteratorINS0_17counting_iteratorImlEEZNS1_24adjacent_difference_implIS3_Lb1ELb0EPsN6thrust23THRUST_200600_302600_NS16discard_iteratorINSD_11use_defaultEEENSD_5minusIsEEEE10hipError_tPvRmT2_T3_mT4_P12ihipStream_tbEUlmE_sEESB_NS0_8identityIvEEEESJ_SM_SN_mSO_SQ_bEUlT_E_NS1_11comp_targetILNS1_3genE4ELNS1_11target_archE910ELNS1_3gpuE8ELNS1_3repE0EEENS1_30default_config_static_selectorELNS0_4arch9wavefront6targetE1EEEvT1_.numbered_sgpr, 0
	.set _ZN7rocprim17ROCPRIM_400000_NS6detail17trampoline_kernelINS0_14default_configENS1_25transform_config_selectorIsLb0EEEZNS1_14transform_implILb0ES3_S5_NS0_18transform_iteratorINS0_17counting_iteratorImlEEZNS1_24adjacent_difference_implIS3_Lb1ELb0EPsN6thrust23THRUST_200600_302600_NS16discard_iteratorINSD_11use_defaultEEENSD_5minusIsEEEE10hipError_tPvRmT2_T3_mT4_P12ihipStream_tbEUlmE_sEESB_NS0_8identityIvEEEESJ_SM_SN_mSO_SQ_bEUlT_E_NS1_11comp_targetILNS1_3genE4ELNS1_11target_archE910ELNS1_3gpuE8ELNS1_3repE0EEENS1_30default_config_static_selectorELNS0_4arch9wavefront6targetE1EEEvT1_.num_named_barrier, 0
	.set _ZN7rocprim17ROCPRIM_400000_NS6detail17trampoline_kernelINS0_14default_configENS1_25transform_config_selectorIsLb0EEEZNS1_14transform_implILb0ES3_S5_NS0_18transform_iteratorINS0_17counting_iteratorImlEEZNS1_24adjacent_difference_implIS3_Lb1ELb0EPsN6thrust23THRUST_200600_302600_NS16discard_iteratorINSD_11use_defaultEEENSD_5minusIsEEEE10hipError_tPvRmT2_T3_mT4_P12ihipStream_tbEUlmE_sEESB_NS0_8identityIvEEEESJ_SM_SN_mSO_SQ_bEUlT_E_NS1_11comp_targetILNS1_3genE4ELNS1_11target_archE910ELNS1_3gpuE8ELNS1_3repE0EEENS1_30default_config_static_selectorELNS0_4arch9wavefront6targetE1EEEvT1_.private_seg_size, 0
	.set _ZN7rocprim17ROCPRIM_400000_NS6detail17trampoline_kernelINS0_14default_configENS1_25transform_config_selectorIsLb0EEEZNS1_14transform_implILb0ES3_S5_NS0_18transform_iteratorINS0_17counting_iteratorImlEEZNS1_24adjacent_difference_implIS3_Lb1ELb0EPsN6thrust23THRUST_200600_302600_NS16discard_iteratorINSD_11use_defaultEEENSD_5minusIsEEEE10hipError_tPvRmT2_T3_mT4_P12ihipStream_tbEUlmE_sEESB_NS0_8identityIvEEEESJ_SM_SN_mSO_SQ_bEUlT_E_NS1_11comp_targetILNS1_3genE4ELNS1_11target_archE910ELNS1_3gpuE8ELNS1_3repE0EEENS1_30default_config_static_selectorELNS0_4arch9wavefront6targetE1EEEvT1_.uses_vcc, 0
	.set _ZN7rocprim17ROCPRIM_400000_NS6detail17trampoline_kernelINS0_14default_configENS1_25transform_config_selectorIsLb0EEEZNS1_14transform_implILb0ES3_S5_NS0_18transform_iteratorINS0_17counting_iteratorImlEEZNS1_24adjacent_difference_implIS3_Lb1ELb0EPsN6thrust23THRUST_200600_302600_NS16discard_iteratorINSD_11use_defaultEEENSD_5minusIsEEEE10hipError_tPvRmT2_T3_mT4_P12ihipStream_tbEUlmE_sEESB_NS0_8identityIvEEEESJ_SM_SN_mSO_SQ_bEUlT_E_NS1_11comp_targetILNS1_3genE4ELNS1_11target_archE910ELNS1_3gpuE8ELNS1_3repE0EEENS1_30default_config_static_selectorELNS0_4arch9wavefront6targetE1EEEvT1_.uses_flat_scratch, 0
	.set _ZN7rocprim17ROCPRIM_400000_NS6detail17trampoline_kernelINS0_14default_configENS1_25transform_config_selectorIsLb0EEEZNS1_14transform_implILb0ES3_S5_NS0_18transform_iteratorINS0_17counting_iteratorImlEEZNS1_24adjacent_difference_implIS3_Lb1ELb0EPsN6thrust23THRUST_200600_302600_NS16discard_iteratorINSD_11use_defaultEEENSD_5minusIsEEEE10hipError_tPvRmT2_T3_mT4_P12ihipStream_tbEUlmE_sEESB_NS0_8identityIvEEEESJ_SM_SN_mSO_SQ_bEUlT_E_NS1_11comp_targetILNS1_3genE4ELNS1_11target_archE910ELNS1_3gpuE8ELNS1_3repE0EEENS1_30default_config_static_selectorELNS0_4arch9wavefront6targetE1EEEvT1_.has_dyn_sized_stack, 0
	.set _ZN7rocprim17ROCPRIM_400000_NS6detail17trampoline_kernelINS0_14default_configENS1_25transform_config_selectorIsLb0EEEZNS1_14transform_implILb0ES3_S5_NS0_18transform_iteratorINS0_17counting_iteratorImlEEZNS1_24adjacent_difference_implIS3_Lb1ELb0EPsN6thrust23THRUST_200600_302600_NS16discard_iteratorINSD_11use_defaultEEENSD_5minusIsEEEE10hipError_tPvRmT2_T3_mT4_P12ihipStream_tbEUlmE_sEESB_NS0_8identityIvEEEESJ_SM_SN_mSO_SQ_bEUlT_E_NS1_11comp_targetILNS1_3genE4ELNS1_11target_archE910ELNS1_3gpuE8ELNS1_3repE0EEENS1_30default_config_static_selectorELNS0_4arch9wavefront6targetE1EEEvT1_.has_recursion, 0
	.set _ZN7rocprim17ROCPRIM_400000_NS6detail17trampoline_kernelINS0_14default_configENS1_25transform_config_selectorIsLb0EEEZNS1_14transform_implILb0ES3_S5_NS0_18transform_iteratorINS0_17counting_iteratorImlEEZNS1_24adjacent_difference_implIS3_Lb1ELb0EPsN6thrust23THRUST_200600_302600_NS16discard_iteratorINSD_11use_defaultEEENSD_5minusIsEEEE10hipError_tPvRmT2_T3_mT4_P12ihipStream_tbEUlmE_sEESB_NS0_8identityIvEEEESJ_SM_SN_mSO_SQ_bEUlT_E_NS1_11comp_targetILNS1_3genE4ELNS1_11target_archE910ELNS1_3gpuE8ELNS1_3repE0EEENS1_30default_config_static_selectorELNS0_4arch9wavefront6targetE1EEEvT1_.has_indirect_call, 0
	.section	.AMDGPU.csdata,"",@progbits
; Kernel info:
; codeLenInByte = 0
; TotalNumSgprs: 4
; NumVgprs: 0
; ScratchSize: 0
; MemoryBound: 0
; FloatMode: 240
; IeeeMode: 1
; LDSByteSize: 0 bytes/workgroup (compile time only)
; SGPRBlocks: 0
; VGPRBlocks: 0
; NumSGPRsForWavesPerEU: 4
; NumVGPRsForWavesPerEU: 1
; Occupancy: 10
; WaveLimiterHint : 0
; COMPUTE_PGM_RSRC2:SCRATCH_EN: 0
; COMPUTE_PGM_RSRC2:USER_SGPR: 6
; COMPUTE_PGM_RSRC2:TRAP_HANDLER: 0
; COMPUTE_PGM_RSRC2:TGID_X_EN: 1
; COMPUTE_PGM_RSRC2:TGID_Y_EN: 0
; COMPUTE_PGM_RSRC2:TGID_Z_EN: 0
; COMPUTE_PGM_RSRC2:TIDIG_COMP_CNT: 0
	.section	.text._ZN7rocprim17ROCPRIM_400000_NS6detail17trampoline_kernelINS0_14default_configENS1_25transform_config_selectorIsLb0EEEZNS1_14transform_implILb0ES3_S5_NS0_18transform_iteratorINS0_17counting_iteratorImlEEZNS1_24adjacent_difference_implIS3_Lb1ELb0EPsN6thrust23THRUST_200600_302600_NS16discard_iteratorINSD_11use_defaultEEENSD_5minusIsEEEE10hipError_tPvRmT2_T3_mT4_P12ihipStream_tbEUlmE_sEESB_NS0_8identityIvEEEESJ_SM_SN_mSO_SQ_bEUlT_E_NS1_11comp_targetILNS1_3genE3ELNS1_11target_archE908ELNS1_3gpuE7ELNS1_3repE0EEENS1_30default_config_static_selectorELNS0_4arch9wavefront6targetE1EEEvT1_,"axG",@progbits,_ZN7rocprim17ROCPRIM_400000_NS6detail17trampoline_kernelINS0_14default_configENS1_25transform_config_selectorIsLb0EEEZNS1_14transform_implILb0ES3_S5_NS0_18transform_iteratorINS0_17counting_iteratorImlEEZNS1_24adjacent_difference_implIS3_Lb1ELb0EPsN6thrust23THRUST_200600_302600_NS16discard_iteratorINSD_11use_defaultEEENSD_5minusIsEEEE10hipError_tPvRmT2_T3_mT4_P12ihipStream_tbEUlmE_sEESB_NS0_8identityIvEEEESJ_SM_SN_mSO_SQ_bEUlT_E_NS1_11comp_targetILNS1_3genE3ELNS1_11target_archE908ELNS1_3gpuE7ELNS1_3repE0EEENS1_30default_config_static_selectorELNS0_4arch9wavefront6targetE1EEEvT1_,comdat
	.protected	_ZN7rocprim17ROCPRIM_400000_NS6detail17trampoline_kernelINS0_14default_configENS1_25transform_config_selectorIsLb0EEEZNS1_14transform_implILb0ES3_S5_NS0_18transform_iteratorINS0_17counting_iteratorImlEEZNS1_24adjacent_difference_implIS3_Lb1ELb0EPsN6thrust23THRUST_200600_302600_NS16discard_iteratorINSD_11use_defaultEEENSD_5minusIsEEEE10hipError_tPvRmT2_T3_mT4_P12ihipStream_tbEUlmE_sEESB_NS0_8identityIvEEEESJ_SM_SN_mSO_SQ_bEUlT_E_NS1_11comp_targetILNS1_3genE3ELNS1_11target_archE908ELNS1_3gpuE7ELNS1_3repE0EEENS1_30default_config_static_selectorELNS0_4arch9wavefront6targetE1EEEvT1_ ; -- Begin function _ZN7rocprim17ROCPRIM_400000_NS6detail17trampoline_kernelINS0_14default_configENS1_25transform_config_selectorIsLb0EEEZNS1_14transform_implILb0ES3_S5_NS0_18transform_iteratorINS0_17counting_iteratorImlEEZNS1_24adjacent_difference_implIS3_Lb1ELb0EPsN6thrust23THRUST_200600_302600_NS16discard_iteratorINSD_11use_defaultEEENSD_5minusIsEEEE10hipError_tPvRmT2_T3_mT4_P12ihipStream_tbEUlmE_sEESB_NS0_8identityIvEEEESJ_SM_SN_mSO_SQ_bEUlT_E_NS1_11comp_targetILNS1_3genE3ELNS1_11target_archE908ELNS1_3gpuE7ELNS1_3repE0EEENS1_30default_config_static_selectorELNS0_4arch9wavefront6targetE1EEEvT1_
	.globl	_ZN7rocprim17ROCPRIM_400000_NS6detail17trampoline_kernelINS0_14default_configENS1_25transform_config_selectorIsLb0EEEZNS1_14transform_implILb0ES3_S5_NS0_18transform_iteratorINS0_17counting_iteratorImlEEZNS1_24adjacent_difference_implIS3_Lb1ELb0EPsN6thrust23THRUST_200600_302600_NS16discard_iteratorINSD_11use_defaultEEENSD_5minusIsEEEE10hipError_tPvRmT2_T3_mT4_P12ihipStream_tbEUlmE_sEESB_NS0_8identityIvEEEESJ_SM_SN_mSO_SQ_bEUlT_E_NS1_11comp_targetILNS1_3genE3ELNS1_11target_archE908ELNS1_3gpuE7ELNS1_3repE0EEENS1_30default_config_static_selectorELNS0_4arch9wavefront6targetE1EEEvT1_
	.p2align	8
	.type	_ZN7rocprim17ROCPRIM_400000_NS6detail17trampoline_kernelINS0_14default_configENS1_25transform_config_selectorIsLb0EEEZNS1_14transform_implILb0ES3_S5_NS0_18transform_iteratorINS0_17counting_iteratorImlEEZNS1_24adjacent_difference_implIS3_Lb1ELb0EPsN6thrust23THRUST_200600_302600_NS16discard_iteratorINSD_11use_defaultEEENSD_5minusIsEEEE10hipError_tPvRmT2_T3_mT4_P12ihipStream_tbEUlmE_sEESB_NS0_8identityIvEEEESJ_SM_SN_mSO_SQ_bEUlT_E_NS1_11comp_targetILNS1_3genE3ELNS1_11target_archE908ELNS1_3gpuE7ELNS1_3repE0EEENS1_30default_config_static_selectorELNS0_4arch9wavefront6targetE1EEEvT1_,@function
_ZN7rocprim17ROCPRIM_400000_NS6detail17trampoline_kernelINS0_14default_configENS1_25transform_config_selectorIsLb0EEEZNS1_14transform_implILb0ES3_S5_NS0_18transform_iteratorINS0_17counting_iteratorImlEEZNS1_24adjacent_difference_implIS3_Lb1ELb0EPsN6thrust23THRUST_200600_302600_NS16discard_iteratorINSD_11use_defaultEEENSD_5minusIsEEEE10hipError_tPvRmT2_T3_mT4_P12ihipStream_tbEUlmE_sEESB_NS0_8identityIvEEEESJ_SM_SN_mSO_SQ_bEUlT_E_NS1_11comp_targetILNS1_3genE3ELNS1_11target_archE908ELNS1_3gpuE7ELNS1_3repE0EEENS1_30default_config_static_selectorELNS0_4arch9wavefront6targetE1EEEvT1_: ; @_ZN7rocprim17ROCPRIM_400000_NS6detail17trampoline_kernelINS0_14default_configENS1_25transform_config_selectorIsLb0EEEZNS1_14transform_implILb0ES3_S5_NS0_18transform_iteratorINS0_17counting_iteratorImlEEZNS1_24adjacent_difference_implIS3_Lb1ELb0EPsN6thrust23THRUST_200600_302600_NS16discard_iteratorINSD_11use_defaultEEENSD_5minusIsEEEE10hipError_tPvRmT2_T3_mT4_P12ihipStream_tbEUlmE_sEESB_NS0_8identityIvEEEESJ_SM_SN_mSO_SQ_bEUlT_E_NS1_11comp_targetILNS1_3genE3ELNS1_11target_archE908ELNS1_3gpuE7ELNS1_3repE0EEENS1_30default_config_static_selectorELNS0_4arch9wavefront6targetE1EEEvT1_
; %bb.0:
	.section	.rodata,"a",@progbits
	.p2align	6, 0x0
	.amdhsa_kernel _ZN7rocprim17ROCPRIM_400000_NS6detail17trampoline_kernelINS0_14default_configENS1_25transform_config_selectorIsLb0EEEZNS1_14transform_implILb0ES3_S5_NS0_18transform_iteratorINS0_17counting_iteratorImlEEZNS1_24adjacent_difference_implIS3_Lb1ELb0EPsN6thrust23THRUST_200600_302600_NS16discard_iteratorINSD_11use_defaultEEENSD_5minusIsEEEE10hipError_tPvRmT2_T3_mT4_P12ihipStream_tbEUlmE_sEESB_NS0_8identityIvEEEESJ_SM_SN_mSO_SQ_bEUlT_E_NS1_11comp_targetILNS1_3genE3ELNS1_11target_archE908ELNS1_3gpuE7ELNS1_3repE0EEENS1_30default_config_static_selectorELNS0_4arch9wavefront6targetE1EEEvT1_
		.amdhsa_group_segment_fixed_size 0
		.amdhsa_private_segment_fixed_size 0
		.amdhsa_kernarg_size 56
		.amdhsa_user_sgpr_count 6
		.amdhsa_user_sgpr_private_segment_buffer 1
		.amdhsa_user_sgpr_dispatch_ptr 0
		.amdhsa_user_sgpr_queue_ptr 0
		.amdhsa_user_sgpr_kernarg_segment_ptr 1
		.amdhsa_user_sgpr_dispatch_id 0
		.amdhsa_user_sgpr_flat_scratch_init 0
		.amdhsa_user_sgpr_private_segment_size 0
		.amdhsa_uses_dynamic_stack 0
		.amdhsa_system_sgpr_private_segment_wavefront_offset 0
		.amdhsa_system_sgpr_workgroup_id_x 1
		.amdhsa_system_sgpr_workgroup_id_y 0
		.amdhsa_system_sgpr_workgroup_id_z 0
		.amdhsa_system_sgpr_workgroup_info 0
		.amdhsa_system_vgpr_workitem_id 0
		.amdhsa_next_free_vgpr 1
		.amdhsa_next_free_sgpr 0
		.amdhsa_reserve_vcc 0
		.amdhsa_reserve_flat_scratch 0
		.amdhsa_float_round_mode_32 0
		.amdhsa_float_round_mode_16_64 0
		.amdhsa_float_denorm_mode_32 3
		.amdhsa_float_denorm_mode_16_64 3
		.amdhsa_dx10_clamp 1
		.amdhsa_ieee_mode 1
		.amdhsa_fp16_overflow 0
		.amdhsa_exception_fp_ieee_invalid_op 0
		.amdhsa_exception_fp_denorm_src 0
		.amdhsa_exception_fp_ieee_div_zero 0
		.amdhsa_exception_fp_ieee_overflow 0
		.amdhsa_exception_fp_ieee_underflow 0
		.amdhsa_exception_fp_ieee_inexact 0
		.amdhsa_exception_int_div_zero 0
	.end_amdhsa_kernel
	.section	.text._ZN7rocprim17ROCPRIM_400000_NS6detail17trampoline_kernelINS0_14default_configENS1_25transform_config_selectorIsLb0EEEZNS1_14transform_implILb0ES3_S5_NS0_18transform_iteratorINS0_17counting_iteratorImlEEZNS1_24adjacent_difference_implIS3_Lb1ELb0EPsN6thrust23THRUST_200600_302600_NS16discard_iteratorINSD_11use_defaultEEENSD_5minusIsEEEE10hipError_tPvRmT2_T3_mT4_P12ihipStream_tbEUlmE_sEESB_NS0_8identityIvEEEESJ_SM_SN_mSO_SQ_bEUlT_E_NS1_11comp_targetILNS1_3genE3ELNS1_11target_archE908ELNS1_3gpuE7ELNS1_3repE0EEENS1_30default_config_static_selectorELNS0_4arch9wavefront6targetE1EEEvT1_,"axG",@progbits,_ZN7rocprim17ROCPRIM_400000_NS6detail17trampoline_kernelINS0_14default_configENS1_25transform_config_selectorIsLb0EEEZNS1_14transform_implILb0ES3_S5_NS0_18transform_iteratorINS0_17counting_iteratorImlEEZNS1_24adjacent_difference_implIS3_Lb1ELb0EPsN6thrust23THRUST_200600_302600_NS16discard_iteratorINSD_11use_defaultEEENSD_5minusIsEEEE10hipError_tPvRmT2_T3_mT4_P12ihipStream_tbEUlmE_sEESB_NS0_8identityIvEEEESJ_SM_SN_mSO_SQ_bEUlT_E_NS1_11comp_targetILNS1_3genE3ELNS1_11target_archE908ELNS1_3gpuE7ELNS1_3repE0EEENS1_30default_config_static_selectorELNS0_4arch9wavefront6targetE1EEEvT1_,comdat
.Lfunc_end895:
	.size	_ZN7rocprim17ROCPRIM_400000_NS6detail17trampoline_kernelINS0_14default_configENS1_25transform_config_selectorIsLb0EEEZNS1_14transform_implILb0ES3_S5_NS0_18transform_iteratorINS0_17counting_iteratorImlEEZNS1_24adjacent_difference_implIS3_Lb1ELb0EPsN6thrust23THRUST_200600_302600_NS16discard_iteratorINSD_11use_defaultEEENSD_5minusIsEEEE10hipError_tPvRmT2_T3_mT4_P12ihipStream_tbEUlmE_sEESB_NS0_8identityIvEEEESJ_SM_SN_mSO_SQ_bEUlT_E_NS1_11comp_targetILNS1_3genE3ELNS1_11target_archE908ELNS1_3gpuE7ELNS1_3repE0EEENS1_30default_config_static_selectorELNS0_4arch9wavefront6targetE1EEEvT1_, .Lfunc_end895-_ZN7rocprim17ROCPRIM_400000_NS6detail17trampoline_kernelINS0_14default_configENS1_25transform_config_selectorIsLb0EEEZNS1_14transform_implILb0ES3_S5_NS0_18transform_iteratorINS0_17counting_iteratorImlEEZNS1_24adjacent_difference_implIS3_Lb1ELb0EPsN6thrust23THRUST_200600_302600_NS16discard_iteratorINSD_11use_defaultEEENSD_5minusIsEEEE10hipError_tPvRmT2_T3_mT4_P12ihipStream_tbEUlmE_sEESB_NS0_8identityIvEEEESJ_SM_SN_mSO_SQ_bEUlT_E_NS1_11comp_targetILNS1_3genE3ELNS1_11target_archE908ELNS1_3gpuE7ELNS1_3repE0EEENS1_30default_config_static_selectorELNS0_4arch9wavefront6targetE1EEEvT1_
                                        ; -- End function
	.set _ZN7rocprim17ROCPRIM_400000_NS6detail17trampoline_kernelINS0_14default_configENS1_25transform_config_selectorIsLb0EEEZNS1_14transform_implILb0ES3_S5_NS0_18transform_iteratorINS0_17counting_iteratorImlEEZNS1_24adjacent_difference_implIS3_Lb1ELb0EPsN6thrust23THRUST_200600_302600_NS16discard_iteratorINSD_11use_defaultEEENSD_5minusIsEEEE10hipError_tPvRmT2_T3_mT4_P12ihipStream_tbEUlmE_sEESB_NS0_8identityIvEEEESJ_SM_SN_mSO_SQ_bEUlT_E_NS1_11comp_targetILNS1_3genE3ELNS1_11target_archE908ELNS1_3gpuE7ELNS1_3repE0EEENS1_30default_config_static_selectorELNS0_4arch9wavefront6targetE1EEEvT1_.num_vgpr, 0
	.set _ZN7rocprim17ROCPRIM_400000_NS6detail17trampoline_kernelINS0_14default_configENS1_25transform_config_selectorIsLb0EEEZNS1_14transform_implILb0ES3_S5_NS0_18transform_iteratorINS0_17counting_iteratorImlEEZNS1_24adjacent_difference_implIS3_Lb1ELb0EPsN6thrust23THRUST_200600_302600_NS16discard_iteratorINSD_11use_defaultEEENSD_5minusIsEEEE10hipError_tPvRmT2_T3_mT4_P12ihipStream_tbEUlmE_sEESB_NS0_8identityIvEEEESJ_SM_SN_mSO_SQ_bEUlT_E_NS1_11comp_targetILNS1_3genE3ELNS1_11target_archE908ELNS1_3gpuE7ELNS1_3repE0EEENS1_30default_config_static_selectorELNS0_4arch9wavefront6targetE1EEEvT1_.num_agpr, 0
	.set _ZN7rocprim17ROCPRIM_400000_NS6detail17trampoline_kernelINS0_14default_configENS1_25transform_config_selectorIsLb0EEEZNS1_14transform_implILb0ES3_S5_NS0_18transform_iteratorINS0_17counting_iteratorImlEEZNS1_24adjacent_difference_implIS3_Lb1ELb0EPsN6thrust23THRUST_200600_302600_NS16discard_iteratorINSD_11use_defaultEEENSD_5minusIsEEEE10hipError_tPvRmT2_T3_mT4_P12ihipStream_tbEUlmE_sEESB_NS0_8identityIvEEEESJ_SM_SN_mSO_SQ_bEUlT_E_NS1_11comp_targetILNS1_3genE3ELNS1_11target_archE908ELNS1_3gpuE7ELNS1_3repE0EEENS1_30default_config_static_selectorELNS0_4arch9wavefront6targetE1EEEvT1_.numbered_sgpr, 0
	.set _ZN7rocprim17ROCPRIM_400000_NS6detail17trampoline_kernelINS0_14default_configENS1_25transform_config_selectorIsLb0EEEZNS1_14transform_implILb0ES3_S5_NS0_18transform_iteratorINS0_17counting_iteratorImlEEZNS1_24adjacent_difference_implIS3_Lb1ELb0EPsN6thrust23THRUST_200600_302600_NS16discard_iteratorINSD_11use_defaultEEENSD_5minusIsEEEE10hipError_tPvRmT2_T3_mT4_P12ihipStream_tbEUlmE_sEESB_NS0_8identityIvEEEESJ_SM_SN_mSO_SQ_bEUlT_E_NS1_11comp_targetILNS1_3genE3ELNS1_11target_archE908ELNS1_3gpuE7ELNS1_3repE0EEENS1_30default_config_static_selectorELNS0_4arch9wavefront6targetE1EEEvT1_.num_named_barrier, 0
	.set _ZN7rocprim17ROCPRIM_400000_NS6detail17trampoline_kernelINS0_14default_configENS1_25transform_config_selectorIsLb0EEEZNS1_14transform_implILb0ES3_S5_NS0_18transform_iteratorINS0_17counting_iteratorImlEEZNS1_24adjacent_difference_implIS3_Lb1ELb0EPsN6thrust23THRUST_200600_302600_NS16discard_iteratorINSD_11use_defaultEEENSD_5minusIsEEEE10hipError_tPvRmT2_T3_mT4_P12ihipStream_tbEUlmE_sEESB_NS0_8identityIvEEEESJ_SM_SN_mSO_SQ_bEUlT_E_NS1_11comp_targetILNS1_3genE3ELNS1_11target_archE908ELNS1_3gpuE7ELNS1_3repE0EEENS1_30default_config_static_selectorELNS0_4arch9wavefront6targetE1EEEvT1_.private_seg_size, 0
	.set _ZN7rocprim17ROCPRIM_400000_NS6detail17trampoline_kernelINS0_14default_configENS1_25transform_config_selectorIsLb0EEEZNS1_14transform_implILb0ES3_S5_NS0_18transform_iteratorINS0_17counting_iteratorImlEEZNS1_24adjacent_difference_implIS3_Lb1ELb0EPsN6thrust23THRUST_200600_302600_NS16discard_iteratorINSD_11use_defaultEEENSD_5minusIsEEEE10hipError_tPvRmT2_T3_mT4_P12ihipStream_tbEUlmE_sEESB_NS0_8identityIvEEEESJ_SM_SN_mSO_SQ_bEUlT_E_NS1_11comp_targetILNS1_3genE3ELNS1_11target_archE908ELNS1_3gpuE7ELNS1_3repE0EEENS1_30default_config_static_selectorELNS0_4arch9wavefront6targetE1EEEvT1_.uses_vcc, 0
	.set _ZN7rocprim17ROCPRIM_400000_NS6detail17trampoline_kernelINS0_14default_configENS1_25transform_config_selectorIsLb0EEEZNS1_14transform_implILb0ES3_S5_NS0_18transform_iteratorINS0_17counting_iteratorImlEEZNS1_24adjacent_difference_implIS3_Lb1ELb0EPsN6thrust23THRUST_200600_302600_NS16discard_iteratorINSD_11use_defaultEEENSD_5minusIsEEEE10hipError_tPvRmT2_T3_mT4_P12ihipStream_tbEUlmE_sEESB_NS0_8identityIvEEEESJ_SM_SN_mSO_SQ_bEUlT_E_NS1_11comp_targetILNS1_3genE3ELNS1_11target_archE908ELNS1_3gpuE7ELNS1_3repE0EEENS1_30default_config_static_selectorELNS0_4arch9wavefront6targetE1EEEvT1_.uses_flat_scratch, 0
	.set _ZN7rocprim17ROCPRIM_400000_NS6detail17trampoline_kernelINS0_14default_configENS1_25transform_config_selectorIsLb0EEEZNS1_14transform_implILb0ES3_S5_NS0_18transform_iteratorINS0_17counting_iteratorImlEEZNS1_24adjacent_difference_implIS3_Lb1ELb0EPsN6thrust23THRUST_200600_302600_NS16discard_iteratorINSD_11use_defaultEEENSD_5minusIsEEEE10hipError_tPvRmT2_T3_mT4_P12ihipStream_tbEUlmE_sEESB_NS0_8identityIvEEEESJ_SM_SN_mSO_SQ_bEUlT_E_NS1_11comp_targetILNS1_3genE3ELNS1_11target_archE908ELNS1_3gpuE7ELNS1_3repE0EEENS1_30default_config_static_selectorELNS0_4arch9wavefront6targetE1EEEvT1_.has_dyn_sized_stack, 0
	.set _ZN7rocprim17ROCPRIM_400000_NS6detail17trampoline_kernelINS0_14default_configENS1_25transform_config_selectorIsLb0EEEZNS1_14transform_implILb0ES3_S5_NS0_18transform_iteratorINS0_17counting_iteratorImlEEZNS1_24adjacent_difference_implIS3_Lb1ELb0EPsN6thrust23THRUST_200600_302600_NS16discard_iteratorINSD_11use_defaultEEENSD_5minusIsEEEE10hipError_tPvRmT2_T3_mT4_P12ihipStream_tbEUlmE_sEESB_NS0_8identityIvEEEESJ_SM_SN_mSO_SQ_bEUlT_E_NS1_11comp_targetILNS1_3genE3ELNS1_11target_archE908ELNS1_3gpuE7ELNS1_3repE0EEENS1_30default_config_static_selectorELNS0_4arch9wavefront6targetE1EEEvT1_.has_recursion, 0
	.set _ZN7rocprim17ROCPRIM_400000_NS6detail17trampoline_kernelINS0_14default_configENS1_25transform_config_selectorIsLb0EEEZNS1_14transform_implILb0ES3_S5_NS0_18transform_iteratorINS0_17counting_iteratorImlEEZNS1_24adjacent_difference_implIS3_Lb1ELb0EPsN6thrust23THRUST_200600_302600_NS16discard_iteratorINSD_11use_defaultEEENSD_5minusIsEEEE10hipError_tPvRmT2_T3_mT4_P12ihipStream_tbEUlmE_sEESB_NS0_8identityIvEEEESJ_SM_SN_mSO_SQ_bEUlT_E_NS1_11comp_targetILNS1_3genE3ELNS1_11target_archE908ELNS1_3gpuE7ELNS1_3repE0EEENS1_30default_config_static_selectorELNS0_4arch9wavefront6targetE1EEEvT1_.has_indirect_call, 0
	.section	.AMDGPU.csdata,"",@progbits
; Kernel info:
; codeLenInByte = 0
; TotalNumSgprs: 4
; NumVgprs: 0
; ScratchSize: 0
; MemoryBound: 0
; FloatMode: 240
; IeeeMode: 1
; LDSByteSize: 0 bytes/workgroup (compile time only)
; SGPRBlocks: 0
; VGPRBlocks: 0
; NumSGPRsForWavesPerEU: 4
; NumVGPRsForWavesPerEU: 1
; Occupancy: 10
; WaveLimiterHint : 0
; COMPUTE_PGM_RSRC2:SCRATCH_EN: 0
; COMPUTE_PGM_RSRC2:USER_SGPR: 6
; COMPUTE_PGM_RSRC2:TRAP_HANDLER: 0
; COMPUTE_PGM_RSRC2:TGID_X_EN: 1
; COMPUTE_PGM_RSRC2:TGID_Y_EN: 0
; COMPUTE_PGM_RSRC2:TGID_Z_EN: 0
; COMPUTE_PGM_RSRC2:TIDIG_COMP_CNT: 0
	.section	.text._ZN7rocprim17ROCPRIM_400000_NS6detail17trampoline_kernelINS0_14default_configENS1_25transform_config_selectorIsLb0EEEZNS1_14transform_implILb0ES3_S5_NS0_18transform_iteratorINS0_17counting_iteratorImlEEZNS1_24adjacent_difference_implIS3_Lb1ELb0EPsN6thrust23THRUST_200600_302600_NS16discard_iteratorINSD_11use_defaultEEENSD_5minusIsEEEE10hipError_tPvRmT2_T3_mT4_P12ihipStream_tbEUlmE_sEESB_NS0_8identityIvEEEESJ_SM_SN_mSO_SQ_bEUlT_E_NS1_11comp_targetILNS1_3genE2ELNS1_11target_archE906ELNS1_3gpuE6ELNS1_3repE0EEENS1_30default_config_static_selectorELNS0_4arch9wavefront6targetE1EEEvT1_,"axG",@progbits,_ZN7rocprim17ROCPRIM_400000_NS6detail17trampoline_kernelINS0_14default_configENS1_25transform_config_selectorIsLb0EEEZNS1_14transform_implILb0ES3_S5_NS0_18transform_iteratorINS0_17counting_iteratorImlEEZNS1_24adjacent_difference_implIS3_Lb1ELb0EPsN6thrust23THRUST_200600_302600_NS16discard_iteratorINSD_11use_defaultEEENSD_5minusIsEEEE10hipError_tPvRmT2_T3_mT4_P12ihipStream_tbEUlmE_sEESB_NS0_8identityIvEEEESJ_SM_SN_mSO_SQ_bEUlT_E_NS1_11comp_targetILNS1_3genE2ELNS1_11target_archE906ELNS1_3gpuE6ELNS1_3repE0EEENS1_30default_config_static_selectorELNS0_4arch9wavefront6targetE1EEEvT1_,comdat
	.protected	_ZN7rocprim17ROCPRIM_400000_NS6detail17trampoline_kernelINS0_14default_configENS1_25transform_config_selectorIsLb0EEEZNS1_14transform_implILb0ES3_S5_NS0_18transform_iteratorINS0_17counting_iteratorImlEEZNS1_24adjacent_difference_implIS3_Lb1ELb0EPsN6thrust23THRUST_200600_302600_NS16discard_iteratorINSD_11use_defaultEEENSD_5minusIsEEEE10hipError_tPvRmT2_T3_mT4_P12ihipStream_tbEUlmE_sEESB_NS0_8identityIvEEEESJ_SM_SN_mSO_SQ_bEUlT_E_NS1_11comp_targetILNS1_3genE2ELNS1_11target_archE906ELNS1_3gpuE6ELNS1_3repE0EEENS1_30default_config_static_selectorELNS0_4arch9wavefront6targetE1EEEvT1_ ; -- Begin function _ZN7rocprim17ROCPRIM_400000_NS6detail17trampoline_kernelINS0_14default_configENS1_25transform_config_selectorIsLb0EEEZNS1_14transform_implILb0ES3_S5_NS0_18transform_iteratorINS0_17counting_iteratorImlEEZNS1_24adjacent_difference_implIS3_Lb1ELb0EPsN6thrust23THRUST_200600_302600_NS16discard_iteratorINSD_11use_defaultEEENSD_5minusIsEEEE10hipError_tPvRmT2_T3_mT4_P12ihipStream_tbEUlmE_sEESB_NS0_8identityIvEEEESJ_SM_SN_mSO_SQ_bEUlT_E_NS1_11comp_targetILNS1_3genE2ELNS1_11target_archE906ELNS1_3gpuE6ELNS1_3repE0EEENS1_30default_config_static_selectorELNS0_4arch9wavefront6targetE1EEEvT1_
	.globl	_ZN7rocprim17ROCPRIM_400000_NS6detail17trampoline_kernelINS0_14default_configENS1_25transform_config_selectorIsLb0EEEZNS1_14transform_implILb0ES3_S5_NS0_18transform_iteratorINS0_17counting_iteratorImlEEZNS1_24adjacent_difference_implIS3_Lb1ELb0EPsN6thrust23THRUST_200600_302600_NS16discard_iteratorINSD_11use_defaultEEENSD_5minusIsEEEE10hipError_tPvRmT2_T3_mT4_P12ihipStream_tbEUlmE_sEESB_NS0_8identityIvEEEESJ_SM_SN_mSO_SQ_bEUlT_E_NS1_11comp_targetILNS1_3genE2ELNS1_11target_archE906ELNS1_3gpuE6ELNS1_3repE0EEENS1_30default_config_static_selectorELNS0_4arch9wavefront6targetE1EEEvT1_
	.p2align	8
	.type	_ZN7rocprim17ROCPRIM_400000_NS6detail17trampoline_kernelINS0_14default_configENS1_25transform_config_selectorIsLb0EEEZNS1_14transform_implILb0ES3_S5_NS0_18transform_iteratorINS0_17counting_iteratorImlEEZNS1_24adjacent_difference_implIS3_Lb1ELb0EPsN6thrust23THRUST_200600_302600_NS16discard_iteratorINSD_11use_defaultEEENSD_5minusIsEEEE10hipError_tPvRmT2_T3_mT4_P12ihipStream_tbEUlmE_sEESB_NS0_8identityIvEEEESJ_SM_SN_mSO_SQ_bEUlT_E_NS1_11comp_targetILNS1_3genE2ELNS1_11target_archE906ELNS1_3gpuE6ELNS1_3repE0EEENS1_30default_config_static_selectorELNS0_4arch9wavefront6targetE1EEEvT1_,@function
_ZN7rocprim17ROCPRIM_400000_NS6detail17trampoline_kernelINS0_14default_configENS1_25transform_config_selectorIsLb0EEEZNS1_14transform_implILb0ES3_S5_NS0_18transform_iteratorINS0_17counting_iteratorImlEEZNS1_24adjacent_difference_implIS3_Lb1ELb0EPsN6thrust23THRUST_200600_302600_NS16discard_iteratorINSD_11use_defaultEEENSD_5minusIsEEEE10hipError_tPvRmT2_T3_mT4_P12ihipStream_tbEUlmE_sEESB_NS0_8identityIvEEEESJ_SM_SN_mSO_SQ_bEUlT_E_NS1_11comp_targetILNS1_3genE2ELNS1_11target_archE906ELNS1_3gpuE6ELNS1_3repE0EEENS1_30default_config_static_selectorELNS0_4arch9wavefront6targetE1EEEvT1_: ; @_ZN7rocprim17ROCPRIM_400000_NS6detail17trampoline_kernelINS0_14default_configENS1_25transform_config_selectorIsLb0EEEZNS1_14transform_implILb0ES3_S5_NS0_18transform_iteratorINS0_17counting_iteratorImlEEZNS1_24adjacent_difference_implIS3_Lb1ELb0EPsN6thrust23THRUST_200600_302600_NS16discard_iteratorINSD_11use_defaultEEENSD_5minusIsEEEE10hipError_tPvRmT2_T3_mT4_P12ihipStream_tbEUlmE_sEESB_NS0_8identityIvEEEESJ_SM_SN_mSO_SQ_bEUlT_E_NS1_11comp_targetILNS1_3genE2ELNS1_11target_archE906ELNS1_3gpuE6ELNS1_3repE0EEENS1_30default_config_static_selectorELNS0_4arch9wavefront6targetE1EEEvT1_
; %bb.0:
	s_load_dwordx4 s[0:3], s[4:5], 0x18
	s_load_dwordx2 s[12:13], s[4:5], 0x28
	s_load_dwordx4 s[8:11], s[4:5], 0x0
	s_load_dword s14, s[4:5], 0x10
	s_waitcnt lgkmcnt(0)
	s_load_dword s3, s[4:5], 0x38
                                        ; kill: killed $sgpr4_sgpr5
	s_lshl_b64 s[4:5], s[0:1], 1
	s_add_u32 s18, s12, s4
	s_addc_u32 s19, s13, s5
	s_lshl_b32 s12, s6, 11
	s_waitcnt lgkmcnt(0)
	s_add_i32 s3, s3, -1
	s_add_u32 s4, s8, s12
	s_addc_u32 s5, s9, 0
	s_add_u32 s20, s4, s0
	s_addc_u32 s21, s5, s1
	s_mov_b32 s13, 0
	s_cmp_lg_u32 s6, s3
	v_lshlrev_b32_e32 v5, 1, v0
	s_cbranch_scc0 .LBB896_2
; %bb.1:
	v_mov_b32_e32 v1, s21
	v_add_co_u32_e32 v2, vcc, s20, v0
	v_addc_co_u32_e32 v3, vcc, 0, v1, vcc
	v_mad_u64_u32 v[1:2], s[0:1], v2, s14, 0
	s_mov_b32 s15, s13
	s_lshl_b64 s[4:5], s[12:13], 1
	v_mad_u64_u32 v[2:3], s[0:1], v3, s14, v[2:3]
	v_mov_b32_e32 v3, s11
	s_lshl_b64 s[0:1], s[14:15], 10
	v_lshlrev_b64 v[1:2], 1, v[1:2]
	v_mov_b32_e32 v8, s1
	v_add_co_u32_e32 v1, vcc, s10, v1
	v_addc_co_u32_e32 v2, vcc, v3, v2, vcc
	v_add_co_u32_e32 v3, vcc, s0, v1
	v_addc_co_u32_e32 v4, vcc, v2, v8, vcc
	;; [unrolled: 2-line block ×3, first 2 shown]
	global_load_ushort v9, v[1:2], off
	global_load_ushort v10, v[3:4], off
	global_load_ushort v11, v[6:7], off
	v_add_co_u32_e32 v1, vcc, s0, v6
	v_addc_co_u32_e32 v2, vcc, v7, v8, vcc
	global_load_ushort v1, v[1:2], off
	s_add_u32 s4, s18, s4
	s_addc_u32 s5, s19, s5
	v_mov_b32_e32 v2, s5
	v_add_co_u32_e32 v3, vcc, s4, v5
	v_addc_co_u32_e32 v4, vcc, 0, v2, vcc
	s_mov_b64 s[8:9], -1
	s_waitcnt vmcnt(3)
	global_store_short v5, v9, s[4:5]
	s_waitcnt vmcnt(3)
	global_store_short v5, v10, s[4:5] offset:1024
	s_waitcnt vmcnt(3)
	global_store_short v5, v11, s[4:5] offset:2048
	s_cbranch_execz .LBB896_3
	s_branch .LBB896_17
.LBB896_2:
	s_mov_b64 s[8:9], 0
                                        ; implicit-def: $vgpr1
                                        ; implicit-def: $vgpr3_vgpr4
.LBB896_3:
	s_sub_i32 s15, s2, s12
	s_waitcnt vmcnt(3)
	v_mov_b32_e32 v1, 0
	v_cmp_gt_u32_e32 vcc, s15, v0
	v_mov_b32_e32 v2, v1
	s_and_saveexec_b64 s[2:3], vcc
	s_cbranch_execz .LBB896_5
; %bb.4:
	v_mov_b32_e32 v2, s21
	v_add_co_u32_e64 v3, s[0:1], s20, v0
	v_addc_co_u32_e64 v4, s[0:1], 0, v2, s[0:1]
	v_mad_u64_u32 v[2:3], s[0:1], v3, s14, 0
	v_mad_u64_u32 v[3:4], s[0:1], v4, s14, v[3:4]
	v_mov_b32_e32 v4, s11
	v_lshlrev_b64 v[2:3], 1, v[2:3]
	v_add_co_u32_e64 v2, s[0:1], s10, v2
	v_addc_co_u32_e64 v3, s[0:1], v4, v3, s[0:1]
	global_load_ushort v2, v[2:3], off
	v_mov_b32_e32 v3, v1
	s_waitcnt vmcnt(0)
	v_and_b32_e32 v2, 0xffff, v2
	v_mov_b32_e32 v1, v2
	v_mov_b32_e32 v2, v3
.LBB896_5:
	s_or_b64 exec, exec, s[2:3]
	v_or_b32_e32 v3, 0x200, v0
	v_cmp_gt_u32_e64 s[0:1], s15, v3
	s_and_saveexec_b64 s[4:5], s[0:1]
	s_cbranch_execz .LBB896_7
; %bb.6:
	v_mov_b32_e32 v4, s21
	v_add_co_u32_e64 v3, s[2:3], s20, v3
	v_addc_co_u32_e64 v6, s[2:3], 0, v4, s[2:3]
	v_mad_u64_u32 v[3:4], s[2:3], v3, s14, 0
	v_mad_u64_u32 v[6:7], s[2:3], v6, s14, v[4:5]
	v_mov_b32_e32 v4, v6
	v_lshlrev_b64 v[3:4], 1, v[3:4]
	v_mov_b32_e32 v6, s11
	v_add_co_u32_e64 v3, s[2:3], s10, v3
	v_addc_co_u32_e64 v4, s[2:3], v6, v4, s[2:3]
	global_load_ushort v3, v[3:4], off
	s_mov_b32 s2, 0x5040100
	s_waitcnt vmcnt(0)
	v_perm_b32 v1, v3, v1, s2
.LBB896_7:
	s_or_b64 exec, exec, s[4:5]
	v_or_b32_e32 v3, 0x400, v0
	v_cmp_gt_u32_e64 s[2:3], s15, v3
	s_and_saveexec_b64 s[6:7], s[2:3]
	s_cbranch_execz .LBB896_9
; %bb.8:
	v_mov_b32_e32 v4, s21
	v_add_co_u32_e64 v3, s[4:5], s20, v3
	v_addc_co_u32_e64 v6, s[4:5], 0, v4, s[4:5]
	v_mad_u64_u32 v[3:4], s[4:5], v3, s14, 0
	v_mad_u64_u32 v[6:7], s[4:5], v6, s14, v[4:5]
	v_mov_b32_e32 v4, v6
	v_lshlrev_b64 v[3:4], 1, v[3:4]
	v_mov_b32_e32 v6, s11
	v_add_co_u32_e64 v3, s[4:5], s10, v3
	v_addc_co_u32_e64 v4, s[4:5], v6, v4, s[4:5]
	global_load_ushort v3, v[3:4], off
	s_mov_b32 s4, 0xffff
	s_waitcnt vmcnt(0)
	v_bfi_b32 v2, s4, v3, v2
.LBB896_9:
	s_or_b64 exec, exec, s[6:7]
	v_or_b32_e32 v0, 0x600, v0
	v_cmp_gt_u32_e64 s[4:5], s15, v0
	s_and_saveexec_b64 s[16:17], s[4:5]
	s_cbranch_execz .LBB896_11
; %bb.10:
	v_mov_b32_e32 v3, s21
	v_add_co_u32_e64 v0, s[6:7], s20, v0
	v_addc_co_u32_e64 v6, s[6:7], 0, v3, s[6:7]
	v_mad_u64_u32 v[3:4], s[6:7], v0, s14, 0
	v_mov_b32_e32 v0, v4
	v_mad_u64_u32 v[6:7], s[6:7], v6, s14, v[0:1]
	v_mov_b32_e32 v0, s11
	v_mov_b32_e32 v4, v6
	v_lshlrev_b64 v[3:4], 1, v[3:4]
	v_add_co_u32_e64 v3, s[6:7], s10, v3
	v_addc_co_u32_e64 v4, s[6:7], v0, v4, s[6:7]
	global_load_ushort v0, v[3:4], off
	s_mov_b32 s6, 0x5040100
	s_waitcnt vmcnt(0)
	v_perm_b32 v2, v0, v2, s6
.LBB896_11:
	s_or_b64 exec, exec, s[16:17]
	s_lshl_b64 s[6:7], s[12:13], 1
	s_add_u32 s6, s18, s6
	s_addc_u32 s7, s19, s7
	v_mov_b32_e32 v0, 0
	v_mov_b32_e32 v4, s7
	v_add_co_u32_e64 v3, s[6:7], s6, v5
	v_cndmask_b32_sdwa v0, v0, v1, vcc dst_sel:DWORD dst_unused:UNUSED_PAD src0_sel:DWORD src1_sel:WORD_0
	v_addc_co_u32_e64 v4, s[6:7], 0, v4, s[6:7]
	s_and_saveexec_b64 s[6:7], vcc
	s_cbranch_execnz .LBB896_20
; %bb.12:
	s_or_b64 exec, exec, s[6:7]
	v_cndmask_b32_e64 v0, v0, v1, s[0:1]
	s_and_saveexec_b64 s[6:7], s[0:1]
	s_cbranch_execnz .LBB896_21
.LBB896_13:
	s_or_b64 exec, exec, s[6:7]
	s_and_saveexec_b64 s[0:1], s[2:3]
	s_cbranch_execnz .LBB896_22
.LBB896_14:
	s_or_b64 exec, exec, s[0:1]
                                        ; implicit-def: $vgpr1
	s_and_saveexec_b64 s[0:1], s[4:5]
.LBB896_15:
	v_cndmask_b32_e64 v0, 0, v2, s[4:5]
	v_lshrrev_b32_e32 v1, 16, v0
	s_or_b64 s[8:9], s[8:9], exec
.LBB896_16:
	s_or_b64 exec, exec, s[0:1]
.LBB896_17:
	s_and_saveexec_b64 s[0:1], s[8:9]
	s_cbranch_execnz .LBB896_19
; %bb.18:
	s_endpgm
.LBB896_19:
	s_waitcnt vmcnt(3)
	global_store_short v[3:4], v1, off offset:3072
	s_endpgm
.LBB896_20:
	global_store_short v[3:4], v0, off
	s_or_b64 exec, exec, s[6:7]
	v_cndmask_b32_e64 v0, v0, v1, s[0:1]
	s_and_saveexec_b64 s[6:7], s[0:1]
	s_cbranch_execz .LBB896_13
.LBB896_21:
	global_store_short_d16_hi v[3:4], v0, off offset:1024
	s_or_b64 exec, exec, s[6:7]
	s_and_saveexec_b64 s[0:1], s[2:3]
	s_cbranch_execz .LBB896_14
.LBB896_22:
	v_cndmask_b32_e64 v0, 0, v2, s[2:3]
	global_store_short v[3:4], v0, off offset:2048
	s_or_b64 exec, exec, s[0:1]
                                        ; implicit-def: $vgpr1
	s_and_saveexec_b64 s[0:1], s[4:5]
	s_cbranch_execnz .LBB896_15
	s_branch .LBB896_16
	.section	.rodata,"a",@progbits
	.p2align	6, 0x0
	.amdhsa_kernel _ZN7rocprim17ROCPRIM_400000_NS6detail17trampoline_kernelINS0_14default_configENS1_25transform_config_selectorIsLb0EEEZNS1_14transform_implILb0ES3_S5_NS0_18transform_iteratorINS0_17counting_iteratorImlEEZNS1_24adjacent_difference_implIS3_Lb1ELb0EPsN6thrust23THRUST_200600_302600_NS16discard_iteratorINSD_11use_defaultEEENSD_5minusIsEEEE10hipError_tPvRmT2_T3_mT4_P12ihipStream_tbEUlmE_sEESB_NS0_8identityIvEEEESJ_SM_SN_mSO_SQ_bEUlT_E_NS1_11comp_targetILNS1_3genE2ELNS1_11target_archE906ELNS1_3gpuE6ELNS1_3repE0EEENS1_30default_config_static_selectorELNS0_4arch9wavefront6targetE1EEEvT1_
		.amdhsa_group_segment_fixed_size 0
		.amdhsa_private_segment_fixed_size 0
		.amdhsa_kernarg_size 312
		.amdhsa_user_sgpr_count 6
		.amdhsa_user_sgpr_private_segment_buffer 1
		.amdhsa_user_sgpr_dispatch_ptr 0
		.amdhsa_user_sgpr_queue_ptr 0
		.amdhsa_user_sgpr_kernarg_segment_ptr 1
		.amdhsa_user_sgpr_dispatch_id 0
		.amdhsa_user_sgpr_flat_scratch_init 0
		.amdhsa_user_sgpr_private_segment_size 0
		.amdhsa_uses_dynamic_stack 0
		.amdhsa_system_sgpr_private_segment_wavefront_offset 0
		.amdhsa_system_sgpr_workgroup_id_x 1
		.amdhsa_system_sgpr_workgroup_id_y 0
		.amdhsa_system_sgpr_workgroup_id_z 0
		.amdhsa_system_sgpr_workgroup_info 0
		.amdhsa_system_vgpr_workitem_id 0
		.amdhsa_next_free_vgpr 12
		.amdhsa_next_free_sgpr 22
		.amdhsa_reserve_vcc 1
		.amdhsa_reserve_flat_scratch 0
		.amdhsa_float_round_mode_32 0
		.amdhsa_float_round_mode_16_64 0
		.amdhsa_float_denorm_mode_32 3
		.amdhsa_float_denorm_mode_16_64 3
		.amdhsa_dx10_clamp 1
		.amdhsa_ieee_mode 1
		.amdhsa_fp16_overflow 0
		.amdhsa_exception_fp_ieee_invalid_op 0
		.amdhsa_exception_fp_denorm_src 0
		.amdhsa_exception_fp_ieee_div_zero 0
		.amdhsa_exception_fp_ieee_overflow 0
		.amdhsa_exception_fp_ieee_underflow 0
		.amdhsa_exception_fp_ieee_inexact 0
		.amdhsa_exception_int_div_zero 0
	.end_amdhsa_kernel
	.section	.text._ZN7rocprim17ROCPRIM_400000_NS6detail17trampoline_kernelINS0_14default_configENS1_25transform_config_selectorIsLb0EEEZNS1_14transform_implILb0ES3_S5_NS0_18transform_iteratorINS0_17counting_iteratorImlEEZNS1_24adjacent_difference_implIS3_Lb1ELb0EPsN6thrust23THRUST_200600_302600_NS16discard_iteratorINSD_11use_defaultEEENSD_5minusIsEEEE10hipError_tPvRmT2_T3_mT4_P12ihipStream_tbEUlmE_sEESB_NS0_8identityIvEEEESJ_SM_SN_mSO_SQ_bEUlT_E_NS1_11comp_targetILNS1_3genE2ELNS1_11target_archE906ELNS1_3gpuE6ELNS1_3repE0EEENS1_30default_config_static_selectorELNS0_4arch9wavefront6targetE1EEEvT1_,"axG",@progbits,_ZN7rocprim17ROCPRIM_400000_NS6detail17trampoline_kernelINS0_14default_configENS1_25transform_config_selectorIsLb0EEEZNS1_14transform_implILb0ES3_S5_NS0_18transform_iteratorINS0_17counting_iteratorImlEEZNS1_24adjacent_difference_implIS3_Lb1ELb0EPsN6thrust23THRUST_200600_302600_NS16discard_iteratorINSD_11use_defaultEEENSD_5minusIsEEEE10hipError_tPvRmT2_T3_mT4_P12ihipStream_tbEUlmE_sEESB_NS0_8identityIvEEEESJ_SM_SN_mSO_SQ_bEUlT_E_NS1_11comp_targetILNS1_3genE2ELNS1_11target_archE906ELNS1_3gpuE6ELNS1_3repE0EEENS1_30default_config_static_selectorELNS0_4arch9wavefront6targetE1EEEvT1_,comdat
.Lfunc_end896:
	.size	_ZN7rocprim17ROCPRIM_400000_NS6detail17trampoline_kernelINS0_14default_configENS1_25transform_config_selectorIsLb0EEEZNS1_14transform_implILb0ES3_S5_NS0_18transform_iteratorINS0_17counting_iteratorImlEEZNS1_24adjacent_difference_implIS3_Lb1ELb0EPsN6thrust23THRUST_200600_302600_NS16discard_iteratorINSD_11use_defaultEEENSD_5minusIsEEEE10hipError_tPvRmT2_T3_mT4_P12ihipStream_tbEUlmE_sEESB_NS0_8identityIvEEEESJ_SM_SN_mSO_SQ_bEUlT_E_NS1_11comp_targetILNS1_3genE2ELNS1_11target_archE906ELNS1_3gpuE6ELNS1_3repE0EEENS1_30default_config_static_selectorELNS0_4arch9wavefront6targetE1EEEvT1_, .Lfunc_end896-_ZN7rocprim17ROCPRIM_400000_NS6detail17trampoline_kernelINS0_14default_configENS1_25transform_config_selectorIsLb0EEEZNS1_14transform_implILb0ES3_S5_NS0_18transform_iteratorINS0_17counting_iteratorImlEEZNS1_24adjacent_difference_implIS3_Lb1ELb0EPsN6thrust23THRUST_200600_302600_NS16discard_iteratorINSD_11use_defaultEEENSD_5minusIsEEEE10hipError_tPvRmT2_T3_mT4_P12ihipStream_tbEUlmE_sEESB_NS0_8identityIvEEEESJ_SM_SN_mSO_SQ_bEUlT_E_NS1_11comp_targetILNS1_3genE2ELNS1_11target_archE906ELNS1_3gpuE6ELNS1_3repE0EEENS1_30default_config_static_selectorELNS0_4arch9wavefront6targetE1EEEvT1_
                                        ; -- End function
	.set _ZN7rocprim17ROCPRIM_400000_NS6detail17trampoline_kernelINS0_14default_configENS1_25transform_config_selectorIsLb0EEEZNS1_14transform_implILb0ES3_S5_NS0_18transform_iteratorINS0_17counting_iteratorImlEEZNS1_24adjacent_difference_implIS3_Lb1ELb0EPsN6thrust23THRUST_200600_302600_NS16discard_iteratorINSD_11use_defaultEEENSD_5minusIsEEEE10hipError_tPvRmT2_T3_mT4_P12ihipStream_tbEUlmE_sEESB_NS0_8identityIvEEEESJ_SM_SN_mSO_SQ_bEUlT_E_NS1_11comp_targetILNS1_3genE2ELNS1_11target_archE906ELNS1_3gpuE6ELNS1_3repE0EEENS1_30default_config_static_selectorELNS0_4arch9wavefront6targetE1EEEvT1_.num_vgpr, 12
	.set _ZN7rocprim17ROCPRIM_400000_NS6detail17trampoline_kernelINS0_14default_configENS1_25transform_config_selectorIsLb0EEEZNS1_14transform_implILb0ES3_S5_NS0_18transform_iteratorINS0_17counting_iteratorImlEEZNS1_24adjacent_difference_implIS3_Lb1ELb0EPsN6thrust23THRUST_200600_302600_NS16discard_iteratorINSD_11use_defaultEEENSD_5minusIsEEEE10hipError_tPvRmT2_T3_mT4_P12ihipStream_tbEUlmE_sEESB_NS0_8identityIvEEEESJ_SM_SN_mSO_SQ_bEUlT_E_NS1_11comp_targetILNS1_3genE2ELNS1_11target_archE906ELNS1_3gpuE6ELNS1_3repE0EEENS1_30default_config_static_selectorELNS0_4arch9wavefront6targetE1EEEvT1_.num_agpr, 0
	.set _ZN7rocprim17ROCPRIM_400000_NS6detail17trampoline_kernelINS0_14default_configENS1_25transform_config_selectorIsLb0EEEZNS1_14transform_implILb0ES3_S5_NS0_18transform_iteratorINS0_17counting_iteratorImlEEZNS1_24adjacent_difference_implIS3_Lb1ELb0EPsN6thrust23THRUST_200600_302600_NS16discard_iteratorINSD_11use_defaultEEENSD_5minusIsEEEE10hipError_tPvRmT2_T3_mT4_P12ihipStream_tbEUlmE_sEESB_NS0_8identityIvEEEESJ_SM_SN_mSO_SQ_bEUlT_E_NS1_11comp_targetILNS1_3genE2ELNS1_11target_archE906ELNS1_3gpuE6ELNS1_3repE0EEENS1_30default_config_static_selectorELNS0_4arch9wavefront6targetE1EEEvT1_.numbered_sgpr, 22
	.set _ZN7rocprim17ROCPRIM_400000_NS6detail17trampoline_kernelINS0_14default_configENS1_25transform_config_selectorIsLb0EEEZNS1_14transform_implILb0ES3_S5_NS0_18transform_iteratorINS0_17counting_iteratorImlEEZNS1_24adjacent_difference_implIS3_Lb1ELb0EPsN6thrust23THRUST_200600_302600_NS16discard_iteratorINSD_11use_defaultEEENSD_5minusIsEEEE10hipError_tPvRmT2_T3_mT4_P12ihipStream_tbEUlmE_sEESB_NS0_8identityIvEEEESJ_SM_SN_mSO_SQ_bEUlT_E_NS1_11comp_targetILNS1_3genE2ELNS1_11target_archE906ELNS1_3gpuE6ELNS1_3repE0EEENS1_30default_config_static_selectorELNS0_4arch9wavefront6targetE1EEEvT1_.num_named_barrier, 0
	.set _ZN7rocprim17ROCPRIM_400000_NS6detail17trampoline_kernelINS0_14default_configENS1_25transform_config_selectorIsLb0EEEZNS1_14transform_implILb0ES3_S5_NS0_18transform_iteratorINS0_17counting_iteratorImlEEZNS1_24adjacent_difference_implIS3_Lb1ELb0EPsN6thrust23THRUST_200600_302600_NS16discard_iteratorINSD_11use_defaultEEENSD_5minusIsEEEE10hipError_tPvRmT2_T3_mT4_P12ihipStream_tbEUlmE_sEESB_NS0_8identityIvEEEESJ_SM_SN_mSO_SQ_bEUlT_E_NS1_11comp_targetILNS1_3genE2ELNS1_11target_archE906ELNS1_3gpuE6ELNS1_3repE0EEENS1_30default_config_static_selectorELNS0_4arch9wavefront6targetE1EEEvT1_.private_seg_size, 0
	.set _ZN7rocprim17ROCPRIM_400000_NS6detail17trampoline_kernelINS0_14default_configENS1_25transform_config_selectorIsLb0EEEZNS1_14transform_implILb0ES3_S5_NS0_18transform_iteratorINS0_17counting_iteratorImlEEZNS1_24adjacent_difference_implIS3_Lb1ELb0EPsN6thrust23THRUST_200600_302600_NS16discard_iteratorINSD_11use_defaultEEENSD_5minusIsEEEE10hipError_tPvRmT2_T3_mT4_P12ihipStream_tbEUlmE_sEESB_NS0_8identityIvEEEESJ_SM_SN_mSO_SQ_bEUlT_E_NS1_11comp_targetILNS1_3genE2ELNS1_11target_archE906ELNS1_3gpuE6ELNS1_3repE0EEENS1_30default_config_static_selectorELNS0_4arch9wavefront6targetE1EEEvT1_.uses_vcc, 1
	.set _ZN7rocprim17ROCPRIM_400000_NS6detail17trampoline_kernelINS0_14default_configENS1_25transform_config_selectorIsLb0EEEZNS1_14transform_implILb0ES3_S5_NS0_18transform_iteratorINS0_17counting_iteratorImlEEZNS1_24adjacent_difference_implIS3_Lb1ELb0EPsN6thrust23THRUST_200600_302600_NS16discard_iteratorINSD_11use_defaultEEENSD_5minusIsEEEE10hipError_tPvRmT2_T3_mT4_P12ihipStream_tbEUlmE_sEESB_NS0_8identityIvEEEESJ_SM_SN_mSO_SQ_bEUlT_E_NS1_11comp_targetILNS1_3genE2ELNS1_11target_archE906ELNS1_3gpuE6ELNS1_3repE0EEENS1_30default_config_static_selectorELNS0_4arch9wavefront6targetE1EEEvT1_.uses_flat_scratch, 0
	.set _ZN7rocprim17ROCPRIM_400000_NS6detail17trampoline_kernelINS0_14default_configENS1_25transform_config_selectorIsLb0EEEZNS1_14transform_implILb0ES3_S5_NS0_18transform_iteratorINS0_17counting_iteratorImlEEZNS1_24adjacent_difference_implIS3_Lb1ELb0EPsN6thrust23THRUST_200600_302600_NS16discard_iteratorINSD_11use_defaultEEENSD_5minusIsEEEE10hipError_tPvRmT2_T3_mT4_P12ihipStream_tbEUlmE_sEESB_NS0_8identityIvEEEESJ_SM_SN_mSO_SQ_bEUlT_E_NS1_11comp_targetILNS1_3genE2ELNS1_11target_archE906ELNS1_3gpuE6ELNS1_3repE0EEENS1_30default_config_static_selectorELNS0_4arch9wavefront6targetE1EEEvT1_.has_dyn_sized_stack, 0
	.set _ZN7rocprim17ROCPRIM_400000_NS6detail17trampoline_kernelINS0_14default_configENS1_25transform_config_selectorIsLb0EEEZNS1_14transform_implILb0ES3_S5_NS0_18transform_iteratorINS0_17counting_iteratorImlEEZNS1_24adjacent_difference_implIS3_Lb1ELb0EPsN6thrust23THRUST_200600_302600_NS16discard_iteratorINSD_11use_defaultEEENSD_5minusIsEEEE10hipError_tPvRmT2_T3_mT4_P12ihipStream_tbEUlmE_sEESB_NS0_8identityIvEEEESJ_SM_SN_mSO_SQ_bEUlT_E_NS1_11comp_targetILNS1_3genE2ELNS1_11target_archE906ELNS1_3gpuE6ELNS1_3repE0EEENS1_30default_config_static_selectorELNS0_4arch9wavefront6targetE1EEEvT1_.has_recursion, 0
	.set _ZN7rocprim17ROCPRIM_400000_NS6detail17trampoline_kernelINS0_14default_configENS1_25transform_config_selectorIsLb0EEEZNS1_14transform_implILb0ES3_S5_NS0_18transform_iteratorINS0_17counting_iteratorImlEEZNS1_24adjacent_difference_implIS3_Lb1ELb0EPsN6thrust23THRUST_200600_302600_NS16discard_iteratorINSD_11use_defaultEEENSD_5minusIsEEEE10hipError_tPvRmT2_T3_mT4_P12ihipStream_tbEUlmE_sEESB_NS0_8identityIvEEEESJ_SM_SN_mSO_SQ_bEUlT_E_NS1_11comp_targetILNS1_3genE2ELNS1_11target_archE906ELNS1_3gpuE6ELNS1_3repE0EEENS1_30default_config_static_selectorELNS0_4arch9wavefront6targetE1EEEvT1_.has_indirect_call, 0
	.section	.AMDGPU.csdata,"",@progbits
; Kernel info:
; codeLenInByte = 1016
; TotalNumSgprs: 26
; NumVgprs: 12
; ScratchSize: 0
; MemoryBound: 0
; FloatMode: 240
; IeeeMode: 1
; LDSByteSize: 0 bytes/workgroup (compile time only)
; SGPRBlocks: 3
; VGPRBlocks: 2
; NumSGPRsForWavesPerEU: 26
; NumVGPRsForWavesPerEU: 12
; Occupancy: 10
; WaveLimiterHint : 1
; COMPUTE_PGM_RSRC2:SCRATCH_EN: 0
; COMPUTE_PGM_RSRC2:USER_SGPR: 6
; COMPUTE_PGM_RSRC2:TRAP_HANDLER: 0
; COMPUTE_PGM_RSRC2:TGID_X_EN: 1
; COMPUTE_PGM_RSRC2:TGID_Y_EN: 0
; COMPUTE_PGM_RSRC2:TGID_Z_EN: 0
; COMPUTE_PGM_RSRC2:TIDIG_COMP_CNT: 0
	.section	.text._ZN7rocprim17ROCPRIM_400000_NS6detail17trampoline_kernelINS0_14default_configENS1_25transform_config_selectorIsLb0EEEZNS1_14transform_implILb0ES3_S5_NS0_18transform_iteratorINS0_17counting_iteratorImlEEZNS1_24adjacent_difference_implIS3_Lb1ELb0EPsN6thrust23THRUST_200600_302600_NS16discard_iteratorINSD_11use_defaultEEENSD_5minusIsEEEE10hipError_tPvRmT2_T3_mT4_P12ihipStream_tbEUlmE_sEESB_NS0_8identityIvEEEESJ_SM_SN_mSO_SQ_bEUlT_E_NS1_11comp_targetILNS1_3genE10ELNS1_11target_archE1201ELNS1_3gpuE5ELNS1_3repE0EEENS1_30default_config_static_selectorELNS0_4arch9wavefront6targetE1EEEvT1_,"axG",@progbits,_ZN7rocprim17ROCPRIM_400000_NS6detail17trampoline_kernelINS0_14default_configENS1_25transform_config_selectorIsLb0EEEZNS1_14transform_implILb0ES3_S5_NS0_18transform_iteratorINS0_17counting_iteratorImlEEZNS1_24adjacent_difference_implIS3_Lb1ELb0EPsN6thrust23THRUST_200600_302600_NS16discard_iteratorINSD_11use_defaultEEENSD_5minusIsEEEE10hipError_tPvRmT2_T3_mT4_P12ihipStream_tbEUlmE_sEESB_NS0_8identityIvEEEESJ_SM_SN_mSO_SQ_bEUlT_E_NS1_11comp_targetILNS1_3genE10ELNS1_11target_archE1201ELNS1_3gpuE5ELNS1_3repE0EEENS1_30default_config_static_selectorELNS0_4arch9wavefront6targetE1EEEvT1_,comdat
	.protected	_ZN7rocprim17ROCPRIM_400000_NS6detail17trampoline_kernelINS0_14default_configENS1_25transform_config_selectorIsLb0EEEZNS1_14transform_implILb0ES3_S5_NS0_18transform_iteratorINS0_17counting_iteratorImlEEZNS1_24adjacent_difference_implIS3_Lb1ELb0EPsN6thrust23THRUST_200600_302600_NS16discard_iteratorINSD_11use_defaultEEENSD_5minusIsEEEE10hipError_tPvRmT2_T3_mT4_P12ihipStream_tbEUlmE_sEESB_NS0_8identityIvEEEESJ_SM_SN_mSO_SQ_bEUlT_E_NS1_11comp_targetILNS1_3genE10ELNS1_11target_archE1201ELNS1_3gpuE5ELNS1_3repE0EEENS1_30default_config_static_selectorELNS0_4arch9wavefront6targetE1EEEvT1_ ; -- Begin function _ZN7rocprim17ROCPRIM_400000_NS6detail17trampoline_kernelINS0_14default_configENS1_25transform_config_selectorIsLb0EEEZNS1_14transform_implILb0ES3_S5_NS0_18transform_iteratorINS0_17counting_iteratorImlEEZNS1_24adjacent_difference_implIS3_Lb1ELb0EPsN6thrust23THRUST_200600_302600_NS16discard_iteratorINSD_11use_defaultEEENSD_5minusIsEEEE10hipError_tPvRmT2_T3_mT4_P12ihipStream_tbEUlmE_sEESB_NS0_8identityIvEEEESJ_SM_SN_mSO_SQ_bEUlT_E_NS1_11comp_targetILNS1_3genE10ELNS1_11target_archE1201ELNS1_3gpuE5ELNS1_3repE0EEENS1_30default_config_static_selectorELNS0_4arch9wavefront6targetE1EEEvT1_
	.globl	_ZN7rocprim17ROCPRIM_400000_NS6detail17trampoline_kernelINS0_14default_configENS1_25transform_config_selectorIsLb0EEEZNS1_14transform_implILb0ES3_S5_NS0_18transform_iteratorINS0_17counting_iteratorImlEEZNS1_24adjacent_difference_implIS3_Lb1ELb0EPsN6thrust23THRUST_200600_302600_NS16discard_iteratorINSD_11use_defaultEEENSD_5minusIsEEEE10hipError_tPvRmT2_T3_mT4_P12ihipStream_tbEUlmE_sEESB_NS0_8identityIvEEEESJ_SM_SN_mSO_SQ_bEUlT_E_NS1_11comp_targetILNS1_3genE10ELNS1_11target_archE1201ELNS1_3gpuE5ELNS1_3repE0EEENS1_30default_config_static_selectorELNS0_4arch9wavefront6targetE1EEEvT1_
	.p2align	8
	.type	_ZN7rocprim17ROCPRIM_400000_NS6detail17trampoline_kernelINS0_14default_configENS1_25transform_config_selectorIsLb0EEEZNS1_14transform_implILb0ES3_S5_NS0_18transform_iteratorINS0_17counting_iteratorImlEEZNS1_24adjacent_difference_implIS3_Lb1ELb0EPsN6thrust23THRUST_200600_302600_NS16discard_iteratorINSD_11use_defaultEEENSD_5minusIsEEEE10hipError_tPvRmT2_T3_mT4_P12ihipStream_tbEUlmE_sEESB_NS0_8identityIvEEEESJ_SM_SN_mSO_SQ_bEUlT_E_NS1_11comp_targetILNS1_3genE10ELNS1_11target_archE1201ELNS1_3gpuE5ELNS1_3repE0EEENS1_30default_config_static_selectorELNS0_4arch9wavefront6targetE1EEEvT1_,@function
_ZN7rocprim17ROCPRIM_400000_NS6detail17trampoline_kernelINS0_14default_configENS1_25transform_config_selectorIsLb0EEEZNS1_14transform_implILb0ES3_S5_NS0_18transform_iteratorINS0_17counting_iteratorImlEEZNS1_24adjacent_difference_implIS3_Lb1ELb0EPsN6thrust23THRUST_200600_302600_NS16discard_iteratorINSD_11use_defaultEEENSD_5minusIsEEEE10hipError_tPvRmT2_T3_mT4_P12ihipStream_tbEUlmE_sEESB_NS0_8identityIvEEEESJ_SM_SN_mSO_SQ_bEUlT_E_NS1_11comp_targetILNS1_3genE10ELNS1_11target_archE1201ELNS1_3gpuE5ELNS1_3repE0EEENS1_30default_config_static_selectorELNS0_4arch9wavefront6targetE1EEEvT1_: ; @_ZN7rocprim17ROCPRIM_400000_NS6detail17trampoline_kernelINS0_14default_configENS1_25transform_config_selectorIsLb0EEEZNS1_14transform_implILb0ES3_S5_NS0_18transform_iteratorINS0_17counting_iteratorImlEEZNS1_24adjacent_difference_implIS3_Lb1ELb0EPsN6thrust23THRUST_200600_302600_NS16discard_iteratorINSD_11use_defaultEEENSD_5minusIsEEEE10hipError_tPvRmT2_T3_mT4_P12ihipStream_tbEUlmE_sEESB_NS0_8identityIvEEEESJ_SM_SN_mSO_SQ_bEUlT_E_NS1_11comp_targetILNS1_3genE10ELNS1_11target_archE1201ELNS1_3gpuE5ELNS1_3repE0EEENS1_30default_config_static_selectorELNS0_4arch9wavefront6targetE1EEEvT1_
; %bb.0:
	.section	.rodata,"a",@progbits
	.p2align	6, 0x0
	.amdhsa_kernel _ZN7rocprim17ROCPRIM_400000_NS6detail17trampoline_kernelINS0_14default_configENS1_25transform_config_selectorIsLb0EEEZNS1_14transform_implILb0ES3_S5_NS0_18transform_iteratorINS0_17counting_iteratorImlEEZNS1_24adjacent_difference_implIS3_Lb1ELb0EPsN6thrust23THRUST_200600_302600_NS16discard_iteratorINSD_11use_defaultEEENSD_5minusIsEEEE10hipError_tPvRmT2_T3_mT4_P12ihipStream_tbEUlmE_sEESB_NS0_8identityIvEEEESJ_SM_SN_mSO_SQ_bEUlT_E_NS1_11comp_targetILNS1_3genE10ELNS1_11target_archE1201ELNS1_3gpuE5ELNS1_3repE0EEENS1_30default_config_static_selectorELNS0_4arch9wavefront6targetE1EEEvT1_
		.amdhsa_group_segment_fixed_size 0
		.amdhsa_private_segment_fixed_size 0
		.amdhsa_kernarg_size 56
		.amdhsa_user_sgpr_count 6
		.amdhsa_user_sgpr_private_segment_buffer 1
		.amdhsa_user_sgpr_dispatch_ptr 0
		.amdhsa_user_sgpr_queue_ptr 0
		.amdhsa_user_sgpr_kernarg_segment_ptr 1
		.amdhsa_user_sgpr_dispatch_id 0
		.amdhsa_user_sgpr_flat_scratch_init 0
		.amdhsa_user_sgpr_private_segment_size 0
		.amdhsa_uses_dynamic_stack 0
		.amdhsa_system_sgpr_private_segment_wavefront_offset 0
		.amdhsa_system_sgpr_workgroup_id_x 1
		.amdhsa_system_sgpr_workgroup_id_y 0
		.amdhsa_system_sgpr_workgroup_id_z 0
		.amdhsa_system_sgpr_workgroup_info 0
		.amdhsa_system_vgpr_workitem_id 0
		.amdhsa_next_free_vgpr 1
		.amdhsa_next_free_sgpr 0
		.amdhsa_reserve_vcc 0
		.amdhsa_reserve_flat_scratch 0
		.amdhsa_float_round_mode_32 0
		.amdhsa_float_round_mode_16_64 0
		.amdhsa_float_denorm_mode_32 3
		.amdhsa_float_denorm_mode_16_64 3
		.amdhsa_dx10_clamp 1
		.amdhsa_ieee_mode 1
		.amdhsa_fp16_overflow 0
		.amdhsa_exception_fp_ieee_invalid_op 0
		.amdhsa_exception_fp_denorm_src 0
		.amdhsa_exception_fp_ieee_div_zero 0
		.amdhsa_exception_fp_ieee_overflow 0
		.amdhsa_exception_fp_ieee_underflow 0
		.amdhsa_exception_fp_ieee_inexact 0
		.amdhsa_exception_int_div_zero 0
	.end_amdhsa_kernel
	.section	.text._ZN7rocprim17ROCPRIM_400000_NS6detail17trampoline_kernelINS0_14default_configENS1_25transform_config_selectorIsLb0EEEZNS1_14transform_implILb0ES3_S5_NS0_18transform_iteratorINS0_17counting_iteratorImlEEZNS1_24adjacent_difference_implIS3_Lb1ELb0EPsN6thrust23THRUST_200600_302600_NS16discard_iteratorINSD_11use_defaultEEENSD_5minusIsEEEE10hipError_tPvRmT2_T3_mT4_P12ihipStream_tbEUlmE_sEESB_NS0_8identityIvEEEESJ_SM_SN_mSO_SQ_bEUlT_E_NS1_11comp_targetILNS1_3genE10ELNS1_11target_archE1201ELNS1_3gpuE5ELNS1_3repE0EEENS1_30default_config_static_selectorELNS0_4arch9wavefront6targetE1EEEvT1_,"axG",@progbits,_ZN7rocprim17ROCPRIM_400000_NS6detail17trampoline_kernelINS0_14default_configENS1_25transform_config_selectorIsLb0EEEZNS1_14transform_implILb0ES3_S5_NS0_18transform_iteratorINS0_17counting_iteratorImlEEZNS1_24adjacent_difference_implIS3_Lb1ELb0EPsN6thrust23THRUST_200600_302600_NS16discard_iteratorINSD_11use_defaultEEENSD_5minusIsEEEE10hipError_tPvRmT2_T3_mT4_P12ihipStream_tbEUlmE_sEESB_NS0_8identityIvEEEESJ_SM_SN_mSO_SQ_bEUlT_E_NS1_11comp_targetILNS1_3genE10ELNS1_11target_archE1201ELNS1_3gpuE5ELNS1_3repE0EEENS1_30default_config_static_selectorELNS0_4arch9wavefront6targetE1EEEvT1_,comdat
.Lfunc_end897:
	.size	_ZN7rocprim17ROCPRIM_400000_NS6detail17trampoline_kernelINS0_14default_configENS1_25transform_config_selectorIsLb0EEEZNS1_14transform_implILb0ES3_S5_NS0_18transform_iteratorINS0_17counting_iteratorImlEEZNS1_24adjacent_difference_implIS3_Lb1ELb0EPsN6thrust23THRUST_200600_302600_NS16discard_iteratorINSD_11use_defaultEEENSD_5minusIsEEEE10hipError_tPvRmT2_T3_mT4_P12ihipStream_tbEUlmE_sEESB_NS0_8identityIvEEEESJ_SM_SN_mSO_SQ_bEUlT_E_NS1_11comp_targetILNS1_3genE10ELNS1_11target_archE1201ELNS1_3gpuE5ELNS1_3repE0EEENS1_30default_config_static_selectorELNS0_4arch9wavefront6targetE1EEEvT1_, .Lfunc_end897-_ZN7rocprim17ROCPRIM_400000_NS6detail17trampoline_kernelINS0_14default_configENS1_25transform_config_selectorIsLb0EEEZNS1_14transform_implILb0ES3_S5_NS0_18transform_iteratorINS0_17counting_iteratorImlEEZNS1_24adjacent_difference_implIS3_Lb1ELb0EPsN6thrust23THRUST_200600_302600_NS16discard_iteratorINSD_11use_defaultEEENSD_5minusIsEEEE10hipError_tPvRmT2_T3_mT4_P12ihipStream_tbEUlmE_sEESB_NS0_8identityIvEEEESJ_SM_SN_mSO_SQ_bEUlT_E_NS1_11comp_targetILNS1_3genE10ELNS1_11target_archE1201ELNS1_3gpuE5ELNS1_3repE0EEENS1_30default_config_static_selectorELNS0_4arch9wavefront6targetE1EEEvT1_
                                        ; -- End function
	.set _ZN7rocprim17ROCPRIM_400000_NS6detail17trampoline_kernelINS0_14default_configENS1_25transform_config_selectorIsLb0EEEZNS1_14transform_implILb0ES3_S5_NS0_18transform_iteratorINS0_17counting_iteratorImlEEZNS1_24adjacent_difference_implIS3_Lb1ELb0EPsN6thrust23THRUST_200600_302600_NS16discard_iteratorINSD_11use_defaultEEENSD_5minusIsEEEE10hipError_tPvRmT2_T3_mT4_P12ihipStream_tbEUlmE_sEESB_NS0_8identityIvEEEESJ_SM_SN_mSO_SQ_bEUlT_E_NS1_11comp_targetILNS1_3genE10ELNS1_11target_archE1201ELNS1_3gpuE5ELNS1_3repE0EEENS1_30default_config_static_selectorELNS0_4arch9wavefront6targetE1EEEvT1_.num_vgpr, 0
	.set _ZN7rocprim17ROCPRIM_400000_NS6detail17trampoline_kernelINS0_14default_configENS1_25transform_config_selectorIsLb0EEEZNS1_14transform_implILb0ES3_S5_NS0_18transform_iteratorINS0_17counting_iteratorImlEEZNS1_24adjacent_difference_implIS3_Lb1ELb0EPsN6thrust23THRUST_200600_302600_NS16discard_iteratorINSD_11use_defaultEEENSD_5minusIsEEEE10hipError_tPvRmT2_T3_mT4_P12ihipStream_tbEUlmE_sEESB_NS0_8identityIvEEEESJ_SM_SN_mSO_SQ_bEUlT_E_NS1_11comp_targetILNS1_3genE10ELNS1_11target_archE1201ELNS1_3gpuE5ELNS1_3repE0EEENS1_30default_config_static_selectorELNS0_4arch9wavefront6targetE1EEEvT1_.num_agpr, 0
	.set _ZN7rocprim17ROCPRIM_400000_NS6detail17trampoline_kernelINS0_14default_configENS1_25transform_config_selectorIsLb0EEEZNS1_14transform_implILb0ES3_S5_NS0_18transform_iteratorINS0_17counting_iteratorImlEEZNS1_24adjacent_difference_implIS3_Lb1ELb0EPsN6thrust23THRUST_200600_302600_NS16discard_iteratorINSD_11use_defaultEEENSD_5minusIsEEEE10hipError_tPvRmT2_T3_mT4_P12ihipStream_tbEUlmE_sEESB_NS0_8identityIvEEEESJ_SM_SN_mSO_SQ_bEUlT_E_NS1_11comp_targetILNS1_3genE10ELNS1_11target_archE1201ELNS1_3gpuE5ELNS1_3repE0EEENS1_30default_config_static_selectorELNS0_4arch9wavefront6targetE1EEEvT1_.numbered_sgpr, 0
	.set _ZN7rocprim17ROCPRIM_400000_NS6detail17trampoline_kernelINS0_14default_configENS1_25transform_config_selectorIsLb0EEEZNS1_14transform_implILb0ES3_S5_NS0_18transform_iteratorINS0_17counting_iteratorImlEEZNS1_24adjacent_difference_implIS3_Lb1ELb0EPsN6thrust23THRUST_200600_302600_NS16discard_iteratorINSD_11use_defaultEEENSD_5minusIsEEEE10hipError_tPvRmT2_T3_mT4_P12ihipStream_tbEUlmE_sEESB_NS0_8identityIvEEEESJ_SM_SN_mSO_SQ_bEUlT_E_NS1_11comp_targetILNS1_3genE10ELNS1_11target_archE1201ELNS1_3gpuE5ELNS1_3repE0EEENS1_30default_config_static_selectorELNS0_4arch9wavefront6targetE1EEEvT1_.num_named_barrier, 0
	.set _ZN7rocprim17ROCPRIM_400000_NS6detail17trampoline_kernelINS0_14default_configENS1_25transform_config_selectorIsLb0EEEZNS1_14transform_implILb0ES3_S5_NS0_18transform_iteratorINS0_17counting_iteratorImlEEZNS1_24adjacent_difference_implIS3_Lb1ELb0EPsN6thrust23THRUST_200600_302600_NS16discard_iteratorINSD_11use_defaultEEENSD_5minusIsEEEE10hipError_tPvRmT2_T3_mT4_P12ihipStream_tbEUlmE_sEESB_NS0_8identityIvEEEESJ_SM_SN_mSO_SQ_bEUlT_E_NS1_11comp_targetILNS1_3genE10ELNS1_11target_archE1201ELNS1_3gpuE5ELNS1_3repE0EEENS1_30default_config_static_selectorELNS0_4arch9wavefront6targetE1EEEvT1_.private_seg_size, 0
	.set _ZN7rocprim17ROCPRIM_400000_NS6detail17trampoline_kernelINS0_14default_configENS1_25transform_config_selectorIsLb0EEEZNS1_14transform_implILb0ES3_S5_NS0_18transform_iteratorINS0_17counting_iteratorImlEEZNS1_24adjacent_difference_implIS3_Lb1ELb0EPsN6thrust23THRUST_200600_302600_NS16discard_iteratorINSD_11use_defaultEEENSD_5minusIsEEEE10hipError_tPvRmT2_T3_mT4_P12ihipStream_tbEUlmE_sEESB_NS0_8identityIvEEEESJ_SM_SN_mSO_SQ_bEUlT_E_NS1_11comp_targetILNS1_3genE10ELNS1_11target_archE1201ELNS1_3gpuE5ELNS1_3repE0EEENS1_30default_config_static_selectorELNS0_4arch9wavefront6targetE1EEEvT1_.uses_vcc, 0
	.set _ZN7rocprim17ROCPRIM_400000_NS6detail17trampoline_kernelINS0_14default_configENS1_25transform_config_selectorIsLb0EEEZNS1_14transform_implILb0ES3_S5_NS0_18transform_iteratorINS0_17counting_iteratorImlEEZNS1_24adjacent_difference_implIS3_Lb1ELb0EPsN6thrust23THRUST_200600_302600_NS16discard_iteratorINSD_11use_defaultEEENSD_5minusIsEEEE10hipError_tPvRmT2_T3_mT4_P12ihipStream_tbEUlmE_sEESB_NS0_8identityIvEEEESJ_SM_SN_mSO_SQ_bEUlT_E_NS1_11comp_targetILNS1_3genE10ELNS1_11target_archE1201ELNS1_3gpuE5ELNS1_3repE0EEENS1_30default_config_static_selectorELNS0_4arch9wavefront6targetE1EEEvT1_.uses_flat_scratch, 0
	.set _ZN7rocprim17ROCPRIM_400000_NS6detail17trampoline_kernelINS0_14default_configENS1_25transform_config_selectorIsLb0EEEZNS1_14transform_implILb0ES3_S5_NS0_18transform_iteratorINS0_17counting_iteratorImlEEZNS1_24adjacent_difference_implIS3_Lb1ELb0EPsN6thrust23THRUST_200600_302600_NS16discard_iteratorINSD_11use_defaultEEENSD_5minusIsEEEE10hipError_tPvRmT2_T3_mT4_P12ihipStream_tbEUlmE_sEESB_NS0_8identityIvEEEESJ_SM_SN_mSO_SQ_bEUlT_E_NS1_11comp_targetILNS1_3genE10ELNS1_11target_archE1201ELNS1_3gpuE5ELNS1_3repE0EEENS1_30default_config_static_selectorELNS0_4arch9wavefront6targetE1EEEvT1_.has_dyn_sized_stack, 0
	.set _ZN7rocprim17ROCPRIM_400000_NS6detail17trampoline_kernelINS0_14default_configENS1_25transform_config_selectorIsLb0EEEZNS1_14transform_implILb0ES3_S5_NS0_18transform_iteratorINS0_17counting_iteratorImlEEZNS1_24adjacent_difference_implIS3_Lb1ELb0EPsN6thrust23THRUST_200600_302600_NS16discard_iteratorINSD_11use_defaultEEENSD_5minusIsEEEE10hipError_tPvRmT2_T3_mT4_P12ihipStream_tbEUlmE_sEESB_NS0_8identityIvEEEESJ_SM_SN_mSO_SQ_bEUlT_E_NS1_11comp_targetILNS1_3genE10ELNS1_11target_archE1201ELNS1_3gpuE5ELNS1_3repE0EEENS1_30default_config_static_selectorELNS0_4arch9wavefront6targetE1EEEvT1_.has_recursion, 0
	.set _ZN7rocprim17ROCPRIM_400000_NS6detail17trampoline_kernelINS0_14default_configENS1_25transform_config_selectorIsLb0EEEZNS1_14transform_implILb0ES3_S5_NS0_18transform_iteratorINS0_17counting_iteratorImlEEZNS1_24adjacent_difference_implIS3_Lb1ELb0EPsN6thrust23THRUST_200600_302600_NS16discard_iteratorINSD_11use_defaultEEENSD_5minusIsEEEE10hipError_tPvRmT2_T3_mT4_P12ihipStream_tbEUlmE_sEESB_NS0_8identityIvEEEESJ_SM_SN_mSO_SQ_bEUlT_E_NS1_11comp_targetILNS1_3genE10ELNS1_11target_archE1201ELNS1_3gpuE5ELNS1_3repE0EEENS1_30default_config_static_selectorELNS0_4arch9wavefront6targetE1EEEvT1_.has_indirect_call, 0
	.section	.AMDGPU.csdata,"",@progbits
; Kernel info:
; codeLenInByte = 0
; TotalNumSgprs: 4
; NumVgprs: 0
; ScratchSize: 0
; MemoryBound: 0
; FloatMode: 240
; IeeeMode: 1
; LDSByteSize: 0 bytes/workgroup (compile time only)
; SGPRBlocks: 0
; VGPRBlocks: 0
; NumSGPRsForWavesPerEU: 4
; NumVGPRsForWavesPerEU: 1
; Occupancy: 10
; WaveLimiterHint : 0
; COMPUTE_PGM_RSRC2:SCRATCH_EN: 0
; COMPUTE_PGM_RSRC2:USER_SGPR: 6
; COMPUTE_PGM_RSRC2:TRAP_HANDLER: 0
; COMPUTE_PGM_RSRC2:TGID_X_EN: 1
; COMPUTE_PGM_RSRC2:TGID_Y_EN: 0
; COMPUTE_PGM_RSRC2:TGID_Z_EN: 0
; COMPUTE_PGM_RSRC2:TIDIG_COMP_CNT: 0
	.section	.text._ZN7rocprim17ROCPRIM_400000_NS6detail17trampoline_kernelINS0_14default_configENS1_25transform_config_selectorIsLb0EEEZNS1_14transform_implILb0ES3_S5_NS0_18transform_iteratorINS0_17counting_iteratorImlEEZNS1_24adjacent_difference_implIS3_Lb1ELb0EPsN6thrust23THRUST_200600_302600_NS16discard_iteratorINSD_11use_defaultEEENSD_5minusIsEEEE10hipError_tPvRmT2_T3_mT4_P12ihipStream_tbEUlmE_sEESB_NS0_8identityIvEEEESJ_SM_SN_mSO_SQ_bEUlT_E_NS1_11comp_targetILNS1_3genE10ELNS1_11target_archE1200ELNS1_3gpuE4ELNS1_3repE0EEENS1_30default_config_static_selectorELNS0_4arch9wavefront6targetE1EEEvT1_,"axG",@progbits,_ZN7rocprim17ROCPRIM_400000_NS6detail17trampoline_kernelINS0_14default_configENS1_25transform_config_selectorIsLb0EEEZNS1_14transform_implILb0ES3_S5_NS0_18transform_iteratorINS0_17counting_iteratorImlEEZNS1_24adjacent_difference_implIS3_Lb1ELb0EPsN6thrust23THRUST_200600_302600_NS16discard_iteratorINSD_11use_defaultEEENSD_5minusIsEEEE10hipError_tPvRmT2_T3_mT4_P12ihipStream_tbEUlmE_sEESB_NS0_8identityIvEEEESJ_SM_SN_mSO_SQ_bEUlT_E_NS1_11comp_targetILNS1_3genE10ELNS1_11target_archE1200ELNS1_3gpuE4ELNS1_3repE0EEENS1_30default_config_static_selectorELNS0_4arch9wavefront6targetE1EEEvT1_,comdat
	.protected	_ZN7rocprim17ROCPRIM_400000_NS6detail17trampoline_kernelINS0_14default_configENS1_25transform_config_selectorIsLb0EEEZNS1_14transform_implILb0ES3_S5_NS0_18transform_iteratorINS0_17counting_iteratorImlEEZNS1_24adjacent_difference_implIS3_Lb1ELb0EPsN6thrust23THRUST_200600_302600_NS16discard_iteratorINSD_11use_defaultEEENSD_5minusIsEEEE10hipError_tPvRmT2_T3_mT4_P12ihipStream_tbEUlmE_sEESB_NS0_8identityIvEEEESJ_SM_SN_mSO_SQ_bEUlT_E_NS1_11comp_targetILNS1_3genE10ELNS1_11target_archE1200ELNS1_3gpuE4ELNS1_3repE0EEENS1_30default_config_static_selectorELNS0_4arch9wavefront6targetE1EEEvT1_ ; -- Begin function _ZN7rocprim17ROCPRIM_400000_NS6detail17trampoline_kernelINS0_14default_configENS1_25transform_config_selectorIsLb0EEEZNS1_14transform_implILb0ES3_S5_NS0_18transform_iteratorINS0_17counting_iteratorImlEEZNS1_24adjacent_difference_implIS3_Lb1ELb0EPsN6thrust23THRUST_200600_302600_NS16discard_iteratorINSD_11use_defaultEEENSD_5minusIsEEEE10hipError_tPvRmT2_T3_mT4_P12ihipStream_tbEUlmE_sEESB_NS0_8identityIvEEEESJ_SM_SN_mSO_SQ_bEUlT_E_NS1_11comp_targetILNS1_3genE10ELNS1_11target_archE1200ELNS1_3gpuE4ELNS1_3repE0EEENS1_30default_config_static_selectorELNS0_4arch9wavefront6targetE1EEEvT1_
	.globl	_ZN7rocprim17ROCPRIM_400000_NS6detail17trampoline_kernelINS0_14default_configENS1_25transform_config_selectorIsLb0EEEZNS1_14transform_implILb0ES3_S5_NS0_18transform_iteratorINS0_17counting_iteratorImlEEZNS1_24adjacent_difference_implIS3_Lb1ELb0EPsN6thrust23THRUST_200600_302600_NS16discard_iteratorINSD_11use_defaultEEENSD_5minusIsEEEE10hipError_tPvRmT2_T3_mT4_P12ihipStream_tbEUlmE_sEESB_NS0_8identityIvEEEESJ_SM_SN_mSO_SQ_bEUlT_E_NS1_11comp_targetILNS1_3genE10ELNS1_11target_archE1200ELNS1_3gpuE4ELNS1_3repE0EEENS1_30default_config_static_selectorELNS0_4arch9wavefront6targetE1EEEvT1_
	.p2align	8
	.type	_ZN7rocprim17ROCPRIM_400000_NS6detail17trampoline_kernelINS0_14default_configENS1_25transform_config_selectorIsLb0EEEZNS1_14transform_implILb0ES3_S5_NS0_18transform_iteratorINS0_17counting_iteratorImlEEZNS1_24adjacent_difference_implIS3_Lb1ELb0EPsN6thrust23THRUST_200600_302600_NS16discard_iteratorINSD_11use_defaultEEENSD_5minusIsEEEE10hipError_tPvRmT2_T3_mT4_P12ihipStream_tbEUlmE_sEESB_NS0_8identityIvEEEESJ_SM_SN_mSO_SQ_bEUlT_E_NS1_11comp_targetILNS1_3genE10ELNS1_11target_archE1200ELNS1_3gpuE4ELNS1_3repE0EEENS1_30default_config_static_selectorELNS0_4arch9wavefront6targetE1EEEvT1_,@function
_ZN7rocprim17ROCPRIM_400000_NS6detail17trampoline_kernelINS0_14default_configENS1_25transform_config_selectorIsLb0EEEZNS1_14transform_implILb0ES3_S5_NS0_18transform_iteratorINS0_17counting_iteratorImlEEZNS1_24adjacent_difference_implIS3_Lb1ELb0EPsN6thrust23THRUST_200600_302600_NS16discard_iteratorINSD_11use_defaultEEENSD_5minusIsEEEE10hipError_tPvRmT2_T3_mT4_P12ihipStream_tbEUlmE_sEESB_NS0_8identityIvEEEESJ_SM_SN_mSO_SQ_bEUlT_E_NS1_11comp_targetILNS1_3genE10ELNS1_11target_archE1200ELNS1_3gpuE4ELNS1_3repE0EEENS1_30default_config_static_selectorELNS0_4arch9wavefront6targetE1EEEvT1_: ; @_ZN7rocprim17ROCPRIM_400000_NS6detail17trampoline_kernelINS0_14default_configENS1_25transform_config_selectorIsLb0EEEZNS1_14transform_implILb0ES3_S5_NS0_18transform_iteratorINS0_17counting_iteratorImlEEZNS1_24adjacent_difference_implIS3_Lb1ELb0EPsN6thrust23THRUST_200600_302600_NS16discard_iteratorINSD_11use_defaultEEENSD_5minusIsEEEE10hipError_tPvRmT2_T3_mT4_P12ihipStream_tbEUlmE_sEESB_NS0_8identityIvEEEESJ_SM_SN_mSO_SQ_bEUlT_E_NS1_11comp_targetILNS1_3genE10ELNS1_11target_archE1200ELNS1_3gpuE4ELNS1_3repE0EEENS1_30default_config_static_selectorELNS0_4arch9wavefront6targetE1EEEvT1_
; %bb.0:
	.section	.rodata,"a",@progbits
	.p2align	6, 0x0
	.amdhsa_kernel _ZN7rocprim17ROCPRIM_400000_NS6detail17trampoline_kernelINS0_14default_configENS1_25transform_config_selectorIsLb0EEEZNS1_14transform_implILb0ES3_S5_NS0_18transform_iteratorINS0_17counting_iteratorImlEEZNS1_24adjacent_difference_implIS3_Lb1ELb0EPsN6thrust23THRUST_200600_302600_NS16discard_iteratorINSD_11use_defaultEEENSD_5minusIsEEEE10hipError_tPvRmT2_T3_mT4_P12ihipStream_tbEUlmE_sEESB_NS0_8identityIvEEEESJ_SM_SN_mSO_SQ_bEUlT_E_NS1_11comp_targetILNS1_3genE10ELNS1_11target_archE1200ELNS1_3gpuE4ELNS1_3repE0EEENS1_30default_config_static_selectorELNS0_4arch9wavefront6targetE1EEEvT1_
		.amdhsa_group_segment_fixed_size 0
		.amdhsa_private_segment_fixed_size 0
		.amdhsa_kernarg_size 56
		.amdhsa_user_sgpr_count 6
		.amdhsa_user_sgpr_private_segment_buffer 1
		.amdhsa_user_sgpr_dispatch_ptr 0
		.amdhsa_user_sgpr_queue_ptr 0
		.amdhsa_user_sgpr_kernarg_segment_ptr 1
		.amdhsa_user_sgpr_dispatch_id 0
		.amdhsa_user_sgpr_flat_scratch_init 0
		.amdhsa_user_sgpr_private_segment_size 0
		.amdhsa_uses_dynamic_stack 0
		.amdhsa_system_sgpr_private_segment_wavefront_offset 0
		.amdhsa_system_sgpr_workgroup_id_x 1
		.amdhsa_system_sgpr_workgroup_id_y 0
		.amdhsa_system_sgpr_workgroup_id_z 0
		.amdhsa_system_sgpr_workgroup_info 0
		.amdhsa_system_vgpr_workitem_id 0
		.amdhsa_next_free_vgpr 1
		.amdhsa_next_free_sgpr 0
		.amdhsa_reserve_vcc 0
		.amdhsa_reserve_flat_scratch 0
		.amdhsa_float_round_mode_32 0
		.amdhsa_float_round_mode_16_64 0
		.amdhsa_float_denorm_mode_32 3
		.amdhsa_float_denorm_mode_16_64 3
		.amdhsa_dx10_clamp 1
		.amdhsa_ieee_mode 1
		.amdhsa_fp16_overflow 0
		.amdhsa_exception_fp_ieee_invalid_op 0
		.amdhsa_exception_fp_denorm_src 0
		.amdhsa_exception_fp_ieee_div_zero 0
		.amdhsa_exception_fp_ieee_overflow 0
		.amdhsa_exception_fp_ieee_underflow 0
		.amdhsa_exception_fp_ieee_inexact 0
		.amdhsa_exception_int_div_zero 0
	.end_amdhsa_kernel
	.section	.text._ZN7rocprim17ROCPRIM_400000_NS6detail17trampoline_kernelINS0_14default_configENS1_25transform_config_selectorIsLb0EEEZNS1_14transform_implILb0ES3_S5_NS0_18transform_iteratorINS0_17counting_iteratorImlEEZNS1_24adjacent_difference_implIS3_Lb1ELb0EPsN6thrust23THRUST_200600_302600_NS16discard_iteratorINSD_11use_defaultEEENSD_5minusIsEEEE10hipError_tPvRmT2_T3_mT4_P12ihipStream_tbEUlmE_sEESB_NS0_8identityIvEEEESJ_SM_SN_mSO_SQ_bEUlT_E_NS1_11comp_targetILNS1_3genE10ELNS1_11target_archE1200ELNS1_3gpuE4ELNS1_3repE0EEENS1_30default_config_static_selectorELNS0_4arch9wavefront6targetE1EEEvT1_,"axG",@progbits,_ZN7rocprim17ROCPRIM_400000_NS6detail17trampoline_kernelINS0_14default_configENS1_25transform_config_selectorIsLb0EEEZNS1_14transform_implILb0ES3_S5_NS0_18transform_iteratorINS0_17counting_iteratorImlEEZNS1_24adjacent_difference_implIS3_Lb1ELb0EPsN6thrust23THRUST_200600_302600_NS16discard_iteratorINSD_11use_defaultEEENSD_5minusIsEEEE10hipError_tPvRmT2_T3_mT4_P12ihipStream_tbEUlmE_sEESB_NS0_8identityIvEEEESJ_SM_SN_mSO_SQ_bEUlT_E_NS1_11comp_targetILNS1_3genE10ELNS1_11target_archE1200ELNS1_3gpuE4ELNS1_3repE0EEENS1_30default_config_static_selectorELNS0_4arch9wavefront6targetE1EEEvT1_,comdat
.Lfunc_end898:
	.size	_ZN7rocprim17ROCPRIM_400000_NS6detail17trampoline_kernelINS0_14default_configENS1_25transform_config_selectorIsLb0EEEZNS1_14transform_implILb0ES3_S5_NS0_18transform_iteratorINS0_17counting_iteratorImlEEZNS1_24adjacent_difference_implIS3_Lb1ELb0EPsN6thrust23THRUST_200600_302600_NS16discard_iteratorINSD_11use_defaultEEENSD_5minusIsEEEE10hipError_tPvRmT2_T3_mT4_P12ihipStream_tbEUlmE_sEESB_NS0_8identityIvEEEESJ_SM_SN_mSO_SQ_bEUlT_E_NS1_11comp_targetILNS1_3genE10ELNS1_11target_archE1200ELNS1_3gpuE4ELNS1_3repE0EEENS1_30default_config_static_selectorELNS0_4arch9wavefront6targetE1EEEvT1_, .Lfunc_end898-_ZN7rocprim17ROCPRIM_400000_NS6detail17trampoline_kernelINS0_14default_configENS1_25transform_config_selectorIsLb0EEEZNS1_14transform_implILb0ES3_S5_NS0_18transform_iteratorINS0_17counting_iteratorImlEEZNS1_24adjacent_difference_implIS3_Lb1ELb0EPsN6thrust23THRUST_200600_302600_NS16discard_iteratorINSD_11use_defaultEEENSD_5minusIsEEEE10hipError_tPvRmT2_T3_mT4_P12ihipStream_tbEUlmE_sEESB_NS0_8identityIvEEEESJ_SM_SN_mSO_SQ_bEUlT_E_NS1_11comp_targetILNS1_3genE10ELNS1_11target_archE1200ELNS1_3gpuE4ELNS1_3repE0EEENS1_30default_config_static_selectorELNS0_4arch9wavefront6targetE1EEEvT1_
                                        ; -- End function
	.set _ZN7rocprim17ROCPRIM_400000_NS6detail17trampoline_kernelINS0_14default_configENS1_25transform_config_selectorIsLb0EEEZNS1_14transform_implILb0ES3_S5_NS0_18transform_iteratorINS0_17counting_iteratorImlEEZNS1_24adjacent_difference_implIS3_Lb1ELb0EPsN6thrust23THRUST_200600_302600_NS16discard_iteratorINSD_11use_defaultEEENSD_5minusIsEEEE10hipError_tPvRmT2_T3_mT4_P12ihipStream_tbEUlmE_sEESB_NS0_8identityIvEEEESJ_SM_SN_mSO_SQ_bEUlT_E_NS1_11comp_targetILNS1_3genE10ELNS1_11target_archE1200ELNS1_3gpuE4ELNS1_3repE0EEENS1_30default_config_static_selectorELNS0_4arch9wavefront6targetE1EEEvT1_.num_vgpr, 0
	.set _ZN7rocprim17ROCPRIM_400000_NS6detail17trampoline_kernelINS0_14default_configENS1_25transform_config_selectorIsLb0EEEZNS1_14transform_implILb0ES3_S5_NS0_18transform_iteratorINS0_17counting_iteratorImlEEZNS1_24adjacent_difference_implIS3_Lb1ELb0EPsN6thrust23THRUST_200600_302600_NS16discard_iteratorINSD_11use_defaultEEENSD_5minusIsEEEE10hipError_tPvRmT2_T3_mT4_P12ihipStream_tbEUlmE_sEESB_NS0_8identityIvEEEESJ_SM_SN_mSO_SQ_bEUlT_E_NS1_11comp_targetILNS1_3genE10ELNS1_11target_archE1200ELNS1_3gpuE4ELNS1_3repE0EEENS1_30default_config_static_selectorELNS0_4arch9wavefront6targetE1EEEvT1_.num_agpr, 0
	.set _ZN7rocprim17ROCPRIM_400000_NS6detail17trampoline_kernelINS0_14default_configENS1_25transform_config_selectorIsLb0EEEZNS1_14transform_implILb0ES3_S5_NS0_18transform_iteratorINS0_17counting_iteratorImlEEZNS1_24adjacent_difference_implIS3_Lb1ELb0EPsN6thrust23THRUST_200600_302600_NS16discard_iteratorINSD_11use_defaultEEENSD_5minusIsEEEE10hipError_tPvRmT2_T3_mT4_P12ihipStream_tbEUlmE_sEESB_NS0_8identityIvEEEESJ_SM_SN_mSO_SQ_bEUlT_E_NS1_11comp_targetILNS1_3genE10ELNS1_11target_archE1200ELNS1_3gpuE4ELNS1_3repE0EEENS1_30default_config_static_selectorELNS0_4arch9wavefront6targetE1EEEvT1_.numbered_sgpr, 0
	.set _ZN7rocprim17ROCPRIM_400000_NS6detail17trampoline_kernelINS0_14default_configENS1_25transform_config_selectorIsLb0EEEZNS1_14transform_implILb0ES3_S5_NS0_18transform_iteratorINS0_17counting_iteratorImlEEZNS1_24adjacent_difference_implIS3_Lb1ELb0EPsN6thrust23THRUST_200600_302600_NS16discard_iteratorINSD_11use_defaultEEENSD_5minusIsEEEE10hipError_tPvRmT2_T3_mT4_P12ihipStream_tbEUlmE_sEESB_NS0_8identityIvEEEESJ_SM_SN_mSO_SQ_bEUlT_E_NS1_11comp_targetILNS1_3genE10ELNS1_11target_archE1200ELNS1_3gpuE4ELNS1_3repE0EEENS1_30default_config_static_selectorELNS0_4arch9wavefront6targetE1EEEvT1_.num_named_barrier, 0
	.set _ZN7rocprim17ROCPRIM_400000_NS6detail17trampoline_kernelINS0_14default_configENS1_25transform_config_selectorIsLb0EEEZNS1_14transform_implILb0ES3_S5_NS0_18transform_iteratorINS0_17counting_iteratorImlEEZNS1_24adjacent_difference_implIS3_Lb1ELb0EPsN6thrust23THRUST_200600_302600_NS16discard_iteratorINSD_11use_defaultEEENSD_5minusIsEEEE10hipError_tPvRmT2_T3_mT4_P12ihipStream_tbEUlmE_sEESB_NS0_8identityIvEEEESJ_SM_SN_mSO_SQ_bEUlT_E_NS1_11comp_targetILNS1_3genE10ELNS1_11target_archE1200ELNS1_3gpuE4ELNS1_3repE0EEENS1_30default_config_static_selectorELNS0_4arch9wavefront6targetE1EEEvT1_.private_seg_size, 0
	.set _ZN7rocprim17ROCPRIM_400000_NS6detail17trampoline_kernelINS0_14default_configENS1_25transform_config_selectorIsLb0EEEZNS1_14transform_implILb0ES3_S5_NS0_18transform_iteratorINS0_17counting_iteratorImlEEZNS1_24adjacent_difference_implIS3_Lb1ELb0EPsN6thrust23THRUST_200600_302600_NS16discard_iteratorINSD_11use_defaultEEENSD_5minusIsEEEE10hipError_tPvRmT2_T3_mT4_P12ihipStream_tbEUlmE_sEESB_NS0_8identityIvEEEESJ_SM_SN_mSO_SQ_bEUlT_E_NS1_11comp_targetILNS1_3genE10ELNS1_11target_archE1200ELNS1_3gpuE4ELNS1_3repE0EEENS1_30default_config_static_selectorELNS0_4arch9wavefront6targetE1EEEvT1_.uses_vcc, 0
	.set _ZN7rocprim17ROCPRIM_400000_NS6detail17trampoline_kernelINS0_14default_configENS1_25transform_config_selectorIsLb0EEEZNS1_14transform_implILb0ES3_S5_NS0_18transform_iteratorINS0_17counting_iteratorImlEEZNS1_24adjacent_difference_implIS3_Lb1ELb0EPsN6thrust23THRUST_200600_302600_NS16discard_iteratorINSD_11use_defaultEEENSD_5minusIsEEEE10hipError_tPvRmT2_T3_mT4_P12ihipStream_tbEUlmE_sEESB_NS0_8identityIvEEEESJ_SM_SN_mSO_SQ_bEUlT_E_NS1_11comp_targetILNS1_3genE10ELNS1_11target_archE1200ELNS1_3gpuE4ELNS1_3repE0EEENS1_30default_config_static_selectorELNS0_4arch9wavefront6targetE1EEEvT1_.uses_flat_scratch, 0
	.set _ZN7rocprim17ROCPRIM_400000_NS6detail17trampoline_kernelINS0_14default_configENS1_25transform_config_selectorIsLb0EEEZNS1_14transform_implILb0ES3_S5_NS0_18transform_iteratorINS0_17counting_iteratorImlEEZNS1_24adjacent_difference_implIS3_Lb1ELb0EPsN6thrust23THRUST_200600_302600_NS16discard_iteratorINSD_11use_defaultEEENSD_5minusIsEEEE10hipError_tPvRmT2_T3_mT4_P12ihipStream_tbEUlmE_sEESB_NS0_8identityIvEEEESJ_SM_SN_mSO_SQ_bEUlT_E_NS1_11comp_targetILNS1_3genE10ELNS1_11target_archE1200ELNS1_3gpuE4ELNS1_3repE0EEENS1_30default_config_static_selectorELNS0_4arch9wavefront6targetE1EEEvT1_.has_dyn_sized_stack, 0
	.set _ZN7rocprim17ROCPRIM_400000_NS6detail17trampoline_kernelINS0_14default_configENS1_25transform_config_selectorIsLb0EEEZNS1_14transform_implILb0ES3_S5_NS0_18transform_iteratorINS0_17counting_iteratorImlEEZNS1_24adjacent_difference_implIS3_Lb1ELb0EPsN6thrust23THRUST_200600_302600_NS16discard_iteratorINSD_11use_defaultEEENSD_5minusIsEEEE10hipError_tPvRmT2_T3_mT4_P12ihipStream_tbEUlmE_sEESB_NS0_8identityIvEEEESJ_SM_SN_mSO_SQ_bEUlT_E_NS1_11comp_targetILNS1_3genE10ELNS1_11target_archE1200ELNS1_3gpuE4ELNS1_3repE0EEENS1_30default_config_static_selectorELNS0_4arch9wavefront6targetE1EEEvT1_.has_recursion, 0
	.set _ZN7rocprim17ROCPRIM_400000_NS6detail17trampoline_kernelINS0_14default_configENS1_25transform_config_selectorIsLb0EEEZNS1_14transform_implILb0ES3_S5_NS0_18transform_iteratorINS0_17counting_iteratorImlEEZNS1_24adjacent_difference_implIS3_Lb1ELb0EPsN6thrust23THRUST_200600_302600_NS16discard_iteratorINSD_11use_defaultEEENSD_5minusIsEEEE10hipError_tPvRmT2_T3_mT4_P12ihipStream_tbEUlmE_sEESB_NS0_8identityIvEEEESJ_SM_SN_mSO_SQ_bEUlT_E_NS1_11comp_targetILNS1_3genE10ELNS1_11target_archE1200ELNS1_3gpuE4ELNS1_3repE0EEENS1_30default_config_static_selectorELNS0_4arch9wavefront6targetE1EEEvT1_.has_indirect_call, 0
	.section	.AMDGPU.csdata,"",@progbits
; Kernel info:
; codeLenInByte = 0
; TotalNumSgprs: 4
; NumVgprs: 0
; ScratchSize: 0
; MemoryBound: 0
; FloatMode: 240
; IeeeMode: 1
; LDSByteSize: 0 bytes/workgroup (compile time only)
; SGPRBlocks: 0
; VGPRBlocks: 0
; NumSGPRsForWavesPerEU: 4
; NumVGPRsForWavesPerEU: 1
; Occupancy: 10
; WaveLimiterHint : 0
; COMPUTE_PGM_RSRC2:SCRATCH_EN: 0
; COMPUTE_PGM_RSRC2:USER_SGPR: 6
; COMPUTE_PGM_RSRC2:TRAP_HANDLER: 0
; COMPUTE_PGM_RSRC2:TGID_X_EN: 1
; COMPUTE_PGM_RSRC2:TGID_Y_EN: 0
; COMPUTE_PGM_RSRC2:TGID_Z_EN: 0
; COMPUTE_PGM_RSRC2:TIDIG_COMP_CNT: 0
	.section	.text._ZN7rocprim17ROCPRIM_400000_NS6detail17trampoline_kernelINS0_14default_configENS1_25transform_config_selectorIsLb0EEEZNS1_14transform_implILb0ES3_S5_NS0_18transform_iteratorINS0_17counting_iteratorImlEEZNS1_24adjacent_difference_implIS3_Lb1ELb0EPsN6thrust23THRUST_200600_302600_NS16discard_iteratorINSD_11use_defaultEEENSD_5minusIsEEEE10hipError_tPvRmT2_T3_mT4_P12ihipStream_tbEUlmE_sEESB_NS0_8identityIvEEEESJ_SM_SN_mSO_SQ_bEUlT_E_NS1_11comp_targetILNS1_3genE9ELNS1_11target_archE1100ELNS1_3gpuE3ELNS1_3repE0EEENS1_30default_config_static_selectorELNS0_4arch9wavefront6targetE1EEEvT1_,"axG",@progbits,_ZN7rocprim17ROCPRIM_400000_NS6detail17trampoline_kernelINS0_14default_configENS1_25transform_config_selectorIsLb0EEEZNS1_14transform_implILb0ES3_S5_NS0_18transform_iteratorINS0_17counting_iteratorImlEEZNS1_24adjacent_difference_implIS3_Lb1ELb0EPsN6thrust23THRUST_200600_302600_NS16discard_iteratorINSD_11use_defaultEEENSD_5minusIsEEEE10hipError_tPvRmT2_T3_mT4_P12ihipStream_tbEUlmE_sEESB_NS0_8identityIvEEEESJ_SM_SN_mSO_SQ_bEUlT_E_NS1_11comp_targetILNS1_3genE9ELNS1_11target_archE1100ELNS1_3gpuE3ELNS1_3repE0EEENS1_30default_config_static_selectorELNS0_4arch9wavefront6targetE1EEEvT1_,comdat
	.protected	_ZN7rocprim17ROCPRIM_400000_NS6detail17trampoline_kernelINS0_14default_configENS1_25transform_config_selectorIsLb0EEEZNS1_14transform_implILb0ES3_S5_NS0_18transform_iteratorINS0_17counting_iteratorImlEEZNS1_24adjacent_difference_implIS3_Lb1ELb0EPsN6thrust23THRUST_200600_302600_NS16discard_iteratorINSD_11use_defaultEEENSD_5minusIsEEEE10hipError_tPvRmT2_T3_mT4_P12ihipStream_tbEUlmE_sEESB_NS0_8identityIvEEEESJ_SM_SN_mSO_SQ_bEUlT_E_NS1_11comp_targetILNS1_3genE9ELNS1_11target_archE1100ELNS1_3gpuE3ELNS1_3repE0EEENS1_30default_config_static_selectorELNS0_4arch9wavefront6targetE1EEEvT1_ ; -- Begin function _ZN7rocprim17ROCPRIM_400000_NS6detail17trampoline_kernelINS0_14default_configENS1_25transform_config_selectorIsLb0EEEZNS1_14transform_implILb0ES3_S5_NS0_18transform_iteratorINS0_17counting_iteratorImlEEZNS1_24adjacent_difference_implIS3_Lb1ELb0EPsN6thrust23THRUST_200600_302600_NS16discard_iteratorINSD_11use_defaultEEENSD_5minusIsEEEE10hipError_tPvRmT2_T3_mT4_P12ihipStream_tbEUlmE_sEESB_NS0_8identityIvEEEESJ_SM_SN_mSO_SQ_bEUlT_E_NS1_11comp_targetILNS1_3genE9ELNS1_11target_archE1100ELNS1_3gpuE3ELNS1_3repE0EEENS1_30default_config_static_selectorELNS0_4arch9wavefront6targetE1EEEvT1_
	.globl	_ZN7rocprim17ROCPRIM_400000_NS6detail17trampoline_kernelINS0_14default_configENS1_25transform_config_selectorIsLb0EEEZNS1_14transform_implILb0ES3_S5_NS0_18transform_iteratorINS0_17counting_iteratorImlEEZNS1_24adjacent_difference_implIS3_Lb1ELb0EPsN6thrust23THRUST_200600_302600_NS16discard_iteratorINSD_11use_defaultEEENSD_5minusIsEEEE10hipError_tPvRmT2_T3_mT4_P12ihipStream_tbEUlmE_sEESB_NS0_8identityIvEEEESJ_SM_SN_mSO_SQ_bEUlT_E_NS1_11comp_targetILNS1_3genE9ELNS1_11target_archE1100ELNS1_3gpuE3ELNS1_3repE0EEENS1_30default_config_static_selectorELNS0_4arch9wavefront6targetE1EEEvT1_
	.p2align	8
	.type	_ZN7rocprim17ROCPRIM_400000_NS6detail17trampoline_kernelINS0_14default_configENS1_25transform_config_selectorIsLb0EEEZNS1_14transform_implILb0ES3_S5_NS0_18transform_iteratorINS0_17counting_iteratorImlEEZNS1_24adjacent_difference_implIS3_Lb1ELb0EPsN6thrust23THRUST_200600_302600_NS16discard_iteratorINSD_11use_defaultEEENSD_5minusIsEEEE10hipError_tPvRmT2_T3_mT4_P12ihipStream_tbEUlmE_sEESB_NS0_8identityIvEEEESJ_SM_SN_mSO_SQ_bEUlT_E_NS1_11comp_targetILNS1_3genE9ELNS1_11target_archE1100ELNS1_3gpuE3ELNS1_3repE0EEENS1_30default_config_static_selectorELNS0_4arch9wavefront6targetE1EEEvT1_,@function
_ZN7rocprim17ROCPRIM_400000_NS6detail17trampoline_kernelINS0_14default_configENS1_25transform_config_selectorIsLb0EEEZNS1_14transform_implILb0ES3_S5_NS0_18transform_iteratorINS0_17counting_iteratorImlEEZNS1_24adjacent_difference_implIS3_Lb1ELb0EPsN6thrust23THRUST_200600_302600_NS16discard_iteratorINSD_11use_defaultEEENSD_5minusIsEEEE10hipError_tPvRmT2_T3_mT4_P12ihipStream_tbEUlmE_sEESB_NS0_8identityIvEEEESJ_SM_SN_mSO_SQ_bEUlT_E_NS1_11comp_targetILNS1_3genE9ELNS1_11target_archE1100ELNS1_3gpuE3ELNS1_3repE0EEENS1_30default_config_static_selectorELNS0_4arch9wavefront6targetE1EEEvT1_: ; @_ZN7rocprim17ROCPRIM_400000_NS6detail17trampoline_kernelINS0_14default_configENS1_25transform_config_selectorIsLb0EEEZNS1_14transform_implILb0ES3_S5_NS0_18transform_iteratorINS0_17counting_iteratorImlEEZNS1_24adjacent_difference_implIS3_Lb1ELb0EPsN6thrust23THRUST_200600_302600_NS16discard_iteratorINSD_11use_defaultEEENSD_5minusIsEEEE10hipError_tPvRmT2_T3_mT4_P12ihipStream_tbEUlmE_sEESB_NS0_8identityIvEEEESJ_SM_SN_mSO_SQ_bEUlT_E_NS1_11comp_targetILNS1_3genE9ELNS1_11target_archE1100ELNS1_3gpuE3ELNS1_3repE0EEENS1_30default_config_static_selectorELNS0_4arch9wavefront6targetE1EEEvT1_
; %bb.0:
	.section	.rodata,"a",@progbits
	.p2align	6, 0x0
	.amdhsa_kernel _ZN7rocprim17ROCPRIM_400000_NS6detail17trampoline_kernelINS0_14default_configENS1_25transform_config_selectorIsLb0EEEZNS1_14transform_implILb0ES3_S5_NS0_18transform_iteratorINS0_17counting_iteratorImlEEZNS1_24adjacent_difference_implIS3_Lb1ELb0EPsN6thrust23THRUST_200600_302600_NS16discard_iteratorINSD_11use_defaultEEENSD_5minusIsEEEE10hipError_tPvRmT2_T3_mT4_P12ihipStream_tbEUlmE_sEESB_NS0_8identityIvEEEESJ_SM_SN_mSO_SQ_bEUlT_E_NS1_11comp_targetILNS1_3genE9ELNS1_11target_archE1100ELNS1_3gpuE3ELNS1_3repE0EEENS1_30default_config_static_selectorELNS0_4arch9wavefront6targetE1EEEvT1_
		.amdhsa_group_segment_fixed_size 0
		.amdhsa_private_segment_fixed_size 0
		.amdhsa_kernarg_size 56
		.amdhsa_user_sgpr_count 6
		.amdhsa_user_sgpr_private_segment_buffer 1
		.amdhsa_user_sgpr_dispatch_ptr 0
		.amdhsa_user_sgpr_queue_ptr 0
		.amdhsa_user_sgpr_kernarg_segment_ptr 1
		.amdhsa_user_sgpr_dispatch_id 0
		.amdhsa_user_sgpr_flat_scratch_init 0
		.amdhsa_user_sgpr_private_segment_size 0
		.amdhsa_uses_dynamic_stack 0
		.amdhsa_system_sgpr_private_segment_wavefront_offset 0
		.amdhsa_system_sgpr_workgroup_id_x 1
		.amdhsa_system_sgpr_workgroup_id_y 0
		.amdhsa_system_sgpr_workgroup_id_z 0
		.amdhsa_system_sgpr_workgroup_info 0
		.amdhsa_system_vgpr_workitem_id 0
		.amdhsa_next_free_vgpr 1
		.amdhsa_next_free_sgpr 0
		.amdhsa_reserve_vcc 0
		.amdhsa_reserve_flat_scratch 0
		.amdhsa_float_round_mode_32 0
		.amdhsa_float_round_mode_16_64 0
		.amdhsa_float_denorm_mode_32 3
		.amdhsa_float_denorm_mode_16_64 3
		.amdhsa_dx10_clamp 1
		.amdhsa_ieee_mode 1
		.amdhsa_fp16_overflow 0
		.amdhsa_exception_fp_ieee_invalid_op 0
		.amdhsa_exception_fp_denorm_src 0
		.amdhsa_exception_fp_ieee_div_zero 0
		.amdhsa_exception_fp_ieee_overflow 0
		.amdhsa_exception_fp_ieee_underflow 0
		.amdhsa_exception_fp_ieee_inexact 0
		.amdhsa_exception_int_div_zero 0
	.end_amdhsa_kernel
	.section	.text._ZN7rocprim17ROCPRIM_400000_NS6detail17trampoline_kernelINS0_14default_configENS1_25transform_config_selectorIsLb0EEEZNS1_14transform_implILb0ES3_S5_NS0_18transform_iteratorINS0_17counting_iteratorImlEEZNS1_24adjacent_difference_implIS3_Lb1ELb0EPsN6thrust23THRUST_200600_302600_NS16discard_iteratorINSD_11use_defaultEEENSD_5minusIsEEEE10hipError_tPvRmT2_T3_mT4_P12ihipStream_tbEUlmE_sEESB_NS0_8identityIvEEEESJ_SM_SN_mSO_SQ_bEUlT_E_NS1_11comp_targetILNS1_3genE9ELNS1_11target_archE1100ELNS1_3gpuE3ELNS1_3repE0EEENS1_30default_config_static_selectorELNS0_4arch9wavefront6targetE1EEEvT1_,"axG",@progbits,_ZN7rocprim17ROCPRIM_400000_NS6detail17trampoline_kernelINS0_14default_configENS1_25transform_config_selectorIsLb0EEEZNS1_14transform_implILb0ES3_S5_NS0_18transform_iteratorINS0_17counting_iteratorImlEEZNS1_24adjacent_difference_implIS3_Lb1ELb0EPsN6thrust23THRUST_200600_302600_NS16discard_iteratorINSD_11use_defaultEEENSD_5minusIsEEEE10hipError_tPvRmT2_T3_mT4_P12ihipStream_tbEUlmE_sEESB_NS0_8identityIvEEEESJ_SM_SN_mSO_SQ_bEUlT_E_NS1_11comp_targetILNS1_3genE9ELNS1_11target_archE1100ELNS1_3gpuE3ELNS1_3repE0EEENS1_30default_config_static_selectorELNS0_4arch9wavefront6targetE1EEEvT1_,comdat
.Lfunc_end899:
	.size	_ZN7rocprim17ROCPRIM_400000_NS6detail17trampoline_kernelINS0_14default_configENS1_25transform_config_selectorIsLb0EEEZNS1_14transform_implILb0ES3_S5_NS0_18transform_iteratorINS0_17counting_iteratorImlEEZNS1_24adjacent_difference_implIS3_Lb1ELb0EPsN6thrust23THRUST_200600_302600_NS16discard_iteratorINSD_11use_defaultEEENSD_5minusIsEEEE10hipError_tPvRmT2_T3_mT4_P12ihipStream_tbEUlmE_sEESB_NS0_8identityIvEEEESJ_SM_SN_mSO_SQ_bEUlT_E_NS1_11comp_targetILNS1_3genE9ELNS1_11target_archE1100ELNS1_3gpuE3ELNS1_3repE0EEENS1_30default_config_static_selectorELNS0_4arch9wavefront6targetE1EEEvT1_, .Lfunc_end899-_ZN7rocprim17ROCPRIM_400000_NS6detail17trampoline_kernelINS0_14default_configENS1_25transform_config_selectorIsLb0EEEZNS1_14transform_implILb0ES3_S5_NS0_18transform_iteratorINS0_17counting_iteratorImlEEZNS1_24adjacent_difference_implIS3_Lb1ELb0EPsN6thrust23THRUST_200600_302600_NS16discard_iteratorINSD_11use_defaultEEENSD_5minusIsEEEE10hipError_tPvRmT2_T3_mT4_P12ihipStream_tbEUlmE_sEESB_NS0_8identityIvEEEESJ_SM_SN_mSO_SQ_bEUlT_E_NS1_11comp_targetILNS1_3genE9ELNS1_11target_archE1100ELNS1_3gpuE3ELNS1_3repE0EEENS1_30default_config_static_selectorELNS0_4arch9wavefront6targetE1EEEvT1_
                                        ; -- End function
	.set _ZN7rocprim17ROCPRIM_400000_NS6detail17trampoline_kernelINS0_14default_configENS1_25transform_config_selectorIsLb0EEEZNS1_14transform_implILb0ES3_S5_NS0_18transform_iteratorINS0_17counting_iteratorImlEEZNS1_24adjacent_difference_implIS3_Lb1ELb0EPsN6thrust23THRUST_200600_302600_NS16discard_iteratorINSD_11use_defaultEEENSD_5minusIsEEEE10hipError_tPvRmT2_T3_mT4_P12ihipStream_tbEUlmE_sEESB_NS0_8identityIvEEEESJ_SM_SN_mSO_SQ_bEUlT_E_NS1_11comp_targetILNS1_3genE9ELNS1_11target_archE1100ELNS1_3gpuE3ELNS1_3repE0EEENS1_30default_config_static_selectorELNS0_4arch9wavefront6targetE1EEEvT1_.num_vgpr, 0
	.set _ZN7rocprim17ROCPRIM_400000_NS6detail17trampoline_kernelINS0_14default_configENS1_25transform_config_selectorIsLb0EEEZNS1_14transform_implILb0ES3_S5_NS0_18transform_iteratorINS0_17counting_iteratorImlEEZNS1_24adjacent_difference_implIS3_Lb1ELb0EPsN6thrust23THRUST_200600_302600_NS16discard_iteratorINSD_11use_defaultEEENSD_5minusIsEEEE10hipError_tPvRmT2_T3_mT4_P12ihipStream_tbEUlmE_sEESB_NS0_8identityIvEEEESJ_SM_SN_mSO_SQ_bEUlT_E_NS1_11comp_targetILNS1_3genE9ELNS1_11target_archE1100ELNS1_3gpuE3ELNS1_3repE0EEENS1_30default_config_static_selectorELNS0_4arch9wavefront6targetE1EEEvT1_.num_agpr, 0
	.set _ZN7rocprim17ROCPRIM_400000_NS6detail17trampoline_kernelINS0_14default_configENS1_25transform_config_selectorIsLb0EEEZNS1_14transform_implILb0ES3_S5_NS0_18transform_iteratorINS0_17counting_iteratorImlEEZNS1_24adjacent_difference_implIS3_Lb1ELb0EPsN6thrust23THRUST_200600_302600_NS16discard_iteratorINSD_11use_defaultEEENSD_5minusIsEEEE10hipError_tPvRmT2_T3_mT4_P12ihipStream_tbEUlmE_sEESB_NS0_8identityIvEEEESJ_SM_SN_mSO_SQ_bEUlT_E_NS1_11comp_targetILNS1_3genE9ELNS1_11target_archE1100ELNS1_3gpuE3ELNS1_3repE0EEENS1_30default_config_static_selectorELNS0_4arch9wavefront6targetE1EEEvT1_.numbered_sgpr, 0
	.set _ZN7rocprim17ROCPRIM_400000_NS6detail17trampoline_kernelINS0_14default_configENS1_25transform_config_selectorIsLb0EEEZNS1_14transform_implILb0ES3_S5_NS0_18transform_iteratorINS0_17counting_iteratorImlEEZNS1_24adjacent_difference_implIS3_Lb1ELb0EPsN6thrust23THRUST_200600_302600_NS16discard_iteratorINSD_11use_defaultEEENSD_5minusIsEEEE10hipError_tPvRmT2_T3_mT4_P12ihipStream_tbEUlmE_sEESB_NS0_8identityIvEEEESJ_SM_SN_mSO_SQ_bEUlT_E_NS1_11comp_targetILNS1_3genE9ELNS1_11target_archE1100ELNS1_3gpuE3ELNS1_3repE0EEENS1_30default_config_static_selectorELNS0_4arch9wavefront6targetE1EEEvT1_.num_named_barrier, 0
	.set _ZN7rocprim17ROCPRIM_400000_NS6detail17trampoline_kernelINS0_14default_configENS1_25transform_config_selectorIsLb0EEEZNS1_14transform_implILb0ES3_S5_NS0_18transform_iteratorINS0_17counting_iteratorImlEEZNS1_24adjacent_difference_implIS3_Lb1ELb0EPsN6thrust23THRUST_200600_302600_NS16discard_iteratorINSD_11use_defaultEEENSD_5minusIsEEEE10hipError_tPvRmT2_T3_mT4_P12ihipStream_tbEUlmE_sEESB_NS0_8identityIvEEEESJ_SM_SN_mSO_SQ_bEUlT_E_NS1_11comp_targetILNS1_3genE9ELNS1_11target_archE1100ELNS1_3gpuE3ELNS1_3repE0EEENS1_30default_config_static_selectorELNS0_4arch9wavefront6targetE1EEEvT1_.private_seg_size, 0
	.set _ZN7rocprim17ROCPRIM_400000_NS6detail17trampoline_kernelINS0_14default_configENS1_25transform_config_selectorIsLb0EEEZNS1_14transform_implILb0ES3_S5_NS0_18transform_iteratorINS0_17counting_iteratorImlEEZNS1_24adjacent_difference_implIS3_Lb1ELb0EPsN6thrust23THRUST_200600_302600_NS16discard_iteratorINSD_11use_defaultEEENSD_5minusIsEEEE10hipError_tPvRmT2_T3_mT4_P12ihipStream_tbEUlmE_sEESB_NS0_8identityIvEEEESJ_SM_SN_mSO_SQ_bEUlT_E_NS1_11comp_targetILNS1_3genE9ELNS1_11target_archE1100ELNS1_3gpuE3ELNS1_3repE0EEENS1_30default_config_static_selectorELNS0_4arch9wavefront6targetE1EEEvT1_.uses_vcc, 0
	.set _ZN7rocprim17ROCPRIM_400000_NS6detail17trampoline_kernelINS0_14default_configENS1_25transform_config_selectorIsLb0EEEZNS1_14transform_implILb0ES3_S5_NS0_18transform_iteratorINS0_17counting_iteratorImlEEZNS1_24adjacent_difference_implIS3_Lb1ELb0EPsN6thrust23THRUST_200600_302600_NS16discard_iteratorINSD_11use_defaultEEENSD_5minusIsEEEE10hipError_tPvRmT2_T3_mT4_P12ihipStream_tbEUlmE_sEESB_NS0_8identityIvEEEESJ_SM_SN_mSO_SQ_bEUlT_E_NS1_11comp_targetILNS1_3genE9ELNS1_11target_archE1100ELNS1_3gpuE3ELNS1_3repE0EEENS1_30default_config_static_selectorELNS0_4arch9wavefront6targetE1EEEvT1_.uses_flat_scratch, 0
	.set _ZN7rocprim17ROCPRIM_400000_NS6detail17trampoline_kernelINS0_14default_configENS1_25transform_config_selectorIsLb0EEEZNS1_14transform_implILb0ES3_S5_NS0_18transform_iteratorINS0_17counting_iteratorImlEEZNS1_24adjacent_difference_implIS3_Lb1ELb0EPsN6thrust23THRUST_200600_302600_NS16discard_iteratorINSD_11use_defaultEEENSD_5minusIsEEEE10hipError_tPvRmT2_T3_mT4_P12ihipStream_tbEUlmE_sEESB_NS0_8identityIvEEEESJ_SM_SN_mSO_SQ_bEUlT_E_NS1_11comp_targetILNS1_3genE9ELNS1_11target_archE1100ELNS1_3gpuE3ELNS1_3repE0EEENS1_30default_config_static_selectorELNS0_4arch9wavefront6targetE1EEEvT1_.has_dyn_sized_stack, 0
	.set _ZN7rocprim17ROCPRIM_400000_NS6detail17trampoline_kernelINS0_14default_configENS1_25transform_config_selectorIsLb0EEEZNS1_14transform_implILb0ES3_S5_NS0_18transform_iteratorINS0_17counting_iteratorImlEEZNS1_24adjacent_difference_implIS3_Lb1ELb0EPsN6thrust23THRUST_200600_302600_NS16discard_iteratorINSD_11use_defaultEEENSD_5minusIsEEEE10hipError_tPvRmT2_T3_mT4_P12ihipStream_tbEUlmE_sEESB_NS0_8identityIvEEEESJ_SM_SN_mSO_SQ_bEUlT_E_NS1_11comp_targetILNS1_3genE9ELNS1_11target_archE1100ELNS1_3gpuE3ELNS1_3repE0EEENS1_30default_config_static_selectorELNS0_4arch9wavefront6targetE1EEEvT1_.has_recursion, 0
	.set _ZN7rocprim17ROCPRIM_400000_NS6detail17trampoline_kernelINS0_14default_configENS1_25transform_config_selectorIsLb0EEEZNS1_14transform_implILb0ES3_S5_NS0_18transform_iteratorINS0_17counting_iteratorImlEEZNS1_24adjacent_difference_implIS3_Lb1ELb0EPsN6thrust23THRUST_200600_302600_NS16discard_iteratorINSD_11use_defaultEEENSD_5minusIsEEEE10hipError_tPvRmT2_T3_mT4_P12ihipStream_tbEUlmE_sEESB_NS0_8identityIvEEEESJ_SM_SN_mSO_SQ_bEUlT_E_NS1_11comp_targetILNS1_3genE9ELNS1_11target_archE1100ELNS1_3gpuE3ELNS1_3repE0EEENS1_30default_config_static_selectorELNS0_4arch9wavefront6targetE1EEEvT1_.has_indirect_call, 0
	.section	.AMDGPU.csdata,"",@progbits
; Kernel info:
; codeLenInByte = 0
; TotalNumSgprs: 4
; NumVgprs: 0
; ScratchSize: 0
; MemoryBound: 0
; FloatMode: 240
; IeeeMode: 1
; LDSByteSize: 0 bytes/workgroup (compile time only)
; SGPRBlocks: 0
; VGPRBlocks: 0
; NumSGPRsForWavesPerEU: 4
; NumVGPRsForWavesPerEU: 1
; Occupancy: 10
; WaveLimiterHint : 0
; COMPUTE_PGM_RSRC2:SCRATCH_EN: 0
; COMPUTE_PGM_RSRC2:USER_SGPR: 6
; COMPUTE_PGM_RSRC2:TRAP_HANDLER: 0
; COMPUTE_PGM_RSRC2:TGID_X_EN: 1
; COMPUTE_PGM_RSRC2:TGID_Y_EN: 0
; COMPUTE_PGM_RSRC2:TGID_Z_EN: 0
; COMPUTE_PGM_RSRC2:TIDIG_COMP_CNT: 0
	.section	.text._ZN7rocprim17ROCPRIM_400000_NS6detail17trampoline_kernelINS0_14default_configENS1_25transform_config_selectorIsLb0EEEZNS1_14transform_implILb0ES3_S5_NS0_18transform_iteratorINS0_17counting_iteratorImlEEZNS1_24adjacent_difference_implIS3_Lb1ELb0EPsN6thrust23THRUST_200600_302600_NS16discard_iteratorINSD_11use_defaultEEENSD_5minusIsEEEE10hipError_tPvRmT2_T3_mT4_P12ihipStream_tbEUlmE_sEESB_NS0_8identityIvEEEESJ_SM_SN_mSO_SQ_bEUlT_E_NS1_11comp_targetILNS1_3genE8ELNS1_11target_archE1030ELNS1_3gpuE2ELNS1_3repE0EEENS1_30default_config_static_selectorELNS0_4arch9wavefront6targetE1EEEvT1_,"axG",@progbits,_ZN7rocprim17ROCPRIM_400000_NS6detail17trampoline_kernelINS0_14default_configENS1_25transform_config_selectorIsLb0EEEZNS1_14transform_implILb0ES3_S5_NS0_18transform_iteratorINS0_17counting_iteratorImlEEZNS1_24adjacent_difference_implIS3_Lb1ELb0EPsN6thrust23THRUST_200600_302600_NS16discard_iteratorINSD_11use_defaultEEENSD_5minusIsEEEE10hipError_tPvRmT2_T3_mT4_P12ihipStream_tbEUlmE_sEESB_NS0_8identityIvEEEESJ_SM_SN_mSO_SQ_bEUlT_E_NS1_11comp_targetILNS1_3genE8ELNS1_11target_archE1030ELNS1_3gpuE2ELNS1_3repE0EEENS1_30default_config_static_selectorELNS0_4arch9wavefront6targetE1EEEvT1_,comdat
	.protected	_ZN7rocprim17ROCPRIM_400000_NS6detail17trampoline_kernelINS0_14default_configENS1_25transform_config_selectorIsLb0EEEZNS1_14transform_implILb0ES3_S5_NS0_18transform_iteratorINS0_17counting_iteratorImlEEZNS1_24adjacent_difference_implIS3_Lb1ELb0EPsN6thrust23THRUST_200600_302600_NS16discard_iteratorINSD_11use_defaultEEENSD_5minusIsEEEE10hipError_tPvRmT2_T3_mT4_P12ihipStream_tbEUlmE_sEESB_NS0_8identityIvEEEESJ_SM_SN_mSO_SQ_bEUlT_E_NS1_11comp_targetILNS1_3genE8ELNS1_11target_archE1030ELNS1_3gpuE2ELNS1_3repE0EEENS1_30default_config_static_selectorELNS0_4arch9wavefront6targetE1EEEvT1_ ; -- Begin function _ZN7rocprim17ROCPRIM_400000_NS6detail17trampoline_kernelINS0_14default_configENS1_25transform_config_selectorIsLb0EEEZNS1_14transform_implILb0ES3_S5_NS0_18transform_iteratorINS0_17counting_iteratorImlEEZNS1_24adjacent_difference_implIS3_Lb1ELb0EPsN6thrust23THRUST_200600_302600_NS16discard_iteratorINSD_11use_defaultEEENSD_5minusIsEEEE10hipError_tPvRmT2_T3_mT4_P12ihipStream_tbEUlmE_sEESB_NS0_8identityIvEEEESJ_SM_SN_mSO_SQ_bEUlT_E_NS1_11comp_targetILNS1_3genE8ELNS1_11target_archE1030ELNS1_3gpuE2ELNS1_3repE0EEENS1_30default_config_static_selectorELNS0_4arch9wavefront6targetE1EEEvT1_
	.globl	_ZN7rocprim17ROCPRIM_400000_NS6detail17trampoline_kernelINS0_14default_configENS1_25transform_config_selectorIsLb0EEEZNS1_14transform_implILb0ES3_S5_NS0_18transform_iteratorINS0_17counting_iteratorImlEEZNS1_24adjacent_difference_implIS3_Lb1ELb0EPsN6thrust23THRUST_200600_302600_NS16discard_iteratorINSD_11use_defaultEEENSD_5minusIsEEEE10hipError_tPvRmT2_T3_mT4_P12ihipStream_tbEUlmE_sEESB_NS0_8identityIvEEEESJ_SM_SN_mSO_SQ_bEUlT_E_NS1_11comp_targetILNS1_3genE8ELNS1_11target_archE1030ELNS1_3gpuE2ELNS1_3repE0EEENS1_30default_config_static_selectorELNS0_4arch9wavefront6targetE1EEEvT1_
	.p2align	8
	.type	_ZN7rocprim17ROCPRIM_400000_NS6detail17trampoline_kernelINS0_14default_configENS1_25transform_config_selectorIsLb0EEEZNS1_14transform_implILb0ES3_S5_NS0_18transform_iteratorINS0_17counting_iteratorImlEEZNS1_24adjacent_difference_implIS3_Lb1ELb0EPsN6thrust23THRUST_200600_302600_NS16discard_iteratorINSD_11use_defaultEEENSD_5minusIsEEEE10hipError_tPvRmT2_T3_mT4_P12ihipStream_tbEUlmE_sEESB_NS0_8identityIvEEEESJ_SM_SN_mSO_SQ_bEUlT_E_NS1_11comp_targetILNS1_3genE8ELNS1_11target_archE1030ELNS1_3gpuE2ELNS1_3repE0EEENS1_30default_config_static_selectorELNS0_4arch9wavefront6targetE1EEEvT1_,@function
_ZN7rocprim17ROCPRIM_400000_NS6detail17trampoline_kernelINS0_14default_configENS1_25transform_config_selectorIsLb0EEEZNS1_14transform_implILb0ES3_S5_NS0_18transform_iteratorINS0_17counting_iteratorImlEEZNS1_24adjacent_difference_implIS3_Lb1ELb0EPsN6thrust23THRUST_200600_302600_NS16discard_iteratorINSD_11use_defaultEEENSD_5minusIsEEEE10hipError_tPvRmT2_T3_mT4_P12ihipStream_tbEUlmE_sEESB_NS0_8identityIvEEEESJ_SM_SN_mSO_SQ_bEUlT_E_NS1_11comp_targetILNS1_3genE8ELNS1_11target_archE1030ELNS1_3gpuE2ELNS1_3repE0EEENS1_30default_config_static_selectorELNS0_4arch9wavefront6targetE1EEEvT1_: ; @_ZN7rocprim17ROCPRIM_400000_NS6detail17trampoline_kernelINS0_14default_configENS1_25transform_config_selectorIsLb0EEEZNS1_14transform_implILb0ES3_S5_NS0_18transform_iteratorINS0_17counting_iteratorImlEEZNS1_24adjacent_difference_implIS3_Lb1ELb0EPsN6thrust23THRUST_200600_302600_NS16discard_iteratorINSD_11use_defaultEEENSD_5minusIsEEEE10hipError_tPvRmT2_T3_mT4_P12ihipStream_tbEUlmE_sEESB_NS0_8identityIvEEEESJ_SM_SN_mSO_SQ_bEUlT_E_NS1_11comp_targetILNS1_3genE8ELNS1_11target_archE1030ELNS1_3gpuE2ELNS1_3repE0EEENS1_30default_config_static_selectorELNS0_4arch9wavefront6targetE1EEEvT1_
; %bb.0:
	.section	.rodata,"a",@progbits
	.p2align	6, 0x0
	.amdhsa_kernel _ZN7rocprim17ROCPRIM_400000_NS6detail17trampoline_kernelINS0_14default_configENS1_25transform_config_selectorIsLb0EEEZNS1_14transform_implILb0ES3_S5_NS0_18transform_iteratorINS0_17counting_iteratorImlEEZNS1_24adjacent_difference_implIS3_Lb1ELb0EPsN6thrust23THRUST_200600_302600_NS16discard_iteratorINSD_11use_defaultEEENSD_5minusIsEEEE10hipError_tPvRmT2_T3_mT4_P12ihipStream_tbEUlmE_sEESB_NS0_8identityIvEEEESJ_SM_SN_mSO_SQ_bEUlT_E_NS1_11comp_targetILNS1_3genE8ELNS1_11target_archE1030ELNS1_3gpuE2ELNS1_3repE0EEENS1_30default_config_static_selectorELNS0_4arch9wavefront6targetE1EEEvT1_
		.amdhsa_group_segment_fixed_size 0
		.amdhsa_private_segment_fixed_size 0
		.amdhsa_kernarg_size 56
		.amdhsa_user_sgpr_count 6
		.amdhsa_user_sgpr_private_segment_buffer 1
		.amdhsa_user_sgpr_dispatch_ptr 0
		.amdhsa_user_sgpr_queue_ptr 0
		.amdhsa_user_sgpr_kernarg_segment_ptr 1
		.amdhsa_user_sgpr_dispatch_id 0
		.amdhsa_user_sgpr_flat_scratch_init 0
		.amdhsa_user_sgpr_private_segment_size 0
		.amdhsa_uses_dynamic_stack 0
		.amdhsa_system_sgpr_private_segment_wavefront_offset 0
		.amdhsa_system_sgpr_workgroup_id_x 1
		.amdhsa_system_sgpr_workgroup_id_y 0
		.amdhsa_system_sgpr_workgroup_id_z 0
		.amdhsa_system_sgpr_workgroup_info 0
		.amdhsa_system_vgpr_workitem_id 0
		.amdhsa_next_free_vgpr 1
		.amdhsa_next_free_sgpr 0
		.amdhsa_reserve_vcc 0
		.amdhsa_reserve_flat_scratch 0
		.amdhsa_float_round_mode_32 0
		.amdhsa_float_round_mode_16_64 0
		.amdhsa_float_denorm_mode_32 3
		.amdhsa_float_denorm_mode_16_64 3
		.amdhsa_dx10_clamp 1
		.amdhsa_ieee_mode 1
		.amdhsa_fp16_overflow 0
		.amdhsa_exception_fp_ieee_invalid_op 0
		.amdhsa_exception_fp_denorm_src 0
		.amdhsa_exception_fp_ieee_div_zero 0
		.amdhsa_exception_fp_ieee_overflow 0
		.amdhsa_exception_fp_ieee_underflow 0
		.amdhsa_exception_fp_ieee_inexact 0
		.amdhsa_exception_int_div_zero 0
	.end_amdhsa_kernel
	.section	.text._ZN7rocprim17ROCPRIM_400000_NS6detail17trampoline_kernelINS0_14default_configENS1_25transform_config_selectorIsLb0EEEZNS1_14transform_implILb0ES3_S5_NS0_18transform_iteratorINS0_17counting_iteratorImlEEZNS1_24adjacent_difference_implIS3_Lb1ELb0EPsN6thrust23THRUST_200600_302600_NS16discard_iteratorINSD_11use_defaultEEENSD_5minusIsEEEE10hipError_tPvRmT2_T3_mT4_P12ihipStream_tbEUlmE_sEESB_NS0_8identityIvEEEESJ_SM_SN_mSO_SQ_bEUlT_E_NS1_11comp_targetILNS1_3genE8ELNS1_11target_archE1030ELNS1_3gpuE2ELNS1_3repE0EEENS1_30default_config_static_selectorELNS0_4arch9wavefront6targetE1EEEvT1_,"axG",@progbits,_ZN7rocprim17ROCPRIM_400000_NS6detail17trampoline_kernelINS0_14default_configENS1_25transform_config_selectorIsLb0EEEZNS1_14transform_implILb0ES3_S5_NS0_18transform_iteratorINS0_17counting_iteratorImlEEZNS1_24adjacent_difference_implIS3_Lb1ELb0EPsN6thrust23THRUST_200600_302600_NS16discard_iteratorINSD_11use_defaultEEENSD_5minusIsEEEE10hipError_tPvRmT2_T3_mT4_P12ihipStream_tbEUlmE_sEESB_NS0_8identityIvEEEESJ_SM_SN_mSO_SQ_bEUlT_E_NS1_11comp_targetILNS1_3genE8ELNS1_11target_archE1030ELNS1_3gpuE2ELNS1_3repE0EEENS1_30default_config_static_selectorELNS0_4arch9wavefront6targetE1EEEvT1_,comdat
.Lfunc_end900:
	.size	_ZN7rocprim17ROCPRIM_400000_NS6detail17trampoline_kernelINS0_14default_configENS1_25transform_config_selectorIsLb0EEEZNS1_14transform_implILb0ES3_S5_NS0_18transform_iteratorINS0_17counting_iteratorImlEEZNS1_24adjacent_difference_implIS3_Lb1ELb0EPsN6thrust23THRUST_200600_302600_NS16discard_iteratorINSD_11use_defaultEEENSD_5minusIsEEEE10hipError_tPvRmT2_T3_mT4_P12ihipStream_tbEUlmE_sEESB_NS0_8identityIvEEEESJ_SM_SN_mSO_SQ_bEUlT_E_NS1_11comp_targetILNS1_3genE8ELNS1_11target_archE1030ELNS1_3gpuE2ELNS1_3repE0EEENS1_30default_config_static_selectorELNS0_4arch9wavefront6targetE1EEEvT1_, .Lfunc_end900-_ZN7rocprim17ROCPRIM_400000_NS6detail17trampoline_kernelINS0_14default_configENS1_25transform_config_selectorIsLb0EEEZNS1_14transform_implILb0ES3_S5_NS0_18transform_iteratorINS0_17counting_iteratorImlEEZNS1_24adjacent_difference_implIS3_Lb1ELb0EPsN6thrust23THRUST_200600_302600_NS16discard_iteratorINSD_11use_defaultEEENSD_5minusIsEEEE10hipError_tPvRmT2_T3_mT4_P12ihipStream_tbEUlmE_sEESB_NS0_8identityIvEEEESJ_SM_SN_mSO_SQ_bEUlT_E_NS1_11comp_targetILNS1_3genE8ELNS1_11target_archE1030ELNS1_3gpuE2ELNS1_3repE0EEENS1_30default_config_static_selectorELNS0_4arch9wavefront6targetE1EEEvT1_
                                        ; -- End function
	.set _ZN7rocprim17ROCPRIM_400000_NS6detail17trampoline_kernelINS0_14default_configENS1_25transform_config_selectorIsLb0EEEZNS1_14transform_implILb0ES3_S5_NS0_18transform_iteratorINS0_17counting_iteratorImlEEZNS1_24adjacent_difference_implIS3_Lb1ELb0EPsN6thrust23THRUST_200600_302600_NS16discard_iteratorINSD_11use_defaultEEENSD_5minusIsEEEE10hipError_tPvRmT2_T3_mT4_P12ihipStream_tbEUlmE_sEESB_NS0_8identityIvEEEESJ_SM_SN_mSO_SQ_bEUlT_E_NS1_11comp_targetILNS1_3genE8ELNS1_11target_archE1030ELNS1_3gpuE2ELNS1_3repE0EEENS1_30default_config_static_selectorELNS0_4arch9wavefront6targetE1EEEvT1_.num_vgpr, 0
	.set _ZN7rocprim17ROCPRIM_400000_NS6detail17trampoline_kernelINS0_14default_configENS1_25transform_config_selectorIsLb0EEEZNS1_14transform_implILb0ES3_S5_NS0_18transform_iteratorINS0_17counting_iteratorImlEEZNS1_24adjacent_difference_implIS3_Lb1ELb0EPsN6thrust23THRUST_200600_302600_NS16discard_iteratorINSD_11use_defaultEEENSD_5minusIsEEEE10hipError_tPvRmT2_T3_mT4_P12ihipStream_tbEUlmE_sEESB_NS0_8identityIvEEEESJ_SM_SN_mSO_SQ_bEUlT_E_NS1_11comp_targetILNS1_3genE8ELNS1_11target_archE1030ELNS1_3gpuE2ELNS1_3repE0EEENS1_30default_config_static_selectorELNS0_4arch9wavefront6targetE1EEEvT1_.num_agpr, 0
	.set _ZN7rocprim17ROCPRIM_400000_NS6detail17trampoline_kernelINS0_14default_configENS1_25transform_config_selectorIsLb0EEEZNS1_14transform_implILb0ES3_S5_NS0_18transform_iteratorINS0_17counting_iteratorImlEEZNS1_24adjacent_difference_implIS3_Lb1ELb0EPsN6thrust23THRUST_200600_302600_NS16discard_iteratorINSD_11use_defaultEEENSD_5minusIsEEEE10hipError_tPvRmT2_T3_mT4_P12ihipStream_tbEUlmE_sEESB_NS0_8identityIvEEEESJ_SM_SN_mSO_SQ_bEUlT_E_NS1_11comp_targetILNS1_3genE8ELNS1_11target_archE1030ELNS1_3gpuE2ELNS1_3repE0EEENS1_30default_config_static_selectorELNS0_4arch9wavefront6targetE1EEEvT1_.numbered_sgpr, 0
	.set _ZN7rocprim17ROCPRIM_400000_NS6detail17trampoline_kernelINS0_14default_configENS1_25transform_config_selectorIsLb0EEEZNS1_14transform_implILb0ES3_S5_NS0_18transform_iteratorINS0_17counting_iteratorImlEEZNS1_24adjacent_difference_implIS3_Lb1ELb0EPsN6thrust23THRUST_200600_302600_NS16discard_iteratorINSD_11use_defaultEEENSD_5minusIsEEEE10hipError_tPvRmT2_T3_mT4_P12ihipStream_tbEUlmE_sEESB_NS0_8identityIvEEEESJ_SM_SN_mSO_SQ_bEUlT_E_NS1_11comp_targetILNS1_3genE8ELNS1_11target_archE1030ELNS1_3gpuE2ELNS1_3repE0EEENS1_30default_config_static_selectorELNS0_4arch9wavefront6targetE1EEEvT1_.num_named_barrier, 0
	.set _ZN7rocprim17ROCPRIM_400000_NS6detail17trampoline_kernelINS0_14default_configENS1_25transform_config_selectorIsLb0EEEZNS1_14transform_implILb0ES3_S5_NS0_18transform_iteratorINS0_17counting_iteratorImlEEZNS1_24adjacent_difference_implIS3_Lb1ELb0EPsN6thrust23THRUST_200600_302600_NS16discard_iteratorINSD_11use_defaultEEENSD_5minusIsEEEE10hipError_tPvRmT2_T3_mT4_P12ihipStream_tbEUlmE_sEESB_NS0_8identityIvEEEESJ_SM_SN_mSO_SQ_bEUlT_E_NS1_11comp_targetILNS1_3genE8ELNS1_11target_archE1030ELNS1_3gpuE2ELNS1_3repE0EEENS1_30default_config_static_selectorELNS0_4arch9wavefront6targetE1EEEvT1_.private_seg_size, 0
	.set _ZN7rocprim17ROCPRIM_400000_NS6detail17trampoline_kernelINS0_14default_configENS1_25transform_config_selectorIsLb0EEEZNS1_14transform_implILb0ES3_S5_NS0_18transform_iteratorINS0_17counting_iteratorImlEEZNS1_24adjacent_difference_implIS3_Lb1ELb0EPsN6thrust23THRUST_200600_302600_NS16discard_iteratorINSD_11use_defaultEEENSD_5minusIsEEEE10hipError_tPvRmT2_T3_mT4_P12ihipStream_tbEUlmE_sEESB_NS0_8identityIvEEEESJ_SM_SN_mSO_SQ_bEUlT_E_NS1_11comp_targetILNS1_3genE8ELNS1_11target_archE1030ELNS1_3gpuE2ELNS1_3repE0EEENS1_30default_config_static_selectorELNS0_4arch9wavefront6targetE1EEEvT1_.uses_vcc, 0
	.set _ZN7rocprim17ROCPRIM_400000_NS6detail17trampoline_kernelINS0_14default_configENS1_25transform_config_selectorIsLb0EEEZNS1_14transform_implILb0ES3_S5_NS0_18transform_iteratorINS0_17counting_iteratorImlEEZNS1_24adjacent_difference_implIS3_Lb1ELb0EPsN6thrust23THRUST_200600_302600_NS16discard_iteratorINSD_11use_defaultEEENSD_5minusIsEEEE10hipError_tPvRmT2_T3_mT4_P12ihipStream_tbEUlmE_sEESB_NS0_8identityIvEEEESJ_SM_SN_mSO_SQ_bEUlT_E_NS1_11comp_targetILNS1_3genE8ELNS1_11target_archE1030ELNS1_3gpuE2ELNS1_3repE0EEENS1_30default_config_static_selectorELNS0_4arch9wavefront6targetE1EEEvT1_.uses_flat_scratch, 0
	.set _ZN7rocprim17ROCPRIM_400000_NS6detail17trampoline_kernelINS0_14default_configENS1_25transform_config_selectorIsLb0EEEZNS1_14transform_implILb0ES3_S5_NS0_18transform_iteratorINS0_17counting_iteratorImlEEZNS1_24adjacent_difference_implIS3_Lb1ELb0EPsN6thrust23THRUST_200600_302600_NS16discard_iteratorINSD_11use_defaultEEENSD_5minusIsEEEE10hipError_tPvRmT2_T3_mT4_P12ihipStream_tbEUlmE_sEESB_NS0_8identityIvEEEESJ_SM_SN_mSO_SQ_bEUlT_E_NS1_11comp_targetILNS1_3genE8ELNS1_11target_archE1030ELNS1_3gpuE2ELNS1_3repE0EEENS1_30default_config_static_selectorELNS0_4arch9wavefront6targetE1EEEvT1_.has_dyn_sized_stack, 0
	.set _ZN7rocprim17ROCPRIM_400000_NS6detail17trampoline_kernelINS0_14default_configENS1_25transform_config_selectorIsLb0EEEZNS1_14transform_implILb0ES3_S5_NS0_18transform_iteratorINS0_17counting_iteratorImlEEZNS1_24adjacent_difference_implIS3_Lb1ELb0EPsN6thrust23THRUST_200600_302600_NS16discard_iteratorINSD_11use_defaultEEENSD_5minusIsEEEE10hipError_tPvRmT2_T3_mT4_P12ihipStream_tbEUlmE_sEESB_NS0_8identityIvEEEESJ_SM_SN_mSO_SQ_bEUlT_E_NS1_11comp_targetILNS1_3genE8ELNS1_11target_archE1030ELNS1_3gpuE2ELNS1_3repE0EEENS1_30default_config_static_selectorELNS0_4arch9wavefront6targetE1EEEvT1_.has_recursion, 0
	.set _ZN7rocprim17ROCPRIM_400000_NS6detail17trampoline_kernelINS0_14default_configENS1_25transform_config_selectorIsLb0EEEZNS1_14transform_implILb0ES3_S5_NS0_18transform_iteratorINS0_17counting_iteratorImlEEZNS1_24adjacent_difference_implIS3_Lb1ELb0EPsN6thrust23THRUST_200600_302600_NS16discard_iteratorINSD_11use_defaultEEENSD_5minusIsEEEE10hipError_tPvRmT2_T3_mT4_P12ihipStream_tbEUlmE_sEESB_NS0_8identityIvEEEESJ_SM_SN_mSO_SQ_bEUlT_E_NS1_11comp_targetILNS1_3genE8ELNS1_11target_archE1030ELNS1_3gpuE2ELNS1_3repE0EEENS1_30default_config_static_selectorELNS0_4arch9wavefront6targetE1EEEvT1_.has_indirect_call, 0
	.section	.AMDGPU.csdata,"",@progbits
; Kernel info:
; codeLenInByte = 0
; TotalNumSgprs: 4
; NumVgprs: 0
; ScratchSize: 0
; MemoryBound: 0
; FloatMode: 240
; IeeeMode: 1
; LDSByteSize: 0 bytes/workgroup (compile time only)
; SGPRBlocks: 0
; VGPRBlocks: 0
; NumSGPRsForWavesPerEU: 4
; NumVGPRsForWavesPerEU: 1
; Occupancy: 10
; WaveLimiterHint : 0
; COMPUTE_PGM_RSRC2:SCRATCH_EN: 0
; COMPUTE_PGM_RSRC2:USER_SGPR: 6
; COMPUTE_PGM_RSRC2:TRAP_HANDLER: 0
; COMPUTE_PGM_RSRC2:TGID_X_EN: 1
; COMPUTE_PGM_RSRC2:TGID_Y_EN: 0
; COMPUTE_PGM_RSRC2:TGID_Z_EN: 0
; COMPUTE_PGM_RSRC2:TIDIG_COMP_CNT: 0
	.section	.text._ZN7rocprim17ROCPRIM_400000_NS6detail17trampoline_kernelINS0_14default_configENS1_35adjacent_difference_config_selectorILb1EsEEZNS1_24adjacent_difference_implIS3_Lb1ELb0EPsN6thrust23THRUST_200600_302600_NS16discard_iteratorINS9_11use_defaultEEENS9_5minusIsEEEE10hipError_tPvRmT2_T3_mT4_P12ihipStream_tbEUlT_E_NS1_11comp_targetILNS1_3genE0ELNS1_11target_archE4294967295ELNS1_3gpuE0ELNS1_3repE0EEENS1_30default_config_static_selectorELNS0_4arch9wavefront6targetE1EEEvT1_,"axG",@progbits,_ZN7rocprim17ROCPRIM_400000_NS6detail17trampoline_kernelINS0_14default_configENS1_35adjacent_difference_config_selectorILb1EsEEZNS1_24adjacent_difference_implIS3_Lb1ELb0EPsN6thrust23THRUST_200600_302600_NS16discard_iteratorINS9_11use_defaultEEENS9_5minusIsEEEE10hipError_tPvRmT2_T3_mT4_P12ihipStream_tbEUlT_E_NS1_11comp_targetILNS1_3genE0ELNS1_11target_archE4294967295ELNS1_3gpuE0ELNS1_3repE0EEENS1_30default_config_static_selectorELNS0_4arch9wavefront6targetE1EEEvT1_,comdat
	.protected	_ZN7rocprim17ROCPRIM_400000_NS6detail17trampoline_kernelINS0_14default_configENS1_35adjacent_difference_config_selectorILb1EsEEZNS1_24adjacent_difference_implIS3_Lb1ELb0EPsN6thrust23THRUST_200600_302600_NS16discard_iteratorINS9_11use_defaultEEENS9_5minusIsEEEE10hipError_tPvRmT2_T3_mT4_P12ihipStream_tbEUlT_E_NS1_11comp_targetILNS1_3genE0ELNS1_11target_archE4294967295ELNS1_3gpuE0ELNS1_3repE0EEENS1_30default_config_static_selectorELNS0_4arch9wavefront6targetE1EEEvT1_ ; -- Begin function _ZN7rocprim17ROCPRIM_400000_NS6detail17trampoline_kernelINS0_14default_configENS1_35adjacent_difference_config_selectorILb1EsEEZNS1_24adjacent_difference_implIS3_Lb1ELb0EPsN6thrust23THRUST_200600_302600_NS16discard_iteratorINS9_11use_defaultEEENS9_5minusIsEEEE10hipError_tPvRmT2_T3_mT4_P12ihipStream_tbEUlT_E_NS1_11comp_targetILNS1_3genE0ELNS1_11target_archE4294967295ELNS1_3gpuE0ELNS1_3repE0EEENS1_30default_config_static_selectorELNS0_4arch9wavefront6targetE1EEEvT1_
	.globl	_ZN7rocprim17ROCPRIM_400000_NS6detail17trampoline_kernelINS0_14default_configENS1_35adjacent_difference_config_selectorILb1EsEEZNS1_24adjacent_difference_implIS3_Lb1ELb0EPsN6thrust23THRUST_200600_302600_NS16discard_iteratorINS9_11use_defaultEEENS9_5minusIsEEEE10hipError_tPvRmT2_T3_mT4_P12ihipStream_tbEUlT_E_NS1_11comp_targetILNS1_3genE0ELNS1_11target_archE4294967295ELNS1_3gpuE0ELNS1_3repE0EEENS1_30default_config_static_selectorELNS0_4arch9wavefront6targetE1EEEvT1_
	.p2align	8
	.type	_ZN7rocprim17ROCPRIM_400000_NS6detail17trampoline_kernelINS0_14default_configENS1_35adjacent_difference_config_selectorILb1EsEEZNS1_24adjacent_difference_implIS3_Lb1ELb0EPsN6thrust23THRUST_200600_302600_NS16discard_iteratorINS9_11use_defaultEEENS9_5minusIsEEEE10hipError_tPvRmT2_T3_mT4_P12ihipStream_tbEUlT_E_NS1_11comp_targetILNS1_3genE0ELNS1_11target_archE4294967295ELNS1_3gpuE0ELNS1_3repE0EEENS1_30default_config_static_selectorELNS0_4arch9wavefront6targetE1EEEvT1_,@function
_ZN7rocprim17ROCPRIM_400000_NS6detail17trampoline_kernelINS0_14default_configENS1_35adjacent_difference_config_selectorILb1EsEEZNS1_24adjacent_difference_implIS3_Lb1ELb0EPsN6thrust23THRUST_200600_302600_NS16discard_iteratorINS9_11use_defaultEEENS9_5minusIsEEEE10hipError_tPvRmT2_T3_mT4_P12ihipStream_tbEUlT_E_NS1_11comp_targetILNS1_3genE0ELNS1_11target_archE4294967295ELNS1_3gpuE0ELNS1_3repE0EEENS1_30default_config_static_selectorELNS0_4arch9wavefront6targetE1EEEvT1_: ; @_ZN7rocprim17ROCPRIM_400000_NS6detail17trampoline_kernelINS0_14default_configENS1_35adjacent_difference_config_selectorILb1EsEEZNS1_24adjacent_difference_implIS3_Lb1ELb0EPsN6thrust23THRUST_200600_302600_NS16discard_iteratorINS9_11use_defaultEEENS9_5minusIsEEEE10hipError_tPvRmT2_T3_mT4_P12ihipStream_tbEUlT_E_NS1_11comp_targetILNS1_3genE0ELNS1_11target_archE4294967295ELNS1_3gpuE0ELNS1_3repE0EEENS1_30default_config_static_selectorELNS0_4arch9wavefront6targetE1EEEvT1_
; %bb.0:
	.section	.rodata,"a",@progbits
	.p2align	6, 0x0
	.amdhsa_kernel _ZN7rocprim17ROCPRIM_400000_NS6detail17trampoline_kernelINS0_14default_configENS1_35adjacent_difference_config_selectorILb1EsEEZNS1_24adjacent_difference_implIS3_Lb1ELb0EPsN6thrust23THRUST_200600_302600_NS16discard_iteratorINS9_11use_defaultEEENS9_5minusIsEEEE10hipError_tPvRmT2_T3_mT4_P12ihipStream_tbEUlT_E_NS1_11comp_targetILNS1_3genE0ELNS1_11target_archE4294967295ELNS1_3gpuE0ELNS1_3repE0EEENS1_30default_config_static_selectorELNS0_4arch9wavefront6targetE1EEEvT1_
		.amdhsa_group_segment_fixed_size 0
		.amdhsa_private_segment_fixed_size 0
		.amdhsa_kernarg_size 64
		.amdhsa_user_sgpr_count 6
		.amdhsa_user_sgpr_private_segment_buffer 1
		.amdhsa_user_sgpr_dispatch_ptr 0
		.amdhsa_user_sgpr_queue_ptr 0
		.amdhsa_user_sgpr_kernarg_segment_ptr 1
		.amdhsa_user_sgpr_dispatch_id 0
		.amdhsa_user_sgpr_flat_scratch_init 0
		.amdhsa_user_sgpr_private_segment_size 0
		.amdhsa_uses_dynamic_stack 0
		.amdhsa_system_sgpr_private_segment_wavefront_offset 0
		.amdhsa_system_sgpr_workgroup_id_x 1
		.amdhsa_system_sgpr_workgroup_id_y 0
		.amdhsa_system_sgpr_workgroup_id_z 0
		.amdhsa_system_sgpr_workgroup_info 0
		.amdhsa_system_vgpr_workitem_id 0
		.amdhsa_next_free_vgpr 1
		.amdhsa_next_free_sgpr 0
		.amdhsa_reserve_vcc 0
		.amdhsa_reserve_flat_scratch 0
		.amdhsa_float_round_mode_32 0
		.amdhsa_float_round_mode_16_64 0
		.amdhsa_float_denorm_mode_32 3
		.amdhsa_float_denorm_mode_16_64 3
		.amdhsa_dx10_clamp 1
		.amdhsa_ieee_mode 1
		.amdhsa_fp16_overflow 0
		.amdhsa_exception_fp_ieee_invalid_op 0
		.amdhsa_exception_fp_denorm_src 0
		.amdhsa_exception_fp_ieee_div_zero 0
		.amdhsa_exception_fp_ieee_overflow 0
		.amdhsa_exception_fp_ieee_underflow 0
		.amdhsa_exception_fp_ieee_inexact 0
		.amdhsa_exception_int_div_zero 0
	.end_amdhsa_kernel
	.section	.text._ZN7rocprim17ROCPRIM_400000_NS6detail17trampoline_kernelINS0_14default_configENS1_35adjacent_difference_config_selectorILb1EsEEZNS1_24adjacent_difference_implIS3_Lb1ELb0EPsN6thrust23THRUST_200600_302600_NS16discard_iteratorINS9_11use_defaultEEENS9_5minusIsEEEE10hipError_tPvRmT2_T3_mT4_P12ihipStream_tbEUlT_E_NS1_11comp_targetILNS1_3genE0ELNS1_11target_archE4294967295ELNS1_3gpuE0ELNS1_3repE0EEENS1_30default_config_static_selectorELNS0_4arch9wavefront6targetE1EEEvT1_,"axG",@progbits,_ZN7rocprim17ROCPRIM_400000_NS6detail17trampoline_kernelINS0_14default_configENS1_35adjacent_difference_config_selectorILb1EsEEZNS1_24adjacent_difference_implIS3_Lb1ELb0EPsN6thrust23THRUST_200600_302600_NS16discard_iteratorINS9_11use_defaultEEENS9_5minusIsEEEE10hipError_tPvRmT2_T3_mT4_P12ihipStream_tbEUlT_E_NS1_11comp_targetILNS1_3genE0ELNS1_11target_archE4294967295ELNS1_3gpuE0ELNS1_3repE0EEENS1_30default_config_static_selectorELNS0_4arch9wavefront6targetE1EEEvT1_,comdat
.Lfunc_end901:
	.size	_ZN7rocprim17ROCPRIM_400000_NS6detail17trampoline_kernelINS0_14default_configENS1_35adjacent_difference_config_selectorILb1EsEEZNS1_24adjacent_difference_implIS3_Lb1ELb0EPsN6thrust23THRUST_200600_302600_NS16discard_iteratorINS9_11use_defaultEEENS9_5minusIsEEEE10hipError_tPvRmT2_T3_mT4_P12ihipStream_tbEUlT_E_NS1_11comp_targetILNS1_3genE0ELNS1_11target_archE4294967295ELNS1_3gpuE0ELNS1_3repE0EEENS1_30default_config_static_selectorELNS0_4arch9wavefront6targetE1EEEvT1_, .Lfunc_end901-_ZN7rocprim17ROCPRIM_400000_NS6detail17trampoline_kernelINS0_14default_configENS1_35adjacent_difference_config_selectorILb1EsEEZNS1_24adjacent_difference_implIS3_Lb1ELb0EPsN6thrust23THRUST_200600_302600_NS16discard_iteratorINS9_11use_defaultEEENS9_5minusIsEEEE10hipError_tPvRmT2_T3_mT4_P12ihipStream_tbEUlT_E_NS1_11comp_targetILNS1_3genE0ELNS1_11target_archE4294967295ELNS1_3gpuE0ELNS1_3repE0EEENS1_30default_config_static_selectorELNS0_4arch9wavefront6targetE1EEEvT1_
                                        ; -- End function
	.set _ZN7rocprim17ROCPRIM_400000_NS6detail17trampoline_kernelINS0_14default_configENS1_35adjacent_difference_config_selectorILb1EsEEZNS1_24adjacent_difference_implIS3_Lb1ELb0EPsN6thrust23THRUST_200600_302600_NS16discard_iteratorINS9_11use_defaultEEENS9_5minusIsEEEE10hipError_tPvRmT2_T3_mT4_P12ihipStream_tbEUlT_E_NS1_11comp_targetILNS1_3genE0ELNS1_11target_archE4294967295ELNS1_3gpuE0ELNS1_3repE0EEENS1_30default_config_static_selectorELNS0_4arch9wavefront6targetE1EEEvT1_.num_vgpr, 0
	.set _ZN7rocprim17ROCPRIM_400000_NS6detail17trampoline_kernelINS0_14default_configENS1_35adjacent_difference_config_selectorILb1EsEEZNS1_24adjacent_difference_implIS3_Lb1ELb0EPsN6thrust23THRUST_200600_302600_NS16discard_iteratorINS9_11use_defaultEEENS9_5minusIsEEEE10hipError_tPvRmT2_T3_mT4_P12ihipStream_tbEUlT_E_NS1_11comp_targetILNS1_3genE0ELNS1_11target_archE4294967295ELNS1_3gpuE0ELNS1_3repE0EEENS1_30default_config_static_selectorELNS0_4arch9wavefront6targetE1EEEvT1_.num_agpr, 0
	.set _ZN7rocprim17ROCPRIM_400000_NS6detail17trampoline_kernelINS0_14default_configENS1_35adjacent_difference_config_selectorILb1EsEEZNS1_24adjacent_difference_implIS3_Lb1ELb0EPsN6thrust23THRUST_200600_302600_NS16discard_iteratorINS9_11use_defaultEEENS9_5minusIsEEEE10hipError_tPvRmT2_T3_mT4_P12ihipStream_tbEUlT_E_NS1_11comp_targetILNS1_3genE0ELNS1_11target_archE4294967295ELNS1_3gpuE0ELNS1_3repE0EEENS1_30default_config_static_selectorELNS0_4arch9wavefront6targetE1EEEvT1_.numbered_sgpr, 0
	.set _ZN7rocprim17ROCPRIM_400000_NS6detail17trampoline_kernelINS0_14default_configENS1_35adjacent_difference_config_selectorILb1EsEEZNS1_24adjacent_difference_implIS3_Lb1ELb0EPsN6thrust23THRUST_200600_302600_NS16discard_iteratorINS9_11use_defaultEEENS9_5minusIsEEEE10hipError_tPvRmT2_T3_mT4_P12ihipStream_tbEUlT_E_NS1_11comp_targetILNS1_3genE0ELNS1_11target_archE4294967295ELNS1_3gpuE0ELNS1_3repE0EEENS1_30default_config_static_selectorELNS0_4arch9wavefront6targetE1EEEvT1_.num_named_barrier, 0
	.set _ZN7rocprim17ROCPRIM_400000_NS6detail17trampoline_kernelINS0_14default_configENS1_35adjacent_difference_config_selectorILb1EsEEZNS1_24adjacent_difference_implIS3_Lb1ELb0EPsN6thrust23THRUST_200600_302600_NS16discard_iteratorINS9_11use_defaultEEENS9_5minusIsEEEE10hipError_tPvRmT2_T3_mT4_P12ihipStream_tbEUlT_E_NS1_11comp_targetILNS1_3genE0ELNS1_11target_archE4294967295ELNS1_3gpuE0ELNS1_3repE0EEENS1_30default_config_static_selectorELNS0_4arch9wavefront6targetE1EEEvT1_.private_seg_size, 0
	.set _ZN7rocprim17ROCPRIM_400000_NS6detail17trampoline_kernelINS0_14default_configENS1_35adjacent_difference_config_selectorILb1EsEEZNS1_24adjacent_difference_implIS3_Lb1ELb0EPsN6thrust23THRUST_200600_302600_NS16discard_iteratorINS9_11use_defaultEEENS9_5minusIsEEEE10hipError_tPvRmT2_T3_mT4_P12ihipStream_tbEUlT_E_NS1_11comp_targetILNS1_3genE0ELNS1_11target_archE4294967295ELNS1_3gpuE0ELNS1_3repE0EEENS1_30default_config_static_selectorELNS0_4arch9wavefront6targetE1EEEvT1_.uses_vcc, 0
	.set _ZN7rocprim17ROCPRIM_400000_NS6detail17trampoline_kernelINS0_14default_configENS1_35adjacent_difference_config_selectorILb1EsEEZNS1_24adjacent_difference_implIS3_Lb1ELb0EPsN6thrust23THRUST_200600_302600_NS16discard_iteratorINS9_11use_defaultEEENS9_5minusIsEEEE10hipError_tPvRmT2_T3_mT4_P12ihipStream_tbEUlT_E_NS1_11comp_targetILNS1_3genE0ELNS1_11target_archE4294967295ELNS1_3gpuE0ELNS1_3repE0EEENS1_30default_config_static_selectorELNS0_4arch9wavefront6targetE1EEEvT1_.uses_flat_scratch, 0
	.set _ZN7rocprim17ROCPRIM_400000_NS6detail17trampoline_kernelINS0_14default_configENS1_35adjacent_difference_config_selectorILb1EsEEZNS1_24adjacent_difference_implIS3_Lb1ELb0EPsN6thrust23THRUST_200600_302600_NS16discard_iteratorINS9_11use_defaultEEENS9_5minusIsEEEE10hipError_tPvRmT2_T3_mT4_P12ihipStream_tbEUlT_E_NS1_11comp_targetILNS1_3genE0ELNS1_11target_archE4294967295ELNS1_3gpuE0ELNS1_3repE0EEENS1_30default_config_static_selectorELNS0_4arch9wavefront6targetE1EEEvT1_.has_dyn_sized_stack, 0
	.set _ZN7rocprim17ROCPRIM_400000_NS6detail17trampoline_kernelINS0_14default_configENS1_35adjacent_difference_config_selectorILb1EsEEZNS1_24adjacent_difference_implIS3_Lb1ELb0EPsN6thrust23THRUST_200600_302600_NS16discard_iteratorINS9_11use_defaultEEENS9_5minusIsEEEE10hipError_tPvRmT2_T3_mT4_P12ihipStream_tbEUlT_E_NS1_11comp_targetILNS1_3genE0ELNS1_11target_archE4294967295ELNS1_3gpuE0ELNS1_3repE0EEENS1_30default_config_static_selectorELNS0_4arch9wavefront6targetE1EEEvT1_.has_recursion, 0
	.set _ZN7rocprim17ROCPRIM_400000_NS6detail17trampoline_kernelINS0_14default_configENS1_35adjacent_difference_config_selectorILb1EsEEZNS1_24adjacent_difference_implIS3_Lb1ELb0EPsN6thrust23THRUST_200600_302600_NS16discard_iteratorINS9_11use_defaultEEENS9_5minusIsEEEE10hipError_tPvRmT2_T3_mT4_P12ihipStream_tbEUlT_E_NS1_11comp_targetILNS1_3genE0ELNS1_11target_archE4294967295ELNS1_3gpuE0ELNS1_3repE0EEENS1_30default_config_static_selectorELNS0_4arch9wavefront6targetE1EEEvT1_.has_indirect_call, 0
	.section	.AMDGPU.csdata,"",@progbits
; Kernel info:
; codeLenInByte = 0
; TotalNumSgprs: 4
; NumVgprs: 0
; ScratchSize: 0
; MemoryBound: 0
; FloatMode: 240
; IeeeMode: 1
; LDSByteSize: 0 bytes/workgroup (compile time only)
; SGPRBlocks: 0
; VGPRBlocks: 0
; NumSGPRsForWavesPerEU: 4
; NumVGPRsForWavesPerEU: 1
; Occupancy: 10
; WaveLimiterHint : 0
; COMPUTE_PGM_RSRC2:SCRATCH_EN: 0
; COMPUTE_PGM_RSRC2:USER_SGPR: 6
; COMPUTE_PGM_RSRC2:TRAP_HANDLER: 0
; COMPUTE_PGM_RSRC2:TGID_X_EN: 1
; COMPUTE_PGM_RSRC2:TGID_Y_EN: 0
; COMPUTE_PGM_RSRC2:TGID_Z_EN: 0
; COMPUTE_PGM_RSRC2:TIDIG_COMP_CNT: 0
	.section	.text._ZN7rocprim17ROCPRIM_400000_NS6detail17trampoline_kernelINS0_14default_configENS1_35adjacent_difference_config_selectorILb1EsEEZNS1_24adjacent_difference_implIS3_Lb1ELb0EPsN6thrust23THRUST_200600_302600_NS16discard_iteratorINS9_11use_defaultEEENS9_5minusIsEEEE10hipError_tPvRmT2_T3_mT4_P12ihipStream_tbEUlT_E_NS1_11comp_targetILNS1_3genE10ELNS1_11target_archE1201ELNS1_3gpuE5ELNS1_3repE0EEENS1_30default_config_static_selectorELNS0_4arch9wavefront6targetE1EEEvT1_,"axG",@progbits,_ZN7rocprim17ROCPRIM_400000_NS6detail17trampoline_kernelINS0_14default_configENS1_35adjacent_difference_config_selectorILb1EsEEZNS1_24adjacent_difference_implIS3_Lb1ELb0EPsN6thrust23THRUST_200600_302600_NS16discard_iteratorINS9_11use_defaultEEENS9_5minusIsEEEE10hipError_tPvRmT2_T3_mT4_P12ihipStream_tbEUlT_E_NS1_11comp_targetILNS1_3genE10ELNS1_11target_archE1201ELNS1_3gpuE5ELNS1_3repE0EEENS1_30default_config_static_selectorELNS0_4arch9wavefront6targetE1EEEvT1_,comdat
	.protected	_ZN7rocprim17ROCPRIM_400000_NS6detail17trampoline_kernelINS0_14default_configENS1_35adjacent_difference_config_selectorILb1EsEEZNS1_24adjacent_difference_implIS3_Lb1ELb0EPsN6thrust23THRUST_200600_302600_NS16discard_iteratorINS9_11use_defaultEEENS9_5minusIsEEEE10hipError_tPvRmT2_T3_mT4_P12ihipStream_tbEUlT_E_NS1_11comp_targetILNS1_3genE10ELNS1_11target_archE1201ELNS1_3gpuE5ELNS1_3repE0EEENS1_30default_config_static_selectorELNS0_4arch9wavefront6targetE1EEEvT1_ ; -- Begin function _ZN7rocprim17ROCPRIM_400000_NS6detail17trampoline_kernelINS0_14default_configENS1_35adjacent_difference_config_selectorILb1EsEEZNS1_24adjacent_difference_implIS3_Lb1ELb0EPsN6thrust23THRUST_200600_302600_NS16discard_iteratorINS9_11use_defaultEEENS9_5minusIsEEEE10hipError_tPvRmT2_T3_mT4_P12ihipStream_tbEUlT_E_NS1_11comp_targetILNS1_3genE10ELNS1_11target_archE1201ELNS1_3gpuE5ELNS1_3repE0EEENS1_30default_config_static_selectorELNS0_4arch9wavefront6targetE1EEEvT1_
	.globl	_ZN7rocprim17ROCPRIM_400000_NS6detail17trampoline_kernelINS0_14default_configENS1_35adjacent_difference_config_selectorILb1EsEEZNS1_24adjacent_difference_implIS3_Lb1ELb0EPsN6thrust23THRUST_200600_302600_NS16discard_iteratorINS9_11use_defaultEEENS9_5minusIsEEEE10hipError_tPvRmT2_T3_mT4_P12ihipStream_tbEUlT_E_NS1_11comp_targetILNS1_3genE10ELNS1_11target_archE1201ELNS1_3gpuE5ELNS1_3repE0EEENS1_30default_config_static_selectorELNS0_4arch9wavefront6targetE1EEEvT1_
	.p2align	8
	.type	_ZN7rocprim17ROCPRIM_400000_NS6detail17trampoline_kernelINS0_14default_configENS1_35adjacent_difference_config_selectorILb1EsEEZNS1_24adjacent_difference_implIS3_Lb1ELb0EPsN6thrust23THRUST_200600_302600_NS16discard_iteratorINS9_11use_defaultEEENS9_5minusIsEEEE10hipError_tPvRmT2_T3_mT4_P12ihipStream_tbEUlT_E_NS1_11comp_targetILNS1_3genE10ELNS1_11target_archE1201ELNS1_3gpuE5ELNS1_3repE0EEENS1_30default_config_static_selectorELNS0_4arch9wavefront6targetE1EEEvT1_,@function
_ZN7rocprim17ROCPRIM_400000_NS6detail17trampoline_kernelINS0_14default_configENS1_35adjacent_difference_config_selectorILb1EsEEZNS1_24adjacent_difference_implIS3_Lb1ELb0EPsN6thrust23THRUST_200600_302600_NS16discard_iteratorINS9_11use_defaultEEENS9_5minusIsEEEE10hipError_tPvRmT2_T3_mT4_P12ihipStream_tbEUlT_E_NS1_11comp_targetILNS1_3genE10ELNS1_11target_archE1201ELNS1_3gpuE5ELNS1_3repE0EEENS1_30default_config_static_selectorELNS0_4arch9wavefront6targetE1EEEvT1_: ; @_ZN7rocprim17ROCPRIM_400000_NS6detail17trampoline_kernelINS0_14default_configENS1_35adjacent_difference_config_selectorILb1EsEEZNS1_24adjacent_difference_implIS3_Lb1ELb0EPsN6thrust23THRUST_200600_302600_NS16discard_iteratorINS9_11use_defaultEEENS9_5minusIsEEEE10hipError_tPvRmT2_T3_mT4_P12ihipStream_tbEUlT_E_NS1_11comp_targetILNS1_3genE10ELNS1_11target_archE1201ELNS1_3gpuE5ELNS1_3repE0EEENS1_30default_config_static_selectorELNS0_4arch9wavefront6targetE1EEEvT1_
; %bb.0:
	.section	.rodata,"a",@progbits
	.p2align	6, 0x0
	.amdhsa_kernel _ZN7rocprim17ROCPRIM_400000_NS6detail17trampoline_kernelINS0_14default_configENS1_35adjacent_difference_config_selectorILb1EsEEZNS1_24adjacent_difference_implIS3_Lb1ELb0EPsN6thrust23THRUST_200600_302600_NS16discard_iteratorINS9_11use_defaultEEENS9_5minusIsEEEE10hipError_tPvRmT2_T3_mT4_P12ihipStream_tbEUlT_E_NS1_11comp_targetILNS1_3genE10ELNS1_11target_archE1201ELNS1_3gpuE5ELNS1_3repE0EEENS1_30default_config_static_selectorELNS0_4arch9wavefront6targetE1EEEvT1_
		.amdhsa_group_segment_fixed_size 0
		.amdhsa_private_segment_fixed_size 0
		.amdhsa_kernarg_size 64
		.amdhsa_user_sgpr_count 6
		.amdhsa_user_sgpr_private_segment_buffer 1
		.amdhsa_user_sgpr_dispatch_ptr 0
		.amdhsa_user_sgpr_queue_ptr 0
		.amdhsa_user_sgpr_kernarg_segment_ptr 1
		.amdhsa_user_sgpr_dispatch_id 0
		.amdhsa_user_sgpr_flat_scratch_init 0
		.amdhsa_user_sgpr_private_segment_size 0
		.amdhsa_uses_dynamic_stack 0
		.amdhsa_system_sgpr_private_segment_wavefront_offset 0
		.amdhsa_system_sgpr_workgroup_id_x 1
		.amdhsa_system_sgpr_workgroup_id_y 0
		.amdhsa_system_sgpr_workgroup_id_z 0
		.amdhsa_system_sgpr_workgroup_info 0
		.amdhsa_system_vgpr_workitem_id 0
		.amdhsa_next_free_vgpr 1
		.amdhsa_next_free_sgpr 0
		.amdhsa_reserve_vcc 0
		.amdhsa_reserve_flat_scratch 0
		.amdhsa_float_round_mode_32 0
		.amdhsa_float_round_mode_16_64 0
		.amdhsa_float_denorm_mode_32 3
		.amdhsa_float_denorm_mode_16_64 3
		.amdhsa_dx10_clamp 1
		.amdhsa_ieee_mode 1
		.amdhsa_fp16_overflow 0
		.amdhsa_exception_fp_ieee_invalid_op 0
		.amdhsa_exception_fp_denorm_src 0
		.amdhsa_exception_fp_ieee_div_zero 0
		.amdhsa_exception_fp_ieee_overflow 0
		.amdhsa_exception_fp_ieee_underflow 0
		.amdhsa_exception_fp_ieee_inexact 0
		.amdhsa_exception_int_div_zero 0
	.end_amdhsa_kernel
	.section	.text._ZN7rocprim17ROCPRIM_400000_NS6detail17trampoline_kernelINS0_14default_configENS1_35adjacent_difference_config_selectorILb1EsEEZNS1_24adjacent_difference_implIS3_Lb1ELb0EPsN6thrust23THRUST_200600_302600_NS16discard_iteratorINS9_11use_defaultEEENS9_5minusIsEEEE10hipError_tPvRmT2_T3_mT4_P12ihipStream_tbEUlT_E_NS1_11comp_targetILNS1_3genE10ELNS1_11target_archE1201ELNS1_3gpuE5ELNS1_3repE0EEENS1_30default_config_static_selectorELNS0_4arch9wavefront6targetE1EEEvT1_,"axG",@progbits,_ZN7rocprim17ROCPRIM_400000_NS6detail17trampoline_kernelINS0_14default_configENS1_35adjacent_difference_config_selectorILb1EsEEZNS1_24adjacent_difference_implIS3_Lb1ELb0EPsN6thrust23THRUST_200600_302600_NS16discard_iteratorINS9_11use_defaultEEENS9_5minusIsEEEE10hipError_tPvRmT2_T3_mT4_P12ihipStream_tbEUlT_E_NS1_11comp_targetILNS1_3genE10ELNS1_11target_archE1201ELNS1_3gpuE5ELNS1_3repE0EEENS1_30default_config_static_selectorELNS0_4arch9wavefront6targetE1EEEvT1_,comdat
.Lfunc_end902:
	.size	_ZN7rocprim17ROCPRIM_400000_NS6detail17trampoline_kernelINS0_14default_configENS1_35adjacent_difference_config_selectorILb1EsEEZNS1_24adjacent_difference_implIS3_Lb1ELb0EPsN6thrust23THRUST_200600_302600_NS16discard_iteratorINS9_11use_defaultEEENS9_5minusIsEEEE10hipError_tPvRmT2_T3_mT4_P12ihipStream_tbEUlT_E_NS1_11comp_targetILNS1_3genE10ELNS1_11target_archE1201ELNS1_3gpuE5ELNS1_3repE0EEENS1_30default_config_static_selectorELNS0_4arch9wavefront6targetE1EEEvT1_, .Lfunc_end902-_ZN7rocprim17ROCPRIM_400000_NS6detail17trampoline_kernelINS0_14default_configENS1_35adjacent_difference_config_selectorILb1EsEEZNS1_24adjacent_difference_implIS3_Lb1ELb0EPsN6thrust23THRUST_200600_302600_NS16discard_iteratorINS9_11use_defaultEEENS9_5minusIsEEEE10hipError_tPvRmT2_T3_mT4_P12ihipStream_tbEUlT_E_NS1_11comp_targetILNS1_3genE10ELNS1_11target_archE1201ELNS1_3gpuE5ELNS1_3repE0EEENS1_30default_config_static_selectorELNS0_4arch9wavefront6targetE1EEEvT1_
                                        ; -- End function
	.set _ZN7rocprim17ROCPRIM_400000_NS6detail17trampoline_kernelINS0_14default_configENS1_35adjacent_difference_config_selectorILb1EsEEZNS1_24adjacent_difference_implIS3_Lb1ELb0EPsN6thrust23THRUST_200600_302600_NS16discard_iteratorINS9_11use_defaultEEENS9_5minusIsEEEE10hipError_tPvRmT2_T3_mT4_P12ihipStream_tbEUlT_E_NS1_11comp_targetILNS1_3genE10ELNS1_11target_archE1201ELNS1_3gpuE5ELNS1_3repE0EEENS1_30default_config_static_selectorELNS0_4arch9wavefront6targetE1EEEvT1_.num_vgpr, 0
	.set _ZN7rocprim17ROCPRIM_400000_NS6detail17trampoline_kernelINS0_14default_configENS1_35adjacent_difference_config_selectorILb1EsEEZNS1_24adjacent_difference_implIS3_Lb1ELb0EPsN6thrust23THRUST_200600_302600_NS16discard_iteratorINS9_11use_defaultEEENS9_5minusIsEEEE10hipError_tPvRmT2_T3_mT4_P12ihipStream_tbEUlT_E_NS1_11comp_targetILNS1_3genE10ELNS1_11target_archE1201ELNS1_3gpuE5ELNS1_3repE0EEENS1_30default_config_static_selectorELNS0_4arch9wavefront6targetE1EEEvT1_.num_agpr, 0
	.set _ZN7rocprim17ROCPRIM_400000_NS6detail17trampoline_kernelINS0_14default_configENS1_35adjacent_difference_config_selectorILb1EsEEZNS1_24adjacent_difference_implIS3_Lb1ELb0EPsN6thrust23THRUST_200600_302600_NS16discard_iteratorINS9_11use_defaultEEENS9_5minusIsEEEE10hipError_tPvRmT2_T3_mT4_P12ihipStream_tbEUlT_E_NS1_11comp_targetILNS1_3genE10ELNS1_11target_archE1201ELNS1_3gpuE5ELNS1_3repE0EEENS1_30default_config_static_selectorELNS0_4arch9wavefront6targetE1EEEvT1_.numbered_sgpr, 0
	.set _ZN7rocprim17ROCPRIM_400000_NS6detail17trampoline_kernelINS0_14default_configENS1_35adjacent_difference_config_selectorILb1EsEEZNS1_24adjacent_difference_implIS3_Lb1ELb0EPsN6thrust23THRUST_200600_302600_NS16discard_iteratorINS9_11use_defaultEEENS9_5minusIsEEEE10hipError_tPvRmT2_T3_mT4_P12ihipStream_tbEUlT_E_NS1_11comp_targetILNS1_3genE10ELNS1_11target_archE1201ELNS1_3gpuE5ELNS1_3repE0EEENS1_30default_config_static_selectorELNS0_4arch9wavefront6targetE1EEEvT1_.num_named_barrier, 0
	.set _ZN7rocprim17ROCPRIM_400000_NS6detail17trampoline_kernelINS0_14default_configENS1_35adjacent_difference_config_selectorILb1EsEEZNS1_24adjacent_difference_implIS3_Lb1ELb0EPsN6thrust23THRUST_200600_302600_NS16discard_iteratorINS9_11use_defaultEEENS9_5minusIsEEEE10hipError_tPvRmT2_T3_mT4_P12ihipStream_tbEUlT_E_NS1_11comp_targetILNS1_3genE10ELNS1_11target_archE1201ELNS1_3gpuE5ELNS1_3repE0EEENS1_30default_config_static_selectorELNS0_4arch9wavefront6targetE1EEEvT1_.private_seg_size, 0
	.set _ZN7rocprim17ROCPRIM_400000_NS6detail17trampoline_kernelINS0_14default_configENS1_35adjacent_difference_config_selectorILb1EsEEZNS1_24adjacent_difference_implIS3_Lb1ELb0EPsN6thrust23THRUST_200600_302600_NS16discard_iteratorINS9_11use_defaultEEENS9_5minusIsEEEE10hipError_tPvRmT2_T3_mT4_P12ihipStream_tbEUlT_E_NS1_11comp_targetILNS1_3genE10ELNS1_11target_archE1201ELNS1_3gpuE5ELNS1_3repE0EEENS1_30default_config_static_selectorELNS0_4arch9wavefront6targetE1EEEvT1_.uses_vcc, 0
	.set _ZN7rocprim17ROCPRIM_400000_NS6detail17trampoline_kernelINS0_14default_configENS1_35adjacent_difference_config_selectorILb1EsEEZNS1_24adjacent_difference_implIS3_Lb1ELb0EPsN6thrust23THRUST_200600_302600_NS16discard_iteratorINS9_11use_defaultEEENS9_5minusIsEEEE10hipError_tPvRmT2_T3_mT4_P12ihipStream_tbEUlT_E_NS1_11comp_targetILNS1_3genE10ELNS1_11target_archE1201ELNS1_3gpuE5ELNS1_3repE0EEENS1_30default_config_static_selectorELNS0_4arch9wavefront6targetE1EEEvT1_.uses_flat_scratch, 0
	.set _ZN7rocprim17ROCPRIM_400000_NS6detail17trampoline_kernelINS0_14default_configENS1_35adjacent_difference_config_selectorILb1EsEEZNS1_24adjacent_difference_implIS3_Lb1ELb0EPsN6thrust23THRUST_200600_302600_NS16discard_iteratorINS9_11use_defaultEEENS9_5minusIsEEEE10hipError_tPvRmT2_T3_mT4_P12ihipStream_tbEUlT_E_NS1_11comp_targetILNS1_3genE10ELNS1_11target_archE1201ELNS1_3gpuE5ELNS1_3repE0EEENS1_30default_config_static_selectorELNS0_4arch9wavefront6targetE1EEEvT1_.has_dyn_sized_stack, 0
	.set _ZN7rocprim17ROCPRIM_400000_NS6detail17trampoline_kernelINS0_14default_configENS1_35adjacent_difference_config_selectorILb1EsEEZNS1_24adjacent_difference_implIS3_Lb1ELb0EPsN6thrust23THRUST_200600_302600_NS16discard_iteratorINS9_11use_defaultEEENS9_5minusIsEEEE10hipError_tPvRmT2_T3_mT4_P12ihipStream_tbEUlT_E_NS1_11comp_targetILNS1_3genE10ELNS1_11target_archE1201ELNS1_3gpuE5ELNS1_3repE0EEENS1_30default_config_static_selectorELNS0_4arch9wavefront6targetE1EEEvT1_.has_recursion, 0
	.set _ZN7rocprim17ROCPRIM_400000_NS6detail17trampoline_kernelINS0_14default_configENS1_35adjacent_difference_config_selectorILb1EsEEZNS1_24adjacent_difference_implIS3_Lb1ELb0EPsN6thrust23THRUST_200600_302600_NS16discard_iteratorINS9_11use_defaultEEENS9_5minusIsEEEE10hipError_tPvRmT2_T3_mT4_P12ihipStream_tbEUlT_E_NS1_11comp_targetILNS1_3genE10ELNS1_11target_archE1201ELNS1_3gpuE5ELNS1_3repE0EEENS1_30default_config_static_selectorELNS0_4arch9wavefront6targetE1EEEvT1_.has_indirect_call, 0
	.section	.AMDGPU.csdata,"",@progbits
; Kernel info:
; codeLenInByte = 0
; TotalNumSgprs: 4
; NumVgprs: 0
; ScratchSize: 0
; MemoryBound: 0
; FloatMode: 240
; IeeeMode: 1
; LDSByteSize: 0 bytes/workgroup (compile time only)
; SGPRBlocks: 0
; VGPRBlocks: 0
; NumSGPRsForWavesPerEU: 4
; NumVGPRsForWavesPerEU: 1
; Occupancy: 10
; WaveLimiterHint : 0
; COMPUTE_PGM_RSRC2:SCRATCH_EN: 0
; COMPUTE_PGM_RSRC2:USER_SGPR: 6
; COMPUTE_PGM_RSRC2:TRAP_HANDLER: 0
; COMPUTE_PGM_RSRC2:TGID_X_EN: 1
; COMPUTE_PGM_RSRC2:TGID_Y_EN: 0
; COMPUTE_PGM_RSRC2:TGID_Z_EN: 0
; COMPUTE_PGM_RSRC2:TIDIG_COMP_CNT: 0
	.section	.text._ZN7rocprim17ROCPRIM_400000_NS6detail17trampoline_kernelINS0_14default_configENS1_35adjacent_difference_config_selectorILb1EsEEZNS1_24adjacent_difference_implIS3_Lb1ELb0EPsN6thrust23THRUST_200600_302600_NS16discard_iteratorINS9_11use_defaultEEENS9_5minusIsEEEE10hipError_tPvRmT2_T3_mT4_P12ihipStream_tbEUlT_E_NS1_11comp_targetILNS1_3genE5ELNS1_11target_archE942ELNS1_3gpuE9ELNS1_3repE0EEENS1_30default_config_static_selectorELNS0_4arch9wavefront6targetE1EEEvT1_,"axG",@progbits,_ZN7rocprim17ROCPRIM_400000_NS6detail17trampoline_kernelINS0_14default_configENS1_35adjacent_difference_config_selectorILb1EsEEZNS1_24adjacent_difference_implIS3_Lb1ELb0EPsN6thrust23THRUST_200600_302600_NS16discard_iteratorINS9_11use_defaultEEENS9_5minusIsEEEE10hipError_tPvRmT2_T3_mT4_P12ihipStream_tbEUlT_E_NS1_11comp_targetILNS1_3genE5ELNS1_11target_archE942ELNS1_3gpuE9ELNS1_3repE0EEENS1_30default_config_static_selectorELNS0_4arch9wavefront6targetE1EEEvT1_,comdat
	.protected	_ZN7rocprim17ROCPRIM_400000_NS6detail17trampoline_kernelINS0_14default_configENS1_35adjacent_difference_config_selectorILb1EsEEZNS1_24adjacent_difference_implIS3_Lb1ELb0EPsN6thrust23THRUST_200600_302600_NS16discard_iteratorINS9_11use_defaultEEENS9_5minusIsEEEE10hipError_tPvRmT2_T3_mT4_P12ihipStream_tbEUlT_E_NS1_11comp_targetILNS1_3genE5ELNS1_11target_archE942ELNS1_3gpuE9ELNS1_3repE0EEENS1_30default_config_static_selectorELNS0_4arch9wavefront6targetE1EEEvT1_ ; -- Begin function _ZN7rocprim17ROCPRIM_400000_NS6detail17trampoline_kernelINS0_14default_configENS1_35adjacent_difference_config_selectorILb1EsEEZNS1_24adjacent_difference_implIS3_Lb1ELb0EPsN6thrust23THRUST_200600_302600_NS16discard_iteratorINS9_11use_defaultEEENS9_5minusIsEEEE10hipError_tPvRmT2_T3_mT4_P12ihipStream_tbEUlT_E_NS1_11comp_targetILNS1_3genE5ELNS1_11target_archE942ELNS1_3gpuE9ELNS1_3repE0EEENS1_30default_config_static_selectorELNS0_4arch9wavefront6targetE1EEEvT1_
	.globl	_ZN7rocprim17ROCPRIM_400000_NS6detail17trampoline_kernelINS0_14default_configENS1_35adjacent_difference_config_selectorILb1EsEEZNS1_24adjacent_difference_implIS3_Lb1ELb0EPsN6thrust23THRUST_200600_302600_NS16discard_iteratorINS9_11use_defaultEEENS9_5minusIsEEEE10hipError_tPvRmT2_T3_mT4_P12ihipStream_tbEUlT_E_NS1_11comp_targetILNS1_3genE5ELNS1_11target_archE942ELNS1_3gpuE9ELNS1_3repE0EEENS1_30default_config_static_selectorELNS0_4arch9wavefront6targetE1EEEvT1_
	.p2align	8
	.type	_ZN7rocprim17ROCPRIM_400000_NS6detail17trampoline_kernelINS0_14default_configENS1_35adjacent_difference_config_selectorILb1EsEEZNS1_24adjacent_difference_implIS3_Lb1ELb0EPsN6thrust23THRUST_200600_302600_NS16discard_iteratorINS9_11use_defaultEEENS9_5minusIsEEEE10hipError_tPvRmT2_T3_mT4_P12ihipStream_tbEUlT_E_NS1_11comp_targetILNS1_3genE5ELNS1_11target_archE942ELNS1_3gpuE9ELNS1_3repE0EEENS1_30default_config_static_selectorELNS0_4arch9wavefront6targetE1EEEvT1_,@function
_ZN7rocprim17ROCPRIM_400000_NS6detail17trampoline_kernelINS0_14default_configENS1_35adjacent_difference_config_selectorILb1EsEEZNS1_24adjacent_difference_implIS3_Lb1ELb0EPsN6thrust23THRUST_200600_302600_NS16discard_iteratorINS9_11use_defaultEEENS9_5minusIsEEEE10hipError_tPvRmT2_T3_mT4_P12ihipStream_tbEUlT_E_NS1_11comp_targetILNS1_3genE5ELNS1_11target_archE942ELNS1_3gpuE9ELNS1_3repE0EEENS1_30default_config_static_selectorELNS0_4arch9wavefront6targetE1EEEvT1_: ; @_ZN7rocprim17ROCPRIM_400000_NS6detail17trampoline_kernelINS0_14default_configENS1_35adjacent_difference_config_selectorILb1EsEEZNS1_24adjacent_difference_implIS3_Lb1ELb0EPsN6thrust23THRUST_200600_302600_NS16discard_iteratorINS9_11use_defaultEEENS9_5minusIsEEEE10hipError_tPvRmT2_T3_mT4_P12ihipStream_tbEUlT_E_NS1_11comp_targetILNS1_3genE5ELNS1_11target_archE942ELNS1_3gpuE9ELNS1_3repE0EEENS1_30default_config_static_selectorELNS0_4arch9wavefront6targetE1EEEvT1_
; %bb.0:
	.section	.rodata,"a",@progbits
	.p2align	6, 0x0
	.amdhsa_kernel _ZN7rocprim17ROCPRIM_400000_NS6detail17trampoline_kernelINS0_14default_configENS1_35adjacent_difference_config_selectorILb1EsEEZNS1_24adjacent_difference_implIS3_Lb1ELb0EPsN6thrust23THRUST_200600_302600_NS16discard_iteratorINS9_11use_defaultEEENS9_5minusIsEEEE10hipError_tPvRmT2_T3_mT4_P12ihipStream_tbEUlT_E_NS1_11comp_targetILNS1_3genE5ELNS1_11target_archE942ELNS1_3gpuE9ELNS1_3repE0EEENS1_30default_config_static_selectorELNS0_4arch9wavefront6targetE1EEEvT1_
		.amdhsa_group_segment_fixed_size 0
		.amdhsa_private_segment_fixed_size 0
		.amdhsa_kernarg_size 64
		.amdhsa_user_sgpr_count 6
		.amdhsa_user_sgpr_private_segment_buffer 1
		.amdhsa_user_sgpr_dispatch_ptr 0
		.amdhsa_user_sgpr_queue_ptr 0
		.amdhsa_user_sgpr_kernarg_segment_ptr 1
		.amdhsa_user_sgpr_dispatch_id 0
		.amdhsa_user_sgpr_flat_scratch_init 0
		.amdhsa_user_sgpr_private_segment_size 0
		.amdhsa_uses_dynamic_stack 0
		.amdhsa_system_sgpr_private_segment_wavefront_offset 0
		.amdhsa_system_sgpr_workgroup_id_x 1
		.amdhsa_system_sgpr_workgroup_id_y 0
		.amdhsa_system_sgpr_workgroup_id_z 0
		.amdhsa_system_sgpr_workgroup_info 0
		.amdhsa_system_vgpr_workitem_id 0
		.amdhsa_next_free_vgpr 1
		.amdhsa_next_free_sgpr 0
		.amdhsa_reserve_vcc 0
		.amdhsa_reserve_flat_scratch 0
		.amdhsa_float_round_mode_32 0
		.amdhsa_float_round_mode_16_64 0
		.amdhsa_float_denorm_mode_32 3
		.amdhsa_float_denorm_mode_16_64 3
		.amdhsa_dx10_clamp 1
		.amdhsa_ieee_mode 1
		.amdhsa_fp16_overflow 0
		.amdhsa_exception_fp_ieee_invalid_op 0
		.amdhsa_exception_fp_denorm_src 0
		.amdhsa_exception_fp_ieee_div_zero 0
		.amdhsa_exception_fp_ieee_overflow 0
		.amdhsa_exception_fp_ieee_underflow 0
		.amdhsa_exception_fp_ieee_inexact 0
		.amdhsa_exception_int_div_zero 0
	.end_amdhsa_kernel
	.section	.text._ZN7rocprim17ROCPRIM_400000_NS6detail17trampoline_kernelINS0_14default_configENS1_35adjacent_difference_config_selectorILb1EsEEZNS1_24adjacent_difference_implIS3_Lb1ELb0EPsN6thrust23THRUST_200600_302600_NS16discard_iteratorINS9_11use_defaultEEENS9_5minusIsEEEE10hipError_tPvRmT2_T3_mT4_P12ihipStream_tbEUlT_E_NS1_11comp_targetILNS1_3genE5ELNS1_11target_archE942ELNS1_3gpuE9ELNS1_3repE0EEENS1_30default_config_static_selectorELNS0_4arch9wavefront6targetE1EEEvT1_,"axG",@progbits,_ZN7rocprim17ROCPRIM_400000_NS6detail17trampoline_kernelINS0_14default_configENS1_35adjacent_difference_config_selectorILb1EsEEZNS1_24adjacent_difference_implIS3_Lb1ELb0EPsN6thrust23THRUST_200600_302600_NS16discard_iteratorINS9_11use_defaultEEENS9_5minusIsEEEE10hipError_tPvRmT2_T3_mT4_P12ihipStream_tbEUlT_E_NS1_11comp_targetILNS1_3genE5ELNS1_11target_archE942ELNS1_3gpuE9ELNS1_3repE0EEENS1_30default_config_static_selectorELNS0_4arch9wavefront6targetE1EEEvT1_,comdat
.Lfunc_end903:
	.size	_ZN7rocprim17ROCPRIM_400000_NS6detail17trampoline_kernelINS0_14default_configENS1_35adjacent_difference_config_selectorILb1EsEEZNS1_24adjacent_difference_implIS3_Lb1ELb0EPsN6thrust23THRUST_200600_302600_NS16discard_iteratorINS9_11use_defaultEEENS9_5minusIsEEEE10hipError_tPvRmT2_T3_mT4_P12ihipStream_tbEUlT_E_NS1_11comp_targetILNS1_3genE5ELNS1_11target_archE942ELNS1_3gpuE9ELNS1_3repE0EEENS1_30default_config_static_selectorELNS0_4arch9wavefront6targetE1EEEvT1_, .Lfunc_end903-_ZN7rocprim17ROCPRIM_400000_NS6detail17trampoline_kernelINS0_14default_configENS1_35adjacent_difference_config_selectorILb1EsEEZNS1_24adjacent_difference_implIS3_Lb1ELb0EPsN6thrust23THRUST_200600_302600_NS16discard_iteratorINS9_11use_defaultEEENS9_5minusIsEEEE10hipError_tPvRmT2_T3_mT4_P12ihipStream_tbEUlT_E_NS1_11comp_targetILNS1_3genE5ELNS1_11target_archE942ELNS1_3gpuE9ELNS1_3repE0EEENS1_30default_config_static_selectorELNS0_4arch9wavefront6targetE1EEEvT1_
                                        ; -- End function
	.set _ZN7rocprim17ROCPRIM_400000_NS6detail17trampoline_kernelINS0_14default_configENS1_35adjacent_difference_config_selectorILb1EsEEZNS1_24adjacent_difference_implIS3_Lb1ELb0EPsN6thrust23THRUST_200600_302600_NS16discard_iteratorINS9_11use_defaultEEENS9_5minusIsEEEE10hipError_tPvRmT2_T3_mT4_P12ihipStream_tbEUlT_E_NS1_11comp_targetILNS1_3genE5ELNS1_11target_archE942ELNS1_3gpuE9ELNS1_3repE0EEENS1_30default_config_static_selectorELNS0_4arch9wavefront6targetE1EEEvT1_.num_vgpr, 0
	.set _ZN7rocprim17ROCPRIM_400000_NS6detail17trampoline_kernelINS0_14default_configENS1_35adjacent_difference_config_selectorILb1EsEEZNS1_24adjacent_difference_implIS3_Lb1ELb0EPsN6thrust23THRUST_200600_302600_NS16discard_iteratorINS9_11use_defaultEEENS9_5minusIsEEEE10hipError_tPvRmT2_T3_mT4_P12ihipStream_tbEUlT_E_NS1_11comp_targetILNS1_3genE5ELNS1_11target_archE942ELNS1_3gpuE9ELNS1_3repE0EEENS1_30default_config_static_selectorELNS0_4arch9wavefront6targetE1EEEvT1_.num_agpr, 0
	.set _ZN7rocprim17ROCPRIM_400000_NS6detail17trampoline_kernelINS0_14default_configENS1_35adjacent_difference_config_selectorILb1EsEEZNS1_24adjacent_difference_implIS3_Lb1ELb0EPsN6thrust23THRUST_200600_302600_NS16discard_iteratorINS9_11use_defaultEEENS9_5minusIsEEEE10hipError_tPvRmT2_T3_mT4_P12ihipStream_tbEUlT_E_NS1_11comp_targetILNS1_3genE5ELNS1_11target_archE942ELNS1_3gpuE9ELNS1_3repE0EEENS1_30default_config_static_selectorELNS0_4arch9wavefront6targetE1EEEvT1_.numbered_sgpr, 0
	.set _ZN7rocprim17ROCPRIM_400000_NS6detail17trampoline_kernelINS0_14default_configENS1_35adjacent_difference_config_selectorILb1EsEEZNS1_24adjacent_difference_implIS3_Lb1ELb0EPsN6thrust23THRUST_200600_302600_NS16discard_iteratorINS9_11use_defaultEEENS9_5minusIsEEEE10hipError_tPvRmT2_T3_mT4_P12ihipStream_tbEUlT_E_NS1_11comp_targetILNS1_3genE5ELNS1_11target_archE942ELNS1_3gpuE9ELNS1_3repE0EEENS1_30default_config_static_selectorELNS0_4arch9wavefront6targetE1EEEvT1_.num_named_barrier, 0
	.set _ZN7rocprim17ROCPRIM_400000_NS6detail17trampoline_kernelINS0_14default_configENS1_35adjacent_difference_config_selectorILb1EsEEZNS1_24adjacent_difference_implIS3_Lb1ELb0EPsN6thrust23THRUST_200600_302600_NS16discard_iteratorINS9_11use_defaultEEENS9_5minusIsEEEE10hipError_tPvRmT2_T3_mT4_P12ihipStream_tbEUlT_E_NS1_11comp_targetILNS1_3genE5ELNS1_11target_archE942ELNS1_3gpuE9ELNS1_3repE0EEENS1_30default_config_static_selectorELNS0_4arch9wavefront6targetE1EEEvT1_.private_seg_size, 0
	.set _ZN7rocprim17ROCPRIM_400000_NS6detail17trampoline_kernelINS0_14default_configENS1_35adjacent_difference_config_selectorILb1EsEEZNS1_24adjacent_difference_implIS3_Lb1ELb0EPsN6thrust23THRUST_200600_302600_NS16discard_iteratorINS9_11use_defaultEEENS9_5minusIsEEEE10hipError_tPvRmT2_T3_mT4_P12ihipStream_tbEUlT_E_NS1_11comp_targetILNS1_3genE5ELNS1_11target_archE942ELNS1_3gpuE9ELNS1_3repE0EEENS1_30default_config_static_selectorELNS0_4arch9wavefront6targetE1EEEvT1_.uses_vcc, 0
	.set _ZN7rocprim17ROCPRIM_400000_NS6detail17trampoline_kernelINS0_14default_configENS1_35adjacent_difference_config_selectorILb1EsEEZNS1_24adjacent_difference_implIS3_Lb1ELb0EPsN6thrust23THRUST_200600_302600_NS16discard_iteratorINS9_11use_defaultEEENS9_5minusIsEEEE10hipError_tPvRmT2_T3_mT4_P12ihipStream_tbEUlT_E_NS1_11comp_targetILNS1_3genE5ELNS1_11target_archE942ELNS1_3gpuE9ELNS1_3repE0EEENS1_30default_config_static_selectorELNS0_4arch9wavefront6targetE1EEEvT1_.uses_flat_scratch, 0
	.set _ZN7rocprim17ROCPRIM_400000_NS6detail17trampoline_kernelINS0_14default_configENS1_35adjacent_difference_config_selectorILb1EsEEZNS1_24adjacent_difference_implIS3_Lb1ELb0EPsN6thrust23THRUST_200600_302600_NS16discard_iteratorINS9_11use_defaultEEENS9_5minusIsEEEE10hipError_tPvRmT2_T3_mT4_P12ihipStream_tbEUlT_E_NS1_11comp_targetILNS1_3genE5ELNS1_11target_archE942ELNS1_3gpuE9ELNS1_3repE0EEENS1_30default_config_static_selectorELNS0_4arch9wavefront6targetE1EEEvT1_.has_dyn_sized_stack, 0
	.set _ZN7rocprim17ROCPRIM_400000_NS6detail17trampoline_kernelINS0_14default_configENS1_35adjacent_difference_config_selectorILb1EsEEZNS1_24adjacent_difference_implIS3_Lb1ELb0EPsN6thrust23THRUST_200600_302600_NS16discard_iteratorINS9_11use_defaultEEENS9_5minusIsEEEE10hipError_tPvRmT2_T3_mT4_P12ihipStream_tbEUlT_E_NS1_11comp_targetILNS1_3genE5ELNS1_11target_archE942ELNS1_3gpuE9ELNS1_3repE0EEENS1_30default_config_static_selectorELNS0_4arch9wavefront6targetE1EEEvT1_.has_recursion, 0
	.set _ZN7rocprim17ROCPRIM_400000_NS6detail17trampoline_kernelINS0_14default_configENS1_35adjacent_difference_config_selectorILb1EsEEZNS1_24adjacent_difference_implIS3_Lb1ELb0EPsN6thrust23THRUST_200600_302600_NS16discard_iteratorINS9_11use_defaultEEENS9_5minusIsEEEE10hipError_tPvRmT2_T3_mT4_P12ihipStream_tbEUlT_E_NS1_11comp_targetILNS1_3genE5ELNS1_11target_archE942ELNS1_3gpuE9ELNS1_3repE0EEENS1_30default_config_static_selectorELNS0_4arch9wavefront6targetE1EEEvT1_.has_indirect_call, 0
	.section	.AMDGPU.csdata,"",@progbits
; Kernel info:
; codeLenInByte = 0
; TotalNumSgprs: 4
; NumVgprs: 0
; ScratchSize: 0
; MemoryBound: 0
; FloatMode: 240
; IeeeMode: 1
; LDSByteSize: 0 bytes/workgroup (compile time only)
; SGPRBlocks: 0
; VGPRBlocks: 0
; NumSGPRsForWavesPerEU: 4
; NumVGPRsForWavesPerEU: 1
; Occupancy: 10
; WaveLimiterHint : 0
; COMPUTE_PGM_RSRC2:SCRATCH_EN: 0
; COMPUTE_PGM_RSRC2:USER_SGPR: 6
; COMPUTE_PGM_RSRC2:TRAP_HANDLER: 0
; COMPUTE_PGM_RSRC2:TGID_X_EN: 1
; COMPUTE_PGM_RSRC2:TGID_Y_EN: 0
; COMPUTE_PGM_RSRC2:TGID_Z_EN: 0
; COMPUTE_PGM_RSRC2:TIDIG_COMP_CNT: 0
	.section	.text._ZN7rocprim17ROCPRIM_400000_NS6detail17trampoline_kernelINS0_14default_configENS1_35adjacent_difference_config_selectorILb1EsEEZNS1_24adjacent_difference_implIS3_Lb1ELb0EPsN6thrust23THRUST_200600_302600_NS16discard_iteratorINS9_11use_defaultEEENS9_5minusIsEEEE10hipError_tPvRmT2_T3_mT4_P12ihipStream_tbEUlT_E_NS1_11comp_targetILNS1_3genE4ELNS1_11target_archE910ELNS1_3gpuE8ELNS1_3repE0EEENS1_30default_config_static_selectorELNS0_4arch9wavefront6targetE1EEEvT1_,"axG",@progbits,_ZN7rocprim17ROCPRIM_400000_NS6detail17trampoline_kernelINS0_14default_configENS1_35adjacent_difference_config_selectorILb1EsEEZNS1_24adjacent_difference_implIS3_Lb1ELb0EPsN6thrust23THRUST_200600_302600_NS16discard_iteratorINS9_11use_defaultEEENS9_5minusIsEEEE10hipError_tPvRmT2_T3_mT4_P12ihipStream_tbEUlT_E_NS1_11comp_targetILNS1_3genE4ELNS1_11target_archE910ELNS1_3gpuE8ELNS1_3repE0EEENS1_30default_config_static_selectorELNS0_4arch9wavefront6targetE1EEEvT1_,comdat
	.protected	_ZN7rocprim17ROCPRIM_400000_NS6detail17trampoline_kernelINS0_14default_configENS1_35adjacent_difference_config_selectorILb1EsEEZNS1_24adjacent_difference_implIS3_Lb1ELb0EPsN6thrust23THRUST_200600_302600_NS16discard_iteratorINS9_11use_defaultEEENS9_5minusIsEEEE10hipError_tPvRmT2_T3_mT4_P12ihipStream_tbEUlT_E_NS1_11comp_targetILNS1_3genE4ELNS1_11target_archE910ELNS1_3gpuE8ELNS1_3repE0EEENS1_30default_config_static_selectorELNS0_4arch9wavefront6targetE1EEEvT1_ ; -- Begin function _ZN7rocprim17ROCPRIM_400000_NS6detail17trampoline_kernelINS0_14default_configENS1_35adjacent_difference_config_selectorILb1EsEEZNS1_24adjacent_difference_implIS3_Lb1ELb0EPsN6thrust23THRUST_200600_302600_NS16discard_iteratorINS9_11use_defaultEEENS9_5minusIsEEEE10hipError_tPvRmT2_T3_mT4_P12ihipStream_tbEUlT_E_NS1_11comp_targetILNS1_3genE4ELNS1_11target_archE910ELNS1_3gpuE8ELNS1_3repE0EEENS1_30default_config_static_selectorELNS0_4arch9wavefront6targetE1EEEvT1_
	.globl	_ZN7rocprim17ROCPRIM_400000_NS6detail17trampoline_kernelINS0_14default_configENS1_35adjacent_difference_config_selectorILb1EsEEZNS1_24adjacent_difference_implIS3_Lb1ELb0EPsN6thrust23THRUST_200600_302600_NS16discard_iteratorINS9_11use_defaultEEENS9_5minusIsEEEE10hipError_tPvRmT2_T3_mT4_P12ihipStream_tbEUlT_E_NS1_11comp_targetILNS1_3genE4ELNS1_11target_archE910ELNS1_3gpuE8ELNS1_3repE0EEENS1_30default_config_static_selectorELNS0_4arch9wavefront6targetE1EEEvT1_
	.p2align	8
	.type	_ZN7rocprim17ROCPRIM_400000_NS6detail17trampoline_kernelINS0_14default_configENS1_35adjacent_difference_config_selectorILb1EsEEZNS1_24adjacent_difference_implIS3_Lb1ELb0EPsN6thrust23THRUST_200600_302600_NS16discard_iteratorINS9_11use_defaultEEENS9_5minusIsEEEE10hipError_tPvRmT2_T3_mT4_P12ihipStream_tbEUlT_E_NS1_11comp_targetILNS1_3genE4ELNS1_11target_archE910ELNS1_3gpuE8ELNS1_3repE0EEENS1_30default_config_static_selectorELNS0_4arch9wavefront6targetE1EEEvT1_,@function
_ZN7rocprim17ROCPRIM_400000_NS6detail17trampoline_kernelINS0_14default_configENS1_35adjacent_difference_config_selectorILb1EsEEZNS1_24adjacent_difference_implIS3_Lb1ELb0EPsN6thrust23THRUST_200600_302600_NS16discard_iteratorINS9_11use_defaultEEENS9_5minusIsEEEE10hipError_tPvRmT2_T3_mT4_P12ihipStream_tbEUlT_E_NS1_11comp_targetILNS1_3genE4ELNS1_11target_archE910ELNS1_3gpuE8ELNS1_3repE0EEENS1_30default_config_static_selectorELNS0_4arch9wavefront6targetE1EEEvT1_: ; @_ZN7rocprim17ROCPRIM_400000_NS6detail17trampoline_kernelINS0_14default_configENS1_35adjacent_difference_config_selectorILb1EsEEZNS1_24adjacent_difference_implIS3_Lb1ELb0EPsN6thrust23THRUST_200600_302600_NS16discard_iteratorINS9_11use_defaultEEENS9_5minusIsEEEE10hipError_tPvRmT2_T3_mT4_P12ihipStream_tbEUlT_E_NS1_11comp_targetILNS1_3genE4ELNS1_11target_archE910ELNS1_3gpuE8ELNS1_3repE0EEENS1_30default_config_static_selectorELNS0_4arch9wavefront6targetE1EEEvT1_
; %bb.0:
	.section	.rodata,"a",@progbits
	.p2align	6, 0x0
	.amdhsa_kernel _ZN7rocprim17ROCPRIM_400000_NS6detail17trampoline_kernelINS0_14default_configENS1_35adjacent_difference_config_selectorILb1EsEEZNS1_24adjacent_difference_implIS3_Lb1ELb0EPsN6thrust23THRUST_200600_302600_NS16discard_iteratorINS9_11use_defaultEEENS9_5minusIsEEEE10hipError_tPvRmT2_T3_mT4_P12ihipStream_tbEUlT_E_NS1_11comp_targetILNS1_3genE4ELNS1_11target_archE910ELNS1_3gpuE8ELNS1_3repE0EEENS1_30default_config_static_selectorELNS0_4arch9wavefront6targetE1EEEvT1_
		.amdhsa_group_segment_fixed_size 0
		.amdhsa_private_segment_fixed_size 0
		.amdhsa_kernarg_size 64
		.amdhsa_user_sgpr_count 6
		.amdhsa_user_sgpr_private_segment_buffer 1
		.amdhsa_user_sgpr_dispatch_ptr 0
		.amdhsa_user_sgpr_queue_ptr 0
		.amdhsa_user_sgpr_kernarg_segment_ptr 1
		.amdhsa_user_sgpr_dispatch_id 0
		.amdhsa_user_sgpr_flat_scratch_init 0
		.amdhsa_user_sgpr_private_segment_size 0
		.amdhsa_uses_dynamic_stack 0
		.amdhsa_system_sgpr_private_segment_wavefront_offset 0
		.amdhsa_system_sgpr_workgroup_id_x 1
		.amdhsa_system_sgpr_workgroup_id_y 0
		.amdhsa_system_sgpr_workgroup_id_z 0
		.amdhsa_system_sgpr_workgroup_info 0
		.amdhsa_system_vgpr_workitem_id 0
		.amdhsa_next_free_vgpr 1
		.amdhsa_next_free_sgpr 0
		.amdhsa_reserve_vcc 0
		.amdhsa_reserve_flat_scratch 0
		.amdhsa_float_round_mode_32 0
		.amdhsa_float_round_mode_16_64 0
		.amdhsa_float_denorm_mode_32 3
		.amdhsa_float_denorm_mode_16_64 3
		.amdhsa_dx10_clamp 1
		.amdhsa_ieee_mode 1
		.amdhsa_fp16_overflow 0
		.amdhsa_exception_fp_ieee_invalid_op 0
		.amdhsa_exception_fp_denorm_src 0
		.amdhsa_exception_fp_ieee_div_zero 0
		.amdhsa_exception_fp_ieee_overflow 0
		.amdhsa_exception_fp_ieee_underflow 0
		.amdhsa_exception_fp_ieee_inexact 0
		.amdhsa_exception_int_div_zero 0
	.end_amdhsa_kernel
	.section	.text._ZN7rocprim17ROCPRIM_400000_NS6detail17trampoline_kernelINS0_14default_configENS1_35adjacent_difference_config_selectorILb1EsEEZNS1_24adjacent_difference_implIS3_Lb1ELb0EPsN6thrust23THRUST_200600_302600_NS16discard_iteratorINS9_11use_defaultEEENS9_5minusIsEEEE10hipError_tPvRmT2_T3_mT4_P12ihipStream_tbEUlT_E_NS1_11comp_targetILNS1_3genE4ELNS1_11target_archE910ELNS1_3gpuE8ELNS1_3repE0EEENS1_30default_config_static_selectorELNS0_4arch9wavefront6targetE1EEEvT1_,"axG",@progbits,_ZN7rocprim17ROCPRIM_400000_NS6detail17trampoline_kernelINS0_14default_configENS1_35adjacent_difference_config_selectorILb1EsEEZNS1_24adjacent_difference_implIS3_Lb1ELb0EPsN6thrust23THRUST_200600_302600_NS16discard_iteratorINS9_11use_defaultEEENS9_5minusIsEEEE10hipError_tPvRmT2_T3_mT4_P12ihipStream_tbEUlT_E_NS1_11comp_targetILNS1_3genE4ELNS1_11target_archE910ELNS1_3gpuE8ELNS1_3repE0EEENS1_30default_config_static_selectorELNS0_4arch9wavefront6targetE1EEEvT1_,comdat
.Lfunc_end904:
	.size	_ZN7rocprim17ROCPRIM_400000_NS6detail17trampoline_kernelINS0_14default_configENS1_35adjacent_difference_config_selectorILb1EsEEZNS1_24adjacent_difference_implIS3_Lb1ELb0EPsN6thrust23THRUST_200600_302600_NS16discard_iteratorINS9_11use_defaultEEENS9_5minusIsEEEE10hipError_tPvRmT2_T3_mT4_P12ihipStream_tbEUlT_E_NS1_11comp_targetILNS1_3genE4ELNS1_11target_archE910ELNS1_3gpuE8ELNS1_3repE0EEENS1_30default_config_static_selectorELNS0_4arch9wavefront6targetE1EEEvT1_, .Lfunc_end904-_ZN7rocprim17ROCPRIM_400000_NS6detail17trampoline_kernelINS0_14default_configENS1_35adjacent_difference_config_selectorILb1EsEEZNS1_24adjacent_difference_implIS3_Lb1ELb0EPsN6thrust23THRUST_200600_302600_NS16discard_iteratorINS9_11use_defaultEEENS9_5minusIsEEEE10hipError_tPvRmT2_T3_mT4_P12ihipStream_tbEUlT_E_NS1_11comp_targetILNS1_3genE4ELNS1_11target_archE910ELNS1_3gpuE8ELNS1_3repE0EEENS1_30default_config_static_selectorELNS0_4arch9wavefront6targetE1EEEvT1_
                                        ; -- End function
	.set _ZN7rocprim17ROCPRIM_400000_NS6detail17trampoline_kernelINS0_14default_configENS1_35adjacent_difference_config_selectorILb1EsEEZNS1_24adjacent_difference_implIS3_Lb1ELb0EPsN6thrust23THRUST_200600_302600_NS16discard_iteratorINS9_11use_defaultEEENS9_5minusIsEEEE10hipError_tPvRmT2_T3_mT4_P12ihipStream_tbEUlT_E_NS1_11comp_targetILNS1_3genE4ELNS1_11target_archE910ELNS1_3gpuE8ELNS1_3repE0EEENS1_30default_config_static_selectorELNS0_4arch9wavefront6targetE1EEEvT1_.num_vgpr, 0
	.set _ZN7rocprim17ROCPRIM_400000_NS6detail17trampoline_kernelINS0_14default_configENS1_35adjacent_difference_config_selectorILb1EsEEZNS1_24adjacent_difference_implIS3_Lb1ELb0EPsN6thrust23THRUST_200600_302600_NS16discard_iteratorINS9_11use_defaultEEENS9_5minusIsEEEE10hipError_tPvRmT2_T3_mT4_P12ihipStream_tbEUlT_E_NS1_11comp_targetILNS1_3genE4ELNS1_11target_archE910ELNS1_3gpuE8ELNS1_3repE0EEENS1_30default_config_static_selectorELNS0_4arch9wavefront6targetE1EEEvT1_.num_agpr, 0
	.set _ZN7rocprim17ROCPRIM_400000_NS6detail17trampoline_kernelINS0_14default_configENS1_35adjacent_difference_config_selectorILb1EsEEZNS1_24adjacent_difference_implIS3_Lb1ELb0EPsN6thrust23THRUST_200600_302600_NS16discard_iteratorINS9_11use_defaultEEENS9_5minusIsEEEE10hipError_tPvRmT2_T3_mT4_P12ihipStream_tbEUlT_E_NS1_11comp_targetILNS1_3genE4ELNS1_11target_archE910ELNS1_3gpuE8ELNS1_3repE0EEENS1_30default_config_static_selectorELNS0_4arch9wavefront6targetE1EEEvT1_.numbered_sgpr, 0
	.set _ZN7rocprim17ROCPRIM_400000_NS6detail17trampoline_kernelINS0_14default_configENS1_35adjacent_difference_config_selectorILb1EsEEZNS1_24adjacent_difference_implIS3_Lb1ELb0EPsN6thrust23THRUST_200600_302600_NS16discard_iteratorINS9_11use_defaultEEENS9_5minusIsEEEE10hipError_tPvRmT2_T3_mT4_P12ihipStream_tbEUlT_E_NS1_11comp_targetILNS1_3genE4ELNS1_11target_archE910ELNS1_3gpuE8ELNS1_3repE0EEENS1_30default_config_static_selectorELNS0_4arch9wavefront6targetE1EEEvT1_.num_named_barrier, 0
	.set _ZN7rocprim17ROCPRIM_400000_NS6detail17trampoline_kernelINS0_14default_configENS1_35adjacent_difference_config_selectorILb1EsEEZNS1_24adjacent_difference_implIS3_Lb1ELb0EPsN6thrust23THRUST_200600_302600_NS16discard_iteratorINS9_11use_defaultEEENS9_5minusIsEEEE10hipError_tPvRmT2_T3_mT4_P12ihipStream_tbEUlT_E_NS1_11comp_targetILNS1_3genE4ELNS1_11target_archE910ELNS1_3gpuE8ELNS1_3repE0EEENS1_30default_config_static_selectorELNS0_4arch9wavefront6targetE1EEEvT1_.private_seg_size, 0
	.set _ZN7rocprim17ROCPRIM_400000_NS6detail17trampoline_kernelINS0_14default_configENS1_35adjacent_difference_config_selectorILb1EsEEZNS1_24adjacent_difference_implIS3_Lb1ELb0EPsN6thrust23THRUST_200600_302600_NS16discard_iteratorINS9_11use_defaultEEENS9_5minusIsEEEE10hipError_tPvRmT2_T3_mT4_P12ihipStream_tbEUlT_E_NS1_11comp_targetILNS1_3genE4ELNS1_11target_archE910ELNS1_3gpuE8ELNS1_3repE0EEENS1_30default_config_static_selectorELNS0_4arch9wavefront6targetE1EEEvT1_.uses_vcc, 0
	.set _ZN7rocprim17ROCPRIM_400000_NS6detail17trampoline_kernelINS0_14default_configENS1_35adjacent_difference_config_selectorILb1EsEEZNS1_24adjacent_difference_implIS3_Lb1ELb0EPsN6thrust23THRUST_200600_302600_NS16discard_iteratorINS9_11use_defaultEEENS9_5minusIsEEEE10hipError_tPvRmT2_T3_mT4_P12ihipStream_tbEUlT_E_NS1_11comp_targetILNS1_3genE4ELNS1_11target_archE910ELNS1_3gpuE8ELNS1_3repE0EEENS1_30default_config_static_selectorELNS0_4arch9wavefront6targetE1EEEvT1_.uses_flat_scratch, 0
	.set _ZN7rocprim17ROCPRIM_400000_NS6detail17trampoline_kernelINS0_14default_configENS1_35adjacent_difference_config_selectorILb1EsEEZNS1_24adjacent_difference_implIS3_Lb1ELb0EPsN6thrust23THRUST_200600_302600_NS16discard_iteratorINS9_11use_defaultEEENS9_5minusIsEEEE10hipError_tPvRmT2_T3_mT4_P12ihipStream_tbEUlT_E_NS1_11comp_targetILNS1_3genE4ELNS1_11target_archE910ELNS1_3gpuE8ELNS1_3repE0EEENS1_30default_config_static_selectorELNS0_4arch9wavefront6targetE1EEEvT1_.has_dyn_sized_stack, 0
	.set _ZN7rocprim17ROCPRIM_400000_NS6detail17trampoline_kernelINS0_14default_configENS1_35adjacent_difference_config_selectorILb1EsEEZNS1_24adjacent_difference_implIS3_Lb1ELb0EPsN6thrust23THRUST_200600_302600_NS16discard_iteratorINS9_11use_defaultEEENS9_5minusIsEEEE10hipError_tPvRmT2_T3_mT4_P12ihipStream_tbEUlT_E_NS1_11comp_targetILNS1_3genE4ELNS1_11target_archE910ELNS1_3gpuE8ELNS1_3repE0EEENS1_30default_config_static_selectorELNS0_4arch9wavefront6targetE1EEEvT1_.has_recursion, 0
	.set _ZN7rocprim17ROCPRIM_400000_NS6detail17trampoline_kernelINS0_14default_configENS1_35adjacent_difference_config_selectorILb1EsEEZNS1_24adjacent_difference_implIS3_Lb1ELb0EPsN6thrust23THRUST_200600_302600_NS16discard_iteratorINS9_11use_defaultEEENS9_5minusIsEEEE10hipError_tPvRmT2_T3_mT4_P12ihipStream_tbEUlT_E_NS1_11comp_targetILNS1_3genE4ELNS1_11target_archE910ELNS1_3gpuE8ELNS1_3repE0EEENS1_30default_config_static_selectorELNS0_4arch9wavefront6targetE1EEEvT1_.has_indirect_call, 0
	.section	.AMDGPU.csdata,"",@progbits
; Kernel info:
; codeLenInByte = 0
; TotalNumSgprs: 4
; NumVgprs: 0
; ScratchSize: 0
; MemoryBound: 0
; FloatMode: 240
; IeeeMode: 1
; LDSByteSize: 0 bytes/workgroup (compile time only)
; SGPRBlocks: 0
; VGPRBlocks: 0
; NumSGPRsForWavesPerEU: 4
; NumVGPRsForWavesPerEU: 1
; Occupancy: 10
; WaveLimiterHint : 0
; COMPUTE_PGM_RSRC2:SCRATCH_EN: 0
; COMPUTE_PGM_RSRC2:USER_SGPR: 6
; COMPUTE_PGM_RSRC2:TRAP_HANDLER: 0
; COMPUTE_PGM_RSRC2:TGID_X_EN: 1
; COMPUTE_PGM_RSRC2:TGID_Y_EN: 0
; COMPUTE_PGM_RSRC2:TGID_Z_EN: 0
; COMPUTE_PGM_RSRC2:TIDIG_COMP_CNT: 0
	.section	.text._ZN7rocprim17ROCPRIM_400000_NS6detail17trampoline_kernelINS0_14default_configENS1_35adjacent_difference_config_selectorILb1EsEEZNS1_24adjacent_difference_implIS3_Lb1ELb0EPsN6thrust23THRUST_200600_302600_NS16discard_iteratorINS9_11use_defaultEEENS9_5minusIsEEEE10hipError_tPvRmT2_T3_mT4_P12ihipStream_tbEUlT_E_NS1_11comp_targetILNS1_3genE3ELNS1_11target_archE908ELNS1_3gpuE7ELNS1_3repE0EEENS1_30default_config_static_selectorELNS0_4arch9wavefront6targetE1EEEvT1_,"axG",@progbits,_ZN7rocprim17ROCPRIM_400000_NS6detail17trampoline_kernelINS0_14default_configENS1_35adjacent_difference_config_selectorILb1EsEEZNS1_24adjacent_difference_implIS3_Lb1ELb0EPsN6thrust23THRUST_200600_302600_NS16discard_iteratorINS9_11use_defaultEEENS9_5minusIsEEEE10hipError_tPvRmT2_T3_mT4_P12ihipStream_tbEUlT_E_NS1_11comp_targetILNS1_3genE3ELNS1_11target_archE908ELNS1_3gpuE7ELNS1_3repE0EEENS1_30default_config_static_selectorELNS0_4arch9wavefront6targetE1EEEvT1_,comdat
	.protected	_ZN7rocprim17ROCPRIM_400000_NS6detail17trampoline_kernelINS0_14default_configENS1_35adjacent_difference_config_selectorILb1EsEEZNS1_24adjacent_difference_implIS3_Lb1ELb0EPsN6thrust23THRUST_200600_302600_NS16discard_iteratorINS9_11use_defaultEEENS9_5minusIsEEEE10hipError_tPvRmT2_T3_mT4_P12ihipStream_tbEUlT_E_NS1_11comp_targetILNS1_3genE3ELNS1_11target_archE908ELNS1_3gpuE7ELNS1_3repE0EEENS1_30default_config_static_selectorELNS0_4arch9wavefront6targetE1EEEvT1_ ; -- Begin function _ZN7rocprim17ROCPRIM_400000_NS6detail17trampoline_kernelINS0_14default_configENS1_35adjacent_difference_config_selectorILb1EsEEZNS1_24adjacent_difference_implIS3_Lb1ELb0EPsN6thrust23THRUST_200600_302600_NS16discard_iteratorINS9_11use_defaultEEENS9_5minusIsEEEE10hipError_tPvRmT2_T3_mT4_P12ihipStream_tbEUlT_E_NS1_11comp_targetILNS1_3genE3ELNS1_11target_archE908ELNS1_3gpuE7ELNS1_3repE0EEENS1_30default_config_static_selectorELNS0_4arch9wavefront6targetE1EEEvT1_
	.globl	_ZN7rocprim17ROCPRIM_400000_NS6detail17trampoline_kernelINS0_14default_configENS1_35adjacent_difference_config_selectorILb1EsEEZNS1_24adjacent_difference_implIS3_Lb1ELb0EPsN6thrust23THRUST_200600_302600_NS16discard_iteratorINS9_11use_defaultEEENS9_5minusIsEEEE10hipError_tPvRmT2_T3_mT4_P12ihipStream_tbEUlT_E_NS1_11comp_targetILNS1_3genE3ELNS1_11target_archE908ELNS1_3gpuE7ELNS1_3repE0EEENS1_30default_config_static_selectorELNS0_4arch9wavefront6targetE1EEEvT1_
	.p2align	8
	.type	_ZN7rocprim17ROCPRIM_400000_NS6detail17trampoline_kernelINS0_14default_configENS1_35adjacent_difference_config_selectorILb1EsEEZNS1_24adjacent_difference_implIS3_Lb1ELb0EPsN6thrust23THRUST_200600_302600_NS16discard_iteratorINS9_11use_defaultEEENS9_5minusIsEEEE10hipError_tPvRmT2_T3_mT4_P12ihipStream_tbEUlT_E_NS1_11comp_targetILNS1_3genE3ELNS1_11target_archE908ELNS1_3gpuE7ELNS1_3repE0EEENS1_30default_config_static_selectorELNS0_4arch9wavefront6targetE1EEEvT1_,@function
_ZN7rocprim17ROCPRIM_400000_NS6detail17trampoline_kernelINS0_14default_configENS1_35adjacent_difference_config_selectorILb1EsEEZNS1_24adjacent_difference_implIS3_Lb1ELb0EPsN6thrust23THRUST_200600_302600_NS16discard_iteratorINS9_11use_defaultEEENS9_5minusIsEEEE10hipError_tPvRmT2_T3_mT4_P12ihipStream_tbEUlT_E_NS1_11comp_targetILNS1_3genE3ELNS1_11target_archE908ELNS1_3gpuE7ELNS1_3repE0EEENS1_30default_config_static_selectorELNS0_4arch9wavefront6targetE1EEEvT1_: ; @_ZN7rocprim17ROCPRIM_400000_NS6detail17trampoline_kernelINS0_14default_configENS1_35adjacent_difference_config_selectorILb1EsEEZNS1_24adjacent_difference_implIS3_Lb1ELb0EPsN6thrust23THRUST_200600_302600_NS16discard_iteratorINS9_11use_defaultEEENS9_5minusIsEEEE10hipError_tPvRmT2_T3_mT4_P12ihipStream_tbEUlT_E_NS1_11comp_targetILNS1_3genE3ELNS1_11target_archE908ELNS1_3gpuE7ELNS1_3repE0EEENS1_30default_config_static_selectorELNS0_4arch9wavefront6targetE1EEEvT1_
; %bb.0:
	.section	.rodata,"a",@progbits
	.p2align	6, 0x0
	.amdhsa_kernel _ZN7rocprim17ROCPRIM_400000_NS6detail17trampoline_kernelINS0_14default_configENS1_35adjacent_difference_config_selectorILb1EsEEZNS1_24adjacent_difference_implIS3_Lb1ELb0EPsN6thrust23THRUST_200600_302600_NS16discard_iteratorINS9_11use_defaultEEENS9_5minusIsEEEE10hipError_tPvRmT2_T3_mT4_P12ihipStream_tbEUlT_E_NS1_11comp_targetILNS1_3genE3ELNS1_11target_archE908ELNS1_3gpuE7ELNS1_3repE0EEENS1_30default_config_static_selectorELNS0_4arch9wavefront6targetE1EEEvT1_
		.amdhsa_group_segment_fixed_size 0
		.amdhsa_private_segment_fixed_size 0
		.amdhsa_kernarg_size 64
		.amdhsa_user_sgpr_count 6
		.amdhsa_user_sgpr_private_segment_buffer 1
		.amdhsa_user_sgpr_dispatch_ptr 0
		.amdhsa_user_sgpr_queue_ptr 0
		.amdhsa_user_sgpr_kernarg_segment_ptr 1
		.amdhsa_user_sgpr_dispatch_id 0
		.amdhsa_user_sgpr_flat_scratch_init 0
		.amdhsa_user_sgpr_private_segment_size 0
		.amdhsa_uses_dynamic_stack 0
		.amdhsa_system_sgpr_private_segment_wavefront_offset 0
		.amdhsa_system_sgpr_workgroup_id_x 1
		.amdhsa_system_sgpr_workgroup_id_y 0
		.amdhsa_system_sgpr_workgroup_id_z 0
		.amdhsa_system_sgpr_workgroup_info 0
		.amdhsa_system_vgpr_workitem_id 0
		.amdhsa_next_free_vgpr 1
		.amdhsa_next_free_sgpr 0
		.amdhsa_reserve_vcc 0
		.amdhsa_reserve_flat_scratch 0
		.amdhsa_float_round_mode_32 0
		.amdhsa_float_round_mode_16_64 0
		.amdhsa_float_denorm_mode_32 3
		.amdhsa_float_denorm_mode_16_64 3
		.amdhsa_dx10_clamp 1
		.amdhsa_ieee_mode 1
		.amdhsa_fp16_overflow 0
		.amdhsa_exception_fp_ieee_invalid_op 0
		.amdhsa_exception_fp_denorm_src 0
		.amdhsa_exception_fp_ieee_div_zero 0
		.amdhsa_exception_fp_ieee_overflow 0
		.amdhsa_exception_fp_ieee_underflow 0
		.amdhsa_exception_fp_ieee_inexact 0
		.amdhsa_exception_int_div_zero 0
	.end_amdhsa_kernel
	.section	.text._ZN7rocprim17ROCPRIM_400000_NS6detail17trampoline_kernelINS0_14default_configENS1_35adjacent_difference_config_selectorILb1EsEEZNS1_24adjacent_difference_implIS3_Lb1ELb0EPsN6thrust23THRUST_200600_302600_NS16discard_iteratorINS9_11use_defaultEEENS9_5minusIsEEEE10hipError_tPvRmT2_T3_mT4_P12ihipStream_tbEUlT_E_NS1_11comp_targetILNS1_3genE3ELNS1_11target_archE908ELNS1_3gpuE7ELNS1_3repE0EEENS1_30default_config_static_selectorELNS0_4arch9wavefront6targetE1EEEvT1_,"axG",@progbits,_ZN7rocprim17ROCPRIM_400000_NS6detail17trampoline_kernelINS0_14default_configENS1_35adjacent_difference_config_selectorILb1EsEEZNS1_24adjacent_difference_implIS3_Lb1ELb0EPsN6thrust23THRUST_200600_302600_NS16discard_iteratorINS9_11use_defaultEEENS9_5minusIsEEEE10hipError_tPvRmT2_T3_mT4_P12ihipStream_tbEUlT_E_NS1_11comp_targetILNS1_3genE3ELNS1_11target_archE908ELNS1_3gpuE7ELNS1_3repE0EEENS1_30default_config_static_selectorELNS0_4arch9wavefront6targetE1EEEvT1_,comdat
.Lfunc_end905:
	.size	_ZN7rocprim17ROCPRIM_400000_NS6detail17trampoline_kernelINS0_14default_configENS1_35adjacent_difference_config_selectorILb1EsEEZNS1_24adjacent_difference_implIS3_Lb1ELb0EPsN6thrust23THRUST_200600_302600_NS16discard_iteratorINS9_11use_defaultEEENS9_5minusIsEEEE10hipError_tPvRmT2_T3_mT4_P12ihipStream_tbEUlT_E_NS1_11comp_targetILNS1_3genE3ELNS1_11target_archE908ELNS1_3gpuE7ELNS1_3repE0EEENS1_30default_config_static_selectorELNS0_4arch9wavefront6targetE1EEEvT1_, .Lfunc_end905-_ZN7rocprim17ROCPRIM_400000_NS6detail17trampoline_kernelINS0_14default_configENS1_35adjacent_difference_config_selectorILb1EsEEZNS1_24adjacent_difference_implIS3_Lb1ELb0EPsN6thrust23THRUST_200600_302600_NS16discard_iteratorINS9_11use_defaultEEENS9_5minusIsEEEE10hipError_tPvRmT2_T3_mT4_P12ihipStream_tbEUlT_E_NS1_11comp_targetILNS1_3genE3ELNS1_11target_archE908ELNS1_3gpuE7ELNS1_3repE0EEENS1_30default_config_static_selectorELNS0_4arch9wavefront6targetE1EEEvT1_
                                        ; -- End function
	.set _ZN7rocprim17ROCPRIM_400000_NS6detail17trampoline_kernelINS0_14default_configENS1_35adjacent_difference_config_selectorILb1EsEEZNS1_24adjacent_difference_implIS3_Lb1ELb0EPsN6thrust23THRUST_200600_302600_NS16discard_iteratorINS9_11use_defaultEEENS9_5minusIsEEEE10hipError_tPvRmT2_T3_mT4_P12ihipStream_tbEUlT_E_NS1_11comp_targetILNS1_3genE3ELNS1_11target_archE908ELNS1_3gpuE7ELNS1_3repE0EEENS1_30default_config_static_selectorELNS0_4arch9wavefront6targetE1EEEvT1_.num_vgpr, 0
	.set _ZN7rocprim17ROCPRIM_400000_NS6detail17trampoline_kernelINS0_14default_configENS1_35adjacent_difference_config_selectorILb1EsEEZNS1_24adjacent_difference_implIS3_Lb1ELb0EPsN6thrust23THRUST_200600_302600_NS16discard_iteratorINS9_11use_defaultEEENS9_5minusIsEEEE10hipError_tPvRmT2_T3_mT4_P12ihipStream_tbEUlT_E_NS1_11comp_targetILNS1_3genE3ELNS1_11target_archE908ELNS1_3gpuE7ELNS1_3repE0EEENS1_30default_config_static_selectorELNS0_4arch9wavefront6targetE1EEEvT1_.num_agpr, 0
	.set _ZN7rocprim17ROCPRIM_400000_NS6detail17trampoline_kernelINS0_14default_configENS1_35adjacent_difference_config_selectorILb1EsEEZNS1_24adjacent_difference_implIS3_Lb1ELb0EPsN6thrust23THRUST_200600_302600_NS16discard_iteratorINS9_11use_defaultEEENS9_5minusIsEEEE10hipError_tPvRmT2_T3_mT4_P12ihipStream_tbEUlT_E_NS1_11comp_targetILNS1_3genE3ELNS1_11target_archE908ELNS1_3gpuE7ELNS1_3repE0EEENS1_30default_config_static_selectorELNS0_4arch9wavefront6targetE1EEEvT1_.numbered_sgpr, 0
	.set _ZN7rocprim17ROCPRIM_400000_NS6detail17trampoline_kernelINS0_14default_configENS1_35adjacent_difference_config_selectorILb1EsEEZNS1_24adjacent_difference_implIS3_Lb1ELb0EPsN6thrust23THRUST_200600_302600_NS16discard_iteratorINS9_11use_defaultEEENS9_5minusIsEEEE10hipError_tPvRmT2_T3_mT4_P12ihipStream_tbEUlT_E_NS1_11comp_targetILNS1_3genE3ELNS1_11target_archE908ELNS1_3gpuE7ELNS1_3repE0EEENS1_30default_config_static_selectorELNS0_4arch9wavefront6targetE1EEEvT1_.num_named_barrier, 0
	.set _ZN7rocprim17ROCPRIM_400000_NS6detail17trampoline_kernelINS0_14default_configENS1_35adjacent_difference_config_selectorILb1EsEEZNS1_24adjacent_difference_implIS3_Lb1ELb0EPsN6thrust23THRUST_200600_302600_NS16discard_iteratorINS9_11use_defaultEEENS9_5minusIsEEEE10hipError_tPvRmT2_T3_mT4_P12ihipStream_tbEUlT_E_NS1_11comp_targetILNS1_3genE3ELNS1_11target_archE908ELNS1_3gpuE7ELNS1_3repE0EEENS1_30default_config_static_selectorELNS0_4arch9wavefront6targetE1EEEvT1_.private_seg_size, 0
	.set _ZN7rocprim17ROCPRIM_400000_NS6detail17trampoline_kernelINS0_14default_configENS1_35adjacent_difference_config_selectorILb1EsEEZNS1_24adjacent_difference_implIS3_Lb1ELb0EPsN6thrust23THRUST_200600_302600_NS16discard_iteratorINS9_11use_defaultEEENS9_5minusIsEEEE10hipError_tPvRmT2_T3_mT4_P12ihipStream_tbEUlT_E_NS1_11comp_targetILNS1_3genE3ELNS1_11target_archE908ELNS1_3gpuE7ELNS1_3repE0EEENS1_30default_config_static_selectorELNS0_4arch9wavefront6targetE1EEEvT1_.uses_vcc, 0
	.set _ZN7rocprim17ROCPRIM_400000_NS6detail17trampoline_kernelINS0_14default_configENS1_35adjacent_difference_config_selectorILb1EsEEZNS1_24adjacent_difference_implIS3_Lb1ELb0EPsN6thrust23THRUST_200600_302600_NS16discard_iteratorINS9_11use_defaultEEENS9_5minusIsEEEE10hipError_tPvRmT2_T3_mT4_P12ihipStream_tbEUlT_E_NS1_11comp_targetILNS1_3genE3ELNS1_11target_archE908ELNS1_3gpuE7ELNS1_3repE0EEENS1_30default_config_static_selectorELNS0_4arch9wavefront6targetE1EEEvT1_.uses_flat_scratch, 0
	.set _ZN7rocprim17ROCPRIM_400000_NS6detail17trampoline_kernelINS0_14default_configENS1_35adjacent_difference_config_selectorILb1EsEEZNS1_24adjacent_difference_implIS3_Lb1ELb0EPsN6thrust23THRUST_200600_302600_NS16discard_iteratorINS9_11use_defaultEEENS9_5minusIsEEEE10hipError_tPvRmT2_T3_mT4_P12ihipStream_tbEUlT_E_NS1_11comp_targetILNS1_3genE3ELNS1_11target_archE908ELNS1_3gpuE7ELNS1_3repE0EEENS1_30default_config_static_selectorELNS0_4arch9wavefront6targetE1EEEvT1_.has_dyn_sized_stack, 0
	.set _ZN7rocprim17ROCPRIM_400000_NS6detail17trampoline_kernelINS0_14default_configENS1_35adjacent_difference_config_selectorILb1EsEEZNS1_24adjacent_difference_implIS3_Lb1ELb0EPsN6thrust23THRUST_200600_302600_NS16discard_iteratorINS9_11use_defaultEEENS9_5minusIsEEEE10hipError_tPvRmT2_T3_mT4_P12ihipStream_tbEUlT_E_NS1_11comp_targetILNS1_3genE3ELNS1_11target_archE908ELNS1_3gpuE7ELNS1_3repE0EEENS1_30default_config_static_selectorELNS0_4arch9wavefront6targetE1EEEvT1_.has_recursion, 0
	.set _ZN7rocprim17ROCPRIM_400000_NS6detail17trampoline_kernelINS0_14default_configENS1_35adjacent_difference_config_selectorILb1EsEEZNS1_24adjacent_difference_implIS3_Lb1ELb0EPsN6thrust23THRUST_200600_302600_NS16discard_iteratorINS9_11use_defaultEEENS9_5minusIsEEEE10hipError_tPvRmT2_T3_mT4_P12ihipStream_tbEUlT_E_NS1_11comp_targetILNS1_3genE3ELNS1_11target_archE908ELNS1_3gpuE7ELNS1_3repE0EEENS1_30default_config_static_selectorELNS0_4arch9wavefront6targetE1EEEvT1_.has_indirect_call, 0
	.section	.AMDGPU.csdata,"",@progbits
; Kernel info:
; codeLenInByte = 0
; TotalNumSgprs: 4
; NumVgprs: 0
; ScratchSize: 0
; MemoryBound: 0
; FloatMode: 240
; IeeeMode: 1
; LDSByteSize: 0 bytes/workgroup (compile time only)
; SGPRBlocks: 0
; VGPRBlocks: 0
; NumSGPRsForWavesPerEU: 4
; NumVGPRsForWavesPerEU: 1
; Occupancy: 10
; WaveLimiterHint : 0
; COMPUTE_PGM_RSRC2:SCRATCH_EN: 0
; COMPUTE_PGM_RSRC2:USER_SGPR: 6
; COMPUTE_PGM_RSRC2:TRAP_HANDLER: 0
; COMPUTE_PGM_RSRC2:TGID_X_EN: 1
; COMPUTE_PGM_RSRC2:TGID_Y_EN: 0
; COMPUTE_PGM_RSRC2:TGID_Z_EN: 0
; COMPUTE_PGM_RSRC2:TIDIG_COMP_CNT: 0
	.section	.text._ZN7rocprim17ROCPRIM_400000_NS6detail17trampoline_kernelINS0_14default_configENS1_35adjacent_difference_config_selectorILb1EsEEZNS1_24adjacent_difference_implIS3_Lb1ELb0EPsN6thrust23THRUST_200600_302600_NS16discard_iteratorINS9_11use_defaultEEENS9_5minusIsEEEE10hipError_tPvRmT2_T3_mT4_P12ihipStream_tbEUlT_E_NS1_11comp_targetILNS1_3genE2ELNS1_11target_archE906ELNS1_3gpuE6ELNS1_3repE0EEENS1_30default_config_static_selectorELNS0_4arch9wavefront6targetE1EEEvT1_,"axG",@progbits,_ZN7rocprim17ROCPRIM_400000_NS6detail17trampoline_kernelINS0_14default_configENS1_35adjacent_difference_config_selectorILb1EsEEZNS1_24adjacent_difference_implIS3_Lb1ELb0EPsN6thrust23THRUST_200600_302600_NS16discard_iteratorINS9_11use_defaultEEENS9_5minusIsEEEE10hipError_tPvRmT2_T3_mT4_P12ihipStream_tbEUlT_E_NS1_11comp_targetILNS1_3genE2ELNS1_11target_archE906ELNS1_3gpuE6ELNS1_3repE0EEENS1_30default_config_static_selectorELNS0_4arch9wavefront6targetE1EEEvT1_,comdat
	.protected	_ZN7rocprim17ROCPRIM_400000_NS6detail17trampoline_kernelINS0_14default_configENS1_35adjacent_difference_config_selectorILb1EsEEZNS1_24adjacent_difference_implIS3_Lb1ELb0EPsN6thrust23THRUST_200600_302600_NS16discard_iteratorINS9_11use_defaultEEENS9_5minusIsEEEE10hipError_tPvRmT2_T3_mT4_P12ihipStream_tbEUlT_E_NS1_11comp_targetILNS1_3genE2ELNS1_11target_archE906ELNS1_3gpuE6ELNS1_3repE0EEENS1_30default_config_static_selectorELNS0_4arch9wavefront6targetE1EEEvT1_ ; -- Begin function _ZN7rocprim17ROCPRIM_400000_NS6detail17trampoline_kernelINS0_14default_configENS1_35adjacent_difference_config_selectorILb1EsEEZNS1_24adjacent_difference_implIS3_Lb1ELb0EPsN6thrust23THRUST_200600_302600_NS16discard_iteratorINS9_11use_defaultEEENS9_5minusIsEEEE10hipError_tPvRmT2_T3_mT4_P12ihipStream_tbEUlT_E_NS1_11comp_targetILNS1_3genE2ELNS1_11target_archE906ELNS1_3gpuE6ELNS1_3repE0EEENS1_30default_config_static_selectorELNS0_4arch9wavefront6targetE1EEEvT1_
	.globl	_ZN7rocprim17ROCPRIM_400000_NS6detail17trampoline_kernelINS0_14default_configENS1_35adjacent_difference_config_selectorILb1EsEEZNS1_24adjacent_difference_implIS3_Lb1ELb0EPsN6thrust23THRUST_200600_302600_NS16discard_iteratorINS9_11use_defaultEEENS9_5minusIsEEEE10hipError_tPvRmT2_T3_mT4_P12ihipStream_tbEUlT_E_NS1_11comp_targetILNS1_3genE2ELNS1_11target_archE906ELNS1_3gpuE6ELNS1_3repE0EEENS1_30default_config_static_selectorELNS0_4arch9wavefront6targetE1EEEvT1_
	.p2align	8
	.type	_ZN7rocprim17ROCPRIM_400000_NS6detail17trampoline_kernelINS0_14default_configENS1_35adjacent_difference_config_selectorILb1EsEEZNS1_24adjacent_difference_implIS3_Lb1ELb0EPsN6thrust23THRUST_200600_302600_NS16discard_iteratorINS9_11use_defaultEEENS9_5minusIsEEEE10hipError_tPvRmT2_T3_mT4_P12ihipStream_tbEUlT_E_NS1_11comp_targetILNS1_3genE2ELNS1_11target_archE906ELNS1_3gpuE6ELNS1_3repE0EEENS1_30default_config_static_selectorELNS0_4arch9wavefront6targetE1EEEvT1_,@function
_ZN7rocprim17ROCPRIM_400000_NS6detail17trampoline_kernelINS0_14default_configENS1_35adjacent_difference_config_selectorILb1EsEEZNS1_24adjacent_difference_implIS3_Lb1ELb0EPsN6thrust23THRUST_200600_302600_NS16discard_iteratorINS9_11use_defaultEEENS9_5minusIsEEEE10hipError_tPvRmT2_T3_mT4_P12ihipStream_tbEUlT_E_NS1_11comp_targetILNS1_3genE2ELNS1_11target_archE906ELNS1_3gpuE6ELNS1_3repE0EEENS1_30default_config_static_selectorELNS0_4arch9wavefront6targetE1EEEvT1_: ; @_ZN7rocprim17ROCPRIM_400000_NS6detail17trampoline_kernelINS0_14default_configENS1_35adjacent_difference_config_selectorILb1EsEEZNS1_24adjacent_difference_implIS3_Lb1ELb0EPsN6thrust23THRUST_200600_302600_NS16discard_iteratorINS9_11use_defaultEEENS9_5minusIsEEEE10hipError_tPvRmT2_T3_mT4_P12ihipStream_tbEUlT_E_NS1_11comp_targetILNS1_3genE2ELNS1_11target_archE906ELNS1_3gpuE6ELNS1_3repE0EEENS1_30default_config_static_selectorELNS0_4arch9wavefront6targetE1EEEvT1_
; %bb.0:
	s_load_dwordx4 s[0:3], s[4:5], 0x0
	s_load_dwordx2 s[12:13], s[4:5], 0x20
	s_load_dwordx4 s[8:11], s[4:5], 0x30
	s_mul_i32 s16, s6, 0x440
	s_mov_b32 s7, 0
	s_waitcnt lgkmcnt(0)
	s_lshl_b64 s[2:3], s[2:3], 1
	s_add_u32 s22, s0, s2
	s_addc_u32 s23, s1, s3
	s_mul_i32 s3, s13, 0xf0f0f0f1
	s_mul_hi_u32 s4, s12, 0xf0f0f0f1
	s_mul_hi_u32 s2, s13, 0xf0f0f0f1
	s_add_u32 s3, s3, s4
	s_mul_i32 s1, s12, 0xf0f0f0f0
	s_addc_u32 s2, s2, 0
	s_mul_hi_u32 s0, s12, 0xf0f0f0f0
	s_add_u32 s1, s1, s3
	s_addc_u32 s0, s0, 0
	s_add_u32 s0, s2, s0
	s_addc_u32 s1, 0, 0
	s_mul_i32 s3, s13, 0xf0f0f0f0
	s_mul_hi_u32 s2, s13, 0xf0f0f0f0
	s_add_u32 s0, s3, s0
	s_addc_u32 s1, s2, s1
	s_lshr_b64 s[2:3], s[0:1], 10
	s_lshr_b32 s0, s1, 10
	s_mulk_i32 s0, 0x440
	s_mul_hi_u32 s1, s2, 0x440
	s_add_i32 s1, s1, s0
	s_mul_i32 s0, s2, 0x440
	s_sub_u32 s0, s12, s0
	s_subb_u32 s1, s13, s1
	s_cmp_lg_u64 s[0:1], 0
	s_cselect_b64 s[0:1], -1, 0
	v_cndmask_b32_e64 v1, 0, 1, s[0:1]
	v_readfirstlane_b32 s0, v1
	s_add_u32 s14, s2, s0
	s_addc_u32 s15, s3, 0
	s_add_u32 s2, s10, s6
	s_addc_u32 s3, s11, 0
	s_add_u32 s4, s14, -1
	s_addc_u32 s5, s15, -1
	v_mov_b32_e32 v1, s4
	v_mov_b32_e32 v2, s5
	v_cmp_ge_u64_e64 s[0:1], s[2:3], v[1:2]
	s_mov_b64 s[18:19], -1
	s_and_b64 vcc, exec, s[0:1]
	s_cbranch_vccz .LBB906_36
; %bb.1:
	s_mul_i32 s13, s4, 0xfffffbc0
	s_mov_b32 s17, s7
	s_add_i32 s13, s13, s12
	s_lshl_b64 s[18:19], s[16:17], 1
	s_add_u32 s18, s22, s18
	v_mov_b32_e32 v1, 0
	s_addc_u32 s19, s23, s19
	v_cmp_gt_u32_e32 vcc, s13, v0
	v_mov_b32_e32 v2, v1
	v_mov_b32_e32 v3, v1
	;; [unrolled: 1-line block ×8, first 2 shown]
	s_and_saveexec_b64 s[20:21], vcc
	s_cbranch_execz .LBB906_3
; %bb.2:
	v_mov_b32_e32 v2, v1
	v_mov_b32_e32 v3, v1
	v_mov_b32_e32 v4, v1
	v_mov_b32_e32 v5, v1
	v_mov_b32_e32 v6, v1
	v_mov_b32_e32 v7, v1
	v_mov_b32_e32 v8, v1
	v_mov_b32_e32 v9, v1
	v_lshlrev_b32_e32 v1, 1, v0
	global_load_ushort v1, v1, s[18:19]
	s_waitcnt vmcnt(0)
	v_and_b32_e32 v1, 0xffff, v1
.LBB906_3:
	s_or_b64 exec, exec, s[20:21]
	v_or_b32_e32 v10, 64, v0
	v_cmp_gt_u32_e32 vcc, s13, v10
	s_and_saveexec_b64 s[20:21], vcc
	s_cbranch_execz .LBB906_5
; %bb.4:
	v_lshlrev_b32_e32 v10, 1, v0
	global_load_ushort v10, v10, s[18:19] offset:128
	s_mov_b32 s17, 0x5040100
	s_waitcnt vmcnt(0)
	v_perm_b32 v1, v10, v1, s17
.LBB906_5:
	s_or_b64 exec, exec, s[20:21]
	v_or_b32_e32 v10, 0x80, v0
	v_cmp_gt_u32_e32 vcc, s13, v10
	s_and_saveexec_b64 s[20:21], vcc
	s_cbranch_execz .LBB906_7
; %bb.6:
	v_lshlrev_b32_e32 v10, 1, v0
	global_load_ushort v10, v10, s[18:19] offset:256
	s_mov_b32 s17, 0xffff
	s_waitcnt vmcnt(0)
	v_bfi_b32 v2, s17, v10, v2
.LBB906_7:
	s_or_b64 exec, exec, s[20:21]
	v_or_b32_e32 v10, 0xc0, v0
	v_cmp_gt_u32_e32 vcc, s13, v10
	s_and_saveexec_b64 s[20:21], vcc
	s_cbranch_execz .LBB906_9
; %bb.8:
	v_lshlrev_b32_e32 v10, 1, v0
	global_load_ushort v10, v10, s[18:19] offset:384
	s_mov_b32 s17, 0x5040100
	s_waitcnt vmcnt(0)
	v_perm_b32 v2, v10, v2, s17
.LBB906_9:
	s_or_b64 exec, exec, s[20:21]
	v_or_b32_e32 v10, 0x100, v0
	v_cmp_gt_u32_e32 vcc, s13, v10
	s_and_saveexec_b64 s[20:21], vcc
	s_cbranch_execz .LBB906_11
; %bb.10:
	v_lshlrev_b32_e32 v10, 1, v0
	global_load_ushort v10, v10, s[18:19] offset:512
	s_mov_b32 s17, 0xffff
	s_waitcnt vmcnt(0)
	v_bfi_b32 v3, s17, v10, v3
.LBB906_11:
	;; [unrolled: 24-line block ×7, first 2 shown]
	s_or_b64 exec, exec, s[20:21]
	v_or_b32_e32 v10, 0x3c0, v0
	v_cmp_gt_u32_e32 vcc, s13, v10
	s_and_saveexec_b64 s[20:21], vcc
	s_cbranch_execz .LBB906_33
; %bb.32:
	v_lshlrev_b32_e32 v10, 1, v0
	global_load_ushort v10, v10, s[18:19] offset:1920
	s_mov_b32 s17, 0x5040100
	s_waitcnt vmcnt(0)
	v_perm_b32 v8, v10, v8, s17
.LBB906_33:
	s_or_b64 exec, exec, s[20:21]
	v_or_b32_e32 v10, 0x400, v0
	v_cmp_gt_u32_e32 vcc, s13, v10
	s_and_saveexec_b64 s[20:21], vcc
	s_cbranch_execz .LBB906_35
; %bb.34:
	v_lshlrev_b32_e32 v9, 1, v0
	global_load_ushort v9, v9, s[18:19] offset:2048
.LBB906_35:
	s_or_b64 exec, exec, s[20:21]
	v_lshlrev_b32_e32 v10, 1, v0
	s_mov_b64 s[18:19], 0
	ds_write_b16 v10, v1
	ds_write_b16_d16_hi v10, v1 offset:128
	ds_write_b16 v10, v2 offset:256
	ds_write_b16_d16_hi v10, v2 offset:384
	ds_write_b16 v10, v3 offset:512
	;; [unrolled: 2-line block ×7, first 2 shown]
	ds_write_b16_d16_hi v10, v8 offset:1920
	s_waitcnt vmcnt(0)
	ds_write_b16 v10, v9 offset:2048
	s_waitcnt lgkmcnt(0)
	; wave barrier
.LBB906_36:
	s_and_b64 vcc, exec, s[18:19]
	v_lshlrev_b32_e32 v25, 1, v0
	s_cbranch_vccz .LBB906_38
; %bb.37:
	s_mov_b32 s17, 0
	s_lshl_b64 s[16:17], s[16:17], 1
	s_add_u32 s16, s22, s16
	s_addc_u32 s17, s23, s17
	global_load_ushort v1, v25, s[16:17]
	global_load_ushort v2, v25, s[16:17] offset:128
	global_load_ushort v3, v25, s[16:17] offset:256
	;; [unrolled: 1-line block ×16, first 2 shown]
	s_waitcnt vmcnt(16)
	ds_write_b16 v25, v1
	s_waitcnt vmcnt(15)
	ds_write_b16 v25, v2 offset:128
	s_waitcnt vmcnt(14)
	ds_write_b16 v25, v3 offset:256
	;; [unrolled: 2-line block ×16, first 2 shown]
	s_waitcnt lgkmcnt(0)
	; wave barrier
.LBB906_38:
	v_mul_u32_u24_e32 v17, 34, v0
	ds_read_b64 v[15:16], v17
	ds_read_b64 v[3:4], v17 offset:2
	ds_read_b64 v[9:10], v17 offset:8
	;; [unrolled: 1-line block ×7, first 2 shown]
	ds_read_u16 v26, v17 offset:32
	s_cmp_eq_u64 s[2:3], 0
	s_waitcnt lgkmcnt(0)
	; wave barrier
	s_cbranch_scc1 .LBB906_43
; %bb.39:
	s_lshl_b64 s[10:11], s[10:11], 1
	s_add_u32 s8, s8, s10
	s_addc_u32 s9, s9, s11
	s_lshl_b64 s[6:7], s[6:7], 1
	s_add_u32 s6, s8, s6
	s_addc_u32 s7, s9, s7
	v_mov_b32_e32 v17, 0
	global_load_ushort v27, v17, s[6:7] offset:-2
	s_cmp_eq_u64 s[2:3], s[4:5]
	s_cbranch_scc1 .LBB906_44
; %bb.40:
	v_cmp_ne_u32_e32 vcc, 0, v0
	s_waitcnt vmcnt(0)
	v_mov_b32_e32 v17, v27
	ds_write_b16 v25, v26
	s_waitcnt lgkmcnt(0)
	; wave barrier
	s_and_saveexec_b64 s[4:5], vcc
; %bb.41:
	v_add_u32_e32 v17, -2, v25
	ds_read_u16 v17, v17
; %bb.42:
	s_or_b64 exec, exec, s[4:5]
	s_waitcnt lgkmcnt(0)
	v_sub_u16_e32 v28, v15, v17
	s_mov_b64 s[4:5], 0
	s_branch .LBB906_45
.LBB906_43:
                                        ; implicit-def: $vgpr17_vgpr18
                                        ; implicit-def: $vgpr19_vgpr20
                                        ; implicit-def: $vgpr21_vgpr22
                                        ; implicit-def: $vgpr23_vgpr24
                                        ; implicit-def: $vgpr28
	s_branch .LBB906_50
.LBB906_44:
	s_mov_b64 s[4:5], -1
                                        ; implicit-def: $vgpr28
.LBB906_45:
	v_mov_b32_e32 v18, v14
	v_mov_b32_e32 v20, v12
	;; [unrolled: 1-line block ×4, first 2 shown]
	s_and_b64 vcc, exec, s[4:5]
	v_mov_b32_e32 v17, v13
	v_mov_b32_e32 v19, v11
	;; [unrolled: 1-line block ×4, first 2 shown]
	s_cbranch_vccz .LBB906_49
; %bb.46:
	v_mul_u32_u24_e32 v28, 17, v0
	v_cmp_ne_u32_e32 vcc, 0, v0
	ds_write_b16 v25, v26
	s_waitcnt lgkmcnt(0)
	; wave barrier
	s_and_saveexec_b64 s[4:5], vcc
	s_cbranch_execz .LBB906_48
; %bb.47:
	v_add_u32_e32 v17, -2, v25
	s_waitcnt vmcnt(0)
	ds_read_u16 v27, v17
.LBB906_48:
	s_or_b64 exec, exec, s[4:5]
	s_mulk_i32 s2, 0xfbc0
	s_add_i32 s6, s2, s12
	v_add_u32_e32 v17, 15, v28
	v_add_u32_e32 v18, 16, v28
	v_cmp_gt_u32_e32 vcc, s6, v17
	v_add_u32_e32 v19, 13, v28
	v_cndmask_b32_e32 v17, 0, v14, vcc
	v_lshrrev_b32_e32 v21, 16, v14
	v_cmp_gt_u32_e32 vcc, s6, v18
	v_add_u32_e32 v20, 14, v28
	v_cndmask_b32_e32 v18, 0, v21, vcc
	s_mov_b32 s7, 0x5040100
	v_cmp_gt_u32_e32 vcc, s6, v19
	v_perm_b32 v18, v18, v17, s7
	v_cndmask_b32_e32 v17, 0, v13, vcc
	v_lshrrev_b32_e32 v19, 16, v13
	v_cmp_gt_u32_e32 vcc, s6, v20
	v_cndmask_b32_e32 v19, 0, v19, vcc
	v_perm_b32 v17, v19, v17, s7
	v_add_u32_e32 v19, 11, v28
	v_add_u32_e32 v20, 12, v28
	v_cmp_gt_u32_e32 vcc, s6, v19
	v_add_u32_e32 v21, 9, v28
	v_cndmask_b32_e32 v19, 0, v12, vcc
	v_lshrrev_b32_e32 v23, 16, v12
	v_cmp_gt_u32_e32 vcc, s6, v20
	v_add_u32_e32 v22, 10, v28
	v_cndmask_b32_e32 v20, 0, v23, vcc
	v_cmp_gt_u32_e32 vcc, s6, v21
	v_perm_b32 v20, v20, v19, s7
	v_cndmask_b32_e32 v19, 0, v11, vcc
	v_lshrrev_b32_e32 v21, 16, v11
	v_cmp_gt_u32_e32 vcc, s6, v22
	v_cndmask_b32_e32 v21, 0, v21, vcc
	v_perm_b32 v19, v21, v19, s7
	v_add_u32_e32 v21, 7, v28
	v_add_u32_e32 v22, 8, v28
	v_cmp_gt_u32_e32 vcc, s6, v21
	v_add_u32_e32 v23, 5, v28
	v_cndmask_b32_e32 v21, 0, v10, vcc
	v_lshrrev_b32_e32 v29, 16, v10
	v_cmp_gt_u32_e32 vcc, s6, v22
	v_add_u32_e32 v24, 6, v28
	v_cndmask_b32_e32 v22, 0, v29, vcc
	v_cmp_gt_u32_e32 vcc, s6, v23
	v_perm_b32 v22, v22, v21, s7
	v_cndmask_b32_e32 v21, 0, v9, vcc
	v_lshrrev_b32_e32 v23, 16, v9
	v_cmp_gt_u32_e32 vcc, s6, v24
	v_cndmask_b32_e32 v23, 0, v23, vcc
	v_perm_b32 v21, v23, v21, s7
	v_add_u32_e32 v23, 3, v28
	v_add_u32_e32 v24, 4, v28
	;; [unrolled: 1-line block ×4, first 2 shown]
	v_cmp_gt_u32_e64 s[2:3], s6, v30
	v_cmp_gt_u32_e32 vcc, s6, v24
	v_cmp_gt_u32_e64 s[4:5], s6, v23
	v_mov_b32_e32 v30, 0
	v_cndmask_b32_e64 v23, 0, v16, s[4:5]
	v_cndmask_b32_sdwa v24, v30, v16, vcc dst_sel:DWORD dst_unused:UNUSED_PAD src0_sel:DWORD src1_sel:WORD_1
	v_cmp_gt_u32_e32 vcc, s6, v29
	v_perm_b32 v24, v24, v23, s7
	v_cndmask_b32_e32 v23, 0, v15, vcc
	s_mov_b64 vcc, s[2:3]
	v_cndmask_b32_sdwa v29, v30, v15, vcc dst_sel:DWORD dst_unused:UNUSED_PAD src0_sel:DWORD src1_sel:WORD_1
	v_cmp_gt_u32_e32 vcc, s6, v28
	s_waitcnt vmcnt(0) lgkmcnt(0)
	v_cndmask_b32_e32 v27, 0, v27, vcc
	v_perm_b32 v23, v29, v23, s7
	v_sub_u16_e32 v28, v15, v27
.LBB906_49:
	s_cbranch_execnz .LBB906_60
.LBB906_50:
	s_cmp_eq_u64 s[14:15], 1
	v_cmp_ne_u32_e32 vcc, 0, v0
	s_cbranch_scc1 .LBB906_55
; %bb.51:
	v_mov_b32_e32 v17, 0
	v_mov_b32_e32 v28, v15
	ds_write_b16 v25, v26
	s_waitcnt lgkmcnt(0)
	; wave barrier
	s_and_saveexec_b64 s[2:3], vcc
	s_cbranch_execz .LBB906_53
; %bb.52:
	v_add_u32_e32 v17, -2, v25
	ds_read_u16 v17, v17
	s_waitcnt lgkmcnt(0)
	v_sub_u16_e32 v28, v15, v17
	v_mov_b32_e32 v17, v0
.LBB906_53:
	s_or_b64 exec, exec, s[2:3]
	s_cbranch_execz .LBB906_56
; %bb.54:
	v_mov_b32_e32 v0, v17
	s_branch .LBB906_59
.LBB906_55:
                                        ; implicit-def: $vgpr28
                                        ; implicit-def: $vgpr17
.LBB906_56:
	v_mad_u32_u24 v17, v0, 17, 15
	v_mad_u32_u24 v19, v0, 17, 16
	v_cmp_gt_u32_e32 vcc, s12, v17
	v_mad_u32_u24 v20, v0, 17, 13
	v_cndmask_b32_e32 v17, 0, v14, vcc
	v_lshrrev_b32_e32 v14, 16, v14
	v_cmp_gt_u32_e32 vcc, s12, v19
	v_mad_u32_u24 v21, v0, 17, 14
	v_cndmask_b32_e32 v14, 0, v14, vcc
	s_mov_b32 s6, 0x5040100
	v_cmp_gt_u32_e32 vcc, s12, v20
	v_perm_b32 v14, v14, v17, s6
	v_cndmask_b32_e32 v17, 0, v13, vcc
	v_lshrrev_b32_e32 v13, 16, v13
	v_cmp_gt_u32_e32 vcc, s12, v21
	v_cndmask_b32_e32 v13, 0, v13, vcc
	v_perm_b32 v13, v13, v17, s6
	v_mad_u32_u24 v17, v0, 17, 11
	v_mad_u32_u24 v19, v0, 17, 12
	v_cmp_gt_u32_e32 vcc, s12, v17
	v_mad_u32_u24 v20, v0, 17, 9
	v_cndmask_b32_e32 v17, 0, v12, vcc
	v_lshrrev_b32_e32 v12, 16, v12
	v_cmp_gt_u32_e32 vcc, s12, v19
	v_mad_u32_u24 v21, v0, 17, 10
	v_cndmask_b32_e32 v12, 0, v12, vcc
	v_cmp_gt_u32_e32 vcc, s12, v20
	v_perm_b32 v12, v12, v17, s6
	v_cndmask_b32_e32 v17, 0, v11, vcc
	v_lshrrev_b32_e32 v11, 16, v11
	v_cmp_gt_u32_e32 vcc, s12, v21
	v_cndmask_b32_e32 v11, 0, v11, vcc
	v_perm_b32 v11, v11, v17, s6
	v_mad_u32_u24 v17, v0, 17, 7
	v_mad_u32_u24 v19, v0, 17, 8
	v_cmp_gt_u32_e32 vcc, s12, v17
	v_mad_u32_u24 v20, v0, 17, 5
	v_cndmask_b32_e32 v17, 0, v10, vcc
	v_lshrrev_b32_e32 v10, 16, v10
	v_cmp_gt_u32_e32 vcc, s12, v19
	v_mad_u32_u24 v21, v0, 17, 6
	v_cndmask_b32_e32 v10, 0, v10, vcc
	v_cmp_gt_u32_e32 vcc, s12, v20
	v_perm_b32 v10, v10, v17, s6
	v_cndmask_b32_e32 v17, 0, v9, vcc
	v_lshrrev_b32_e32 v9, 16, v9
	v_cmp_gt_u32_e32 vcc, s12, v21
	v_cndmask_b32_e32 v9, 0, v9, vcc
	v_perm_b32 v9, v9, v17, s6
	v_mad_u32_u24 v17, v0, 17, 3
	v_mad_u32_u24 v19, v0, 17, 4
	;; [unrolled: 1-line block ×4, first 2 shown]
	v_cmp_gt_u32_e32 vcc, s12, v19
	v_cmp_gt_u32_e64 s[4:5], s12, v17
	v_mov_b32_e32 v19, 0
	v_cmp_gt_u32_e64 s[2:3], s12, v21
	v_cndmask_b32_e64 v17, 0, v16, s[4:5]
	v_cndmask_b32_sdwa v16, v19, v16, vcc dst_sel:DWORD dst_unused:UNUSED_PAD src0_sel:DWORD src1_sel:WORD_1
	v_cmp_gt_u32_e32 vcc, s12, v20
	v_mul_u32_u24_e32 v18, 17, v0
	v_perm_b32 v17, v16, v17, s6
	v_cndmask_b32_e32 v16, 0, v15, vcc
	s_mov_b64 vcc, s[2:3]
	v_cndmask_b32_sdwa v19, v19, v15, vcc dst_sel:DWORD dst_unused:UNUSED_PAD src0_sel:DWORD src1_sel:WORD_1
	v_cmp_ne_u32_e32 vcc, 0, v0
	v_cmp_gt_u32_e64 s[2:3], s12, v18
	v_perm_b32 v16, v19, v16, s6
	s_and_b64 s[4:5], vcc, s[2:3]
	ds_write_b16 v25, v26
	s_waitcnt lgkmcnt(0)
	; wave barrier
	s_and_saveexec_b64 s[2:3], s[4:5]
	s_cbranch_execz .LBB906_58
; %bb.57:
	v_add_u32_e32 v18, -2, v25
	ds_read_u16 v18, v18
	s_waitcnt lgkmcnt(0)
	v_sub_u16_e32 v15, v15, v18
.LBB906_58:
	s_or_b64 exec, exec, s[2:3]
	v_mov_b32_e32 v28, v15
	v_mov_b32_e32 v15, v16
	;; [unrolled: 1-line block ×3, first 2 shown]
.LBB906_59:
	v_mov_b32_e32 v24, v16
	v_mov_b32_e32 v22, v10
	;; [unrolled: 1-line block ×8, first 2 shown]
.LBB906_60:
	v_mul_u32_u24_e32 v0, 34, v0
	s_mov_b64 s[2:3], -1
	s_and_b64 vcc, exec, s[0:1]
	v_pk_sub_i16 v4, v4, v24
	v_pk_sub_i16 v3, v3, v23
	;; [unrolled: 1-line block ×8, first 2 shown]
	; wave barrier
	ds_write_b16 v0, v28
	ds_write_b128 v0, v[3:6] offset:2
	ds_write_b128 v0, v[7:10] offset:18
	s_waitcnt lgkmcnt(0)
	s_cbranch_vccnz .LBB906_63
; %bb.61:
	s_andn2_b64 vcc, exec, s[2:3]
	s_cbranch_vccz .LBB906_64
.LBB906_62:
	s_endpgm
.LBB906_63:
	; wave barrier
	s_cbranch_execnz .LBB906_62
.LBB906_64:
	; wave barrier
	s_endpgm
	.section	.rodata,"a",@progbits
	.p2align	6, 0x0
	.amdhsa_kernel _ZN7rocprim17ROCPRIM_400000_NS6detail17trampoline_kernelINS0_14default_configENS1_35adjacent_difference_config_selectorILb1EsEEZNS1_24adjacent_difference_implIS3_Lb1ELb0EPsN6thrust23THRUST_200600_302600_NS16discard_iteratorINS9_11use_defaultEEENS9_5minusIsEEEE10hipError_tPvRmT2_T3_mT4_P12ihipStream_tbEUlT_E_NS1_11comp_targetILNS1_3genE2ELNS1_11target_archE906ELNS1_3gpuE6ELNS1_3repE0EEENS1_30default_config_static_selectorELNS0_4arch9wavefront6targetE1EEEvT1_
		.amdhsa_group_segment_fixed_size 2176
		.amdhsa_private_segment_fixed_size 0
		.amdhsa_kernarg_size 64
		.amdhsa_user_sgpr_count 6
		.amdhsa_user_sgpr_private_segment_buffer 1
		.amdhsa_user_sgpr_dispatch_ptr 0
		.amdhsa_user_sgpr_queue_ptr 0
		.amdhsa_user_sgpr_kernarg_segment_ptr 1
		.amdhsa_user_sgpr_dispatch_id 0
		.amdhsa_user_sgpr_flat_scratch_init 0
		.amdhsa_user_sgpr_private_segment_size 0
		.amdhsa_uses_dynamic_stack 0
		.amdhsa_system_sgpr_private_segment_wavefront_offset 0
		.amdhsa_system_sgpr_workgroup_id_x 1
		.amdhsa_system_sgpr_workgroup_id_y 0
		.amdhsa_system_sgpr_workgroup_id_z 0
		.amdhsa_system_sgpr_workgroup_info 0
		.amdhsa_system_vgpr_workitem_id 0
		.amdhsa_next_free_vgpr 31
		.amdhsa_next_free_sgpr 61
		.amdhsa_reserve_vcc 1
		.amdhsa_reserve_flat_scratch 0
		.amdhsa_float_round_mode_32 0
		.amdhsa_float_round_mode_16_64 0
		.amdhsa_float_denorm_mode_32 3
		.amdhsa_float_denorm_mode_16_64 3
		.amdhsa_dx10_clamp 1
		.amdhsa_ieee_mode 1
		.amdhsa_fp16_overflow 0
		.amdhsa_exception_fp_ieee_invalid_op 0
		.amdhsa_exception_fp_denorm_src 0
		.amdhsa_exception_fp_ieee_div_zero 0
		.amdhsa_exception_fp_ieee_overflow 0
		.amdhsa_exception_fp_ieee_underflow 0
		.amdhsa_exception_fp_ieee_inexact 0
		.amdhsa_exception_int_div_zero 0
	.end_amdhsa_kernel
	.section	.text._ZN7rocprim17ROCPRIM_400000_NS6detail17trampoline_kernelINS0_14default_configENS1_35adjacent_difference_config_selectorILb1EsEEZNS1_24adjacent_difference_implIS3_Lb1ELb0EPsN6thrust23THRUST_200600_302600_NS16discard_iteratorINS9_11use_defaultEEENS9_5minusIsEEEE10hipError_tPvRmT2_T3_mT4_P12ihipStream_tbEUlT_E_NS1_11comp_targetILNS1_3genE2ELNS1_11target_archE906ELNS1_3gpuE6ELNS1_3repE0EEENS1_30default_config_static_selectorELNS0_4arch9wavefront6targetE1EEEvT1_,"axG",@progbits,_ZN7rocprim17ROCPRIM_400000_NS6detail17trampoline_kernelINS0_14default_configENS1_35adjacent_difference_config_selectorILb1EsEEZNS1_24adjacent_difference_implIS3_Lb1ELb0EPsN6thrust23THRUST_200600_302600_NS16discard_iteratorINS9_11use_defaultEEENS9_5minusIsEEEE10hipError_tPvRmT2_T3_mT4_P12ihipStream_tbEUlT_E_NS1_11comp_targetILNS1_3genE2ELNS1_11target_archE906ELNS1_3gpuE6ELNS1_3repE0EEENS1_30default_config_static_selectorELNS0_4arch9wavefront6targetE1EEEvT1_,comdat
.Lfunc_end906:
	.size	_ZN7rocprim17ROCPRIM_400000_NS6detail17trampoline_kernelINS0_14default_configENS1_35adjacent_difference_config_selectorILb1EsEEZNS1_24adjacent_difference_implIS3_Lb1ELb0EPsN6thrust23THRUST_200600_302600_NS16discard_iteratorINS9_11use_defaultEEENS9_5minusIsEEEE10hipError_tPvRmT2_T3_mT4_P12ihipStream_tbEUlT_E_NS1_11comp_targetILNS1_3genE2ELNS1_11target_archE906ELNS1_3gpuE6ELNS1_3repE0EEENS1_30default_config_static_selectorELNS0_4arch9wavefront6targetE1EEEvT1_, .Lfunc_end906-_ZN7rocprim17ROCPRIM_400000_NS6detail17trampoline_kernelINS0_14default_configENS1_35adjacent_difference_config_selectorILb1EsEEZNS1_24adjacent_difference_implIS3_Lb1ELb0EPsN6thrust23THRUST_200600_302600_NS16discard_iteratorINS9_11use_defaultEEENS9_5minusIsEEEE10hipError_tPvRmT2_T3_mT4_P12ihipStream_tbEUlT_E_NS1_11comp_targetILNS1_3genE2ELNS1_11target_archE906ELNS1_3gpuE6ELNS1_3repE0EEENS1_30default_config_static_selectorELNS0_4arch9wavefront6targetE1EEEvT1_
                                        ; -- End function
	.set _ZN7rocprim17ROCPRIM_400000_NS6detail17trampoline_kernelINS0_14default_configENS1_35adjacent_difference_config_selectorILb1EsEEZNS1_24adjacent_difference_implIS3_Lb1ELb0EPsN6thrust23THRUST_200600_302600_NS16discard_iteratorINS9_11use_defaultEEENS9_5minusIsEEEE10hipError_tPvRmT2_T3_mT4_P12ihipStream_tbEUlT_E_NS1_11comp_targetILNS1_3genE2ELNS1_11target_archE906ELNS1_3gpuE6ELNS1_3repE0EEENS1_30default_config_static_selectorELNS0_4arch9wavefront6targetE1EEEvT1_.num_vgpr, 31
	.set _ZN7rocprim17ROCPRIM_400000_NS6detail17trampoline_kernelINS0_14default_configENS1_35adjacent_difference_config_selectorILb1EsEEZNS1_24adjacent_difference_implIS3_Lb1ELb0EPsN6thrust23THRUST_200600_302600_NS16discard_iteratorINS9_11use_defaultEEENS9_5minusIsEEEE10hipError_tPvRmT2_T3_mT4_P12ihipStream_tbEUlT_E_NS1_11comp_targetILNS1_3genE2ELNS1_11target_archE906ELNS1_3gpuE6ELNS1_3repE0EEENS1_30default_config_static_selectorELNS0_4arch9wavefront6targetE1EEEvT1_.num_agpr, 0
	.set _ZN7rocprim17ROCPRIM_400000_NS6detail17trampoline_kernelINS0_14default_configENS1_35adjacent_difference_config_selectorILb1EsEEZNS1_24adjacent_difference_implIS3_Lb1ELb0EPsN6thrust23THRUST_200600_302600_NS16discard_iteratorINS9_11use_defaultEEENS9_5minusIsEEEE10hipError_tPvRmT2_T3_mT4_P12ihipStream_tbEUlT_E_NS1_11comp_targetILNS1_3genE2ELNS1_11target_archE906ELNS1_3gpuE6ELNS1_3repE0EEENS1_30default_config_static_selectorELNS0_4arch9wavefront6targetE1EEEvT1_.numbered_sgpr, 24
	.set _ZN7rocprim17ROCPRIM_400000_NS6detail17trampoline_kernelINS0_14default_configENS1_35adjacent_difference_config_selectorILb1EsEEZNS1_24adjacent_difference_implIS3_Lb1ELb0EPsN6thrust23THRUST_200600_302600_NS16discard_iteratorINS9_11use_defaultEEENS9_5minusIsEEEE10hipError_tPvRmT2_T3_mT4_P12ihipStream_tbEUlT_E_NS1_11comp_targetILNS1_3genE2ELNS1_11target_archE906ELNS1_3gpuE6ELNS1_3repE0EEENS1_30default_config_static_selectorELNS0_4arch9wavefront6targetE1EEEvT1_.num_named_barrier, 0
	.set _ZN7rocprim17ROCPRIM_400000_NS6detail17trampoline_kernelINS0_14default_configENS1_35adjacent_difference_config_selectorILb1EsEEZNS1_24adjacent_difference_implIS3_Lb1ELb0EPsN6thrust23THRUST_200600_302600_NS16discard_iteratorINS9_11use_defaultEEENS9_5minusIsEEEE10hipError_tPvRmT2_T3_mT4_P12ihipStream_tbEUlT_E_NS1_11comp_targetILNS1_3genE2ELNS1_11target_archE906ELNS1_3gpuE6ELNS1_3repE0EEENS1_30default_config_static_selectorELNS0_4arch9wavefront6targetE1EEEvT1_.private_seg_size, 0
	.set _ZN7rocprim17ROCPRIM_400000_NS6detail17trampoline_kernelINS0_14default_configENS1_35adjacent_difference_config_selectorILb1EsEEZNS1_24adjacent_difference_implIS3_Lb1ELb0EPsN6thrust23THRUST_200600_302600_NS16discard_iteratorINS9_11use_defaultEEENS9_5minusIsEEEE10hipError_tPvRmT2_T3_mT4_P12ihipStream_tbEUlT_E_NS1_11comp_targetILNS1_3genE2ELNS1_11target_archE906ELNS1_3gpuE6ELNS1_3repE0EEENS1_30default_config_static_selectorELNS0_4arch9wavefront6targetE1EEEvT1_.uses_vcc, 1
	.set _ZN7rocprim17ROCPRIM_400000_NS6detail17trampoline_kernelINS0_14default_configENS1_35adjacent_difference_config_selectorILb1EsEEZNS1_24adjacent_difference_implIS3_Lb1ELb0EPsN6thrust23THRUST_200600_302600_NS16discard_iteratorINS9_11use_defaultEEENS9_5minusIsEEEE10hipError_tPvRmT2_T3_mT4_P12ihipStream_tbEUlT_E_NS1_11comp_targetILNS1_3genE2ELNS1_11target_archE906ELNS1_3gpuE6ELNS1_3repE0EEENS1_30default_config_static_selectorELNS0_4arch9wavefront6targetE1EEEvT1_.uses_flat_scratch, 0
	.set _ZN7rocprim17ROCPRIM_400000_NS6detail17trampoline_kernelINS0_14default_configENS1_35adjacent_difference_config_selectorILb1EsEEZNS1_24adjacent_difference_implIS3_Lb1ELb0EPsN6thrust23THRUST_200600_302600_NS16discard_iteratorINS9_11use_defaultEEENS9_5minusIsEEEE10hipError_tPvRmT2_T3_mT4_P12ihipStream_tbEUlT_E_NS1_11comp_targetILNS1_3genE2ELNS1_11target_archE906ELNS1_3gpuE6ELNS1_3repE0EEENS1_30default_config_static_selectorELNS0_4arch9wavefront6targetE1EEEvT1_.has_dyn_sized_stack, 0
	.set _ZN7rocprim17ROCPRIM_400000_NS6detail17trampoline_kernelINS0_14default_configENS1_35adjacent_difference_config_selectorILb1EsEEZNS1_24adjacent_difference_implIS3_Lb1ELb0EPsN6thrust23THRUST_200600_302600_NS16discard_iteratorINS9_11use_defaultEEENS9_5minusIsEEEE10hipError_tPvRmT2_T3_mT4_P12ihipStream_tbEUlT_E_NS1_11comp_targetILNS1_3genE2ELNS1_11target_archE906ELNS1_3gpuE6ELNS1_3repE0EEENS1_30default_config_static_selectorELNS0_4arch9wavefront6targetE1EEEvT1_.has_recursion, 0
	.set _ZN7rocprim17ROCPRIM_400000_NS6detail17trampoline_kernelINS0_14default_configENS1_35adjacent_difference_config_selectorILb1EsEEZNS1_24adjacent_difference_implIS3_Lb1ELb0EPsN6thrust23THRUST_200600_302600_NS16discard_iteratorINS9_11use_defaultEEENS9_5minusIsEEEE10hipError_tPvRmT2_T3_mT4_P12ihipStream_tbEUlT_E_NS1_11comp_targetILNS1_3genE2ELNS1_11target_archE906ELNS1_3gpuE6ELNS1_3repE0EEENS1_30default_config_static_selectorELNS0_4arch9wavefront6targetE1EEEvT1_.has_indirect_call, 0
	.section	.AMDGPU.csdata,"",@progbits
; Kernel info:
; codeLenInByte = 3112
; TotalNumSgprs: 28
; NumVgprs: 31
; ScratchSize: 0
; MemoryBound: 0
; FloatMode: 240
; IeeeMode: 1
; LDSByteSize: 2176 bytes/workgroup (compile time only)
; SGPRBlocks: 8
; VGPRBlocks: 7
; NumSGPRsForWavesPerEU: 65
; NumVGPRsForWavesPerEU: 31
; Occupancy: 8
; WaveLimiterHint : 1
; COMPUTE_PGM_RSRC2:SCRATCH_EN: 0
; COMPUTE_PGM_RSRC2:USER_SGPR: 6
; COMPUTE_PGM_RSRC2:TRAP_HANDLER: 0
; COMPUTE_PGM_RSRC2:TGID_X_EN: 1
; COMPUTE_PGM_RSRC2:TGID_Y_EN: 0
; COMPUTE_PGM_RSRC2:TGID_Z_EN: 0
; COMPUTE_PGM_RSRC2:TIDIG_COMP_CNT: 0
	.section	.text._ZN7rocprim17ROCPRIM_400000_NS6detail17trampoline_kernelINS0_14default_configENS1_35adjacent_difference_config_selectorILb1EsEEZNS1_24adjacent_difference_implIS3_Lb1ELb0EPsN6thrust23THRUST_200600_302600_NS16discard_iteratorINS9_11use_defaultEEENS9_5minusIsEEEE10hipError_tPvRmT2_T3_mT4_P12ihipStream_tbEUlT_E_NS1_11comp_targetILNS1_3genE9ELNS1_11target_archE1100ELNS1_3gpuE3ELNS1_3repE0EEENS1_30default_config_static_selectorELNS0_4arch9wavefront6targetE1EEEvT1_,"axG",@progbits,_ZN7rocprim17ROCPRIM_400000_NS6detail17trampoline_kernelINS0_14default_configENS1_35adjacent_difference_config_selectorILb1EsEEZNS1_24adjacent_difference_implIS3_Lb1ELb0EPsN6thrust23THRUST_200600_302600_NS16discard_iteratorINS9_11use_defaultEEENS9_5minusIsEEEE10hipError_tPvRmT2_T3_mT4_P12ihipStream_tbEUlT_E_NS1_11comp_targetILNS1_3genE9ELNS1_11target_archE1100ELNS1_3gpuE3ELNS1_3repE0EEENS1_30default_config_static_selectorELNS0_4arch9wavefront6targetE1EEEvT1_,comdat
	.protected	_ZN7rocprim17ROCPRIM_400000_NS6detail17trampoline_kernelINS0_14default_configENS1_35adjacent_difference_config_selectorILb1EsEEZNS1_24adjacent_difference_implIS3_Lb1ELb0EPsN6thrust23THRUST_200600_302600_NS16discard_iteratorINS9_11use_defaultEEENS9_5minusIsEEEE10hipError_tPvRmT2_T3_mT4_P12ihipStream_tbEUlT_E_NS1_11comp_targetILNS1_3genE9ELNS1_11target_archE1100ELNS1_3gpuE3ELNS1_3repE0EEENS1_30default_config_static_selectorELNS0_4arch9wavefront6targetE1EEEvT1_ ; -- Begin function _ZN7rocprim17ROCPRIM_400000_NS6detail17trampoline_kernelINS0_14default_configENS1_35adjacent_difference_config_selectorILb1EsEEZNS1_24adjacent_difference_implIS3_Lb1ELb0EPsN6thrust23THRUST_200600_302600_NS16discard_iteratorINS9_11use_defaultEEENS9_5minusIsEEEE10hipError_tPvRmT2_T3_mT4_P12ihipStream_tbEUlT_E_NS1_11comp_targetILNS1_3genE9ELNS1_11target_archE1100ELNS1_3gpuE3ELNS1_3repE0EEENS1_30default_config_static_selectorELNS0_4arch9wavefront6targetE1EEEvT1_
	.globl	_ZN7rocprim17ROCPRIM_400000_NS6detail17trampoline_kernelINS0_14default_configENS1_35adjacent_difference_config_selectorILb1EsEEZNS1_24adjacent_difference_implIS3_Lb1ELb0EPsN6thrust23THRUST_200600_302600_NS16discard_iteratorINS9_11use_defaultEEENS9_5minusIsEEEE10hipError_tPvRmT2_T3_mT4_P12ihipStream_tbEUlT_E_NS1_11comp_targetILNS1_3genE9ELNS1_11target_archE1100ELNS1_3gpuE3ELNS1_3repE0EEENS1_30default_config_static_selectorELNS0_4arch9wavefront6targetE1EEEvT1_
	.p2align	8
	.type	_ZN7rocprim17ROCPRIM_400000_NS6detail17trampoline_kernelINS0_14default_configENS1_35adjacent_difference_config_selectorILb1EsEEZNS1_24adjacent_difference_implIS3_Lb1ELb0EPsN6thrust23THRUST_200600_302600_NS16discard_iteratorINS9_11use_defaultEEENS9_5minusIsEEEE10hipError_tPvRmT2_T3_mT4_P12ihipStream_tbEUlT_E_NS1_11comp_targetILNS1_3genE9ELNS1_11target_archE1100ELNS1_3gpuE3ELNS1_3repE0EEENS1_30default_config_static_selectorELNS0_4arch9wavefront6targetE1EEEvT1_,@function
_ZN7rocprim17ROCPRIM_400000_NS6detail17trampoline_kernelINS0_14default_configENS1_35adjacent_difference_config_selectorILb1EsEEZNS1_24adjacent_difference_implIS3_Lb1ELb0EPsN6thrust23THRUST_200600_302600_NS16discard_iteratorINS9_11use_defaultEEENS9_5minusIsEEEE10hipError_tPvRmT2_T3_mT4_P12ihipStream_tbEUlT_E_NS1_11comp_targetILNS1_3genE9ELNS1_11target_archE1100ELNS1_3gpuE3ELNS1_3repE0EEENS1_30default_config_static_selectorELNS0_4arch9wavefront6targetE1EEEvT1_: ; @_ZN7rocprim17ROCPRIM_400000_NS6detail17trampoline_kernelINS0_14default_configENS1_35adjacent_difference_config_selectorILb1EsEEZNS1_24adjacent_difference_implIS3_Lb1ELb0EPsN6thrust23THRUST_200600_302600_NS16discard_iteratorINS9_11use_defaultEEENS9_5minusIsEEEE10hipError_tPvRmT2_T3_mT4_P12ihipStream_tbEUlT_E_NS1_11comp_targetILNS1_3genE9ELNS1_11target_archE1100ELNS1_3gpuE3ELNS1_3repE0EEENS1_30default_config_static_selectorELNS0_4arch9wavefront6targetE1EEEvT1_
; %bb.0:
	.section	.rodata,"a",@progbits
	.p2align	6, 0x0
	.amdhsa_kernel _ZN7rocprim17ROCPRIM_400000_NS6detail17trampoline_kernelINS0_14default_configENS1_35adjacent_difference_config_selectorILb1EsEEZNS1_24adjacent_difference_implIS3_Lb1ELb0EPsN6thrust23THRUST_200600_302600_NS16discard_iteratorINS9_11use_defaultEEENS9_5minusIsEEEE10hipError_tPvRmT2_T3_mT4_P12ihipStream_tbEUlT_E_NS1_11comp_targetILNS1_3genE9ELNS1_11target_archE1100ELNS1_3gpuE3ELNS1_3repE0EEENS1_30default_config_static_selectorELNS0_4arch9wavefront6targetE1EEEvT1_
		.amdhsa_group_segment_fixed_size 0
		.amdhsa_private_segment_fixed_size 0
		.amdhsa_kernarg_size 64
		.amdhsa_user_sgpr_count 6
		.amdhsa_user_sgpr_private_segment_buffer 1
		.amdhsa_user_sgpr_dispatch_ptr 0
		.amdhsa_user_sgpr_queue_ptr 0
		.amdhsa_user_sgpr_kernarg_segment_ptr 1
		.amdhsa_user_sgpr_dispatch_id 0
		.amdhsa_user_sgpr_flat_scratch_init 0
		.amdhsa_user_sgpr_private_segment_size 0
		.amdhsa_uses_dynamic_stack 0
		.amdhsa_system_sgpr_private_segment_wavefront_offset 0
		.amdhsa_system_sgpr_workgroup_id_x 1
		.amdhsa_system_sgpr_workgroup_id_y 0
		.amdhsa_system_sgpr_workgroup_id_z 0
		.amdhsa_system_sgpr_workgroup_info 0
		.amdhsa_system_vgpr_workitem_id 0
		.amdhsa_next_free_vgpr 1
		.amdhsa_next_free_sgpr 0
		.amdhsa_reserve_vcc 0
		.amdhsa_reserve_flat_scratch 0
		.amdhsa_float_round_mode_32 0
		.amdhsa_float_round_mode_16_64 0
		.amdhsa_float_denorm_mode_32 3
		.amdhsa_float_denorm_mode_16_64 3
		.amdhsa_dx10_clamp 1
		.amdhsa_ieee_mode 1
		.amdhsa_fp16_overflow 0
		.amdhsa_exception_fp_ieee_invalid_op 0
		.amdhsa_exception_fp_denorm_src 0
		.amdhsa_exception_fp_ieee_div_zero 0
		.amdhsa_exception_fp_ieee_overflow 0
		.amdhsa_exception_fp_ieee_underflow 0
		.amdhsa_exception_fp_ieee_inexact 0
		.amdhsa_exception_int_div_zero 0
	.end_amdhsa_kernel
	.section	.text._ZN7rocprim17ROCPRIM_400000_NS6detail17trampoline_kernelINS0_14default_configENS1_35adjacent_difference_config_selectorILb1EsEEZNS1_24adjacent_difference_implIS3_Lb1ELb0EPsN6thrust23THRUST_200600_302600_NS16discard_iteratorINS9_11use_defaultEEENS9_5minusIsEEEE10hipError_tPvRmT2_T3_mT4_P12ihipStream_tbEUlT_E_NS1_11comp_targetILNS1_3genE9ELNS1_11target_archE1100ELNS1_3gpuE3ELNS1_3repE0EEENS1_30default_config_static_selectorELNS0_4arch9wavefront6targetE1EEEvT1_,"axG",@progbits,_ZN7rocprim17ROCPRIM_400000_NS6detail17trampoline_kernelINS0_14default_configENS1_35adjacent_difference_config_selectorILb1EsEEZNS1_24adjacent_difference_implIS3_Lb1ELb0EPsN6thrust23THRUST_200600_302600_NS16discard_iteratorINS9_11use_defaultEEENS9_5minusIsEEEE10hipError_tPvRmT2_T3_mT4_P12ihipStream_tbEUlT_E_NS1_11comp_targetILNS1_3genE9ELNS1_11target_archE1100ELNS1_3gpuE3ELNS1_3repE0EEENS1_30default_config_static_selectorELNS0_4arch9wavefront6targetE1EEEvT1_,comdat
.Lfunc_end907:
	.size	_ZN7rocprim17ROCPRIM_400000_NS6detail17trampoline_kernelINS0_14default_configENS1_35adjacent_difference_config_selectorILb1EsEEZNS1_24adjacent_difference_implIS3_Lb1ELb0EPsN6thrust23THRUST_200600_302600_NS16discard_iteratorINS9_11use_defaultEEENS9_5minusIsEEEE10hipError_tPvRmT2_T3_mT4_P12ihipStream_tbEUlT_E_NS1_11comp_targetILNS1_3genE9ELNS1_11target_archE1100ELNS1_3gpuE3ELNS1_3repE0EEENS1_30default_config_static_selectorELNS0_4arch9wavefront6targetE1EEEvT1_, .Lfunc_end907-_ZN7rocprim17ROCPRIM_400000_NS6detail17trampoline_kernelINS0_14default_configENS1_35adjacent_difference_config_selectorILb1EsEEZNS1_24adjacent_difference_implIS3_Lb1ELb0EPsN6thrust23THRUST_200600_302600_NS16discard_iteratorINS9_11use_defaultEEENS9_5minusIsEEEE10hipError_tPvRmT2_T3_mT4_P12ihipStream_tbEUlT_E_NS1_11comp_targetILNS1_3genE9ELNS1_11target_archE1100ELNS1_3gpuE3ELNS1_3repE0EEENS1_30default_config_static_selectorELNS0_4arch9wavefront6targetE1EEEvT1_
                                        ; -- End function
	.set _ZN7rocprim17ROCPRIM_400000_NS6detail17trampoline_kernelINS0_14default_configENS1_35adjacent_difference_config_selectorILb1EsEEZNS1_24adjacent_difference_implIS3_Lb1ELb0EPsN6thrust23THRUST_200600_302600_NS16discard_iteratorINS9_11use_defaultEEENS9_5minusIsEEEE10hipError_tPvRmT2_T3_mT4_P12ihipStream_tbEUlT_E_NS1_11comp_targetILNS1_3genE9ELNS1_11target_archE1100ELNS1_3gpuE3ELNS1_3repE0EEENS1_30default_config_static_selectorELNS0_4arch9wavefront6targetE1EEEvT1_.num_vgpr, 0
	.set _ZN7rocprim17ROCPRIM_400000_NS6detail17trampoline_kernelINS0_14default_configENS1_35adjacent_difference_config_selectorILb1EsEEZNS1_24adjacent_difference_implIS3_Lb1ELb0EPsN6thrust23THRUST_200600_302600_NS16discard_iteratorINS9_11use_defaultEEENS9_5minusIsEEEE10hipError_tPvRmT2_T3_mT4_P12ihipStream_tbEUlT_E_NS1_11comp_targetILNS1_3genE9ELNS1_11target_archE1100ELNS1_3gpuE3ELNS1_3repE0EEENS1_30default_config_static_selectorELNS0_4arch9wavefront6targetE1EEEvT1_.num_agpr, 0
	.set _ZN7rocprim17ROCPRIM_400000_NS6detail17trampoline_kernelINS0_14default_configENS1_35adjacent_difference_config_selectorILb1EsEEZNS1_24adjacent_difference_implIS3_Lb1ELb0EPsN6thrust23THRUST_200600_302600_NS16discard_iteratorINS9_11use_defaultEEENS9_5minusIsEEEE10hipError_tPvRmT2_T3_mT4_P12ihipStream_tbEUlT_E_NS1_11comp_targetILNS1_3genE9ELNS1_11target_archE1100ELNS1_3gpuE3ELNS1_3repE0EEENS1_30default_config_static_selectorELNS0_4arch9wavefront6targetE1EEEvT1_.numbered_sgpr, 0
	.set _ZN7rocprim17ROCPRIM_400000_NS6detail17trampoline_kernelINS0_14default_configENS1_35adjacent_difference_config_selectorILb1EsEEZNS1_24adjacent_difference_implIS3_Lb1ELb0EPsN6thrust23THRUST_200600_302600_NS16discard_iteratorINS9_11use_defaultEEENS9_5minusIsEEEE10hipError_tPvRmT2_T3_mT4_P12ihipStream_tbEUlT_E_NS1_11comp_targetILNS1_3genE9ELNS1_11target_archE1100ELNS1_3gpuE3ELNS1_3repE0EEENS1_30default_config_static_selectorELNS0_4arch9wavefront6targetE1EEEvT1_.num_named_barrier, 0
	.set _ZN7rocprim17ROCPRIM_400000_NS6detail17trampoline_kernelINS0_14default_configENS1_35adjacent_difference_config_selectorILb1EsEEZNS1_24adjacent_difference_implIS3_Lb1ELb0EPsN6thrust23THRUST_200600_302600_NS16discard_iteratorINS9_11use_defaultEEENS9_5minusIsEEEE10hipError_tPvRmT2_T3_mT4_P12ihipStream_tbEUlT_E_NS1_11comp_targetILNS1_3genE9ELNS1_11target_archE1100ELNS1_3gpuE3ELNS1_3repE0EEENS1_30default_config_static_selectorELNS0_4arch9wavefront6targetE1EEEvT1_.private_seg_size, 0
	.set _ZN7rocprim17ROCPRIM_400000_NS6detail17trampoline_kernelINS0_14default_configENS1_35adjacent_difference_config_selectorILb1EsEEZNS1_24adjacent_difference_implIS3_Lb1ELb0EPsN6thrust23THRUST_200600_302600_NS16discard_iteratorINS9_11use_defaultEEENS9_5minusIsEEEE10hipError_tPvRmT2_T3_mT4_P12ihipStream_tbEUlT_E_NS1_11comp_targetILNS1_3genE9ELNS1_11target_archE1100ELNS1_3gpuE3ELNS1_3repE0EEENS1_30default_config_static_selectorELNS0_4arch9wavefront6targetE1EEEvT1_.uses_vcc, 0
	.set _ZN7rocprim17ROCPRIM_400000_NS6detail17trampoline_kernelINS0_14default_configENS1_35adjacent_difference_config_selectorILb1EsEEZNS1_24adjacent_difference_implIS3_Lb1ELb0EPsN6thrust23THRUST_200600_302600_NS16discard_iteratorINS9_11use_defaultEEENS9_5minusIsEEEE10hipError_tPvRmT2_T3_mT4_P12ihipStream_tbEUlT_E_NS1_11comp_targetILNS1_3genE9ELNS1_11target_archE1100ELNS1_3gpuE3ELNS1_3repE0EEENS1_30default_config_static_selectorELNS0_4arch9wavefront6targetE1EEEvT1_.uses_flat_scratch, 0
	.set _ZN7rocprim17ROCPRIM_400000_NS6detail17trampoline_kernelINS0_14default_configENS1_35adjacent_difference_config_selectorILb1EsEEZNS1_24adjacent_difference_implIS3_Lb1ELb0EPsN6thrust23THRUST_200600_302600_NS16discard_iteratorINS9_11use_defaultEEENS9_5minusIsEEEE10hipError_tPvRmT2_T3_mT4_P12ihipStream_tbEUlT_E_NS1_11comp_targetILNS1_3genE9ELNS1_11target_archE1100ELNS1_3gpuE3ELNS1_3repE0EEENS1_30default_config_static_selectorELNS0_4arch9wavefront6targetE1EEEvT1_.has_dyn_sized_stack, 0
	.set _ZN7rocprim17ROCPRIM_400000_NS6detail17trampoline_kernelINS0_14default_configENS1_35adjacent_difference_config_selectorILb1EsEEZNS1_24adjacent_difference_implIS3_Lb1ELb0EPsN6thrust23THRUST_200600_302600_NS16discard_iteratorINS9_11use_defaultEEENS9_5minusIsEEEE10hipError_tPvRmT2_T3_mT4_P12ihipStream_tbEUlT_E_NS1_11comp_targetILNS1_3genE9ELNS1_11target_archE1100ELNS1_3gpuE3ELNS1_3repE0EEENS1_30default_config_static_selectorELNS0_4arch9wavefront6targetE1EEEvT1_.has_recursion, 0
	.set _ZN7rocprim17ROCPRIM_400000_NS6detail17trampoline_kernelINS0_14default_configENS1_35adjacent_difference_config_selectorILb1EsEEZNS1_24adjacent_difference_implIS3_Lb1ELb0EPsN6thrust23THRUST_200600_302600_NS16discard_iteratorINS9_11use_defaultEEENS9_5minusIsEEEE10hipError_tPvRmT2_T3_mT4_P12ihipStream_tbEUlT_E_NS1_11comp_targetILNS1_3genE9ELNS1_11target_archE1100ELNS1_3gpuE3ELNS1_3repE0EEENS1_30default_config_static_selectorELNS0_4arch9wavefront6targetE1EEEvT1_.has_indirect_call, 0
	.section	.AMDGPU.csdata,"",@progbits
; Kernel info:
; codeLenInByte = 0
; TotalNumSgprs: 4
; NumVgprs: 0
; ScratchSize: 0
; MemoryBound: 0
; FloatMode: 240
; IeeeMode: 1
; LDSByteSize: 0 bytes/workgroup (compile time only)
; SGPRBlocks: 0
; VGPRBlocks: 0
; NumSGPRsForWavesPerEU: 4
; NumVGPRsForWavesPerEU: 1
; Occupancy: 10
; WaveLimiterHint : 0
; COMPUTE_PGM_RSRC2:SCRATCH_EN: 0
; COMPUTE_PGM_RSRC2:USER_SGPR: 6
; COMPUTE_PGM_RSRC2:TRAP_HANDLER: 0
; COMPUTE_PGM_RSRC2:TGID_X_EN: 1
; COMPUTE_PGM_RSRC2:TGID_Y_EN: 0
; COMPUTE_PGM_RSRC2:TGID_Z_EN: 0
; COMPUTE_PGM_RSRC2:TIDIG_COMP_CNT: 0
	.section	.text._ZN7rocprim17ROCPRIM_400000_NS6detail17trampoline_kernelINS0_14default_configENS1_35adjacent_difference_config_selectorILb1EsEEZNS1_24adjacent_difference_implIS3_Lb1ELb0EPsN6thrust23THRUST_200600_302600_NS16discard_iteratorINS9_11use_defaultEEENS9_5minusIsEEEE10hipError_tPvRmT2_T3_mT4_P12ihipStream_tbEUlT_E_NS1_11comp_targetILNS1_3genE8ELNS1_11target_archE1030ELNS1_3gpuE2ELNS1_3repE0EEENS1_30default_config_static_selectorELNS0_4arch9wavefront6targetE1EEEvT1_,"axG",@progbits,_ZN7rocprim17ROCPRIM_400000_NS6detail17trampoline_kernelINS0_14default_configENS1_35adjacent_difference_config_selectorILb1EsEEZNS1_24adjacent_difference_implIS3_Lb1ELb0EPsN6thrust23THRUST_200600_302600_NS16discard_iteratorINS9_11use_defaultEEENS9_5minusIsEEEE10hipError_tPvRmT2_T3_mT4_P12ihipStream_tbEUlT_E_NS1_11comp_targetILNS1_3genE8ELNS1_11target_archE1030ELNS1_3gpuE2ELNS1_3repE0EEENS1_30default_config_static_selectorELNS0_4arch9wavefront6targetE1EEEvT1_,comdat
	.protected	_ZN7rocprim17ROCPRIM_400000_NS6detail17trampoline_kernelINS0_14default_configENS1_35adjacent_difference_config_selectorILb1EsEEZNS1_24adjacent_difference_implIS3_Lb1ELb0EPsN6thrust23THRUST_200600_302600_NS16discard_iteratorINS9_11use_defaultEEENS9_5minusIsEEEE10hipError_tPvRmT2_T3_mT4_P12ihipStream_tbEUlT_E_NS1_11comp_targetILNS1_3genE8ELNS1_11target_archE1030ELNS1_3gpuE2ELNS1_3repE0EEENS1_30default_config_static_selectorELNS0_4arch9wavefront6targetE1EEEvT1_ ; -- Begin function _ZN7rocprim17ROCPRIM_400000_NS6detail17trampoline_kernelINS0_14default_configENS1_35adjacent_difference_config_selectorILb1EsEEZNS1_24adjacent_difference_implIS3_Lb1ELb0EPsN6thrust23THRUST_200600_302600_NS16discard_iteratorINS9_11use_defaultEEENS9_5minusIsEEEE10hipError_tPvRmT2_T3_mT4_P12ihipStream_tbEUlT_E_NS1_11comp_targetILNS1_3genE8ELNS1_11target_archE1030ELNS1_3gpuE2ELNS1_3repE0EEENS1_30default_config_static_selectorELNS0_4arch9wavefront6targetE1EEEvT1_
	.globl	_ZN7rocprim17ROCPRIM_400000_NS6detail17trampoline_kernelINS0_14default_configENS1_35adjacent_difference_config_selectorILb1EsEEZNS1_24adjacent_difference_implIS3_Lb1ELb0EPsN6thrust23THRUST_200600_302600_NS16discard_iteratorINS9_11use_defaultEEENS9_5minusIsEEEE10hipError_tPvRmT2_T3_mT4_P12ihipStream_tbEUlT_E_NS1_11comp_targetILNS1_3genE8ELNS1_11target_archE1030ELNS1_3gpuE2ELNS1_3repE0EEENS1_30default_config_static_selectorELNS0_4arch9wavefront6targetE1EEEvT1_
	.p2align	8
	.type	_ZN7rocprim17ROCPRIM_400000_NS6detail17trampoline_kernelINS0_14default_configENS1_35adjacent_difference_config_selectorILb1EsEEZNS1_24adjacent_difference_implIS3_Lb1ELb0EPsN6thrust23THRUST_200600_302600_NS16discard_iteratorINS9_11use_defaultEEENS9_5minusIsEEEE10hipError_tPvRmT2_T3_mT4_P12ihipStream_tbEUlT_E_NS1_11comp_targetILNS1_3genE8ELNS1_11target_archE1030ELNS1_3gpuE2ELNS1_3repE0EEENS1_30default_config_static_selectorELNS0_4arch9wavefront6targetE1EEEvT1_,@function
_ZN7rocprim17ROCPRIM_400000_NS6detail17trampoline_kernelINS0_14default_configENS1_35adjacent_difference_config_selectorILb1EsEEZNS1_24adjacent_difference_implIS3_Lb1ELb0EPsN6thrust23THRUST_200600_302600_NS16discard_iteratorINS9_11use_defaultEEENS9_5minusIsEEEE10hipError_tPvRmT2_T3_mT4_P12ihipStream_tbEUlT_E_NS1_11comp_targetILNS1_3genE8ELNS1_11target_archE1030ELNS1_3gpuE2ELNS1_3repE0EEENS1_30default_config_static_selectorELNS0_4arch9wavefront6targetE1EEEvT1_: ; @_ZN7rocprim17ROCPRIM_400000_NS6detail17trampoline_kernelINS0_14default_configENS1_35adjacent_difference_config_selectorILb1EsEEZNS1_24adjacent_difference_implIS3_Lb1ELb0EPsN6thrust23THRUST_200600_302600_NS16discard_iteratorINS9_11use_defaultEEENS9_5minusIsEEEE10hipError_tPvRmT2_T3_mT4_P12ihipStream_tbEUlT_E_NS1_11comp_targetILNS1_3genE8ELNS1_11target_archE1030ELNS1_3gpuE2ELNS1_3repE0EEENS1_30default_config_static_selectorELNS0_4arch9wavefront6targetE1EEEvT1_
; %bb.0:
	.section	.rodata,"a",@progbits
	.p2align	6, 0x0
	.amdhsa_kernel _ZN7rocprim17ROCPRIM_400000_NS6detail17trampoline_kernelINS0_14default_configENS1_35adjacent_difference_config_selectorILb1EsEEZNS1_24adjacent_difference_implIS3_Lb1ELb0EPsN6thrust23THRUST_200600_302600_NS16discard_iteratorINS9_11use_defaultEEENS9_5minusIsEEEE10hipError_tPvRmT2_T3_mT4_P12ihipStream_tbEUlT_E_NS1_11comp_targetILNS1_3genE8ELNS1_11target_archE1030ELNS1_3gpuE2ELNS1_3repE0EEENS1_30default_config_static_selectorELNS0_4arch9wavefront6targetE1EEEvT1_
		.amdhsa_group_segment_fixed_size 0
		.amdhsa_private_segment_fixed_size 0
		.amdhsa_kernarg_size 64
		.amdhsa_user_sgpr_count 6
		.amdhsa_user_sgpr_private_segment_buffer 1
		.amdhsa_user_sgpr_dispatch_ptr 0
		.amdhsa_user_sgpr_queue_ptr 0
		.amdhsa_user_sgpr_kernarg_segment_ptr 1
		.amdhsa_user_sgpr_dispatch_id 0
		.amdhsa_user_sgpr_flat_scratch_init 0
		.amdhsa_user_sgpr_private_segment_size 0
		.amdhsa_uses_dynamic_stack 0
		.amdhsa_system_sgpr_private_segment_wavefront_offset 0
		.amdhsa_system_sgpr_workgroup_id_x 1
		.amdhsa_system_sgpr_workgroup_id_y 0
		.amdhsa_system_sgpr_workgroup_id_z 0
		.amdhsa_system_sgpr_workgroup_info 0
		.amdhsa_system_vgpr_workitem_id 0
		.amdhsa_next_free_vgpr 1
		.amdhsa_next_free_sgpr 0
		.amdhsa_reserve_vcc 0
		.amdhsa_reserve_flat_scratch 0
		.amdhsa_float_round_mode_32 0
		.amdhsa_float_round_mode_16_64 0
		.amdhsa_float_denorm_mode_32 3
		.amdhsa_float_denorm_mode_16_64 3
		.amdhsa_dx10_clamp 1
		.amdhsa_ieee_mode 1
		.amdhsa_fp16_overflow 0
		.amdhsa_exception_fp_ieee_invalid_op 0
		.amdhsa_exception_fp_denorm_src 0
		.amdhsa_exception_fp_ieee_div_zero 0
		.amdhsa_exception_fp_ieee_overflow 0
		.amdhsa_exception_fp_ieee_underflow 0
		.amdhsa_exception_fp_ieee_inexact 0
		.amdhsa_exception_int_div_zero 0
	.end_amdhsa_kernel
	.section	.text._ZN7rocprim17ROCPRIM_400000_NS6detail17trampoline_kernelINS0_14default_configENS1_35adjacent_difference_config_selectorILb1EsEEZNS1_24adjacent_difference_implIS3_Lb1ELb0EPsN6thrust23THRUST_200600_302600_NS16discard_iteratorINS9_11use_defaultEEENS9_5minusIsEEEE10hipError_tPvRmT2_T3_mT4_P12ihipStream_tbEUlT_E_NS1_11comp_targetILNS1_3genE8ELNS1_11target_archE1030ELNS1_3gpuE2ELNS1_3repE0EEENS1_30default_config_static_selectorELNS0_4arch9wavefront6targetE1EEEvT1_,"axG",@progbits,_ZN7rocprim17ROCPRIM_400000_NS6detail17trampoline_kernelINS0_14default_configENS1_35adjacent_difference_config_selectorILb1EsEEZNS1_24adjacent_difference_implIS3_Lb1ELb0EPsN6thrust23THRUST_200600_302600_NS16discard_iteratorINS9_11use_defaultEEENS9_5minusIsEEEE10hipError_tPvRmT2_T3_mT4_P12ihipStream_tbEUlT_E_NS1_11comp_targetILNS1_3genE8ELNS1_11target_archE1030ELNS1_3gpuE2ELNS1_3repE0EEENS1_30default_config_static_selectorELNS0_4arch9wavefront6targetE1EEEvT1_,comdat
.Lfunc_end908:
	.size	_ZN7rocprim17ROCPRIM_400000_NS6detail17trampoline_kernelINS0_14default_configENS1_35adjacent_difference_config_selectorILb1EsEEZNS1_24adjacent_difference_implIS3_Lb1ELb0EPsN6thrust23THRUST_200600_302600_NS16discard_iteratorINS9_11use_defaultEEENS9_5minusIsEEEE10hipError_tPvRmT2_T3_mT4_P12ihipStream_tbEUlT_E_NS1_11comp_targetILNS1_3genE8ELNS1_11target_archE1030ELNS1_3gpuE2ELNS1_3repE0EEENS1_30default_config_static_selectorELNS0_4arch9wavefront6targetE1EEEvT1_, .Lfunc_end908-_ZN7rocprim17ROCPRIM_400000_NS6detail17trampoline_kernelINS0_14default_configENS1_35adjacent_difference_config_selectorILb1EsEEZNS1_24adjacent_difference_implIS3_Lb1ELb0EPsN6thrust23THRUST_200600_302600_NS16discard_iteratorINS9_11use_defaultEEENS9_5minusIsEEEE10hipError_tPvRmT2_T3_mT4_P12ihipStream_tbEUlT_E_NS1_11comp_targetILNS1_3genE8ELNS1_11target_archE1030ELNS1_3gpuE2ELNS1_3repE0EEENS1_30default_config_static_selectorELNS0_4arch9wavefront6targetE1EEEvT1_
                                        ; -- End function
	.set _ZN7rocprim17ROCPRIM_400000_NS6detail17trampoline_kernelINS0_14default_configENS1_35adjacent_difference_config_selectorILb1EsEEZNS1_24adjacent_difference_implIS3_Lb1ELb0EPsN6thrust23THRUST_200600_302600_NS16discard_iteratorINS9_11use_defaultEEENS9_5minusIsEEEE10hipError_tPvRmT2_T3_mT4_P12ihipStream_tbEUlT_E_NS1_11comp_targetILNS1_3genE8ELNS1_11target_archE1030ELNS1_3gpuE2ELNS1_3repE0EEENS1_30default_config_static_selectorELNS0_4arch9wavefront6targetE1EEEvT1_.num_vgpr, 0
	.set _ZN7rocprim17ROCPRIM_400000_NS6detail17trampoline_kernelINS0_14default_configENS1_35adjacent_difference_config_selectorILb1EsEEZNS1_24adjacent_difference_implIS3_Lb1ELb0EPsN6thrust23THRUST_200600_302600_NS16discard_iteratorINS9_11use_defaultEEENS9_5minusIsEEEE10hipError_tPvRmT2_T3_mT4_P12ihipStream_tbEUlT_E_NS1_11comp_targetILNS1_3genE8ELNS1_11target_archE1030ELNS1_3gpuE2ELNS1_3repE0EEENS1_30default_config_static_selectorELNS0_4arch9wavefront6targetE1EEEvT1_.num_agpr, 0
	.set _ZN7rocprim17ROCPRIM_400000_NS6detail17trampoline_kernelINS0_14default_configENS1_35adjacent_difference_config_selectorILb1EsEEZNS1_24adjacent_difference_implIS3_Lb1ELb0EPsN6thrust23THRUST_200600_302600_NS16discard_iteratorINS9_11use_defaultEEENS9_5minusIsEEEE10hipError_tPvRmT2_T3_mT4_P12ihipStream_tbEUlT_E_NS1_11comp_targetILNS1_3genE8ELNS1_11target_archE1030ELNS1_3gpuE2ELNS1_3repE0EEENS1_30default_config_static_selectorELNS0_4arch9wavefront6targetE1EEEvT1_.numbered_sgpr, 0
	.set _ZN7rocprim17ROCPRIM_400000_NS6detail17trampoline_kernelINS0_14default_configENS1_35adjacent_difference_config_selectorILb1EsEEZNS1_24adjacent_difference_implIS3_Lb1ELb0EPsN6thrust23THRUST_200600_302600_NS16discard_iteratorINS9_11use_defaultEEENS9_5minusIsEEEE10hipError_tPvRmT2_T3_mT4_P12ihipStream_tbEUlT_E_NS1_11comp_targetILNS1_3genE8ELNS1_11target_archE1030ELNS1_3gpuE2ELNS1_3repE0EEENS1_30default_config_static_selectorELNS0_4arch9wavefront6targetE1EEEvT1_.num_named_barrier, 0
	.set _ZN7rocprim17ROCPRIM_400000_NS6detail17trampoline_kernelINS0_14default_configENS1_35adjacent_difference_config_selectorILb1EsEEZNS1_24adjacent_difference_implIS3_Lb1ELb0EPsN6thrust23THRUST_200600_302600_NS16discard_iteratorINS9_11use_defaultEEENS9_5minusIsEEEE10hipError_tPvRmT2_T3_mT4_P12ihipStream_tbEUlT_E_NS1_11comp_targetILNS1_3genE8ELNS1_11target_archE1030ELNS1_3gpuE2ELNS1_3repE0EEENS1_30default_config_static_selectorELNS0_4arch9wavefront6targetE1EEEvT1_.private_seg_size, 0
	.set _ZN7rocprim17ROCPRIM_400000_NS6detail17trampoline_kernelINS0_14default_configENS1_35adjacent_difference_config_selectorILb1EsEEZNS1_24adjacent_difference_implIS3_Lb1ELb0EPsN6thrust23THRUST_200600_302600_NS16discard_iteratorINS9_11use_defaultEEENS9_5minusIsEEEE10hipError_tPvRmT2_T3_mT4_P12ihipStream_tbEUlT_E_NS1_11comp_targetILNS1_3genE8ELNS1_11target_archE1030ELNS1_3gpuE2ELNS1_3repE0EEENS1_30default_config_static_selectorELNS0_4arch9wavefront6targetE1EEEvT1_.uses_vcc, 0
	.set _ZN7rocprim17ROCPRIM_400000_NS6detail17trampoline_kernelINS0_14default_configENS1_35adjacent_difference_config_selectorILb1EsEEZNS1_24adjacent_difference_implIS3_Lb1ELb0EPsN6thrust23THRUST_200600_302600_NS16discard_iteratorINS9_11use_defaultEEENS9_5minusIsEEEE10hipError_tPvRmT2_T3_mT4_P12ihipStream_tbEUlT_E_NS1_11comp_targetILNS1_3genE8ELNS1_11target_archE1030ELNS1_3gpuE2ELNS1_3repE0EEENS1_30default_config_static_selectorELNS0_4arch9wavefront6targetE1EEEvT1_.uses_flat_scratch, 0
	.set _ZN7rocprim17ROCPRIM_400000_NS6detail17trampoline_kernelINS0_14default_configENS1_35adjacent_difference_config_selectorILb1EsEEZNS1_24adjacent_difference_implIS3_Lb1ELb0EPsN6thrust23THRUST_200600_302600_NS16discard_iteratorINS9_11use_defaultEEENS9_5minusIsEEEE10hipError_tPvRmT2_T3_mT4_P12ihipStream_tbEUlT_E_NS1_11comp_targetILNS1_3genE8ELNS1_11target_archE1030ELNS1_3gpuE2ELNS1_3repE0EEENS1_30default_config_static_selectorELNS0_4arch9wavefront6targetE1EEEvT1_.has_dyn_sized_stack, 0
	.set _ZN7rocprim17ROCPRIM_400000_NS6detail17trampoline_kernelINS0_14default_configENS1_35adjacent_difference_config_selectorILb1EsEEZNS1_24adjacent_difference_implIS3_Lb1ELb0EPsN6thrust23THRUST_200600_302600_NS16discard_iteratorINS9_11use_defaultEEENS9_5minusIsEEEE10hipError_tPvRmT2_T3_mT4_P12ihipStream_tbEUlT_E_NS1_11comp_targetILNS1_3genE8ELNS1_11target_archE1030ELNS1_3gpuE2ELNS1_3repE0EEENS1_30default_config_static_selectorELNS0_4arch9wavefront6targetE1EEEvT1_.has_recursion, 0
	.set _ZN7rocprim17ROCPRIM_400000_NS6detail17trampoline_kernelINS0_14default_configENS1_35adjacent_difference_config_selectorILb1EsEEZNS1_24adjacent_difference_implIS3_Lb1ELb0EPsN6thrust23THRUST_200600_302600_NS16discard_iteratorINS9_11use_defaultEEENS9_5minusIsEEEE10hipError_tPvRmT2_T3_mT4_P12ihipStream_tbEUlT_E_NS1_11comp_targetILNS1_3genE8ELNS1_11target_archE1030ELNS1_3gpuE2ELNS1_3repE0EEENS1_30default_config_static_selectorELNS0_4arch9wavefront6targetE1EEEvT1_.has_indirect_call, 0
	.section	.AMDGPU.csdata,"",@progbits
; Kernel info:
; codeLenInByte = 0
; TotalNumSgprs: 4
; NumVgprs: 0
; ScratchSize: 0
; MemoryBound: 0
; FloatMode: 240
; IeeeMode: 1
; LDSByteSize: 0 bytes/workgroup (compile time only)
; SGPRBlocks: 0
; VGPRBlocks: 0
; NumSGPRsForWavesPerEU: 4
; NumVGPRsForWavesPerEU: 1
; Occupancy: 10
; WaveLimiterHint : 0
; COMPUTE_PGM_RSRC2:SCRATCH_EN: 0
; COMPUTE_PGM_RSRC2:USER_SGPR: 6
; COMPUTE_PGM_RSRC2:TRAP_HANDLER: 0
; COMPUTE_PGM_RSRC2:TGID_X_EN: 1
; COMPUTE_PGM_RSRC2:TGID_Y_EN: 0
; COMPUTE_PGM_RSRC2:TGID_Z_EN: 0
; COMPUTE_PGM_RSRC2:TIDIG_COMP_CNT: 0
	.section	.text._ZN6thrust23THRUST_200600_302600_NS11hip_rocprim14__parallel_for6kernelILj256ENS1_20__uninitialized_fill7functorINS0_10device_ptrIiEEiEEmLj1EEEvT0_T1_SA_,"axG",@progbits,_ZN6thrust23THRUST_200600_302600_NS11hip_rocprim14__parallel_for6kernelILj256ENS1_20__uninitialized_fill7functorINS0_10device_ptrIiEEiEEmLj1EEEvT0_T1_SA_,comdat
	.protected	_ZN6thrust23THRUST_200600_302600_NS11hip_rocprim14__parallel_for6kernelILj256ENS1_20__uninitialized_fill7functorINS0_10device_ptrIiEEiEEmLj1EEEvT0_T1_SA_ ; -- Begin function _ZN6thrust23THRUST_200600_302600_NS11hip_rocprim14__parallel_for6kernelILj256ENS1_20__uninitialized_fill7functorINS0_10device_ptrIiEEiEEmLj1EEEvT0_T1_SA_
	.globl	_ZN6thrust23THRUST_200600_302600_NS11hip_rocprim14__parallel_for6kernelILj256ENS1_20__uninitialized_fill7functorINS0_10device_ptrIiEEiEEmLj1EEEvT0_T1_SA_
	.p2align	8
	.type	_ZN6thrust23THRUST_200600_302600_NS11hip_rocprim14__parallel_for6kernelILj256ENS1_20__uninitialized_fill7functorINS0_10device_ptrIiEEiEEmLj1EEEvT0_T1_SA_,@function
_ZN6thrust23THRUST_200600_302600_NS11hip_rocprim14__parallel_for6kernelILj256ENS1_20__uninitialized_fill7functorINS0_10device_ptrIiEEiEEmLj1EEEvT0_T1_SA_: ; @_ZN6thrust23THRUST_200600_302600_NS11hip_rocprim14__parallel_for6kernelILj256ENS1_20__uninitialized_fill7functorINS0_10device_ptrIiEEiEEmLj1EEEvT0_T1_SA_
; %bb.0:
	s_load_dwordx4 s[12:15], s[4:5], 0x10
	s_load_dwordx2 s[0:1], s[4:5], 0x0
	s_load_dword s8, s[4:5], 0x8
	s_lshl_b32 s2, s6, 8
	v_mov_b32_e32 v1, 0xff
	s_waitcnt lgkmcnt(0)
	s_add_u32 s2, s14, s2
	s_addc_u32 s3, s15, 0
	s_sub_u32 s4, s12, s2
	v_mov_b32_e32 v2, 0
	s_subb_u32 s5, s13, s3
	v_cmp_gt_u64_e32 vcc, s[4:5], v[1:2]
	s_mov_b64 s[6:7], -1
	s_cbranch_vccz .LBB909_3
; %bb.1:
	s_andn2_b64 vcc, exec, s[6:7]
	s_cbranch_vccz .LBB909_6
.LBB909_2:
	s_endpgm
.LBB909_3:
	v_cmp_gt_u32_e32 vcc, s4, v0
	s_and_saveexec_b64 s[4:5], vcc
	s_cbranch_execz .LBB909_5
; %bb.4:
	s_lshl_b64 s[6:7], s[2:3], 2
	s_add_u32 s6, s0, s6
	s_addc_u32 s7, s1, s7
	v_lshlrev_b32_e32 v1, 2, v0
	v_mov_b32_e32 v2, s7
	v_add_co_u32_e32 v1, vcc, s6, v1
	v_addc_co_u32_e32 v2, vcc, 0, v2, vcc
	v_mov_b32_e32 v3, s8
	flat_store_dword v[1:2], v3
.LBB909_5:
	s_or_b64 exec, exec, s[4:5]
	s_cbranch_execnz .LBB909_2
.LBB909_6:
	s_lshl_b64 s[2:3], s[2:3], 2
	s_add_u32 s0, s0, s2
	s_addc_u32 s1, s1, s3
	v_lshlrev_b32_e32 v0, 2, v0
	v_mov_b32_e32 v1, s1
	v_add_co_u32_e32 v0, vcc, s0, v0
	v_addc_co_u32_e32 v1, vcc, 0, v1, vcc
	v_mov_b32_e32 v2, s8
	flat_store_dword v[0:1], v2
	s_endpgm
	.section	.rodata,"a",@progbits
	.p2align	6, 0x0
	.amdhsa_kernel _ZN6thrust23THRUST_200600_302600_NS11hip_rocprim14__parallel_for6kernelILj256ENS1_20__uninitialized_fill7functorINS0_10device_ptrIiEEiEEmLj1EEEvT0_T1_SA_
		.amdhsa_group_segment_fixed_size 0
		.amdhsa_private_segment_fixed_size 0
		.amdhsa_kernarg_size 32
		.amdhsa_user_sgpr_count 6
		.amdhsa_user_sgpr_private_segment_buffer 1
		.amdhsa_user_sgpr_dispatch_ptr 0
		.amdhsa_user_sgpr_queue_ptr 0
		.amdhsa_user_sgpr_kernarg_segment_ptr 1
		.amdhsa_user_sgpr_dispatch_id 0
		.amdhsa_user_sgpr_flat_scratch_init 0
		.amdhsa_user_sgpr_private_segment_size 0
		.amdhsa_uses_dynamic_stack 0
		.amdhsa_system_sgpr_private_segment_wavefront_offset 0
		.amdhsa_system_sgpr_workgroup_id_x 1
		.amdhsa_system_sgpr_workgroup_id_y 0
		.amdhsa_system_sgpr_workgroup_id_z 0
		.amdhsa_system_sgpr_workgroup_info 0
		.amdhsa_system_vgpr_workitem_id 0
		.amdhsa_next_free_vgpr 4
		.amdhsa_next_free_sgpr 16
		.amdhsa_reserve_vcc 1
		.amdhsa_reserve_flat_scratch 0
		.amdhsa_float_round_mode_32 0
		.amdhsa_float_round_mode_16_64 0
		.amdhsa_float_denorm_mode_32 3
		.amdhsa_float_denorm_mode_16_64 3
		.amdhsa_dx10_clamp 1
		.amdhsa_ieee_mode 1
		.amdhsa_fp16_overflow 0
		.amdhsa_exception_fp_ieee_invalid_op 0
		.amdhsa_exception_fp_denorm_src 0
		.amdhsa_exception_fp_ieee_div_zero 0
		.amdhsa_exception_fp_ieee_overflow 0
		.amdhsa_exception_fp_ieee_underflow 0
		.amdhsa_exception_fp_ieee_inexact 0
		.amdhsa_exception_int_div_zero 0
	.end_amdhsa_kernel
	.section	.text._ZN6thrust23THRUST_200600_302600_NS11hip_rocprim14__parallel_for6kernelILj256ENS1_20__uninitialized_fill7functorINS0_10device_ptrIiEEiEEmLj1EEEvT0_T1_SA_,"axG",@progbits,_ZN6thrust23THRUST_200600_302600_NS11hip_rocprim14__parallel_for6kernelILj256ENS1_20__uninitialized_fill7functorINS0_10device_ptrIiEEiEEmLj1EEEvT0_T1_SA_,comdat
.Lfunc_end909:
	.size	_ZN6thrust23THRUST_200600_302600_NS11hip_rocprim14__parallel_for6kernelILj256ENS1_20__uninitialized_fill7functorINS0_10device_ptrIiEEiEEmLj1EEEvT0_T1_SA_, .Lfunc_end909-_ZN6thrust23THRUST_200600_302600_NS11hip_rocprim14__parallel_for6kernelILj256ENS1_20__uninitialized_fill7functorINS0_10device_ptrIiEEiEEmLj1EEEvT0_T1_SA_
                                        ; -- End function
	.set _ZN6thrust23THRUST_200600_302600_NS11hip_rocprim14__parallel_for6kernelILj256ENS1_20__uninitialized_fill7functorINS0_10device_ptrIiEEiEEmLj1EEEvT0_T1_SA_.num_vgpr, 4
	.set _ZN6thrust23THRUST_200600_302600_NS11hip_rocprim14__parallel_for6kernelILj256ENS1_20__uninitialized_fill7functorINS0_10device_ptrIiEEiEEmLj1EEEvT0_T1_SA_.num_agpr, 0
	.set _ZN6thrust23THRUST_200600_302600_NS11hip_rocprim14__parallel_for6kernelILj256ENS1_20__uninitialized_fill7functorINS0_10device_ptrIiEEiEEmLj1EEEvT0_T1_SA_.numbered_sgpr, 16
	.set _ZN6thrust23THRUST_200600_302600_NS11hip_rocprim14__parallel_for6kernelILj256ENS1_20__uninitialized_fill7functorINS0_10device_ptrIiEEiEEmLj1EEEvT0_T1_SA_.num_named_barrier, 0
	.set _ZN6thrust23THRUST_200600_302600_NS11hip_rocprim14__parallel_for6kernelILj256ENS1_20__uninitialized_fill7functorINS0_10device_ptrIiEEiEEmLj1EEEvT0_T1_SA_.private_seg_size, 0
	.set _ZN6thrust23THRUST_200600_302600_NS11hip_rocprim14__parallel_for6kernelILj256ENS1_20__uninitialized_fill7functorINS0_10device_ptrIiEEiEEmLj1EEEvT0_T1_SA_.uses_vcc, 1
	.set _ZN6thrust23THRUST_200600_302600_NS11hip_rocprim14__parallel_for6kernelILj256ENS1_20__uninitialized_fill7functorINS0_10device_ptrIiEEiEEmLj1EEEvT0_T1_SA_.uses_flat_scratch, 0
	.set _ZN6thrust23THRUST_200600_302600_NS11hip_rocprim14__parallel_for6kernelILj256ENS1_20__uninitialized_fill7functorINS0_10device_ptrIiEEiEEmLj1EEEvT0_T1_SA_.has_dyn_sized_stack, 0
	.set _ZN6thrust23THRUST_200600_302600_NS11hip_rocprim14__parallel_for6kernelILj256ENS1_20__uninitialized_fill7functorINS0_10device_ptrIiEEiEEmLj1EEEvT0_T1_SA_.has_recursion, 0
	.set _ZN6thrust23THRUST_200600_302600_NS11hip_rocprim14__parallel_for6kernelILj256ENS1_20__uninitialized_fill7functorINS0_10device_ptrIiEEiEEmLj1EEEvT0_T1_SA_.has_indirect_call, 0
	.section	.AMDGPU.csdata,"",@progbits
; Kernel info:
; codeLenInByte = 188
; TotalNumSgprs: 20
; NumVgprs: 4
; ScratchSize: 0
; MemoryBound: 0
; FloatMode: 240
; IeeeMode: 1
; LDSByteSize: 0 bytes/workgroup (compile time only)
; SGPRBlocks: 2
; VGPRBlocks: 0
; NumSGPRsForWavesPerEU: 20
; NumVGPRsForWavesPerEU: 4
; Occupancy: 10
; WaveLimiterHint : 0
; COMPUTE_PGM_RSRC2:SCRATCH_EN: 0
; COMPUTE_PGM_RSRC2:USER_SGPR: 6
; COMPUTE_PGM_RSRC2:TRAP_HANDLER: 0
; COMPUTE_PGM_RSRC2:TGID_X_EN: 1
; COMPUTE_PGM_RSRC2:TGID_Y_EN: 0
; COMPUTE_PGM_RSRC2:TGID_Z_EN: 0
; COMPUTE_PGM_RSRC2:TIDIG_COMP_CNT: 0
	.section	.AMDGPU.gpr_maximums,"",@progbits
	.set amdgpu.max_num_vgpr, 0
	.set amdgpu.max_num_agpr, 0
	.set amdgpu.max_num_sgpr, 0
	.section	.AMDGPU.csdata,"",@progbits
	.type	__hip_cuid_98e086ffcc72d889,@object ; @__hip_cuid_98e086ffcc72d889
	.section	.bss,"aw",@nobits
	.globl	__hip_cuid_98e086ffcc72d889
__hip_cuid_98e086ffcc72d889:
	.byte	0                               ; 0x0
	.size	__hip_cuid_98e086ffcc72d889, 1

	.ident	"AMD clang version 22.0.0git (https://github.com/RadeonOpenCompute/llvm-project roc-7.2.4 26084 f58b06dce1f9c15707c5f808fd002e18c2accf7e)"
	.section	".note.GNU-stack","",@progbits
	.addrsig
	.addrsig_sym __hip_cuid_98e086ffcc72d889
	.amdgpu_metadata
---
amdhsa.kernels:
  - .args:
      - .offset:         0
        .size:           4
        .value_kind:     by_value
      - .address_space:  global
        .offset:         8
        .size:           8
        .value_kind:     global_buffer
    .group_segment_fixed_size: 0
    .kernarg_segment_align: 8
    .kernarg_segment_size: 16
    .language:       OpenCL C
    .language_version:
      - 2
      - 0
    .max_flat_workgroup_size: 256
    .name:           _Z24AdjacentDifferenceKerneliPi
    .private_segment_fixed_size: 0
    .sgpr_count:     11
    .sgpr_spill_count: 0
    .symbol:         _Z24AdjacentDifferenceKerneliPi.kd
    .uniform_work_group_size: 1
    .uses_dynamic_stack: false
    .vgpr_count:     3
    .vgpr_spill_count: 0
    .wavefront_size: 64
  - .args:
      - .offset:         0
        .size:           16
        .value_kind:     by_value
      - .offset:         16
        .size:           8
        .value_kind:     by_value
      - .offset:         24
        .size:           8
        .value_kind:     by_value
    .group_segment_fixed_size: 0
    .kernarg_segment_align: 8
    .kernarg_segment_size: 32
    .language:       OpenCL C
    .language_version:
      - 2
      - 0
    .max_flat_workgroup_size: 256
    .name:           _ZN6thrust23THRUST_200600_302600_NS11hip_rocprim14__parallel_for6kernelILj256ENS1_20__uninitialized_fill7functorINS0_10device_ptrIdEEdEEmLj1EEEvT0_T1_SA_
    .private_segment_fixed_size: 0
    .sgpr_count:     20
    .sgpr_spill_count: 0
    .symbol:         _ZN6thrust23THRUST_200600_302600_NS11hip_rocprim14__parallel_for6kernelILj256ENS1_20__uninitialized_fill7functorINS0_10device_ptrIdEEdEEmLj1EEEvT0_T1_SA_.kd
    .uniform_work_group_size: 1
    .uses_dynamic_stack: false
    .vgpr_count:     5
    .vgpr_spill_count: 0
    .wavefront_size: 64
  - .args:
      - .offset:         0
        .size:           56
        .value_kind:     by_value
    .group_segment_fixed_size: 0
    .kernarg_segment_align: 8
    .kernarg_segment_size: 56
    .language:       OpenCL C
    .language_version:
      - 2
      - 0
    .max_flat_workgroup_size: 128
    .name:           _ZN7rocprim17ROCPRIM_400000_NS6detail17trampoline_kernelINS0_14default_configENS1_35adjacent_difference_config_selectorILb0EdEEZNS1_24adjacent_difference_implIS3_Lb0ELb0EPdS7_N6thrust23THRUST_200600_302600_NS5minusIdEEEE10hipError_tPvRmT2_T3_mT4_P12ihipStream_tbEUlT_E_NS1_11comp_targetILNS1_3genE0ELNS1_11target_archE4294967295ELNS1_3gpuE0ELNS1_3repE0EEENS1_30default_config_static_selectorELNS0_4arch9wavefront6targetE1EEEvT1_
    .private_segment_fixed_size: 0
    .sgpr_count:     4
    .sgpr_spill_count: 0
    .symbol:         _ZN7rocprim17ROCPRIM_400000_NS6detail17trampoline_kernelINS0_14default_configENS1_35adjacent_difference_config_selectorILb0EdEEZNS1_24adjacent_difference_implIS3_Lb0ELb0EPdS7_N6thrust23THRUST_200600_302600_NS5minusIdEEEE10hipError_tPvRmT2_T3_mT4_P12ihipStream_tbEUlT_E_NS1_11comp_targetILNS1_3genE0ELNS1_11target_archE4294967295ELNS1_3gpuE0ELNS1_3repE0EEENS1_30default_config_static_selectorELNS0_4arch9wavefront6targetE1EEEvT1_.kd
    .uniform_work_group_size: 1
    .uses_dynamic_stack: false
    .vgpr_count:     0
    .vgpr_spill_count: 0
    .wavefront_size: 64
  - .args:
      - .offset:         0
        .size:           56
        .value_kind:     by_value
    .group_segment_fixed_size: 0
    .kernarg_segment_align: 8
    .kernarg_segment_size: 56
    .language:       OpenCL C
    .language_version:
      - 2
      - 0
    .max_flat_workgroup_size: 32
    .name:           _ZN7rocprim17ROCPRIM_400000_NS6detail17trampoline_kernelINS0_14default_configENS1_35adjacent_difference_config_selectorILb0EdEEZNS1_24adjacent_difference_implIS3_Lb0ELb0EPdS7_N6thrust23THRUST_200600_302600_NS5minusIdEEEE10hipError_tPvRmT2_T3_mT4_P12ihipStream_tbEUlT_E_NS1_11comp_targetILNS1_3genE10ELNS1_11target_archE1201ELNS1_3gpuE5ELNS1_3repE0EEENS1_30default_config_static_selectorELNS0_4arch9wavefront6targetE1EEEvT1_
    .private_segment_fixed_size: 0
    .sgpr_count:     4
    .sgpr_spill_count: 0
    .symbol:         _ZN7rocprim17ROCPRIM_400000_NS6detail17trampoline_kernelINS0_14default_configENS1_35adjacent_difference_config_selectorILb0EdEEZNS1_24adjacent_difference_implIS3_Lb0ELb0EPdS7_N6thrust23THRUST_200600_302600_NS5minusIdEEEE10hipError_tPvRmT2_T3_mT4_P12ihipStream_tbEUlT_E_NS1_11comp_targetILNS1_3genE10ELNS1_11target_archE1201ELNS1_3gpuE5ELNS1_3repE0EEENS1_30default_config_static_selectorELNS0_4arch9wavefront6targetE1EEEvT1_.kd
    .uniform_work_group_size: 1
    .uses_dynamic_stack: false
    .vgpr_count:     0
    .vgpr_spill_count: 0
    .wavefront_size: 64
  - .args:
      - .offset:         0
        .size:           56
        .value_kind:     by_value
    .group_segment_fixed_size: 0
    .kernarg_segment_align: 8
    .kernarg_segment_size: 56
    .language:       OpenCL C
    .language_version:
      - 2
      - 0
    .max_flat_workgroup_size: 64
    .name:           _ZN7rocprim17ROCPRIM_400000_NS6detail17trampoline_kernelINS0_14default_configENS1_35adjacent_difference_config_selectorILb0EdEEZNS1_24adjacent_difference_implIS3_Lb0ELb0EPdS7_N6thrust23THRUST_200600_302600_NS5minusIdEEEE10hipError_tPvRmT2_T3_mT4_P12ihipStream_tbEUlT_E_NS1_11comp_targetILNS1_3genE5ELNS1_11target_archE942ELNS1_3gpuE9ELNS1_3repE0EEENS1_30default_config_static_selectorELNS0_4arch9wavefront6targetE1EEEvT1_
    .private_segment_fixed_size: 0
    .sgpr_count:     4
    .sgpr_spill_count: 0
    .symbol:         _ZN7rocprim17ROCPRIM_400000_NS6detail17trampoline_kernelINS0_14default_configENS1_35adjacent_difference_config_selectorILb0EdEEZNS1_24adjacent_difference_implIS3_Lb0ELb0EPdS7_N6thrust23THRUST_200600_302600_NS5minusIdEEEE10hipError_tPvRmT2_T3_mT4_P12ihipStream_tbEUlT_E_NS1_11comp_targetILNS1_3genE5ELNS1_11target_archE942ELNS1_3gpuE9ELNS1_3repE0EEENS1_30default_config_static_selectorELNS0_4arch9wavefront6targetE1EEEvT1_.kd
    .uniform_work_group_size: 1
    .uses_dynamic_stack: false
    .vgpr_count:     0
    .vgpr_spill_count: 0
    .wavefront_size: 64
  - .args:
      - .offset:         0
        .size:           56
        .value_kind:     by_value
    .group_segment_fixed_size: 0
    .kernarg_segment_align: 8
    .kernarg_segment_size: 56
    .language:       OpenCL C
    .language_version:
      - 2
      - 0
    .max_flat_workgroup_size: 256
    .name:           _ZN7rocprim17ROCPRIM_400000_NS6detail17trampoline_kernelINS0_14default_configENS1_35adjacent_difference_config_selectorILb0EdEEZNS1_24adjacent_difference_implIS3_Lb0ELb0EPdS7_N6thrust23THRUST_200600_302600_NS5minusIdEEEE10hipError_tPvRmT2_T3_mT4_P12ihipStream_tbEUlT_E_NS1_11comp_targetILNS1_3genE4ELNS1_11target_archE910ELNS1_3gpuE8ELNS1_3repE0EEENS1_30default_config_static_selectorELNS0_4arch9wavefront6targetE1EEEvT1_
    .private_segment_fixed_size: 0
    .sgpr_count:     4
    .sgpr_spill_count: 0
    .symbol:         _ZN7rocprim17ROCPRIM_400000_NS6detail17trampoline_kernelINS0_14default_configENS1_35adjacent_difference_config_selectorILb0EdEEZNS1_24adjacent_difference_implIS3_Lb0ELb0EPdS7_N6thrust23THRUST_200600_302600_NS5minusIdEEEE10hipError_tPvRmT2_T3_mT4_P12ihipStream_tbEUlT_E_NS1_11comp_targetILNS1_3genE4ELNS1_11target_archE910ELNS1_3gpuE8ELNS1_3repE0EEENS1_30default_config_static_selectorELNS0_4arch9wavefront6targetE1EEEvT1_.kd
    .uniform_work_group_size: 1
    .uses_dynamic_stack: false
    .vgpr_count:     0
    .vgpr_spill_count: 0
    .wavefront_size: 64
  - .args:
      - .offset:         0
        .size:           56
        .value_kind:     by_value
    .group_segment_fixed_size: 0
    .kernarg_segment_align: 8
    .kernarg_segment_size: 56
    .language:       OpenCL C
    .language_version:
      - 2
      - 0
    .max_flat_workgroup_size: 128
    .name:           _ZN7rocprim17ROCPRIM_400000_NS6detail17trampoline_kernelINS0_14default_configENS1_35adjacent_difference_config_selectorILb0EdEEZNS1_24adjacent_difference_implIS3_Lb0ELb0EPdS7_N6thrust23THRUST_200600_302600_NS5minusIdEEEE10hipError_tPvRmT2_T3_mT4_P12ihipStream_tbEUlT_E_NS1_11comp_targetILNS1_3genE3ELNS1_11target_archE908ELNS1_3gpuE7ELNS1_3repE0EEENS1_30default_config_static_selectorELNS0_4arch9wavefront6targetE1EEEvT1_
    .private_segment_fixed_size: 0
    .sgpr_count:     4
    .sgpr_spill_count: 0
    .symbol:         _ZN7rocprim17ROCPRIM_400000_NS6detail17trampoline_kernelINS0_14default_configENS1_35adjacent_difference_config_selectorILb0EdEEZNS1_24adjacent_difference_implIS3_Lb0ELb0EPdS7_N6thrust23THRUST_200600_302600_NS5minusIdEEEE10hipError_tPvRmT2_T3_mT4_P12ihipStream_tbEUlT_E_NS1_11comp_targetILNS1_3genE3ELNS1_11target_archE908ELNS1_3gpuE7ELNS1_3repE0EEENS1_30default_config_static_selectorELNS0_4arch9wavefront6targetE1EEEvT1_.kd
    .uniform_work_group_size: 1
    .uses_dynamic_stack: false
    .vgpr_count:     0
    .vgpr_spill_count: 0
    .wavefront_size: 64
  - .args:
      - .offset:         0
        .size:           56
        .value_kind:     by_value
    .group_segment_fixed_size: 16896
    .kernarg_segment_align: 8
    .kernarg_segment_size: 56
    .language:       OpenCL C
    .language_version:
      - 2
      - 0
    .max_flat_workgroup_size: 1024
    .name:           _ZN7rocprim17ROCPRIM_400000_NS6detail17trampoline_kernelINS0_14default_configENS1_35adjacent_difference_config_selectorILb0EdEEZNS1_24adjacent_difference_implIS3_Lb0ELb0EPdS7_N6thrust23THRUST_200600_302600_NS5minusIdEEEE10hipError_tPvRmT2_T3_mT4_P12ihipStream_tbEUlT_E_NS1_11comp_targetILNS1_3genE2ELNS1_11target_archE906ELNS1_3gpuE6ELNS1_3repE0EEENS1_30default_config_static_selectorELNS0_4arch9wavefront6targetE1EEEvT1_
    .private_segment_fixed_size: 0
    .sgpr_count:     26
    .sgpr_spill_count: 0
    .symbol:         _ZN7rocprim17ROCPRIM_400000_NS6detail17trampoline_kernelINS0_14default_configENS1_35adjacent_difference_config_selectorILb0EdEEZNS1_24adjacent_difference_implIS3_Lb0ELb0EPdS7_N6thrust23THRUST_200600_302600_NS5minusIdEEEE10hipError_tPvRmT2_T3_mT4_P12ihipStream_tbEUlT_E_NS1_11comp_targetILNS1_3genE2ELNS1_11target_archE906ELNS1_3gpuE6ELNS1_3repE0EEENS1_30default_config_static_selectorELNS0_4arch9wavefront6targetE1EEEvT1_.kd
    .uniform_work_group_size: 1
    .uses_dynamic_stack: false
    .vgpr_count:     15
    .vgpr_spill_count: 0
    .wavefront_size: 64
  - .args:
      - .offset:         0
        .size:           56
        .value_kind:     by_value
    .group_segment_fixed_size: 0
    .kernarg_segment_align: 8
    .kernarg_segment_size: 56
    .language:       OpenCL C
    .language_version:
      - 2
      - 0
    .max_flat_workgroup_size: 1024
    .name:           _ZN7rocprim17ROCPRIM_400000_NS6detail17trampoline_kernelINS0_14default_configENS1_35adjacent_difference_config_selectorILb0EdEEZNS1_24adjacent_difference_implIS3_Lb0ELb0EPdS7_N6thrust23THRUST_200600_302600_NS5minusIdEEEE10hipError_tPvRmT2_T3_mT4_P12ihipStream_tbEUlT_E_NS1_11comp_targetILNS1_3genE9ELNS1_11target_archE1100ELNS1_3gpuE3ELNS1_3repE0EEENS1_30default_config_static_selectorELNS0_4arch9wavefront6targetE1EEEvT1_
    .private_segment_fixed_size: 0
    .sgpr_count:     4
    .sgpr_spill_count: 0
    .symbol:         _ZN7rocprim17ROCPRIM_400000_NS6detail17trampoline_kernelINS0_14default_configENS1_35adjacent_difference_config_selectorILb0EdEEZNS1_24adjacent_difference_implIS3_Lb0ELb0EPdS7_N6thrust23THRUST_200600_302600_NS5minusIdEEEE10hipError_tPvRmT2_T3_mT4_P12ihipStream_tbEUlT_E_NS1_11comp_targetILNS1_3genE9ELNS1_11target_archE1100ELNS1_3gpuE3ELNS1_3repE0EEENS1_30default_config_static_selectorELNS0_4arch9wavefront6targetE1EEEvT1_.kd
    .uniform_work_group_size: 1
    .uses_dynamic_stack: false
    .vgpr_count:     0
    .vgpr_spill_count: 0
    .wavefront_size: 64
  - .args:
      - .offset:         0
        .size:           56
        .value_kind:     by_value
    .group_segment_fixed_size: 0
    .kernarg_segment_align: 8
    .kernarg_segment_size: 56
    .language:       OpenCL C
    .language_version:
      - 2
      - 0
    .max_flat_workgroup_size: 1024
    .name:           _ZN7rocprim17ROCPRIM_400000_NS6detail17trampoline_kernelINS0_14default_configENS1_35adjacent_difference_config_selectorILb0EdEEZNS1_24adjacent_difference_implIS3_Lb0ELb0EPdS7_N6thrust23THRUST_200600_302600_NS5minusIdEEEE10hipError_tPvRmT2_T3_mT4_P12ihipStream_tbEUlT_E_NS1_11comp_targetILNS1_3genE8ELNS1_11target_archE1030ELNS1_3gpuE2ELNS1_3repE0EEENS1_30default_config_static_selectorELNS0_4arch9wavefront6targetE1EEEvT1_
    .private_segment_fixed_size: 0
    .sgpr_count:     4
    .sgpr_spill_count: 0
    .symbol:         _ZN7rocprim17ROCPRIM_400000_NS6detail17trampoline_kernelINS0_14default_configENS1_35adjacent_difference_config_selectorILb0EdEEZNS1_24adjacent_difference_implIS3_Lb0ELb0EPdS7_N6thrust23THRUST_200600_302600_NS5minusIdEEEE10hipError_tPvRmT2_T3_mT4_P12ihipStream_tbEUlT_E_NS1_11comp_targetILNS1_3genE8ELNS1_11target_archE1030ELNS1_3gpuE2ELNS1_3repE0EEENS1_30default_config_static_selectorELNS0_4arch9wavefront6targetE1EEEvT1_.kd
    .uniform_work_group_size: 1
    .uses_dynamic_stack: false
    .vgpr_count:     0
    .vgpr_spill_count: 0
    .wavefront_size: 64
  - .args:
      - .offset:         0
        .size:           56
        .value_kind:     by_value
    .group_segment_fixed_size: 0
    .kernarg_segment_align: 8
    .kernarg_segment_size: 56
    .language:       OpenCL C
    .language_version:
      - 2
      - 0
    .max_flat_workgroup_size: 128
    .name:           _ZN7rocprim17ROCPRIM_400000_NS6detail17trampoline_kernelINS0_14default_configENS1_25transform_config_selectorIdLb0EEEZNS1_14transform_implILb0ES3_S5_NS0_18transform_iteratorINS0_17counting_iteratorImlEEZNS1_24adjacent_difference_implIS3_Lb1ELb0EPdSB_N6thrust23THRUST_200600_302600_NS5minusIdEEEE10hipError_tPvRmT2_T3_mT4_P12ihipStream_tbEUlmE_dEESB_NS0_8identityIvEEEESG_SJ_SK_mSL_SN_bEUlT_E_NS1_11comp_targetILNS1_3genE0ELNS1_11target_archE4294967295ELNS1_3gpuE0ELNS1_3repE0EEENS1_30default_config_static_selectorELNS0_4arch9wavefront6targetE1EEEvT1_
    .private_segment_fixed_size: 0
    .sgpr_count:     4
    .sgpr_spill_count: 0
    .symbol:         _ZN7rocprim17ROCPRIM_400000_NS6detail17trampoline_kernelINS0_14default_configENS1_25transform_config_selectorIdLb0EEEZNS1_14transform_implILb0ES3_S5_NS0_18transform_iteratorINS0_17counting_iteratorImlEEZNS1_24adjacent_difference_implIS3_Lb1ELb0EPdSB_N6thrust23THRUST_200600_302600_NS5minusIdEEEE10hipError_tPvRmT2_T3_mT4_P12ihipStream_tbEUlmE_dEESB_NS0_8identityIvEEEESG_SJ_SK_mSL_SN_bEUlT_E_NS1_11comp_targetILNS1_3genE0ELNS1_11target_archE4294967295ELNS1_3gpuE0ELNS1_3repE0EEENS1_30default_config_static_selectorELNS0_4arch9wavefront6targetE1EEEvT1_.kd
    .uniform_work_group_size: 1
    .uses_dynamic_stack: false
    .vgpr_count:     0
    .vgpr_spill_count: 0
    .wavefront_size: 64
  - .args:
      - .offset:         0
        .size:           56
        .value_kind:     by_value
    .group_segment_fixed_size: 0
    .kernarg_segment_align: 8
    .kernarg_segment_size: 56
    .language:       OpenCL C
    .language_version:
      - 2
      - 0
    .max_flat_workgroup_size: 512
    .name:           _ZN7rocprim17ROCPRIM_400000_NS6detail17trampoline_kernelINS0_14default_configENS1_25transform_config_selectorIdLb0EEEZNS1_14transform_implILb0ES3_S5_NS0_18transform_iteratorINS0_17counting_iteratorImlEEZNS1_24adjacent_difference_implIS3_Lb1ELb0EPdSB_N6thrust23THRUST_200600_302600_NS5minusIdEEEE10hipError_tPvRmT2_T3_mT4_P12ihipStream_tbEUlmE_dEESB_NS0_8identityIvEEEESG_SJ_SK_mSL_SN_bEUlT_E_NS1_11comp_targetILNS1_3genE5ELNS1_11target_archE942ELNS1_3gpuE9ELNS1_3repE0EEENS1_30default_config_static_selectorELNS0_4arch9wavefront6targetE1EEEvT1_
    .private_segment_fixed_size: 0
    .sgpr_count:     4
    .sgpr_spill_count: 0
    .symbol:         _ZN7rocprim17ROCPRIM_400000_NS6detail17trampoline_kernelINS0_14default_configENS1_25transform_config_selectorIdLb0EEEZNS1_14transform_implILb0ES3_S5_NS0_18transform_iteratorINS0_17counting_iteratorImlEEZNS1_24adjacent_difference_implIS3_Lb1ELb0EPdSB_N6thrust23THRUST_200600_302600_NS5minusIdEEEE10hipError_tPvRmT2_T3_mT4_P12ihipStream_tbEUlmE_dEESB_NS0_8identityIvEEEESG_SJ_SK_mSL_SN_bEUlT_E_NS1_11comp_targetILNS1_3genE5ELNS1_11target_archE942ELNS1_3gpuE9ELNS1_3repE0EEENS1_30default_config_static_selectorELNS0_4arch9wavefront6targetE1EEEvT1_.kd
    .uniform_work_group_size: 1
    .uses_dynamic_stack: false
    .vgpr_count:     0
    .vgpr_spill_count: 0
    .wavefront_size: 64
  - .args:
      - .offset:         0
        .size:           56
        .value_kind:     by_value
    .group_segment_fixed_size: 0
    .kernarg_segment_align: 8
    .kernarg_segment_size: 56
    .language:       OpenCL C
    .language_version:
      - 2
      - 0
    .max_flat_workgroup_size: 256
    .name:           _ZN7rocprim17ROCPRIM_400000_NS6detail17trampoline_kernelINS0_14default_configENS1_25transform_config_selectorIdLb0EEEZNS1_14transform_implILb0ES3_S5_NS0_18transform_iteratorINS0_17counting_iteratorImlEEZNS1_24adjacent_difference_implIS3_Lb1ELb0EPdSB_N6thrust23THRUST_200600_302600_NS5minusIdEEEE10hipError_tPvRmT2_T3_mT4_P12ihipStream_tbEUlmE_dEESB_NS0_8identityIvEEEESG_SJ_SK_mSL_SN_bEUlT_E_NS1_11comp_targetILNS1_3genE4ELNS1_11target_archE910ELNS1_3gpuE8ELNS1_3repE0EEENS1_30default_config_static_selectorELNS0_4arch9wavefront6targetE1EEEvT1_
    .private_segment_fixed_size: 0
    .sgpr_count:     4
    .sgpr_spill_count: 0
    .symbol:         _ZN7rocprim17ROCPRIM_400000_NS6detail17trampoline_kernelINS0_14default_configENS1_25transform_config_selectorIdLb0EEEZNS1_14transform_implILb0ES3_S5_NS0_18transform_iteratorINS0_17counting_iteratorImlEEZNS1_24adjacent_difference_implIS3_Lb1ELb0EPdSB_N6thrust23THRUST_200600_302600_NS5minusIdEEEE10hipError_tPvRmT2_T3_mT4_P12ihipStream_tbEUlmE_dEESB_NS0_8identityIvEEEESG_SJ_SK_mSL_SN_bEUlT_E_NS1_11comp_targetILNS1_3genE4ELNS1_11target_archE910ELNS1_3gpuE8ELNS1_3repE0EEENS1_30default_config_static_selectorELNS0_4arch9wavefront6targetE1EEEvT1_.kd
    .uniform_work_group_size: 1
    .uses_dynamic_stack: false
    .vgpr_count:     0
    .vgpr_spill_count: 0
    .wavefront_size: 64
  - .args:
      - .offset:         0
        .size:           56
        .value_kind:     by_value
    .group_segment_fixed_size: 0
    .kernarg_segment_align: 8
    .kernarg_segment_size: 56
    .language:       OpenCL C
    .language_version:
      - 2
      - 0
    .max_flat_workgroup_size: 128
    .name:           _ZN7rocprim17ROCPRIM_400000_NS6detail17trampoline_kernelINS0_14default_configENS1_25transform_config_selectorIdLb0EEEZNS1_14transform_implILb0ES3_S5_NS0_18transform_iteratorINS0_17counting_iteratorImlEEZNS1_24adjacent_difference_implIS3_Lb1ELb0EPdSB_N6thrust23THRUST_200600_302600_NS5minusIdEEEE10hipError_tPvRmT2_T3_mT4_P12ihipStream_tbEUlmE_dEESB_NS0_8identityIvEEEESG_SJ_SK_mSL_SN_bEUlT_E_NS1_11comp_targetILNS1_3genE3ELNS1_11target_archE908ELNS1_3gpuE7ELNS1_3repE0EEENS1_30default_config_static_selectorELNS0_4arch9wavefront6targetE1EEEvT1_
    .private_segment_fixed_size: 0
    .sgpr_count:     4
    .sgpr_spill_count: 0
    .symbol:         _ZN7rocprim17ROCPRIM_400000_NS6detail17trampoline_kernelINS0_14default_configENS1_25transform_config_selectorIdLb0EEEZNS1_14transform_implILb0ES3_S5_NS0_18transform_iteratorINS0_17counting_iteratorImlEEZNS1_24adjacent_difference_implIS3_Lb1ELb0EPdSB_N6thrust23THRUST_200600_302600_NS5minusIdEEEE10hipError_tPvRmT2_T3_mT4_P12ihipStream_tbEUlmE_dEESB_NS0_8identityIvEEEESG_SJ_SK_mSL_SN_bEUlT_E_NS1_11comp_targetILNS1_3genE3ELNS1_11target_archE908ELNS1_3gpuE7ELNS1_3repE0EEENS1_30default_config_static_selectorELNS0_4arch9wavefront6targetE1EEEvT1_.kd
    .uniform_work_group_size: 1
    .uses_dynamic_stack: false
    .vgpr_count:     0
    .vgpr_spill_count: 0
    .wavefront_size: 64
  - .args:
      - .offset:         0
        .size:           56
        .value_kind:     by_value
      - .offset:         56
        .size:           4
        .value_kind:     hidden_block_count_x
      - .offset:         60
        .size:           4
        .value_kind:     hidden_block_count_y
      - .offset:         64
        .size:           4
        .value_kind:     hidden_block_count_z
      - .offset:         68
        .size:           2
        .value_kind:     hidden_group_size_x
      - .offset:         70
        .size:           2
        .value_kind:     hidden_group_size_y
      - .offset:         72
        .size:           2
        .value_kind:     hidden_group_size_z
      - .offset:         74
        .size:           2
        .value_kind:     hidden_remainder_x
      - .offset:         76
        .size:           2
        .value_kind:     hidden_remainder_y
      - .offset:         78
        .size:           2
        .value_kind:     hidden_remainder_z
      - .offset:         96
        .size:           8
        .value_kind:     hidden_global_offset_x
      - .offset:         104
        .size:           8
        .value_kind:     hidden_global_offset_y
      - .offset:         112
        .size:           8
        .value_kind:     hidden_global_offset_z
      - .offset:         120
        .size:           2
        .value_kind:     hidden_grid_dims
    .group_segment_fixed_size: 0
    .kernarg_segment_align: 8
    .kernarg_segment_size: 312
    .language:       OpenCL C
    .language_version:
      - 2
      - 0
    .max_flat_workgroup_size: 1024
    .name:           _ZN7rocprim17ROCPRIM_400000_NS6detail17trampoline_kernelINS0_14default_configENS1_25transform_config_selectorIdLb0EEEZNS1_14transform_implILb0ES3_S5_NS0_18transform_iteratorINS0_17counting_iteratorImlEEZNS1_24adjacent_difference_implIS3_Lb1ELb0EPdSB_N6thrust23THRUST_200600_302600_NS5minusIdEEEE10hipError_tPvRmT2_T3_mT4_P12ihipStream_tbEUlmE_dEESB_NS0_8identityIvEEEESG_SJ_SK_mSL_SN_bEUlT_E_NS1_11comp_targetILNS1_3genE2ELNS1_11target_archE906ELNS1_3gpuE6ELNS1_3repE0EEENS1_30default_config_static_selectorELNS0_4arch9wavefront6targetE1EEEvT1_
    .private_segment_fixed_size: 0
    .sgpr_count:     16
    .sgpr_spill_count: 0
    .symbol:         _ZN7rocprim17ROCPRIM_400000_NS6detail17trampoline_kernelINS0_14default_configENS1_25transform_config_selectorIdLb0EEEZNS1_14transform_implILb0ES3_S5_NS0_18transform_iteratorINS0_17counting_iteratorImlEEZNS1_24adjacent_difference_implIS3_Lb1ELb0EPdSB_N6thrust23THRUST_200600_302600_NS5minusIdEEEE10hipError_tPvRmT2_T3_mT4_P12ihipStream_tbEUlmE_dEESB_NS0_8identityIvEEEESG_SJ_SK_mSL_SN_bEUlT_E_NS1_11comp_targetILNS1_3genE2ELNS1_11target_archE906ELNS1_3gpuE6ELNS1_3repE0EEENS1_30default_config_static_selectorELNS0_4arch9wavefront6targetE1EEEvT1_.kd
    .uniform_work_group_size: 1
    .uses_dynamic_stack: false
    .vgpr_count:     5
    .vgpr_spill_count: 0
    .wavefront_size: 64
  - .args:
      - .offset:         0
        .size:           56
        .value_kind:     by_value
    .group_segment_fixed_size: 0
    .kernarg_segment_align: 8
    .kernarg_segment_size: 56
    .language:       OpenCL C
    .language_version:
      - 2
      - 0
    .max_flat_workgroup_size: 64
    .name:           _ZN7rocprim17ROCPRIM_400000_NS6detail17trampoline_kernelINS0_14default_configENS1_25transform_config_selectorIdLb0EEEZNS1_14transform_implILb0ES3_S5_NS0_18transform_iteratorINS0_17counting_iteratorImlEEZNS1_24adjacent_difference_implIS3_Lb1ELb0EPdSB_N6thrust23THRUST_200600_302600_NS5minusIdEEEE10hipError_tPvRmT2_T3_mT4_P12ihipStream_tbEUlmE_dEESB_NS0_8identityIvEEEESG_SJ_SK_mSL_SN_bEUlT_E_NS1_11comp_targetILNS1_3genE10ELNS1_11target_archE1201ELNS1_3gpuE5ELNS1_3repE0EEENS1_30default_config_static_selectorELNS0_4arch9wavefront6targetE1EEEvT1_
    .private_segment_fixed_size: 0
    .sgpr_count:     4
    .sgpr_spill_count: 0
    .symbol:         _ZN7rocprim17ROCPRIM_400000_NS6detail17trampoline_kernelINS0_14default_configENS1_25transform_config_selectorIdLb0EEEZNS1_14transform_implILb0ES3_S5_NS0_18transform_iteratorINS0_17counting_iteratorImlEEZNS1_24adjacent_difference_implIS3_Lb1ELb0EPdSB_N6thrust23THRUST_200600_302600_NS5minusIdEEEE10hipError_tPvRmT2_T3_mT4_P12ihipStream_tbEUlmE_dEESB_NS0_8identityIvEEEESG_SJ_SK_mSL_SN_bEUlT_E_NS1_11comp_targetILNS1_3genE10ELNS1_11target_archE1201ELNS1_3gpuE5ELNS1_3repE0EEENS1_30default_config_static_selectorELNS0_4arch9wavefront6targetE1EEEvT1_.kd
    .uniform_work_group_size: 1
    .uses_dynamic_stack: false
    .vgpr_count:     0
    .vgpr_spill_count: 0
    .wavefront_size: 64
  - .args:
      - .offset:         0
        .size:           56
        .value_kind:     by_value
    .group_segment_fixed_size: 0
    .kernarg_segment_align: 8
    .kernarg_segment_size: 56
    .language:       OpenCL C
    .language_version:
      - 2
      - 0
    .max_flat_workgroup_size: 512
    .name:           _ZN7rocprim17ROCPRIM_400000_NS6detail17trampoline_kernelINS0_14default_configENS1_25transform_config_selectorIdLb0EEEZNS1_14transform_implILb0ES3_S5_NS0_18transform_iteratorINS0_17counting_iteratorImlEEZNS1_24adjacent_difference_implIS3_Lb1ELb0EPdSB_N6thrust23THRUST_200600_302600_NS5minusIdEEEE10hipError_tPvRmT2_T3_mT4_P12ihipStream_tbEUlmE_dEESB_NS0_8identityIvEEEESG_SJ_SK_mSL_SN_bEUlT_E_NS1_11comp_targetILNS1_3genE10ELNS1_11target_archE1200ELNS1_3gpuE4ELNS1_3repE0EEENS1_30default_config_static_selectorELNS0_4arch9wavefront6targetE1EEEvT1_
    .private_segment_fixed_size: 0
    .sgpr_count:     4
    .sgpr_spill_count: 0
    .symbol:         _ZN7rocprim17ROCPRIM_400000_NS6detail17trampoline_kernelINS0_14default_configENS1_25transform_config_selectorIdLb0EEEZNS1_14transform_implILb0ES3_S5_NS0_18transform_iteratorINS0_17counting_iteratorImlEEZNS1_24adjacent_difference_implIS3_Lb1ELb0EPdSB_N6thrust23THRUST_200600_302600_NS5minusIdEEEE10hipError_tPvRmT2_T3_mT4_P12ihipStream_tbEUlmE_dEESB_NS0_8identityIvEEEESG_SJ_SK_mSL_SN_bEUlT_E_NS1_11comp_targetILNS1_3genE10ELNS1_11target_archE1200ELNS1_3gpuE4ELNS1_3repE0EEENS1_30default_config_static_selectorELNS0_4arch9wavefront6targetE1EEEvT1_.kd
    .uniform_work_group_size: 1
    .uses_dynamic_stack: false
    .vgpr_count:     0
    .vgpr_spill_count: 0
    .wavefront_size: 64
  - .args:
      - .offset:         0
        .size:           56
        .value_kind:     by_value
    .group_segment_fixed_size: 0
    .kernarg_segment_align: 8
    .kernarg_segment_size: 56
    .language:       OpenCL C
    .language_version:
      - 2
      - 0
    .max_flat_workgroup_size: 512
    .name:           _ZN7rocprim17ROCPRIM_400000_NS6detail17trampoline_kernelINS0_14default_configENS1_25transform_config_selectorIdLb0EEEZNS1_14transform_implILb0ES3_S5_NS0_18transform_iteratorINS0_17counting_iteratorImlEEZNS1_24adjacent_difference_implIS3_Lb1ELb0EPdSB_N6thrust23THRUST_200600_302600_NS5minusIdEEEE10hipError_tPvRmT2_T3_mT4_P12ihipStream_tbEUlmE_dEESB_NS0_8identityIvEEEESG_SJ_SK_mSL_SN_bEUlT_E_NS1_11comp_targetILNS1_3genE9ELNS1_11target_archE1100ELNS1_3gpuE3ELNS1_3repE0EEENS1_30default_config_static_selectorELNS0_4arch9wavefront6targetE1EEEvT1_
    .private_segment_fixed_size: 0
    .sgpr_count:     4
    .sgpr_spill_count: 0
    .symbol:         _ZN7rocprim17ROCPRIM_400000_NS6detail17trampoline_kernelINS0_14default_configENS1_25transform_config_selectorIdLb0EEEZNS1_14transform_implILb0ES3_S5_NS0_18transform_iteratorINS0_17counting_iteratorImlEEZNS1_24adjacent_difference_implIS3_Lb1ELb0EPdSB_N6thrust23THRUST_200600_302600_NS5minusIdEEEE10hipError_tPvRmT2_T3_mT4_P12ihipStream_tbEUlmE_dEESB_NS0_8identityIvEEEESG_SJ_SK_mSL_SN_bEUlT_E_NS1_11comp_targetILNS1_3genE9ELNS1_11target_archE1100ELNS1_3gpuE3ELNS1_3repE0EEENS1_30default_config_static_selectorELNS0_4arch9wavefront6targetE1EEEvT1_.kd
    .uniform_work_group_size: 1
    .uses_dynamic_stack: false
    .vgpr_count:     0
    .vgpr_spill_count: 0
    .wavefront_size: 64
  - .args:
      - .offset:         0
        .size:           56
        .value_kind:     by_value
    .group_segment_fixed_size: 0
    .kernarg_segment_align: 8
    .kernarg_segment_size: 56
    .language:       OpenCL C
    .language_version:
      - 2
      - 0
    .max_flat_workgroup_size: 512
    .name:           _ZN7rocprim17ROCPRIM_400000_NS6detail17trampoline_kernelINS0_14default_configENS1_25transform_config_selectorIdLb0EEEZNS1_14transform_implILb0ES3_S5_NS0_18transform_iteratorINS0_17counting_iteratorImlEEZNS1_24adjacent_difference_implIS3_Lb1ELb0EPdSB_N6thrust23THRUST_200600_302600_NS5minusIdEEEE10hipError_tPvRmT2_T3_mT4_P12ihipStream_tbEUlmE_dEESB_NS0_8identityIvEEEESG_SJ_SK_mSL_SN_bEUlT_E_NS1_11comp_targetILNS1_3genE8ELNS1_11target_archE1030ELNS1_3gpuE2ELNS1_3repE0EEENS1_30default_config_static_selectorELNS0_4arch9wavefront6targetE1EEEvT1_
    .private_segment_fixed_size: 0
    .sgpr_count:     4
    .sgpr_spill_count: 0
    .symbol:         _ZN7rocprim17ROCPRIM_400000_NS6detail17trampoline_kernelINS0_14default_configENS1_25transform_config_selectorIdLb0EEEZNS1_14transform_implILb0ES3_S5_NS0_18transform_iteratorINS0_17counting_iteratorImlEEZNS1_24adjacent_difference_implIS3_Lb1ELb0EPdSB_N6thrust23THRUST_200600_302600_NS5minusIdEEEE10hipError_tPvRmT2_T3_mT4_P12ihipStream_tbEUlmE_dEESB_NS0_8identityIvEEEESG_SJ_SK_mSL_SN_bEUlT_E_NS1_11comp_targetILNS1_3genE8ELNS1_11target_archE1030ELNS1_3gpuE2ELNS1_3repE0EEENS1_30default_config_static_selectorELNS0_4arch9wavefront6targetE1EEEvT1_.kd
    .uniform_work_group_size: 1
    .uses_dynamic_stack: false
    .vgpr_count:     0
    .vgpr_spill_count: 0
    .wavefront_size: 64
  - .args:
      - .offset:         0
        .size:           56
        .value_kind:     by_value
    .group_segment_fixed_size: 0
    .kernarg_segment_align: 8
    .kernarg_segment_size: 56
    .language:       OpenCL C
    .language_version:
      - 2
      - 0
    .max_flat_workgroup_size: 512
    .name:           _ZN7rocprim17ROCPRIM_400000_NS6detail17trampoline_kernelINS0_14default_configENS1_35adjacent_difference_config_selectorILb1EdEEZNS1_24adjacent_difference_implIS3_Lb1ELb0EPdS7_N6thrust23THRUST_200600_302600_NS5minusIdEEEE10hipError_tPvRmT2_T3_mT4_P12ihipStream_tbEUlT_E_NS1_11comp_targetILNS1_3genE0ELNS1_11target_archE4294967295ELNS1_3gpuE0ELNS1_3repE0EEENS1_30default_config_static_selectorELNS0_4arch9wavefront6targetE1EEEvT1_
    .private_segment_fixed_size: 0
    .sgpr_count:     4
    .sgpr_spill_count: 0
    .symbol:         _ZN7rocprim17ROCPRIM_400000_NS6detail17trampoline_kernelINS0_14default_configENS1_35adjacent_difference_config_selectorILb1EdEEZNS1_24adjacent_difference_implIS3_Lb1ELb0EPdS7_N6thrust23THRUST_200600_302600_NS5minusIdEEEE10hipError_tPvRmT2_T3_mT4_P12ihipStream_tbEUlT_E_NS1_11comp_targetILNS1_3genE0ELNS1_11target_archE4294967295ELNS1_3gpuE0ELNS1_3repE0EEENS1_30default_config_static_selectorELNS0_4arch9wavefront6targetE1EEEvT1_.kd
    .uniform_work_group_size: 1
    .uses_dynamic_stack: false
    .vgpr_count:     0
    .vgpr_spill_count: 0
    .wavefront_size: 64
  - .args:
      - .offset:         0
        .size:           56
        .value_kind:     by_value
    .group_segment_fixed_size: 0
    .kernarg_segment_align: 8
    .kernarg_segment_size: 56
    .language:       OpenCL C
    .language_version:
      - 2
      - 0
    .max_flat_workgroup_size: 256
    .name:           _ZN7rocprim17ROCPRIM_400000_NS6detail17trampoline_kernelINS0_14default_configENS1_35adjacent_difference_config_selectorILb1EdEEZNS1_24adjacent_difference_implIS3_Lb1ELb0EPdS7_N6thrust23THRUST_200600_302600_NS5minusIdEEEE10hipError_tPvRmT2_T3_mT4_P12ihipStream_tbEUlT_E_NS1_11comp_targetILNS1_3genE10ELNS1_11target_archE1201ELNS1_3gpuE5ELNS1_3repE0EEENS1_30default_config_static_selectorELNS0_4arch9wavefront6targetE1EEEvT1_
    .private_segment_fixed_size: 0
    .sgpr_count:     4
    .sgpr_spill_count: 0
    .symbol:         _ZN7rocprim17ROCPRIM_400000_NS6detail17trampoline_kernelINS0_14default_configENS1_35adjacent_difference_config_selectorILb1EdEEZNS1_24adjacent_difference_implIS3_Lb1ELb0EPdS7_N6thrust23THRUST_200600_302600_NS5minusIdEEEE10hipError_tPvRmT2_T3_mT4_P12ihipStream_tbEUlT_E_NS1_11comp_targetILNS1_3genE10ELNS1_11target_archE1201ELNS1_3gpuE5ELNS1_3repE0EEENS1_30default_config_static_selectorELNS0_4arch9wavefront6targetE1EEEvT1_.kd
    .uniform_work_group_size: 1
    .uses_dynamic_stack: false
    .vgpr_count:     0
    .vgpr_spill_count: 0
    .wavefront_size: 64
  - .args:
      - .offset:         0
        .size:           56
        .value_kind:     by_value
    .group_segment_fixed_size: 0
    .kernarg_segment_align: 8
    .kernarg_segment_size: 56
    .language:       OpenCL C
    .language_version:
      - 2
      - 0
    .max_flat_workgroup_size: 128
    .name:           _ZN7rocprim17ROCPRIM_400000_NS6detail17trampoline_kernelINS0_14default_configENS1_35adjacent_difference_config_selectorILb1EdEEZNS1_24adjacent_difference_implIS3_Lb1ELb0EPdS7_N6thrust23THRUST_200600_302600_NS5minusIdEEEE10hipError_tPvRmT2_T3_mT4_P12ihipStream_tbEUlT_E_NS1_11comp_targetILNS1_3genE5ELNS1_11target_archE942ELNS1_3gpuE9ELNS1_3repE0EEENS1_30default_config_static_selectorELNS0_4arch9wavefront6targetE1EEEvT1_
    .private_segment_fixed_size: 0
    .sgpr_count:     4
    .sgpr_spill_count: 0
    .symbol:         _ZN7rocprim17ROCPRIM_400000_NS6detail17trampoline_kernelINS0_14default_configENS1_35adjacent_difference_config_selectorILb1EdEEZNS1_24adjacent_difference_implIS3_Lb1ELb0EPdS7_N6thrust23THRUST_200600_302600_NS5minusIdEEEE10hipError_tPvRmT2_T3_mT4_P12ihipStream_tbEUlT_E_NS1_11comp_targetILNS1_3genE5ELNS1_11target_archE942ELNS1_3gpuE9ELNS1_3repE0EEENS1_30default_config_static_selectorELNS0_4arch9wavefront6targetE1EEEvT1_.kd
    .uniform_work_group_size: 1
    .uses_dynamic_stack: false
    .vgpr_count:     0
    .vgpr_spill_count: 0
    .wavefront_size: 64
  - .args:
      - .offset:         0
        .size:           56
        .value_kind:     by_value
    .group_segment_fixed_size: 0
    .kernarg_segment_align: 8
    .kernarg_segment_size: 56
    .language:       OpenCL C
    .language_version:
      - 2
      - 0
    .max_flat_workgroup_size: 512
    .name:           _ZN7rocprim17ROCPRIM_400000_NS6detail17trampoline_kernelINS0_14default_configENS1_35adjacent_difference_config_selectorILb1EdEEZNS1_24adjacent_difference_implIS3_Lb1ELb0EPdS7_N6thrust23THRUST_200600_302600_NS5minusIdEEEE10hipError_tPvRmT2_T3_mT4_P12ihipStream_tbEUlT_E_NS1_11comp_targetILNS1_3genE4ELNS1_11target_archE910ELNS1_3gpuE8ELNS1_3repE0EEENS1_30default_config_static_selectorELNS0_4arch9wavefront6targetE1EEEvT1_
    .private_segment_fixed_size: 0
    .sgpr_count:     4
    .sgpr_spill_count: 0
    .symbol:         _ZN7rocprim17ROCPRIM_400000_NS6detail17trampoline_kernelINS0_14default_configENS1_35adjacent_difference_config_selectorILb1EdEEZNS1_24adjacent_difference_implIS3_Lb1ELb0EPdS7_N6thrust23THRUST_200600_302600_NS5minusIdEEEE10hipError_tPvRmT2_T3_mT4_P12ihipStream_tbEUlT_E_NS1_11comp_targetILNS1_3genE4ELNS1_11target_archE910ELNS1_3gpuE8ELNS1_3repE0EEENS1_30default_config_static_selectorELNS0_4arch9wavefront6targetE1EEEvT1_.kd
    .uniform_work_group_size: 1
    .uses_dynamic_stack: false
    .vgpr_count:     0
    .vgpr_spill_count: 0
    .wavefront_size: 64
  - .args:
      - .offset:         0
        .size:           56
        .value_kind:     by_value
    .group_segment_fixed_size: 0
    .kernarg_segment_align: 8
    .kernarg_segment_size: 56
    .language:       OpenCL C
    .language_version:
      - 2
      - 0
    .max_flat_workgroup_size: 512
    .name:           _ZN7rocprim17ROCPRIM_400000_NS6detail17trampoline_kernelINS0_14default_configENS1_35adjacent_difference_config_selectorILb1EdEEZNS1_24adjacent_difference_implIS3_Lb1ELb0EPdS7_N6thrust23THRUST_200600_302600_NS5minusIdEEEE10hipError_tPvRmT2_T3_mT4_P12ihipStream_tbEUlT_E_NS1_11comp_targetILNS1_3genE3ELNS1_11target_archE908ELNS1_3gpuE7ELNS1_3repE0EEENS1_30default_config_static_selectorELNS0_4arch9wavefront6targetE1EEEvT1_
    .private_segment_fixed_size: 0
    .sgpr_count:     4
    .sgpr_spill_count: 0
    .symbol:         _ZN7rocprim17ROCPRIM_400000_NS6detail17trampoline_kernelINS0_14default_configENS1_35adjacent_difference_config_selectorILb1EdEEZNS1_24adjacent_difference_implIS3_Lb1ELb0EPdS7_N6thrust23THRUST_200600_302600_NS5minusIdEEEE10hipError_tPvRmT2_T3_mT4_P12ihipStream_tbEUlT_E_NS1_11comp_targetILNS1_3genE3ELNS1_11target_archE908ELNS1_3gpuE7ELNS1_3repE0EEENS1_30default_config_static_selectorELNS0_4arch9wavefront6targetE1EEEvT1_.kd
    .uniform_work_group_size: 1
    .uses_dynamic_stack: false
    .vgpr_count:     0
    .vgpr_spill_count: 0
    .wavefront_size: 64
  - .args:
      - .offset:         0
        .size:           56
        .value_kind:     by_value
    .group_segment_fixed_size: 11264
    .kernarg_segment_align: 8
    .kernarg_segment_size: 56
    .language:       OpenCL C
    .language_version:
      - 2
      - 0
    .max_flat_workgroup_size: 128
    .name:           _ZN7rocprim17ROCPRIM_400000_NS6detail17trampoline_kernelINS0_14default_configENS1_35adjacent_difference_config_selectorILb1EdEEZNS1_24adjacent_difference_implIS3_Lb1ELb0EPdS7_N6thrust23THRUST_200600_302600_NS5minusIdEEEE10hipError_tPvRmT2_T3_mT4_P12ihipStream_tbEUlT_E_NS1_11comp_targetILNS1_3genE2ELNS1_11target_archE906ELNS1_3gpuE6ELNS1_3repE0EEENS1_30default_config_static_selectorELNS0_4arch9wavefront6targetE1EEEvT1_
    .private_segment_fixed_size: 0
    .sgpr_count:     33
    .sgpr_spill_count: 0
    .symbol:         _ZN7rocprim17ROCPRIM_400000_NS6detail17trampoline_kernelINS0_14default_configENS1_35adjacent_difference_config_selectorILb1EdEEZNS1_24adjacent_difference_implIS3_Lb1ELb0EPdS7_N6thrust23THRUST_200600_302600_NS5minusIdEEEE10hipError_tPvRmT2_T3_mT4_P12ihipStream_tbEUlT_E_NS1_11comp_targetILNS1_3genE2ELNS1_11target_archE906ELNS1_3gpuE6ELNS1_3repE0EEENS1_30default_config_static_selectorELNS0_4arch9wavefront6targetE1EEEvT1_.kd
    .uniform_work_group_size: 1
    .uses_dynamic_stack: false
    .vgpr_count:     50
    .vgpr_spill_count: 0
    .wavefront_size: 64
  - .args:
      - .offset:         0
        .size:           56
        .value_kind:     by_value
    .group_segment_fixed_size: 0
    .kernarg_segment_align: 8
    .kernarg_segment_size: 56
    .language:       OpenCL C
    .language_version:
      - 2
      - 0
    .max_flat_workgroup_size: 128
    .name:           _ZN7rocprim17ROCPRIM_400000_NS6detail17trampoline_kernelINS0_14default_configENS1_35adjacent_difference_config_selectorILb1EdEEZNS1_24adjacent_difference_implIS3_Lb1ELb0EPdS7_N6thrust23THRUST_200600_302600_NS5minusIdEEEE10hipError_tPvRmT2_T3_mT4_P12ihipStream_tbEUlT_E_NS1_11comp_targetILNS1_3genE9ELNS1_11target_archE1100ELNS1_3gpuE3ELNS1_3repE0EEENS1_30default_config_static_selectorELNS0_4arch9wavefront6targetE1EEEvT1_
    .private_segment_fixed_size: 0
    .sgpr_count:     4
    .sgpr_spill_count: 0
    .symbol:         _ZN7rocprim17ROCPRIM_400000_NS6detail17trampoline_kernelINS0_14default_configENS1_35adjacent_difference_config_selectorILb1EdEEZNS1_24adjacent_difference_implIS3_Lb1ELb0EPdS7_N6thrust23THRUST_200600_302600_NS5minusIdEEEE10hipError_tPvRmT2_T3_mT4_P12ihipStream_tbEUlT_E_NS1_11comp_targetILNS1_3genE9ELNS1_11target_archE1100ELNS1_3gpuE3ELNS1_3repE0EEENS1_30default_config_static_selectorELNS0_4arch9wavefront6targetE1EEEvT1_.kd
    .uniform_work_group_size: 1
    .uses_dynamic_stack: false
    .vgpr_count:     0
    .vgpr_spill_count: 0
    .wavefront_size: 64
  - .args:
      - .offset:         0
        .size:           56
        .value_kind:     by_value
    .group_segment_fixed_size: 0
    .kernarg_segment_align: 8
    .kernarg_segment_size: 56
    .language:       OpenCL C
    .language_version:
      - 2
      - 0
    .max_flat_workgroup_size: 32
    .name:           _ZN7rocprim17ROCPRIM_400000_NS6detail17trampoline_kernelINS0_14default_configENS1_35adjacent_difference_config_selectorILb1EdEEZNS1_24adjacent_difference_implIS3_Lb1ELb0EPdS7_N6thrust23THRUST_200600_302600_NS5minusIdEEEE10hipError_tPvRmT2_T3_mT4_P12ihipStream_tbEUlT_E_NS1_11comp_targetILNS1_3genE8ELNS1_11target_archE1030ELNS1_3gpuE2ELNS1_3repE0EEENS1_30default_config_static_selectorELNS0_4arch9wavefront6targetE1EEEvT1_
    .private_segment_fixed_size: 0
    .sgpr_count:     4
    .sgpr_spill_count: 0
    .symbol:         _ZN7rocprim17ROCPRIM_400000_NS6detail17trampoline_kernelINS0_14default_configENS1_35adjacent_difference_config_selectorILb1EdEEZNS1_24adjacent_difference_implIS3_Lb1ELb0EPdS7_N6thrust23THRUST_200600_302600_NS5minusIdEEEE10hipError_tPvRmT2_T3_mT4_P12ihipStream_tbEUlT_E_NS1_11comp_targetILNS1_3genE8ELNS1_11target_archE1030ELNS1_3gpuE2ELNS1_3repE0EEENS1_30default_config_static_selectorELNS0_4arch9wavefront6targetE1EEEvT1_.kd
    .uniform_work_group_size: 1
    .uses_dynamic_stack: false
    .vgpr_count:     0
    .vgpr_spill_count: 0
    .wavefront_size: 64
  - .args:
      - .offset:         0
        .size:           56
        .value_kind:     by_value
    .group_segment_fixed_size: 0
    .kernarg_segment_align: 8
    .kernarg_segment_size: 56
    .language:       OpenCL C
    .language_version:
      - 2
      - 0
    .max_flat_workgroup_size: 128
    .name:           _ZN7rocprim17ROCPRIM_400000_NS6detail17trampoline_kernelINS0_14default_configENS1_35adjacent_difference_config_selectorILb0EdEEZNS1_24adjacent_difference_implIS3_Lb0ELb0EPdS7_N6thrust23THRUST_200600_302600_NS4plusIdEEEE10hipError_tPvRmT2_T3_mT4_P12ihipStream_tbEUlT_E_NS1_11comp_targetILNS1_3genE0ELNS1_11target_archE4294967295ELNS1_3gpuE0ELNS1_3repE0EEENS1_30default_config_static_selectorELNS0_4arch9wavefront6targetE1EEEvT1_
    .private_segment_fixed_size: 0
    .sgpr_count:     4
    .sgpr_spill_count: 0
    .symbol:         _ZN7rocprim17ROCPRIM_400000_NS6detail17trampoline_kernelINS0_14default_configENS1_35adjacent_difference_config_selectorILb0EdEEZNS1_24adjacent_difference_implIS3_Lb0ELb0EPdS7_N6thrust23THRUST_200600_302600_NS4plusIdEEEE10hipError_tPvRmT2_T3_mT4_P12ihipStream_tbEUlT_E_NS1_11comp_targetILNS1_3genE0ELNS1_11target_archE4294967295ELNS1_3gpuE0ELNS1_3repE0EEENS1_30default_config_static_selectorELNS0_4arch9wavefront6targetE1EEEvT1_.kd
    .uniform_work_group_size: 1
    .uses_dynamic_stack: false
    .vgpr_count:     0
    .vgpr_spill_count: 0
    .wavefront_size: 64
  - .args:
      - .offset:         0
        .size:           56
        .value_kind:     by_value
    .group_segment_fixed_size: 0
    .kernarg_segment_align: 8
    .kernarg_segment_size: 56
    .language:       OpenCL C
    .language_version:
      - 2
      - 0
    .max_flat_workgroup_size: 32
    .name:           _ZN7rocprim17ROCPRIM_400000_NS6detail17trampoline_kernelINS0_14default_configENS1_35adjacent_difference_config_selectorILb0EdEEZNS1_24adjacent_difference_implIS3_Lb0ELb0EPdS7_N6thrust23THRUST_200600_302600_NS4plusIdEEEE10hipError_tPvRmT2_T3_mT4_P12ihipStream_tbEUlT_E_NS1_11comp_targetILNS1_3genE10ELNS1_11target_archE1201ELNS1_3gpuE5ELNS1_3repE0EEENS1_30default_config_static_selectorELNS0_4arch9wavefront6targetE1EEEvT1_
    .private_segment_fixed_size: 0
    .sgpr_count:     4
    .sgpr_spill_count: 0
    .symbol:         _ZN7rocprim17ROCPRIM_400000_NS6detail17trampoline_kernelINS0_14default_configENS1_35adjacent_difference_config_selectorILb0EdEEZNS1_24adjacent_difference_implIS3_Lb0ELb0EPdS7_N6thrust23THRUST_200600_302600_NS4plusIdEEEE10hipError_tPvRmT2_T3_mT4_P12ihipStream_tbEUlT_E_NS1_11comp_targetILNS1_3genE10ELNS1_11target_archE1201ELNS1_3gpuE5ELNS1_3repE0EEENS1_30default_config_static_selectorELNS0_4arch9wavefront6targetE1EEEvT1_.kd
    .uniform_work_group_size: 1
    .uses_dynamic_stack: false
    .vgpr_count:     0
    .vgpr_spill_count: 0
    .wavefront_size: 64
  - .args:
      - .offset:         0
        .size:           56
        .value_kind:     by_value
    .group_segment_fixed_size: 0
    .kernarg_segment_align: 8
    .kernarg_segment_size: 56
    .language:       OpenCL C
    .language_version:
      - 2
      - 0
    .max_flat_workgroup_size: 64
    .name:           _ZN7rocprim17ROCPRIM_400000_NS6detail17trampoline_kernelINS0_14default_configENS1_35adjacent_difference_config_selectorILb0EdEEZNS1_24adjacent_difference_implIS3_Lb0ELb0EPdS7_N6thrust23THRUST_200600_302600_NS4plusIdEEEE10hipError_tPvRmT2_T3_mT4_P12ihipStream_tbEUlT_E_NS1_11comp_targetILNS1_3genE5ELNS1_11target_archE942ELNS1_3gpuE9ELNS1_3repE0EEENS1_30default_config_static_selectorELNS0_4arch9wavefront6targetE1EEEvT1_
    .private_segment_fixed_size: 0
    .sgpr_count:     4
    .sgpr_spill_count: 0
    .symbol:         _ZN7rocprim17ROCPRIM_400000_NS6detail17trampoline_kernelINS0_14default_configENS1_35adjacent_difference_config_selectorILb0EdEEZNS1_24adjacent_difference_implIS3_Lb0ELb0EPdS7_N6thrust23THRUST_200600_302600_NS4plusIdEEEE10hipError_tPvRmT2_T3_mT4_P12ihipStream_tbEUlT_E_NS1_11comp_targetILNS1_3genE5ELNS1_11target_archE942ELNS1_3gpuE9ELNS1_3repE0EEENS1_30default_config_static_selectorELNS0_4arch9wavefront6targetE1EEEvT1_.kd
    .uniform_work_group_size: 1
    .uses_dynamic_stack: false
    .vgpr_count:     0
    .vgpr_spill_count: 0
    .wavefront_size: 64
  - .args:
      - .offset:         0
        .size:           56
        .value_kind:     by_value
    .group_segment_fixed_size: 0
    .kernarg_segment_align: 8
    .kernarg_segment_size: 56
    .language:       OpenCL C
    .language_version:
      - 2
      - 0
    .max_flat_workgroup_size: 256
    .name:           _ZN7rocprim17ROCPRIM_400000_NS6detail17trampoline_kernelINS0_14default_configENS1_35adjacent_difference_config_selectorILb0EdEEZNS1_24adjacent_difference_implIS3_Lb0ELb0EPdS7_N6thrust23THRUST_200600_302600_NS4plusIdEEEE10hipError_tPvRmT2_T3_mT4_P12ihipStream_tbEUlT_E_NS1_11comp_targetILNS1_3genE4ELNS1_11target_archE910ELNS1_3gpuE8ELNS1_3repE0EEENS1_30default_config_static_selectorELNS0_4arch9wavefront6targetE1EEEvT1_
    .private_segment_fixed_size: 0
    .sgpr_count:     4
    .sgpr_spill_count: 0
    .symbol:         _ZN7rocprim17ROCPRIM_400000_NS6detail17trampoline_kernelINS0_14default_configENS1_35adjacent_difference_config_selectorILb0EdEEZNS1_24adjacent_difference_implIS3_Lb0ELb0EPdS7_N6thrust23THRUST_200600_302600_NS4plusIdEEEE10hipError_tPvRmT2_T3_mT4_P12ihipStream_tbEUlT_E_NS1_11comp_targetILNS1_3genE4ELNS1_11target_archE910ELNS1_3gpuE8ELNS1_3repE0EEENS1_30default_config_static_selectorELNS0_4arch9wavefront6targetE1EEEvT1_.kd
    .uniform_work_group_size: 1
    .uses_dynamic_stack: false
    .vgpr_count:     0
    .vgpr_spill_count: 0
    .wavefront_size: 64
  - .args:
      - .offset:         0
        .size:           56
        .value_kind:     by_value
    .group_segment_fixed_size: 0
    .kernarg_segment_align: 8
    .kernarg_segment_size: 56
    .language:       OpenCL C
    .language_version:
      - 2
      - 0
    .max_flat_workgroup_size: 128
    .name:           _ZN7rocprim17ROCPRIM_400000_NS6detail17trampoline_kernelINS0_14default_configENS1_35adjacent_difference_config_selectorILb0EdEEZNS1_24adjacent_difference_implIS3_Lb0ELb0EPdS7_N6thrust23THRUST_200600_302600_NS4plusIdEEEE10hipError_tPvRmT2_T3_mT4_P12ihipStream_tbEUlT_E_NS1_11comp_targetILNS1_3genE3ELNS1_11target_archE908ELNS1_3gpuE7ELNS1_3repE0EEENS1_30default_config_static_selectorELNS0_4arch9wavefront6targetE1EEEvT1_
    .private_segment_fixed_size: 0
    .sgpr_count:     4
    .sgpr_spill_count: 0
    .symbol:         _ZN7rocprim17ROCPRIM_400000_NS6detail17trampoline_kernelINS0_14default_configENS1_35adjacent_difference_config_selectorILb0EdEEZNS1_24adjacent_difference_implIS3_Lb0ELb0EPdS7_N6thrust23THRUST_200600_302600_NS4plusIdEEEE10hipError_tPvRmT2_T3_mT4_P12ihipStream_tbEUlT_E_NS1_11comp_targetILNS1_3genE3ELNS1_11target_archE908ELNS1_3gpuE7ELNS1_3repE0EEENS1_30default_config_static_selectorELNS0_4arch9wavefront6targetE1EEEvT1_.kd
    .uniform_work_group_size: 1
    .uses_dynamic_stack: false
    .vgpr_count:     0
    .vgpr_spill_count: 0
    .wavefront_size: 64
  - .args:
      - .offset:         0
        .size:           56
        .value_kind:     by_value
    .group_segment_fixed_size: 16896
    .kernarg_segment_align: 8
    .kernarg_segment_size: 56
    .language:       OpenCL C
    .language_version:
      - 2
      - 0
    .max_flat_workgroup_size: 1024
    .name:           _ZN7rocprim17ROCPRIM_400000_NS6detail17trampoline_kernelINS0_14default_configENS1_35adjacent_difference_config_selectorILb0EdEEZNS1_24adjacent_difference_implIS3_Lb0ELb0EPdS7_N6thrust23THRUST_200600_302600_NS4plusIdEEEE10hipError_tPvRmT2_T3_mT4_P12ihipStream_tbEUlT_E_NS1_11comp_targetILNS1_3genE2ELNS1_11target_archE906ELNS1_3gpuE6ELNS1_3repE0EEENS1_30default_config_static_selectorELNS0_4arch9wavefront6targetE1EEEvT1_
    .private_segment_fixed_size: 0
    .sgpr_count:     26
    .sgpr_spill_count: 0
    .symbol:         _ZN7rocprim17ROCPRIM_400000_NS6detail17trampoline_kernelINS0_14default_configENS1_35adjacent_difference_config_selectorILb0EdEEZNS1_24adjacent_difference_implIS3_Lb0ELb0EPdS7_N6thrust23THRUST_200600_302600_NS4plusIdEEEE10hipError_tPvRmT2_T3_mT4_P12ihipStream_tbEUlT_E_NS1_11comp_targetILNS1_3genE2ELNS1_11target_archE906ELNS1_3gpuE6ELNS1_3repE0EEENS1_30default_config_static_selectorELNS0_4arch9wavefront6targetE1EEEvT1_.kd
    .uniform_work_group_size: 1
    .uses_dynamic_stack: false
    .vgpr_count:     15
    .vgpr_spill_count: 0
    .wavefront_size: 64
  - .args:
      - .offset:         0
        .size:           56
        .value_kind:     by_value
    .group_segment_fixed_size: 0
    .kernarg_segment_align: 8
    .kernarg_segment_size: 56
    .language:       OpenCL C
    .language_version:
      - 2
      - 0
    .max_flat_workgroup_size: 1024
    .name:           _ZN7rocprim17ROCPRIM_400000_NS6detail17trampoline_kernelINS0_14default_configENS1_35adjacent_difference_config_selectorILb0EdEEZNS1_24adjacent_difference_implIS3_Lb0ELb0EPdS7_N6thrust23THRUST_200600_302600_NS4plusIdEEEE10hipError_tPvRmT2_T3_mT4_P12ihipStream_tbEUlT_E_NS1_11comp_targetILNS1_3genE9ELNS1_11target_archE1100ELNS1_3gpuE3ELNS1_3repE0EEENS1_30default_config_static_selectorELNS0_4arch9wavefront6targetE1EEEvT1_
    .private_segment_fixed_size: 0
    .sgpr_count:     4
    .sgpr_spill_count: 0
    .symbol:         _ZN7rocprim17ROCPRIM_400000_NS6detail17trampoline_kernelINS0_14default_configENS1_35adjacent_difference_config_selectorILb0EdEEZNS1_24adjacent_difference_implIS3_Lb0ELb0EPdS7_N6thrust23THRUST_200600_302600_NS4plusIdEEEE10hipError_tPvRmT2_T3_mT4_P12ihipStream_tbEUlT_E_NS1_11comp_targetILNS1_3genE9ELNS1_11target_archE1100ELNS1_3gpuE3ELNS1_3repE0EEENS1_30default_config_static_selectorELNS0_4arch9wavefront6targetE1EEEvT1_.kd
    .uniform_work_group_size: 1
    .uses_dynamic_stack: false
    .vgpr_count:     0
    .vgpr_spill_count: 0
    .wavefront_size: 64
  - .args:
      - .offset:         0
        .size:           56
        .value_kind:     by_value
    .group_segment_fixed_size: 0
    .kernarg_segment_align: 8
    .kernarg_segment_size: 56
    .language:       OpenCL C
    .language_version:
      - 2
      - 0
    .max_flat_workgroup_size: 1024
    .name:           _ZN7rocprim17ROCPRIM_400000_NS6detail17trampoline_kernelINS0_14default_configENS1_35adjacent_difference_config_selectorILb0EdEEZNS1_24adjacent_difference_implIS3_Lb0ELb0EPdS7_N6thrust23THRUST_200600_302600_NS4plusIdEEEE10hipError_tPvRmT2_T3_mT4_P12ihipStream_tbEUlT_E_NS1_11comp_targetILNS1_3genE8ELNS1_11target_archE1030ELNS1_3gpuE2ELNS1_3repE0EEENS1_30default_config_static_selectorELNS0_4arch9wavefront6targetE1EEEvT1_
    .private_segment_fixed_size: 0
    .sgpr_count:     4
    .sgpr_spill_count: 0
    .symbol:         _ZN7rocprim17ROCPRIM_400000_NS6detail17trampoline_kernelINS0_14default_configENS1_35adjacent_difference_config_selectorILb0EdEEZNS1_24adjacent_difference_implIS3_Lb0ELb0EPdS7_N6thrust23THRUST_200600_302600_NS4plusIdEEEE10hipError_tPvRmT2_T3_mT4_P12ihipStream_tbEUlT_E_NS1_11comp_targetILNS1_3genE8ELNS1_11target_archE1030ELNS1_3gpuE2ELNS1_3repE0EEENS1_30default_config_static_selectorELNS0_4arch9wavefront6targetE1EEEvT1_.kd
    .uniform_work_group_size: 1
    .uses_dynamic_stack: false
    .vgpr_count:     0
    .vgpr_spill_count: 0
    .wavefront_size: 64
  - .args:
      - .offset:         0
        .size:           56
        .value_kind:     by_value
    .group_segment_fixed_size: 0
    .kernarg_segment_align: 8
    .kernarg_segment_size: 56
    .language:       OpenCL C
    .language_version:
      - 2
      - 0
    .max_flat_workgroup_size: 128
    .name:           _ZN7rocprim17ROCPRIM_400000_NS6detail17trampoline_kernelINS0_14default_configENS1_25transform_config_selectorIdLb0EEEZNS1_14transform_implILb0ES3_S5_NS0_18transform_iteratorINS0_17counting_iteratorImlEEZNS1_24adjacent_difference_implIS3_Lb1ELb0EPdSB_N6thrust23THRUST_200600_302600_NS4plusIdEEEE10hipError_tPvRmT2_T3_mT4_P12ihipStream_tbEUlmE_dEESB_NS0_8identityIvEEEESG_SJ_SK_mSL_SN_bEUlT_E_NS1_11comp_targetILNS1_3genE0ELNS1_11target_archE4294967295ELNS1_3gpuE0ELNS1_3repE0EEENS1_30default_config_static_selectorELNS0_4arch9wavefront6targetE1EEEvT1_
    .private_segment_fixed_size: 0
    .sgpr_count:     4
    .sgpr_spill_count: 0
    .symbol:         _ZN7rocprim17ROCPRIM_400000_NS6detail17trampoline_kernelINS0_14default_configENS1_25transform_config_selectorIdLb0EEEZNS1_14transform_implILb0ES3_S5_NS0_18transform_iteratorINS0_17counting_iteratorImlEEZNS1_24adjacent_difference_implIS3_Lb1ELb0EPdSB_N6thrust23THRUST_200600_302600_NS4plusIdEEEE10hipError_tPvRmT2_T3_mT4_P12ihipStream_tbEUlmE_dEESB_NS0_8identityIvEEEESG_SJ_SK_mSL_SN_bEUlT_E_NS1_11comp_targetILNS1_3genE0ELNS1_11target_archE4294967295ELNS1_3gpuE0ELNS1_3repE0EEENS1_30default_config_static_selectorELNS0_4arch9wavefront6targetE1EEEvT1_.kd
    .uniform_work_group_size: 1
    .uses_dynamic_stack: false
    .vgpr_count:     0
    .vgpr_spill_count: 0
    .wavefront_size: 64
  - .args:
      - .offset:         0
        .size:           56
        .value_kind:     by_value
    .group_segment_fixed_size: 0
    .kernarg_segment_align: 8
    .kernarg_segment_size: 56
    .language:       OpenCL C
    .language_version:
      - 2
      - 0
    .max_flat_workgroup_size: 512
    .name:           _ZN7rocprim17ROCPRIM_400000_NS6detail17trampoline_kernelINS0_14default_configENS1_25transform_config_selectorIdLb0EEEZNS1_14transform_implILb0ES3_S5_NS0_18transform_iteratorINS0_17counting_iteratorImlEEZNS1_24adjacent_difference_implIS3_Lb1ELb0EPdSB_N6thrust23THRUST_200600_302600_NS4plusIdEEEE10hipError_tPvRmT2_T3_mT4_P12ihipStream_tbEUlmE_dEESB_NS0_8identityIvEEEESG_SJ_SK_mSL_SN_bEUlT_E_NS1_11comp_targetILNS1_3genE5ELNS1_11target_archE942ELNS1_3gpuE9ELNS1_3repE0EEENS1_30default_config_static_selectorELNS0_4arch9wavefront6targetE1EEEvT1_
    .private_segment_fixed_size: 0
    .sgpr_count:     4
    .sgpr_spill_count: 0
    .symbol:         _ZN7rocprim17ROCPRIM_400000_NS6detail17trampoline_kernelINS0_14default_configENS1_25transform_config_selectorIdLb0EEEZNS1_14transform_implILb0ES3_S5_NS0_18transform_iteratorINS0_17counting_iteratorImlEEZNS1_24adjacent_difference_implIS3_Lb1ELb0EPdSB_N6thrust23THRUST_200600_302600_NS4plusIdEEEE10hipError_tPvRmT2_T3_mT4_P12ihipStream_tbEUlmE_dEESB_NS0_8identityIvEEEESG_SJ_SK_mSL_SN_bEUlT_E_NS1_11comp_targetILNS1_3genE5ELNS1_11target_archE942ELNS1_3gpuE9ELNS1_3repE0EEENS1_30default_config_static_selectorELNS0_4arch9wavefront6targetE1EEEvT1_.kd
    .uniform_work_group_size: 1
    .uses_dynamic_stack: false
    .vgpr_count:     0
    .vgpr_spill_count: 0
    .wavefront_size: 64
  - .args:
      - .offset:         0
        .size:           56
        .value_kind:     by_value
    .group_segment_fixed_size: 0
    .kernarg_segment_align: 8
    .kernarg_segment_size: 56
    .language:       OpenCL C
    .language_version:
      - 2
      - 0
    .max_flat_workgroup_size: 256
    .name:           _ZN7rocprim17ROCPRIM_400000_NS6detail17trampoline_kernelINS0_14default_configENS1_25transform_config_selectorIdLb0EEEZNS1_14transform_implILb0ES3_S5_NS0_18transform_iteratorINS0_17counting_iteratorImlEEZNS1_24adjacent_difference_implIS3_Lb1ELb0EPdSB_N6thrust23THRUST_200600_302600_NS4plusIdEEEE10hipError_tPvRmT2_T3_mT4_P12ihipStream_tbEUlmE_dEESB_NS0_8identityIvEEEESG_SJ_SK_mSL_SN_bEUlT_E_NS1_11comp_targetILNS1_3genE4ELNS1_11target_archE910ELNS1_3gpuE8ELNS1_3repE0EEENS1_30default_config_static_selectorELNS0_4arch9wavefront6targetE1EEEvT1_
    .private_segment_fixed_size: 0
    .sgpr_count:     4
    .sgpr_spill_count: 0
    .symbol:         _ZN7rocprim17ROCPRIM_400000_NS6detail17trampoline_kernelINS0_14default_configENS1_25transform_config_selectorIdLb0EEEZNS1_14transform_implILb0ES3_S5_NS0_18transform_iteratorINS0_17counting_iteratorImlEEZNS1_24adjacent_difference_implIS3_Lb1ELb0EPdSB_N6thrust23THRUST_200600_302600_NS4plusIdEEEE10hipError_tPvRmT2_T3_mT4_P12ihipStream_tbEUlmE_dEESB_NS0_8identityIvEEEESG_SJ_SK_mSL_SN_bEUlT_E_NS1_11comp_targetILNS1_3genE4ELNS1_11target_archE910ELNS1_3gpuE8ELNS1_3repE0EEENS1_30default_config_static_selectorELNS0_4arch9wavefront6targetE1EEEvT1_.kd
    .uniform_work_group_size: 1
    .uses_dynamic_stack: false
    .vgpr_count:     0
    .vgpr_spill_count: 0
    .wavefront_size: 64
  - .args:
      - .offset:         0
        .size:           56
        .value_kind:     by_value
    .group_segment_fixed_size: 0
    .kernarg_segment_align: 8
    .kernarg_segment_size: 56
    .language:       OpenCL C
    .language_version:
      - 2
      - 0
    .max_flat_workgroup_size: 128
    .name:           _ZN7rocprim17ROCPRIM_400000_NS6detail17trampoline_kernelINS0_14default_configENS1_25transform_config_selectorIdLb0EEEZNS1_14transform_implILb0ES3_S5_NS0_18transform_iteratorINS0_17counting_iteratorImlEEZNS1_24adjacent_difference_implIS3_Lb1ELb0EPdSB_N6thrust23THRUST_200600_302600_NS4plusIdEEEE10hipError_tPvRmT2_T3_mT4_P12ihipStream_tbEUlmE_dEESB_NS0_8identityIvEEEESG_SJ_SK_mSL_SN_bEUlT_E_NS1_11comp_targetILNS1_3genE3ELNS1_11target_archE908ELNS1_3gpuE7ELNS1_3repE0EEENS1_30default_config_static_selectorELNS0_4arch9wavefront6targetE1EEEvT1_
    .private_segment_fixed_size: 0
    .sgpr_count:     4
    .sgpr_spill_count: 0
    .symbol:         _ZN7rocprim17ROCPRIM_400000_NS6detail17trampoline_kernelINS0_14default_configENS1_25transform_config_selectorIdLb0EEEZNS1_14transform_implILb0ES3_S5_NS0_18transform_iteratorINS0_17counting_iteratorImlEEZNS1_24adjacent_difference_implIS3_Lb1ELb0EPdSB_N6thrust23THRUST_200600_302600_NS4plusIdEEEE10hipError_tPvRmT2_T3_mT4_P12ihipStream_tbEUlmE_dEESB_NS0_8identityIvEEEESG_SJ_SK_mSL_SN_bEUlT_E_NS1_11comp_targetILNS1_3genE3ELNS1_11target_archE908ELNS1_3gpuE7ELNS1_3repE0EEENS1_30default_config_static_selectorELNS0_4arch9wavefront6targetE1EEEvT1_.kd
    .uniform_work_group_size: 1
    .uses_dynamic_stack: false
    .vgpr_count:     0
    .vgpr_spill_count: 0
    .wavefront_size: 64
  - .args:
      - .offset:         0
        .size:           56
        .value_kind:     by_value
      - .offset:         56
        .size:           4
        .value_kind:     hidden_block_count_x
      - .offset:         60
        .size:           4
        .value_kind:     hidden_block_count_y
      - .offset:         64
        .size:           4
        .value_kind:     hidden_block_count_z
      - .offset:         68
        .size:           2
        .value_kind:     hidden_group_size_x
      - .offset:         70
        .size:           2
        .value_kind:     hidden_group_size_y
      - .offset:         72
        .size:           2
        .value_kind:     hidden_group_size_z
      - .offset:         74
        .size:           2
        .value_kind:     hidden_remainder_x
      - .offset:         76
        .size:           2
        .value_kind:     hidden_remainder_y
      - .offset:         78
        .size:           2
        .value_kind:     hidden_remainder_z
      - .offset:         96
        .size:           8
        .value_kind:     hidden_global_offset_x
      - .offset:         104
        .size:           8
        .value_kind:     hidden_global_offset_y
      - .offset:         112
        .size:           8
        .value_kind:     hidden_global_offset_z
      - .offset:         120
        .size:           2
        .value_kind:     hidden_grid_dims
    .group_segment_fixed_size: 0
    .kernarg_segment_align: 8
    .kernarg_segment_size: 312
    .language:       OpenCL C
    .language_version:
      - 2
      - 0
    .max_flat_workgroup_size: 1024
    .name:           _ZN7rocprim17ROCPRIM_400000_NS6detail17trampoline_kernelINS0_14default_configENS1_25transform_config_selectorIdLb0EEEZNS1_14transform_implILb0ES3_S5_NS0_18transform_iteratorINS0_17counting_iteratorImlEEZNS1_24adjacent_difference_implIS3_Lb1ELb0EPdSB_N6thrust23THRUST_200600_302600_NS4plusIdEEEE10hipError_tPvRmT2_T3_mT4_P12ihipStream_tbEUlmE_dEESB_NS0_8identityIvEEEESG_SJ_SK_mSL_SN_bEUlT_E_NS1_11comp_targetILNS1_3genE2ELNS1_11target_archE906ELNS1_3gpuE6ELNS1_3repE0EEENS1_30default_config_static_selectorELNS0_4arch9wavefront6targetE1EEEvT1_
    .private_segment_fixed_size: 0
    .sgpr_count:     16
    .sgpr_spill_count: 0
    .symbol:         _ZN7rocprim17ROCPRIM_400000_NS6detail17trampoline_kernelINS0_14default_configENS1_25transform_config_selectorIdLb0EEEZNS1_14transform_implILb0ES3_S5_NS0_18transform_iteratorINS0_17counting_iteratorImlEEZNS1_24adjacent_difference_implIS3_Lb1ELb0EPdSB_N6thrust23THRUST_200600_302600_NS4plusIdEEEE10hipError_tPvRmT2_T3_mT4_P12ihipStream_tbEUlmE_dEESB_NS0_8identityIvEEEESG_SJ_SK_mSL_SN_bEUlT_E_NS1_11comp_targetILNS1_3genE2ELNS1_11target_archE906ELNS1_3gpuE6ELNS1_3repE0EEENS1_30default_config_static_selectorELNS0_4arch9wavefront6targetE1EEEvT1_.kd
    .uniform_work_group_size: 1
    .uses_dynamic_stack: false
    .vgpr_count:     5
    .vgpr_spill_count: 0
    .wavefront_size: 64
  - .args:
      - .offset:         0
        .size:           56
        .value_kind:     by_value
    .group_segment_fixed_size: 0
    .kernarg_segment_align: 8
    .kernarg_segment_size: 56
    .language:       OpenCL C
    .language_version:
      - 2
      - 0
    .max_flat_workgroup_size: 64
    .name:           _ZN7rocprim17ROCPRIM_400000_NS6detail17trampoline_kernelINS0_14default_configENS1_25transform_config_selectorIdLb0EEEZNS1_14transform_implILb0ES3_S5_NS0_18transform_iteratorINS0_17counting_iteratorImlEEZNS1_24adjacent_difference_implIS3_Lb1ELb0EPdSB_N6thrust23THRUST_200600_302600_NS4plusIdEEEE10hipError_tPvRmT2_T3_mT4_P12ihipStream_tbEUlmE_dEESB_NS0_8identityIvEEEESG_SJ_SK_mSL_SN_bEUlT_E_NS1_11comp_targetILNS1_3genE10ELNS1_11target_archE1201ELNS1_3gpuE5ELNS1_3repE0EEENS1_30default_config_static_selectorELNS0_4arch9wavefront6targetE1EEEvT1_
    .private_segment_fixed_size: 0
    .sgpr_count:     4
    .sgpr_spill_count: 0
    .symbol:         _ZN7rocprim17ROCPRIM_400000_NS6detail17trampoline_kernelINS0_14default_configENS1_25transform_config_selectorIdLb0EEEZNS1_14transform_implILb0ES3_S5_NS0_18transform_iteratorINS0_17counting_iteratorImlEEZNS1_24adjacent_difference_implIS3_Lb1ELb0EPdSB_N6thrust23THRUST_200600_302600_NS4plusIdEEEE10hipError_tPvRmT2_T3_mT4_P12ihipStream_tbEUlmE_dEESB_NS0_8identityIvEEEESG_SJ_SK_mSL_SN_bEUlT_E_NS1_11comp_targetILNS1_3genE10ELNS1_11target_archE1201ELNS1_3gpuE5ELNS1_3repE0EEENS1_30default_config_static_selectorELNS0_4arch9wavefront6targetE1EEEvT1_.kd
    .uniform_work_group_size: 1
    .uses_dynamic_stack: false
    .vgpr_count:     0
    .vgpr_spill_count: 0
    .wavefront_size: 64
  - .args:
      - .offset:         0
        .size:           56
        .value_kind:     by_value
    .group_segment_fixed_size: 0
    .kernarg_segment_align: 8
    .kernarg_segment_size: 56
    .language:       OpenCL C
    .language_version:
      - 2
      - 0
    .max_flat_workgroup_size: 512
    .name:           _ZN7rocprim17ROCPRIM_400000_NS6detail17trampoline_kernelINS0_14default_configENS1_25transform_config_selectorIdLb0EEEZNS1_14transform_implILb0ES3_S5_NS0_18transform_iteratorINS0_17counting_iteratorImlEEZNS1_24adjacent_difference_implIS3_Lb1ELb0EPdSB_N6thrust23THRUST_200600_302600_NS4plusIdEEEE10hipError_tPvRmT2_T3_mT4_P12ihipStream_tbEUlmE_dEESB_NS0_8identityIvEEEESG_SJ_SK_mSL_SN_bEUlT_E_NS1_11comp_targetILNS1_3genE10ELNS1_11target_archE1200ELNS1_3gpuE4ELNS1_3repE0EEENS1_30default_config_static_selectorELNS0_4arch9wavefront6targetE1EEEvT1_
    .private_segment_fixed_size: 0
    .sgpr_count:     4
    .sgpr_spill_count: 0
    .symbol:         _ZN7rocprim17ROCPRIM_400000_NS6detail17trampoline_kernelINS0_14default_configENS1_25transform_config_selectorIdLb0EEEZNS1_14transform_implILb0ES3_S5_NS0_18transform_iteratorINS0_17counting_iteratorImlEEZNS1_24adjacent_difference_implIS3_Lb1ELb0EPdSB_N6thrust23THRUST_200600_302600_NS4plusIdEEEE10hipError_tPvRmT2_T3_mT4_P12ihipStream_tbEUlmE_dEESB_NS0_8identityIvEEEESG_SJ_SK_mSL_SN_bEUlT_E_NS1_11comp_targetILNS1_3genE10ELNS1_11target_archE1200ELNS1_3gpuE4ELNS1_3repE0EEENS1_30default_config_static_selectorELNS0_4arch9wavefront6targetE1EEEvT1_.kd
    .uniform_work_group_size: 1
    .uses_dynamic_stack: false
    .vgpr_count:     0
    .vgpr_spill_count: 0
    .wavefront_size: 64
  - .args:
      - .offset:         0
        .size:           56
        .value_kind:     by_value
    .group_segment_fixed_size: 0
    .kernarg_segment_align: 8
    .kernarg_segment_size: 56
    .language:       OpenCL C
    .language_version:
      - 2
      - 0
    .max_flat_workgroup_size: 512
    .name:           _ZN7rocprim17ROCPRIM_400000_NS6detail17trampoline_kernelINS0_14default_configENS1_25transform_config_selectorIdLb0EEEZNS1_14transform_implILb0ES3_S5_NS0_18transform_iteratorINS0_17counting_iteratorImlEEZNS1_24adjacent_difference_implIS3_Lb1ELb0EPdSB_N6thrust23THRUST_200600_302600_NS4plusIdEEEE10hipError_tPvRmT2_T3_mT4_P12ihipStream_tbEUlmE_dEESB_NS0_8identityIvEEEESG_SJ_SK_mSL_SN_bEUlT_E_NS1_11comp_targetILNS1_3genE9ELNS1_11target_archE1100ELNS1_3gpuE3ELNS1_3repE0EEENS1_30default_config_static_selectorELNS0_4arch9wavefront6targetE1EEEvT1_
    .private_segment_fixed_size: 0
    .sgpr_count:     4
    .sgpr_spill_count: 0
    .symbol:         _ZN7rocprim17ROCPRIM_400000_NS6detail17trampoline_kernelINS0_14default_configENS1_25transform_config_selectorIdLb0EEEZNS1_14transform_implILb0ES3_S5_NS0_18transform_iteratorINS0_17counting_iteratorImlEEZNS1_24adjacent_difference_implIS3_Lb1ELb0EPdSB_N6thrust23THRUST_200600_302600_NS4plusIdEEEE10hipError_tPvRmT2_T3_mT4_P12ihipStream_tbEUlmE_dEESB_NS0_8identityIvEEEESG_SJ_SK_mSL_SN_bEUlT_E_NS1_11comp_targetILNS1_3genE9ELNS1_11target_archE1100ELNS1_3gpuE3ELNS1_3repE0EEENS1_30default_config_static_selectorELNS0_4arch9wavefront6targetE1EEEvT1_.kd
    .uniform_work_group_size: 1
    .uses_dynamic_stack: false
    .vgpr_count:     0
    .vgpr_spill_count: 0
    .wavefront_size: 64
  - .args:
      - .offset:         0
        .size:           56
        .value_kind:     by_value
    .group_segment_fixed_size: 0
    .kernarg_segment_align: 8
    .kernarg_segment_size: 56
    .language:       OpenCL C
    .language_version:
      - 2
      - 0
    .max_flat_workgroup_size: 512
    .name:           _ZN7rocprim17ROCPRIM_400000_NS6detail17trampoline_kernelINS0_14default_configENS1_25transform_config_selectorIdLb0EEEZNS1_14transform_implILb0ES3_S5_NS0_18transform_iteratorINS0_17counting_iteratorImlEEZNS1_24adjacent_difference_implIS3_Lb1ELb0EPdSB_N6thrust23THRUST_200600_302600_NS4plusIdEEEE10hipError_tPvRmT2_T3_mT4_P12ihipStream_tbEUlmE_dEESB_NS0_8identityIvEEEESG_SJ_SK_mSL_SN_bEUlT_E_NS1_11comp_targetILNS1_3genE8ELNS1_11target_archE1030ELNS1_3gpuE2ELNS1_3repE0EEENS1_30default_config_static_selectorELNS0_4arch9wavefront6targetE1EEEvT1_
    .private_segment_fixed_size: 0
    .sgpr_count:     4
    .sgpr_spill_count: 0
    .symbol:         _ZN7rocprim17ROCPRIM_400000_NS6detail17trampoline_kernelINS0_14default_configENS1_25transform_config_selectorIdLb0EEEZNS1_14transform_implILb0ES3_S5_NS0_18transform_iteratorINS0_17counting_iteratorImlEEZNS1_24adjacent_difference_implIS3_Lb1ELb0EPdSB_N6thrust23THRUST_200600_302600_NS4plusIdEEEE10hipError_tPvRmT2_T3_mT4_P12ihipStream_tbEUlmE_dEESB_NS0_8identityIvEEEESG_SJ_SK_mSL_SN_bEUlT_E_NS1_11comp_targetILNS1_3genE8ELNS1_11target_archE1030ELNS1_3gpuE2ELNS1_3repE0EEENS1_30default_config_static_selectorELNS0_4arch9wavefront6targetE1EEEvT1_.kd
    .uniform_work_group_size: 1
    .uses_dynamic_stack: false
    .vgpr_count:     0
    .vgpr_spill_count: 0
    .wavefront_size: 64
  - .args:
      - .offset:         0
        .size:           56
        .value_kind:     by_value
    .group_segment_fixed_size: 0
    .kernarg_segment_align: 8
    .kernarg_segment_size: 56
    .language:       OpenCL C
    .language_version:
      - 2
      - 0
    .max_flat_workgroup_size: 512
    .name:           _ZN7rocprim17ROCPRIM_400000_NS6detail17trampoline_kernelINS0_14default_configENS1_35adjacent_difference_config_selectorILb1EdEEZNS1_24adjacent_difference_implIS3_Lb1ELb0EPdS7_N6thrust23THRUST_200600_302600_NS4plusIdEEEE10hipError_tPvRmT2_T3_mT4_P12ihipStream_tbEUlT_E_NS1_11comp_targetILNS1_3genE0ELNS1_11target_archE4294967295ELNS1_3gpuE0ELNS1_3repE0EEENS1_30default_config_static_selectorELNS0_4arch9wavefront6targetE1EEEvT1_
    .private_segment_fixed_size: 0
    .sgpr_count:     4
    .sgpr_spill_count: 0
    .symbol:         _ZN7rocprim17ROCPRIM_400000_NS6detail17trampoline_kernelINS0_14default_configENS1_35adjacent_difference_config_selectorILb1EdEEZNS1_24adjacent_difference_implIS3_Lb1ELb0EPdS7_N6thrust23THRUST_200600_302600_NS4plusIdEEEE10hipError_tPvRmT2_T3_mT4_P12ihipStream_tbEUlT_E_NS1_11comp_targetILNS1_3genE0ELNS1_11target_archE4294967295ELNS1_3gpuE0ELNS1_3repE0EEENS1_30default_config_static_selectorELNS0_4arch9wavefront6targetE1EEEvT1_.kd
    .uniform_work_group_size: 1
    .uses_dynamic_stack: false
    .vgpr_count:     0
    .vgpr_spill_count: 0
    .wavefront_size: 64
  - .args:
      - .offset:         0
        .size:           56
        .value_kind:     by_value
    .group_segment_fixed_size: 0
    .kernarg_segment_align: 8
    .kernarg_segment_size: 56
    .language:       OpenCL C
    .language_version:
      - 2
      - 0
    .max_flat_workgroup_size: 256
    .name:           _ZN7rocprim17ROCPRIM_400000_NS6detail17trampoline_kernelINS0_14default_configENS1_35adjacent_difference_config_selectorILb1EdEEZNS1_24adjacent_difference_implIS3_Lb1ELb0EPdS7_N6thrust23THRUST_200600_302600_NS4plusIdEEEE10hipError_tPvRmT2_T3_mT4_P12ihipStream_tbEUlT_E_NS1_11comp_targetILNS1_3genE10ELNS1_11target_archE1201ELNS1_3gpuE5ELNS1_3repE0EEENS1_30default_config_static_selectorELNS0_4arch9wavefront6targetE1EEEvT1_
    .private_segment_fixed_size: 0
    .sgpr_count:     4
    .sgpr_spill_count: 0
    .symbol:         _ZN7rocprim17ROCPRIM_400000_NS6detail17trampoline_kernelINS0_14default_configENS1_35adjacent_difference_config_selectorILb1EdEEZNS1_24adjacent_difference_implIS3_Lb1ELb0EPdS7_N6thrust23THRUST_200600_302600_NS4plusIdEEEE10hipError_tPvRmT2_T3_mT4_P12ihipStream_tbEUlT_E_NS1_11comp_targetILNS1_3genE10ELNS1_11target_archE1201ELNS1_3gpuE5ELNS1_3repE0EEENS1_30default_config_static_selectorELNS0_4arch9wavefront6targetE1EEEvT1_.kd
    .uniform_work_group_size: 1
    .uses_dynamic_stack: false
    .vgpr_count:     0
    .vgpr_spill_count: 0
    .wavefront_size: 64
  - .args:
      - .offset:         0
        .size:           56
        .value_kind:     by_value
    .group_segment_fixed_size: 0
    .kernarg_segment_align: 8
    .kernarg_segment_size: 56
    .language:       OpenCL C
    .language_version:
      - 2
      - 0
    .max_flat_workgroup_size: 128
    .name:           _ZN7rocprim17ROCPRIM_400000_NS6detail17trampoline_kernelINS0_14default_configENS1_35adjacent_difference_config_selectorILb1EdEEZNS1_24adjacent_difference_implIS3_Lb1ELb0EPdS7_N6thrust23THRUST_200600_302600_NS4plusIdEEEE10hipError_tPvRmT2_T3_mT4_P12ihipStream_tbEUlT_E_NS1_11comp_targetILNS1_3genE5ELNS1_11target_archE942ELNS1_3gpuE9ELNS1_3repE0EEENS1_30default_config_static_selectorELNS0_4arch9wavefront6targetE1EEEvT1_
    .private_segment_fixed_size: 0
    .sgpr_count:     4
    .sgpr_spill_count: 0
    .symbol:         _ZN7rocprim17ROCPRIM_400000_NS6detail17trampoline_kernelINS0_14default_configENS1_35adjacent_difference_config_selectorILb1EdEEZNS1_24adjacent_difference_implIS3_Lb1ELb0EPdS7_N6thrust23THRUST_200600_302600_NS4plusIdEEEE10hipError_tPvRmT2_T3_mT4_P12ihipStream_tbEUlT_E_NS1_11comp_targetILNS1_3genE5ELNS1_11target_archE942ELNS1_3gpuE9ELNS1_3repE0EEENS1_30default_config_static_selectorELNS0_4arch9wavefront6targetE1EEEvT1_.kd
    .uniform_work_group_size: 1
    .uses_dynamic_stack: false
    .vgpr_count:     0
    .vgpr_spill_count: 0
    .wavefront_size: 64
  - .args:
      - .offset:         0
        .size:           56
        .value_kind:     by_value
    .group_segment_fixed_size: 0
    .kernarg_segment_align: 8
    .kernarg_segment_size: 56
    .language:       OpenCL C
    .language_version:
      - 2
      - 0
    .max_flat_workgroup_size: 512
    .name:           _ZN7rocprim17ROCPRIM_400000_NS6detail17trampoline_kernelINS0_14default_configENS1_35adjacent_difference_config_selectorILb1EdEEZNS1_24adjacent_difference_implIS3_Lb1ELb0EPdS7_N6thrust23THRUST_200600_302600_NS4plusIdEEEE10hipError_tPvRmT2_T3_mT4_P12ihipStream_tbEUlT_E_NS1_11comp_targetILNS1_3genE4ELNS1_11target_archE910ELNS1_3gpuE8ELNS1_3repE0EEENS1_30default_config_static_selectorELNS0_4arch9wavefront6targetE1EEEvT1_
    .private_segment_fixed_size: 0
    .sgpr_count:     4
    .sgpr_spill_count: 0
    .symbol:         _ZN7rocprim17ROCPRIM_400000_NS6detail17trampoline_kernelINS0_14default_configENS1_35adjacent_difference_config_selectorILb1EdEEZNS1_24adjacent_difference_implIS3_Lb1ELb0EPdS7_N6thrust23THRUST_200600_302600_NS4plusIdEEEE10hipError_tPvRmT2_T3_mT4_P12ihipStream_tbEUlT_E_NS1_11comp_targetILNS1_3genE4ELNS1_11target_archE910ELNS1_3gpuE8ELNS1_3repE0EEENS1_30default_config_static_selectorELNS0_4arch9wavefront6targetE1EEEvT1_.kd
    .uniform_work_group_size: 1
    .uses_dynamic_stack: false
    .vgpr_count:     0
    .vgpr_spill_count: 0
    .wavefront_size: 64
  - .args:
      - .offset:         0
        .size:           56
        .value_kind:     by_value
    .group_segment_fixed_size: 0
    .kernarg_segment_align: 8
    .kernarg_segment_size: 56
    .language:       OpenCL C
    .language_version:
      - 2
      - 0
    .max_flat_workgroup_size: 512
    .name:           _ZN7rocprim17ROCPRIM_400000_NS6detail17trampoline_kernelINS0_14default_configENS1_35adjacent_difference_config_selectorILb1EdEEZNS1_24adjacent_difference_implIS3_Lb1ELb0EPdS7_N6thrust23THRUST_200600_302600_NS4plusIdEEEE10hipError_tPvRmT2_T3_mT4_P12ihipStream_tbEUlT_E_NS1_11comp_targetILNS1_3genE3ELNS1_11target_archE908ELNS1_3gpuE7ELNS1_3repE0EEENS1_30default_config_static_selectorELNS0_4arch9wavefront6targetE1EEEvT1_
    .private_segment_fixed_size: 0
    .sgpr_count:     4
    .sgpr_spill_count: 0
    .symbol:         _ZN7rocprim17ROCPRIM_400000_NS6detail17trampoline_kernelINS0_14default_configENS1_35adjacent_difference_config_selectorILb1EdEEZNS1_24adjacent_difference_implIS3_Lb1ELb0EPdS7_N6thrust23THRUST_200600_302600_NS4plusIdEEEE10hipError_tPvRmT2_T3_mT4_P12ihipStream_tbEUlT_E_NS1_11comp_targetILNS1_3genE3ELNS1_11target_archE908ELNS1_3gpuE7ELNS1_3repE0EEENS1_30default_config_static_selectorELNS0_4arch9wavefront6targetE1EEEvT1_.kd
    .uniform_work_group_size: 1
    .uses_dynamic_stack: false
    .vgpr_count:     0
    .vgpr_spill_count: 0
    .wavefront_size: 64
  - .args:
      - .offset:         0
        .size:           56
        .value_kind:     by_value
    .group_segment_fixed_size: 11264
    .kernarg_segment_align: 8
    .kernarg_segment_size: 56
    .language:       OpenCL C
    .language_version:
      - 2
      - 0
    .max_flat_workgroup_size: 128
    .name:           _ZN7rocprim17ROCPRIM_400000_NS6detail17trampoline_kernelINS0_14default_configENS1_35adjacent_difference_config_selectorILb1EdEEZNS1_24adjacent_difference_implIS3_Lb1ELb0EPdS7_N6thrust23THRUST_200600_302600_NS4plusIdEEEE10hipError_tPvRmT2_T3_mT4_P12ihipStream_tbEUlT_E_NS1_11comp_targetILNS1_3genE2ELNS1_11target_archE906ELNS1_3gpuE6ELNS1_3repE0EEENS1_30default_config_static_selectorELNS0_4arch9wavefront6targetE1EEEvT1_
    .private_segment_fixed_size: 0
    .sgpr_count:     33
    .sgpr_spill_count: 0
    .symbol:         _ZN7rocprim17ROCPRIM_400000_NS6detail17trampoline_kernelINS0_14default_configENS1_35adjacent_difference_config_selectorILb1EdEEZNS1_24adjacent_difference_implIS3_Lb1ELb0EPdS7_N6thrust23THRUST_200600_302600_NS4plusIdEEEE10hipError_tPvRmT2_T3_mT4_P12ihipStream_tbEUlT_E_NS1_11comp_targetILNS1_3genE2ELNS1_11target_archE906ELNS1_3gpuE6ELNS1_3repE0EEENS1_30default_config_static_selectorELNS0_4arch9wavefront6targetE1EEEvT1_.kd
    .uniform_work_group_size: 1
    .uses_dynamic_stack: false
    .vgpr_count:     50
    .vgpr_spill_count: 0
    .wavefront_size: 64
  - .args:
      - .offset:         0
        .size:           56
        .value_kind:     by_value
    .group_segment_fixed_size: 0
    .kernarg_segment_align: 8
    .kernarg_segment_size: 56
    .language:       OpenCL C
    .language_version:
      - 2
      - 0
    .max_flat_workgroup_size: 128
    .name:           _ZN7rocprim17ROCPRIM_400000_NS6detail17trampoline_kernelINS0_14default_configENS1_35adjacent_difference_config_selectorILb1EdEEZNS1_24adjacent_difference_implIS3_Lb1ELb0EPdS7_N6thrust23THRUST_200600_302600_NS4plusIdEEEE10hipError_tPvRmT2_T3_mT4_P12ihipStream_tbEUlT_E_NS1_11comp_targetILNS1_3genE9ELNS1_11target_archE1100ELNS1_3gpuE3ELNS1_3repE0EEENS1_30default_config_static_selectorELNS0_4arch9wavefront6targetE1EEEvT1_
    .private_segment_fixed_size: 0
    .sgpr_count:     4
    .sgpr_spill_count: 0
    .symbol:         _ZN7rocprim17ROCPRIM_400000_NS6detail17trampoline_kernelINS0_14default_configENS1_35adjacent_difference_config_selectorILb1EdEEZNS1_24adjacent_difference_implIS3_Lb1ELb0EPdS7_N6thrust23THRUST_200600_302600_NS4plusIdEEEE10hipError_tPvRmT2_T3_mT4_P12ihipStream_tbEUlT_E_NS1_11comp_targetILNS1_3genE9ELNS1_11target_archE1100ELNS1_3gpuE3ELNS1_3repE0EEENS1_30default_config_static_selectorELNS0_4arch9wavefront6targetE1EEEvT1_.kd
    .uniform_work_group_size: 1
    .uses_dynamic_stack: false
    .vgpr_count:     0
    .vgpr_spill_count: 0
    .wavefront_size: 64
  - .args:
      - .offset:         0
        .size:           56
        .value_kind:     by_value
    .group_segment_fixed_size: 0
    .kernarg_segment_align: 8
    .kernarg_segment_size: 56
    .language:       OpenCL C
    .language_version:
      - 2
      - 0
    .max_flat_workgroup_size: 32
    .name:           _ZN7rocprim17ROCPRIM_400000_NS6detail17trampoline_kernelINS0_14default_configENS1_35adjacent_difference_config_selectorILb1EdEEZNS1_24adjacent_difference_implIS3_Lb1ELb0EPdS7_N6thrust23THRUST_200600_302600_NS4plusIdEEEE10hipError_tPvRmT2_T3_mT4_P12ihipStream_tbEUlT_E_NS1_11comp_targetILNS1_3genE8ELNS1_11target_archE1030ELNS1_3gpuE2ELNS1_3repE0EEENS1_30default_config_static_selectorELNS0_4arch9wavefront6targetE1EEEvT1_
    .private_segment_fixed_size: 0
    .sgpr_count:     4
    .sgpr_spill_count: 0
    .symbol:         _ZN7rocprim17ROCPRIM_400000_NS6detail17trampoline_kernelINS0_14default_configENS1_35adjacent_difference_config_selectorILb1EdEEZNS1_24adjacent_difference_implIS3_Lb1ELb0EPdS7_N6thrust23THRUST_200600_302600_NS4plusIdEEEE10hipError_tPvRmT2_T3_mT4_P12ihipStream_tbEUlT_E_NS1_11comp_targetILNS1_3genE8ELNS1_11target_archE1030ELNS1_3gpuE2ELNS1_3repE0EEENS1_30default_config_static_selectorELNS0_4arch9wavefront6targetE1EEEvT1_.kd
    .uniform_work_group_size: 1
    .uses_dynamic_stack: false
    .vgpr_count:     0
    .vgpr_spill_count: 0
    .wavefront_size: 64
  - .args:
      - .offset:         0
        .size:           16
        .value_kind:     by_value
      - .offset:         16
        .size:           8
        .value_kind:     by_value
      - .offset:         24
        .size:           8
        .value_kind:     by_value
    .group_segment_fixed_size: 0
    .kernarg_segment_align: 8
    .kernarg_segment_size: 32
    .language:       OpenCL C
    .language_version:
      - 2
      - 0
    .max_flat_workgroup_size: 256
    .name:           _ZN6thrust23THRUST_200600_302600_NS11hip_rocprim14__parallel_for6kernelILj256ENS1_20__uninitialized_fill7functorINS0_10device_ptrIfEEfEEmLj1EEEvT0_T1_SA_
    .private_segment_fixed_size: 0
    .sgpr_count:     20
    .sgpr_spill_count: 0
    .symbol:         _ZN6thrust23THRUST_200600_302600_NS11hip_rocprim14__parallel_for6kernelILj256ENS1_20__uninitialized_fill7functorINS0_10device_ptrIfEEfEEmLj1EEEvT0_T1_SA_.kd
    .uniform_work_group_size: 1
    .uses_dynamic_stack: false
    .vgpr_count:     4
    .vgpr_spill_count: 0
    .wavefront_size: 64
  - .args:
      - .offset:         0
        .size:           56
        .value_kind:     by_value
    .group_segment_fixed_size: 0
    .kernarg_segment_align: 8
    .kernarg_segment_size: 56
    .language:       OpenCL C
    .language_version:
      - 2
      - 0
    .max_flat_workgroup_size: 128
    .name:           _ZN7rocprim17ROCPRIM_400000_NS6detail17trampoline_kernelINS0_14default_configENS1_35adjacent_difference_config_selectorILb0EfEEZNS1_24adjacent_difference_implIS3_Lb0ELb0EPfS7_N6thrust23THRUST_200600_302600_NS5minusIfEEEE10hipError_tPvRmT2_T3_mT4_P12ihipStream_tbEUlT_E_NS1_11comp_targetILNS1_3genE0ELNS1_11target_archE4294967295ELNS1_3gpuE0ELNS1_3repE0EEENS1_30default_config_static_selectorELNS0_4arch9wavefront6targetE1EEEvT1_
    .private_segment_fixed_size: 0
    .sgpr_count:     4
    .sgpr_spill_count: 0
    .symbol:         _ZN7rocprim17ROCPRIM_400000_NS6detail17trampoline_kernelINS0_14default_configENS1_35adjacent_difference_config_selectorILb0EfEEZNS1_24adjacent_difference_implIS3_Lb0ELb0EPfS7_N6thrust23THRUST_200600_302600_NS5minusIfEEEE10hipError_tPvRmT2_T3_mT4_P12ihipStream_tbEUlT_E_NS1_11comp_targetILNS1_3genE0ELNS1_11target_archE4294967295ELNS1_3gpuE0ELNS1_3repE0EEENS1_30default_config_static_selectorELNS0_4arch9wavefront6targetE1EEEvT1_.kd
    .uniform_work_group_size: 1
    .uses_dynamic_stack: false
    .vgpr_count:     0
    .vgpr_spill_count: 0
    .wavefront_size: 64
  - .args:
      - .offset:         0
        .size:           56
        .value_kind:     by_value
    .group_segment_fixed_size: 0
    .kernarg_segment_align: 8
    .kernarg_segment_size: 56
    .language:       OpenCL C
    .language_version:
      - 2
      - 0
    .max_flat_workgroup_size: 1024
    .name:           _ZN7rocprim17ROCPRIM_400000_NS6detail17trampoline_kernelINS0_14default_configENS1_35adjacent_difference_config_selectorILb0EfEEZNS1_24adjacent_difference_implIS3_Lb0ELb0EPfS7_N6thrust23THRUST_200600_302600_NS5minusIfEEEE10hipError_tPvRmT2_T3_mT4_P12ihipStream_tbEUlT_E_NS1_11comp_targetILNS1_3genE10ELNS1_11target_archE1201ELNS1_3gpuE5ELNS1_3repE0EEENS1_30default_config_static_selectorELNS0_4arch9wavefront6targetE1EEEvT1_
    .private_segment_fixed_size: 0
    .sgpr_count:     4
    .sgpr_spill_count: 0
    .symbol:         _ZN7rocprim17ROCPRIM_400000_NS6detail17trampoline_kernelINS0_14default_configENS1_35adjacent_difference_config_selectorILb0EfEEZNS1_24adjacent_difference_implIS3_Lb0ELb0EPfS7_N6thrust23THRUST_200600_302600_NS5minusIfEEEE10hipError_tPvRmT2_T3_mT4_P12ihipStream_tbEUlT_E_NS1_11comp_targetILNS1_3genE10ELNS1_11target_archE1201ELNS1_3gpuE5ELNS1_3repE0EEENS1_30default_config_static_selectorELNS0_4arch9wavefront6targetE1EEEvT1_.kd
    .uniform_work_group_size: 1
    .uses_dynamic_stack: false
    .vgpr_count:     0
    .vgpr_spill_count: 0
    .wavefront_size: 64
  - .args:
      - .offset:         0
        .size:           56
        .value_kind:     by_value
    .group_segment_fixed_size: 0
    .kernarg_segment_align: 8
    .kernarg_segment_size: 56
    .language:       OpenCL C
    .language_version:
      - 2
      - 0
    .max_flat_workgroup_size: 64
    .name:           _ZN7rocprim17ROCPRIM_400000_NS6detail17trampoline_kernelINS0_14default_configENS1_35adjacent_difference_config_selectorILb0EfEEZNS1_24adjacent_difference_implIS3_Lb0ELb0EPfS7_N6thrust23THRUST_200600_302600_NS5minusIfEEEE10hipError_tPvRmT2_T3_mT4_P12ihipStream_tbEUlT_E_NS1_11comp_targetILNS1_3genE5ELNS1_11target_archE942ELNS1_3gpuE9ELNS1_3repE0EEENS1_30default_config_static_selectorELNS0_4arch9wavefront6targetE1EEEvT1_
    .private_segment_fixed_size: 0
    .sgpr_count:     4
    .sgpr_spill_count: 0
    .symbol:         _ZN7rocprim17ROCPRIM_400000_NS6detail17trampoline_kernelINS0_14default_configENS1_35adjacent_difference_config_selectorILb0EfEEZNS1_24adjacent_difference_implIS3_Lb0ELb0EPfS7_N6thrust23THRUST_200600_302600_NS5minusIfEEEE10hipError_tPvRmT2_T3_mT4_P12ihipStream_tbEUlT_E_NS1_11comp_targetILNS1_3genE5ELNS1_11target_archE942ELNS1_3gpuE9ELNS1_3repE0EEENS1_30default_config_static_selectorELNS0_4arch9wavefront6targetE1EEEvT1_.kd
    .uniform_work_group_size: 1
    .uses_dynamic_stack: false
    .vgpr_count:     0
    .vgpr_spill_count: 0
    .wavefront_size: 64
  - .args:
      - .offset:         0
        .size:           56
        .value_kind:     by_value
    .group_segment_fixed_size: 0
    .kernarg_segment_align: 8
    .kernarg_segment_size: 56
    .language:       OpenCL C
    .language_version:
      - 2
      - 0
    .max_flat_workgroup_size: 512
    .name:           _ZN7rocprim17ROCPRIM_400000_NS6detail17trampoline_kernelINS0_14default_configENS1_35adjacent_difference_config_selectorILb0EfEEZNS1_24adjacent_difference_implIS3_Lb0ELb0EPfS7_N6thrust23THRUST_200600_302600_NS5minusIfEEEE10hipError_tPvRmT2_T3_mT4_P12ihipStream_tbEUlT_E_NS1_11comp_targetILNS1_3genE4ELNS1_11target_archE910ELNS1_3gpuE8ELNS1_3repE0EEENS1_30default_config_static_selectorELNS0_4arch9wavefront6targetE1EEEvT1_
    .private_segment_fixed_size: 0
    .sgpr_count:     4
    .sgpr_spill_count: 0
    .symbol:         _ZN7rocprim17ROCPRIM_400000_NS6detail17trampoline_kernelINS0_14default_configENS1_35adjacent_difference_config_selectorILb0EfEEZNS1_24adjacent_difference_implIS3_Lb0ELb0EPfS7_N6thrust23THRUST_200600_302600_NS5minusIfEEEE10hipError_tPvRmT2_T3_mT4_P12ihipStream_tbEUlT_E_NS1_11comp_targetILNS1_3genE4ELNS1_11target_archE910ELNS1_3gpuE8ELNS1_3repE0EEENS1_30default_config_static_selectorELNS0_4arch9wavefront6targetE1EEEvT1_.kd
    .uniform_work_group_size: 1
    .uses_dynamic_stack: false
    .vgpr_count:     0
    .vgpr_spill_count: 0
    .wavefront_size: 64
  - .args:
      - .offset:         0
        .size:           56
        .value_kind:     by_value
    .group_segment_fixed_size: 0
    .kernarg_segment_align: 8
    .kernarg_segment_size: 56
    .language:       OpenCL C
    .language_version:
      - 2
      - 0
    .max_flat_workgroup_size: 128
    .name:           _ZN7rocprim17ROCPRIM_400000_NS6detail17trampoline_kernelINS0_14default_configENS1_35adjacent_difference_config_selectorILb0EfEEZNS1_24adjacent_difference_implIS3_Lb0ELb0EPfS7_N6thrust23THRUST_200600_302600_NS5minusIfEEEE10hipError_tPvRmT2_T3_mT4_P12ihipStream_tbEUlT_E_NS1_11comp_targetILNS1_3genE3ELNS1_11target_archE908ELNS1_3gpuE7ELNS1_3repE0EEENS1_30default_config_static_selectorELNS0_4arch9wavefront6targetE1EEEvT1_
    .private_segment_fixed_size: 0
    .sgpr_count:     4
    .sgpr_spill_count: 0
    .symbol:         _ZN7rocprim17ROCPRIM_400000_NS6detail17trampoline_kernelINS0_14default_configENS1_35adjacent_difference_config_selectorILb0EfEEZNS1_24adjacent_difference_implIS3_Lb0ELb0EPfS7_N6thrust23THRUST_200600_302600_NS5minusIfEEEE10hipError_tPvRmT2_T3_mT4_P12ihipStream_tbEUlT_E_NS1_11comp_targetILNS1_3genE3ELNS1_11target_archE908ELNS1_3gpuE7ELNS1_3repE0EEENS1_30default_config_static_selectorELNS0_4arch9wavefront6targetE1EEEvT1_.kd
    .uniform_work_group_size: 1
    .uses_dynamic_stack: false
    .vgpr_count:     0
    .vgpr_spill_count: 0
    .wavefront_size: 64
  - .args:
      - .offset:         0
        .size:           56
        .value_kind:     by_value
    .group_segment_fixed_size: 20480
    .kernarg_segment_align: 8
    .kernarg_segment_size: 56
    .language:       OpenCL C
    .language_version:
      - 2
      - 0
    .max_flat_workgroup_size: 1024
    .name:           _ZN7rocprim17ROCPRIM_400000_NS6detail17trampoline_kernelINS0_14default_configENS1_35adjacent_difference_config_selectorILb0EfEEZNS1_24adjacent_difference_implIS3_Lb0ELb0EPfS7_N6thrust23THRUST_200600_302600_NS5minusIfEEEE10hipError_tPvRmT2_T3_mT4_P12ihipStream_tbEUlT_E_NS1_11comp_targetILNS1_3genE2ELNS1_11target_archE906ELNS1_3gpuE6ELNS1_3repE0EEENS1_30default_config_static_selectorELNS0_4arch9wavefront6targetE1EEEvT1_
    .private_segment_fixed_size: 0
    .sgpr_count:     27
    .sgpr_spill_count: 0
    .symbol:         _ZN7rocprim17ROCPRIM_400000_NS6detail17trampoline_kernelINS0_14default_configENS1_35adjacent_difference_config_selectorILb0EfEEZNS1_24adjacent_difference_implIS3_Lb0ELb0EPfS7_N6thrust23THRUST_200600_302600_NS5minusIfEEEE10hipError_tPvRmT2_T3_mT4_P12ihipStream_tbEUlT_E_NS1_11comp_targetILNS1_3genE2ELNS1_11target_archE906ELNS1_3gpuE6ELNS1_3repE0EEENS1_30default_config_static_selectorELNS0_4arch9wavefront6targetE1EEEvT1_.kd
    .uniform_work_group_size: 1
    .uses_dynamic_stack: false
    .vgpr_count:     17
    .vgpr_spill_count: 0
    .wavefront_size: 64
  - .args:
      - .offset:         0
        .size:           56
        .value_kind:     by_value
    .group_segment_fixed_size: 0
    .kernarg_segment_align: 8
    .kernarg_segment_size: 56
    .language:       OpenCL C
    .language_version:
      - 2
      - 0
    .max_flat_workgroup_size: 1024
    .name:           _ZN7rocprim17ROCPRIM_400000_NS6detail17trampoline_kernelINS0_14default_configENS1_35adjacent_difference_config_selectorILb0EfEEZNS1_24adjacent_difference_implIS3_Lb0ELb0EPfS7_N6thrust23THRUST_200600_302600_NS5minusIfEEEE10hipError_tPvRmT2_T3_mT4_P12ihipStream_tbEUlT_E_NS1_11comp_targetILNS1_3genE9ELNS1_11target_archE1100ELNS1_3gpuE3ELNS1_3repE0EEENS1_30default_config_static_selectorELNS0_4arch9wavefront6targetE1EEEvT1_
    .private_segment_fixed_size: 0
    .sgpr_count:     4
    .sgpr_spill_count: 0
    .symbol:         _ZN7rocprim17ROCPRIM_400000_NS6detail17trampoline_kernelINS0_14default_configENS1_35adjacent_difference_config_selectorILb0EfEEZNS1_24adjacent_difference_implIS3_Lb0ELb0EPfS7_N6thrust23THRUST_200600_302600_NS5minusIfEEEE10hipError_tPvRmT2_T3_mT4_P12ihipStream_tbEUlT_E_NS1_11comp_targetILNS1_3genE9ELNS1_11target_archE1100ELNS1_3gpuE3ELNS1_3repE0EEENS1_30default_config_static_selectorELNS0_4arch9wavefront6targetE1EEEvT1_.kd
    .uniform_work_group_size: 1
    .uses_dynamic_stack: false
    .vgpr_count:     0
    .vgpr_spill_count: 0
    .wavefront_size: 64
  - .args:
      - .offset:         0
        .size:           56
        .value_kind:     by_value
    .group_segment_fixed_size: 0
    .kernarg_segment_align: 8
    .kernarg_segment_size: 56
    .language:       OpenCL C
    .language_version:
      - 2
      - 0
    .max_flat_workgroup_size: 1024
    .name:           _ZN7rocprim17ROCPRIM_400000_NS6detail17trampoline_kernelINS0_14default_configENS1_35adjacent_difference_config_selectorILb0EfEEZNS1_24adjacent_difference_implIS3_Lb0ELb0EPfS7_N6thrust23THRUST_200600_302600_NS5minusIfEEEE10hipError_tPvRmT2_T3_mT4_P12ihipStream_tbEUlT_E_NS1_11comp_targetILNS1_3genE8ELNS1_11target_archE1030ELNS1_3gpuE2ELNS1_3repE0EEENS1_30default_config_static_selectorELNS0_4arch9wavefront6targetE1EEEvT1_
    .private_segment_fixed_size: 0
    .sgpr_count:     4
    .sgpr_spill_count: 0
    .symbol:         _ZN7rocprim17ROCPRIM_400000_NS6detail17trampoline_kernelINS0_14default_configENS1_35adjacent_difference_config_selectorILb0EfEEZNS1_24adjacent_difference_implIS3_Lb0ELb0EPfS7_N6thrust23THRUST_200600_302600_NS5minusIfEEEE10hipError_tPvRmT2_T3_mT4_P12ihipStream_tbEUlT_E_NS1_11comp_targetILNS1_3genE8ELNS1_11target_archE1030ELNS1_3gpuE2ELNS1_3repE0EEENS1_30default_config_static_selectorELNS0_4arch9wavefront6targetE1EEEvT1_.kd
    .uniform_work_group_size: 1
    .uses_dynamic_stack: false
    .vgpr_count:     0
    .vgpr_spill_count: 0
    .wavefront_size: 64
  - .args:
      - .offset:         0
        .size:           56
        .value_kind:     by_value
    .group_segment_fixed_size: 0
    .kernarg_segment_align: 8
    .kernarg_segment_size: 56
    .language:       OpenCL C
    .language_version:
      - 2
      - 0
    .max_flat_workgroup_size: 128
    .name:           _ZN7rocprim17ROCPRIM_400000_NS6detail17trampoline_kernelINS0_14default_configENS1_25transform_config_selectorIfLb0EEEZNS1_14transform_implILb0ES3_S5_NS0_18transform_iteratorINS0_17counting_iteratorImlEEZNS1_24adjacent_difference_implIS3_Lb1ELb0EPfSB_N6thrust23THRUST_200600_302600_NS5minusIfEEEE10hipError_tPvRmT2_T3_mT4_P12ihipStream_tbEUlmE_fEESB_NS0_8identityIvEEEESG_SJ_SK_mSL_SN_bEUlT_E_NS1_11comp_targetILNS1_3genE0ELNS1_11target_archE4294967295ELNS1_3gpuE0ELNS1_3repE0EEENS1_30default_config_static_selectorELNS0_4arch9wavefront6targetE1EEEvT1_
    .private_segment_fixed_size: 0
    .sgpr_count:     4
    .sgpr_spill_count: 0
    .symbol:         _ZN7rocprim17ROCPRIM_400000_NS6detail17trampoline_kernelINS0_14default_configENS1_25transform_config_selectorIfLb0EEEZNS1_14transform_implILb0ES3_S5_NS0_18transform_iteratorINS0_17counting_iteratorImlEEZNS1_24adjacent_difference_implIS3_Lb1ELb0EPfSB_N6thrust23THRUST_200600_302600_NS5minusIfEEEE10hipError_tPvRmT2_T3_mT4_P12ihipStream_tbEUlmE_fEESB_NS0_8identityIvEEEESG_SJ_SK_mSL_SN_bEUlT_E_NS1_11comp_targetILNS1_3genE0ELNS1_11target_archE4294967295ELNS1_3gpuE0ELNS1_3repE0EEENS1_30default_config_static_selectorELNS0_4arch9wavefront6targetE1EEEvT1_.kd
    .uniform_work_group_size: 1
    .uses_dynamic_stack: false
    .vgpr_count:     0
    .vgpr_spill_count: 0
    .wavefront_size: 64
  - .args:
      - .offset:         0
        .size:           56
        .value_kind:     by_value
    .group_segment_fixed_size: 0
    .kernarg_segment_align: 8
    .kernarg_segment_size: 56
    .language:       OpenCL C
    .language_version:
      - 2
      - 0
    .max_flat_workgroup_size: 256
    .name:           _ZN7rocprim17ROCPRIM_400000_NS6detail17trampoline_kernelINS0_14default_configENS1_25transform_config_selectorIfLb0EEEZNS1_14transform_implILb0ES3_S5_NS0_18transform_iteratorINS0_17counting_iteratorImlEEZNS1_24adjacent_difference_implIS3_Lb1ELb0EPfSB_N6thrust23THRUST_200600_302600_NS5minusIfEEEE10hipError_tPvRmT2_T3_mT4_P12ihipStream_tbEUlmE_fEESB_NS0_8identityIvEEEESG_SJ_SK_mSL_SN_bEUlT_E_NS1_11comp_targetILNS1_3genE5ELNS1_11target_archE942ELNS1_3gpuE9ELNS1_3repE0EEENS1_30default_config_static_selectorELNS0_4arch9wavefront6targetE1EEEvT1_
    .private_segment_fixed_size: 0
    .sgpr_count:     4
    .sgpr_spill_count: 0
    .symbol:         _ZN7rocprim17ROCPRIM_400000_NS6detail17trampoline_kernelINS0_14default_configENS1_25transform_config_selectorIfLb0EEEZNS1_14transform_implILb0ES3_S5_NS0_18transform_iteratorINS0_17counting_iteratorImlEEZNS1_24adjacent_difference_implIS3_Lb1ELb0EPfSB_N6thrust23THRUST_200600_302600_NS5minusIfEEEE10hipError_tPvRmT2_T3_mT4_P12ihipStream_tbEUlmE_fEESB_NS0_8identityIvEEEESG_SJ_SK_mSL_SN_bEUlT_E_NS1_11comp_targetILNS1_3genE5ELNS1_11target_archE942ELNS1_3gpuE9ELNS1_3repE0EEENS1_30default_config_static_selectorELNS0_4arch9wavefront6targetE1EEEvT1_.kd
    .uniform_work_group_size: 1
    .uses_dynamic_stack: false
    .vgpr_count:     0
    .vgpr_spill_count: 0
    .wavefront_size: 64
  - .args:
      - .offset:         0
        .size:           56
        .value_kind:     by_value
    .group_segment_fixed_size: 0
    .kernarg_segment_align: 8
    .kernarg_segment_size: 56
    .language:       OpenCL C
    .language_version:
      - 2
      - 0
    .max_flat_workgroup_size: 1024
    .name:           _ZN7rocprim17ROCPRIM_400000_NS6detail17trampoline_kernelINS0_14default_configENS1_25transform_config_selectorIfLb0EEEZNS1_14transform_implILb0ES3_S5_NS0_18transform_iteratorINS0_17counting_iteratorImlEEZNS1_24adjacent_difference_implIS3_Lb1ELb0EPfSB_N6thrust23THRUST_200600_302600_NS5minusIfEEEE10hipError_tPvRmT2_T3_mT4_P12ihipStream_tbEUlmE_fEESB_NS0_8identityIvEEEESG_SJ_SK_mSL_SN_bEUlT_E_NS1_11comp_targetILNS1_3genE4ELNS1_11target_archE910ELNS1_3gpuE8ELNS1_3repE0EEENS1_30default_config_static_selectorELNS0_4arch9wavefront6targetE1EEEvT1_
    .private_segment_fixed_size: 0
    .sgpr_count:     4
    .sgpr_spill_count: 0
    .symbol:         _ZN7rocprim17ROCPRIM_400000_NS6detail17trampoline_kernelINS0_14default_configENS1_25transform_config_selectorIfLb0EEEZNS1_14transform_implILb0ES3_S5_NS0_18transform_iteratorINS0_17counting_iteratorImlEEZNS1_24adjacent_difference_implIS3_Lb1ELb0EPfSB_N6thrust23THRUST_200600_302600_NS5minusIfEEEE10hipError_tPvRmT2_T3_mT4_P12ihipStream_tbEUlmE_fEESB_NS0_8identityIvEEEESG_SJ_SK_mSL_SN_bEUlT_E_NS1_11comp_targetILNS1_3genE4ELNS1_11target_archE910ELNS1_3gpuE8ELNS1_3repE0EEENS1_30default_config_static_selectorELNS0_4arch9wavefront6targetE1EEEvT1_.kd
    .uniform_work_group_size: 1
    .uses_dynamic_stack: false
    .vgpr_count:     0
    .vgpr_spill_count: 0
    .wavefront_size: 64
  - .args:
      - .offset:         0
        .size:           56
        .value_kind:     by_value
    .group_segment_fixed_size: 0
    .kernarg_segment_align: 8
    .kernarg_segment_size: 56
    .language:       OpenCL C
    .language_version:
      - 2
      - 0
    .max_flat_workgroup_size: 128
    .name:           _ZN7rocprim17ROCPRIM_400000_NS6detail17trampoline_kernelINS0_14default_configENS1_25transform_config_selectorIfLb0EEEZNS1_14transform_implILb0ES3_S5_NS0_18transform_iteratorINS0_17counting_iteratorImlEEZNS1_24adjacent_difference_implIS3_Lb1ELb0EPfSB_N6thrust23THRUST_200600_302600_NS5minusIfEEEE10hipError_tPvRmT2_T3_mT4_P12ihipStream_tbEUlmE_fEESB_NS0_8identityIvEEEESG_SJ_SK_mSL_SN_bEUlT_E_NS1_11comp_targetILNS1_3genE3ELNS1_11target_archE908ELNS1_3gpuE7ELNS1_3repE0EEENS1_30default_config_static_selectorELNS0_4arch9wavefront6targetE1EEEvT1_
    .private_segment_fixed_size: 0
    .sgpr_count:     4
    .sgpr_spill_count: 0
    .symbol:         _ZN7rocprim17ROCPRIM_400000_NS6detail17trampoline_kernelINS0_14default_configENS1_25transform_config_selectorIfLb0EEEZNS1_14transform_implILb0ES3_S5_NS0_18transform_iteratorINS0_17counting_iteratorImlEEZNS1_24adjacent_difference_implIS3_Lb1ELb0EPfSB_N6thrust23THRUST_200600_302600_NS5minusIfEEEE10hipError_tPvRmT2_T3_mT4_P12ihipStream_tbEUlmE_fEESB_NS0_8identityIvEEEESG_SJ_SK_mSL_SN_bEUlT_E_NS1_11comp_targetILNS1_3genE3ELNS1_11target_archE908ELNS1_3gpuE7ELNS1_3repE0EEENS1_30default_config_static_selectorELNS0_4arch9wavefront6targetE1EEEvT1_.kd
    .uniform_work_group_size: 1
    .uses_dynamic_stack: false
    .vgpr_count:     0
    .vgpr_spill_count: 0
    .wavefront_size: 64
  - .args:
      - .offset:         0
        .size:           56
        .value_kind:     by_value
      - .offset:         56
        .size:           4
        .value_kind:     hidden_block_count_x
      - .offset:         60
        .size:           4
        .value_kind:     hidden_block_count_y
      - .offset:         64
        .size:           4
        .value_kind:     hidden_block_count_z
      - .offset:         68
        .size:           2
        .value_kind:     hidden_group_size_x
      - .offset:         70
        .size:           2
        .value_kind:     hidden_group_size_y
      - .offset:         72
        .size:           2
        .value_kind:     hidden_group_size_z
      - .offset:         74
        .size:           2
        .value_kind:     hidden_remainder_x
      - .offset:         76
        .size:           2
        .value_kind:     hidden_remainder_y
      - .offset:         78
        .size:           2
        .value_kind:     hidden_remainder_z
      - .offset:         96
        .size:           8
        .value_kind:     hidden_global_offset_x
      - .offset:         104
        .size:           8
        .value_kind:     hidden_global_offset_y
      - .offset:         112
        .size:           8
        .value_kind:     hidden_global_offset_z
      - .offset:         120
        .size:           2
        .value_kind:     hidden_grid_dims
    .group_segment_fixed_size: 0
    .kernarg_segment_align: 8
    .kernarg_segment_size: 312
    .language:       OpenCL C
    .language_version:
      - 2
      - 0
    .max_flat_workgroup_size: 1024
    .name:           _ZN7rocprim17ROCPRIM_400000_NS6detail17trampoline_kernelINS0_14default_configENS1_25transform_config_selectorIfLb0EEEZNS1_14transform_implILb0ES3_S5_NS0_18transform_iteratorINS0_17counting_iteratorImlEEZNS1_24adjacent_difference_implIS3_Lb1ELb0EPfSB_N6thrust23THRUST_200600_302600_NS5minusIfEEEE10hipError_tPvRmT2_T3_mT4_P12ihipStream_tbEUlmE_fEESB_NS0_8identityIvEEEESG_SJ_SK_mSL_SN_bEUlT_E_NS1_11comp_targetILNS1_3genE2ELNS1_11target_archE906ELNS1_3gpuE6ELNS1_3repE0EEENS1_30default_config_static_selectorELNS0_4arch9wavefront6targetE1EEEvT1_
    .private_segment_fixed_size: 0
    .sgpr_count:     22
    .sgpr_spill_count: 0
    .symbol:         _ZN7rocprim17ROCPRIM_400000_NS6detail17trampoline_kernelINS0_14default_configENS1_25transform_config_selectorIfLb0EEEZNS1_14transform_implILb0ES3_S5_NS0_18transform_iteratorINS0_17counting_iteratorImlEEZNS1_24adjacent_difference_implIS3_Lb1ELb0EPfSB_N6thrust23THRUST_200600_302600_NS5minusIfEEEE10hipError_tPvRmT2_T3_mT4_P12ihipStream_tbEUlmE_fEESB_NS0_8identityIvEEEESG_SJ_SK_mSL_SN_bEUlT_E_NS1_11comp_targetILNS1_3genE2ELNS1_11target_archE906ELNS1_3gpuE6ELNS1_3repE0EEENS1_30default_config_static_selectorELNS0_4arch9wavefront6targetE1EEEvT1_.kd
    .uniform_work_group_size: 1
    .uses_dynamic_stack: false
    .vgpr_count:     7
    .vgpr_spill_count: 0
    .wavefront_size: 64
  - .args:
      - .offset:         0
        .size:           56
        .value_kind:     by_value
    .group_segment_fixed_size: 0
    .kernarg_segment_align: 8
    .kernarg_segment_size: 56
    .language:       OpenCL C
    .language_version:
      - 2
      - 0
    .max_flat_workgroup_size: 512
    .name:           _ZN7rocprim17ROCPRIM_400000_NS6detail17trampoline_kernelINS0_14default_configENS1_25transform_config_selectorIfLb0EEEZNS1_14transform_implILb0ES3_S5_NS0_18transform_iteratorINS0_17counting_iteratorImlEEZNS1_24adjacent_difference_implIS3_Lb1ELb0EPfSB_N6thrust23THRUST_200600_302600_NS5minusIfEEEE10hipError_tPvRmT2_T3_mT4_P12ihipStream_tbEUlmE_fEESB_NS0_8identityIvEEEESG_SJ_SK_mSL_SN_bEUlT_E_NS1_11comp_targetILNS1_3genE10ELNS1_11target_archE1201ELNS1_3gpuE5ELNS1_3repE0EEENS1_30default_config_static_selectorELNS0_4arch9wavefront6targetE1EEEvT1_
    .private_segment_fixed_size: 0
    .sgpr_count:     4
    .sgpr_spill_count: 0
    .symbol:         _ZN7rocprim17ROCPRIM_400000_NS6detail17trampoline_kernelINS0_14default_configENS1_25transform_config_selectorIfLb0EEEZNS1_14transform_implILb0ES3_S5_NS0_18transform_iteratorINS0_17counting_iteratorImlEEZNS1_24adjacent_difference_implIS3_Lb1ELb0EPfSB_N6thrust23THRUST_200600_302600_NS5minusIfEEEE10hipError_tPvRmT2_T3_mT4_P12ihipStream_tbEUlmE_fEESB_NS0_8identityIvEEEESG_SJ_SK_mSL_SN_bEUlT_E_NS1_11comp_targetILNS1_3genE10ELNS1_11target_archE1201ELNS1_3gpuE5ELNS1_3repE0EEENS1_30default_config_static_selectorELNS0_4arch9wavefront6targetE1EEEvT1_.kd
    .uniform_work_group_size: 1
    .uses_dynamic_stack: false
    .vgpr_count:     0
    .vgpr_spill_count: 0
    .wavefront_size: 64
  - .args:
      - .offset:         0
        .size:           56
        .value_kind:     by_value
    .group_segment_fixed_size: 0
    .kernarg_segment_align: 8
    .kernarg_segment_size: 56
    .language:       OpenCL C
    .language_version:
      - 2
      - 0
    .max_flat_workgroup_size: 512
    .name:           _ZN7rocprim17ROCPRIM_400000_NS6detail17trampoline_kernelINS0_14default_configENS1_25transform_config_selectorIfLb0EEEZNS1_14transform_implILb0ES3_S5_NS0_18transform_iteratorINS0_17counting_iteratorImlEEZNS1_24adjacent_difference_implIS3_Lb1ELb0EPfSB_N6thrust23THRUST_200600_302600_NS5minusIfEEEE10hipError_tPvRmT2_T3_mT4_P12ihipStream_tbEUlmE_fEESB_NS0_8identityIvEEEESG_SJ_SK_mSL_SN_bEUlT_E_NS1_11comp_targetILNS1_3genE10ELNS1_11target_archE1200ELNS1_3gpuE4ELNS1_3repE0EEENS1_30default_config_static_selectorELNS0_4arch9wavefront6targetE1EEEvT1_
    .private_segment_fixed_size: 0
    .sgpr_count:     4
    .sgpr_spill_count: 0
    .symbol:         _ZN7rocprim17ROCPRIM_400000_NS6detail17trampoline_kernelINS0_14default_configENS1_25transform_config_selectorIfLb0EEEZNS1_14transform_implILb0ES3_S5_NS0_18transform_iteratorINS0_17counting_iteratorImlEEZNS1_24adjacent_difference_implIS3_Lb1ELb0EPfSB_N6thrust23THRUST_200600_302600_NS5minusIfEEEE10hipError_tPvRmT2_T3_mT4_P12ihipStream_tbEUlmE_fEESB_NS0_8identityIvEEEESG_SJ_SK_mSL_SN_bEUlT_E_NS1_11comp_targetILNS1_3genE10ELNS1_11target_archE1200ELNS1_3gpuE4ELNS1_3repE0EEENS1_30default_config_static_selectorELNS0_4arch9wavefront6targetE1EEEvT1_.kd
    .uniform_work_group_size: 1
    .uses_dynamic_stack: false
    .vgpr_count:     0
    .vgpr_spill_count: 0
    .wavefront_size: 64
  - .args:
      - .offset:         0
        .size:           56
        .value_kind:     by_value
    .group_segment_fixed_size: 0
    .kernarg_segment_align: 8
    .kernarg_segment_size: 56
    .language:       OpenCL C
    .language_version:
      - 2
      - 0
    .max_flat_workgroup_size: 1024
    .name:           _ZN7rocprim17ROCPRIM_400000_NS6detail17trampoline_kernelINS0_14default_configENS1_25transform_config_selectorIfLb0EEEZNS1_14transform_implILb0ES3_S5_NS0_18transform_iteratorINS0_17counting_iteratorImlEEZNS1_24adjacent_difference_implIS3_Lb1ELb0EPfSB_N6thrust23THRUST_200600_302600_NS5minusIfEEEE10hipError_tPvRmT2_T3_mT4_P12ihipStream_tbEUlmE_fEESB_NS0_8identityIvEEEESG_SJ_SK_mSL_SN_bEUlT_E_NS1_11comp_targetILNS1_3genE9ELNS1_11target_archE1100ELNS1_3gpuE3ELNS1_3repE0EEENS1_30default_config_static_selectorELNS0_4arch9wavefront6targetE1EEEvT1_
    .private_segment_fixed_size: 0
    .sgpr_count:     4
    .sgpr_spill_count: 0
    .symbol:         _ZN7rocprim17ROCPRIM_400000_NS6detail17trampoline_kernelINS0_14default_configENS1_25transform_config_selectorIfLb0EEEZNS1_14transform_implILb0ES3_S5_NS0_18transform_iteratorINS0_17counting_iteratorImlEEZNS1_24adjacent_difference_implIS3_Lb1ELb0EPfSB_N6thrust23THRUST_200600_302600_NS5minusIfEEEE10hipError_tPvRmT2_T3_mT4_P12ihipStream_tbEUlmE_fEESB_NS0_8identityIvEEEESG_SJ_SK_mSL_SN_bEUlT_E_NS1_11comp_targetILNS1_3genE9ELNS1_11target_archE1100ELNS1_3gpuE3ELNS1_3repE0EEENS1_30default_config_static_selectorELNS0_4arch9wavefront6targetE1EEEvT1_.kd
    .uniform_work_group_size: 1
    .uses_dynamic_stack: false
    .vgpr_count:     0
    .vgpr_spill_count: 0
    .wavefront_size: 64
  - .args:
      - .offset:         0
        .size:           56
        .value_kind:     by_value
    .group_segment_fixed_size: 0
    .kernarg_segment_align: 8
    .kernarg_segment_size: 56
    .language:       OpenCL C
    .language_version:
      - 2
      - 0
    .max_flat_workgroup_size: 256
    .name:           _ZN7rocprim17ROCPRIM_400000_NS6detail17trampoline_kernelINS0_14default_configENS1_25transform_config_selectorIfLb0EEEZNS1_14transform_implILb0ES3_S5_NS0_18transform_iteratorINS0_17counting_iteratorImlEEZNS1_24adjacent_difference_implIS3_Lb1ELb0EPfSB_N6thrust23THRUST_200600_302600_NS5minusIfEEEE10hipError_tPvRmT2_T3_mT4_P12ihipStream_tbEUlmE_fEESB_NS0_8identityIvEEEESG_SJ_SK_mSL_SN_bEUlT_E_NS1_11comp_targetILNS1_3genE8ELNS1_11target_archE1030ELNS1_3gpuE2ELNS1_3repE0EEENS1_30default_config_static_selectorELNS0_4arch9wavefront6targetE1EEEvT1_
    .private_segment_fixed_size: 0
    .sgpr_count:     4
    .sgpr_spill_count: 0
    .symbol:         _ZN7rocprim17ROCPRIM_400000_NS6detail17trampoline_kernelINS0_14default_configENS1_25transform_config_selectorIfLb0EEEZNS1_14transform_implILb0ES3_S5_NS0_18transform_iteratorINS0_17counting_iteratorImlEEZNS1_24adjacent_difference_implIS3_Lb1ELb0EPfSB_N6thrust23THRUST_200600_302600_NS5minusIfEEEE10hipError_tPvRmT2_T3_mT4_P12ihipStream_tbEUlmE_fEESB_NS0_8identityIvEEEESG_SJ_SK_mSL_SN_bEUlT_E_NS1_11comp_targetILNS1_3genE8ELNS1_11target_archE1030ELNS1_3gpuE2ELNS1_3repE0EEENS1_30default_config_static_selectorELNS0_4arch9wavefront6targetE1EEEvT1_.kd
    .uniform_work_group_size: 1
    .uses_dynamic_stack: false
    .vgpr_count:     0
    .vgpr_spill_count: 0
    .wavefront_size: 64
  - .args:
      - .offset:         0
        .size:           56
        .value_kind:     by_value
    .group_segment_fixed_size: 0
    .kernarg_segment_align: 8
    .kernarg_segment_size: 56
    .language:       OpenCL C
    .language_version:
      - 2
      - 0
    .max_flat_workgroup_size: 1024
    .name:           _ZN7rocprim17ROCPRIM_400000_NS6detail17trampoline_kernelINS0_14default_configENS1_35adjacent_difference_config_selectorILb1EfEEZNS1_24adjacent_difference_implIS3_Lb1ELb0EPfS7_N6thrust23THRUST_200600_302600_NS5minusIfEEEE10hipError_tPvRmT2_T3_mT4_P12ihipStream_tbEUlT_E_NS1_11comp_targetILNS1_3genE0ELNS1_11target_archE4294967295ELNS1_3gpuE0ELNS1_3repE0EEENS1_30default_config_static_selectorELNS0_4arch9wavefront6targetE1EEEvT1_
    .private_segment_fixed_size: 0
    .sgpr_count:     4
    .sgpr_spill_count: 0
    .symbol:         _ZN7rocprim17ROCPRIM_400000_NS6detail17trampoline_kernelINS0_14default_configENS1_35adjacent_difference_config_selectorILb1EfEEZNS1_24adjacent_difference_implIS3_Lb1ELb0EPfS7_N6thrust23THRUST_200600_302600_NS5minusIfEEEE10hipError_tPvRmT2_T3_mT4_P12ihipStream_tbEUlT_E_NS1_11comp_targetILNS1_3genE0ELNS1_11target_archE4294967295ELNS1_3gpuE0ELNS1_3repE0EEENS1_30default_config_static_selectorELNS0_4arch9wavefront6targetE1EEEvT1_.kd
    .uniform_work_group_size: 1
    .uses_dynamic_stack: false
    .vgpr_count:     0
    .vgpr_spill_count: 0
    .wavefront_size: 64
  - .args:
      - .offset:         0
        .size:           56
        .value_kind:     by_value
    .group_segment_fixed_size: 0
    .kernarg_segment_align: 8
    .kernarg_segment_size: 56
    .language:       OpenCL C
    .language_version:
      - 2
      - 0
    .max_flat_workgroup_size: 128
    .name:           _ZN7rocprim17ROCPRIM_400000_NS6detail17trampoline_kernelINS0_14default_configENS1_35adjacent_difference_config_selectorILb1EfEEZNS1_24adjacent_difference_implIS3_Lb1ELb0EPfS7_N6thrust23THRUST_200600_302600_NS5minusIfEEEE10hipError_tPvRmT2_T3_mT4_P12ihipStream_tbEUlT_E_NS1_11comp_targetILNS1_3genE10ELNS1_11target_archE1201ELNS1_3gpuE5ELNS1_3repE0EEENS1_30default_config_static_selectorELNS0_4arch9wavefront6targetE1EEEvT1_
    .private_segment_fixed_size: 0
    .sgpr_count:     4
    .sgpr_spill_count: 0
    .symbol:         _ZN7rocprim17ROCPRIM_400000_NS6detail17trampoline_kernelINS0_14default_configENS1_35adjacent_difference_config_selectorILb1EfEEZNS1_24adjacent_difference_implIS3_Lb1ELb0EPfS7_N6thrust23THRUST_200600_302600_NS5minusIfEEEE10hipError_tPvRmT2_T3_mT4_P12ihipStream_tbEUlT_E_NS1_11comp_targetILNS1_3genE10ELNS1_11target_archE1201ELNS1_3gpuE5ELNS1_3repE0EEENS1_30default_config_static_selectorELNS0_4arch9wavefront6targetE1EEEvT1_.kd
    .uniform_work_group_size: 1
    .uses_dynamic_stack: false
    .vgpr_count:     0
    .vgpr_spill_count: 0
    .wavefront_size: 64
  - .args:
      - .offset:         0
        .size:           56
        .value_kind:     by_value
    .group_segment_fixed_size: 0
    .kernarg_segment_align: 8
    .kernarg_segment_size: 56
    .language:       OpenCL C
    .language_version:
      - 2
      - 0
    .max_flat_workgroup_size: 256
    .name:           _ZN7rocprim17ROCPRIM_400000_NS6detail17trampoline_kernelINS0_14default_configENS1_35adjacent_difference_config_selectorILb1EfEEZNS1_24adjacent_difference_implIS3_Lb1ELb0EPfS7_N6thrust23THRUST_200600_302600_NS5minusIfEEEE10hipError_tPvRmT2_T3_mT4_P12ihipStream_tbEUlT_E_NS1_11comp_targetILNS1_3genE5ELNS1_11target_archE942ELNS1_3gpuE9ELNS1_3repE0EEENS1_30default_config_static_selectorELNS0_4arch9wavefront6targetE1EEEvT1_
    .private_segment_fixed_size: 0
    .sgpr_count:     4
    .sgpr_spill_count: 0
    .symbol:         _ZN7rocprim17ROCPRIM_400000_NS6detail17trampoline_kernelINS0_14default_configENS1_35adjacent_difference_config_selectorILb1EfEEZNS1_24adjacent_difference_implIS3_Lb1ELb0EPfS7_N6thrust23THRUST_200600_302600_NS5minusIfEEEE10hipError_tPvRmT2_T3_mT4_P12ihipStream_tbEUlT_E_NS1_11comp_targetILNS1_3genE5ELNS1_11target_archE942ELNS1_3gpuE9ELNS1_3repE0EEENS1_30default_config_static_selectorELNS0_4arch9wavefront6targetE1EEEvT1_.kd
    .uniform_work_group_size: 1
    .uses_dynamic_stack: false
    .vgpr_count:     0
    .vgpr_spill_count: 0
    .wavefront_size: 64
  - .args:
      - .offset:         0
        .size:           56
        .value_kind:     by_value
    .group_segment_fixed_size: 0
    .kernarg_segment_align: 8
    .kernarg_segment_size: 56
    .language:       OpenCL C
    .language_version:
      - 2
      - 0
    .max_flat_workgroup_size: 512
    .name:           _ZN7rocprim17ROCPRIM_400000_NS6detail17trampoline_kernelINS0_14default_configENS1_35adjacent_difference_config_selectorILb1EfEEZNS1_24adjacent_difference_implIS3_Lb1ELb0EPfS7_N6thrust23THRUST_200600_302600_NS5minusIfEEEE10hipError_tPvRmT2_T3_mT4_P12ihipStream_tbEUlT_E_NS1_11comp_targetILNS1_3genE4ELNS1_11target_archE910ELNS1_3gpuE8ELNS1_3repE0EEENS1_30default_config_static_selectorELNS0_4arch9wavefront6targetE1EEEvT1_
    .private_segment_fixed_size: 0
    .sgpr_count:     4
    .sgpr_spill_count: 0
    .symbol:         _ZN7rocprim17ROCPRIM_400000_NS6detail17trampoline_kernelINS0_14default_configENS1_35adjacent_difference_config_selectorILb1EfEEZNS1_24adjacent_difference_implIS3_Lb1ELb0EPfS7_N6thrust23THRUST_200600_302600_NS5minusIfEEEE10hipError_tPvRmT2_T3_mT4_P12ihipStream_tbEUlT_E_NS1_11comp_targetILNS1_3genE4ELNS1_11target_archE910ELNS1_3gpuE8ELNS1_3repE0EEENS1_30default_config_static_selectorELNS0_4arch9wavefront6targetE1EEEvT1_.kd
    .uniform_work_group_size: 1
    .uses_dynamic_stack: false
    .vgpr_count:     0
    .vgpr_spill_count: 0
    .wavefront_size: 64
  - .args:
      - .offset:         0
        .size:           56
        .value_kind:     by_value
    .group_segment_fixed_size: 0
    .kernarg_segment_align: 8
    .kernarg_segment_size: 56
    .language:       OpenCL C
    .language_version:
      - 2
      - 0
    .max_flat_workgroup_size: 1024
    .name:           _ZN7rocprim17ROCPRIM_400000_NS6detail17trampoline_kernelINS0_14default_configENS1_35adjacent_difference_config_selectorILb1EfEEZNS1_24adjacent_difference_implIS3_Lb1ELb0EPfS7_N6thrust23THRUST_200600_302600_NS5minusIfEEEE10hipError_tPvRmT2_T3_mT4_P12ihipStream_tbEUlT_E_NS1_11comp_targetILNS1_3genE3ELNS1_11target_archE908ELNS1_3gpuE7ELNS1_3repE0EEENS1_30default_config_static_selectorELNS0_4arch9wavefront6targetE1EEEvT1_
    .private_segment_fixed_size: 0
    .sgpr_count:     4
    .sgpr_spill_count: 0
    .symbol:         _ZN7rocprim17ROCPRIM_400000_NS6detail17trampoline_kernelINS0_14default_configENS1_35adjacent_difference_config_selectorILb1EfEEZNS1_24adjacent_difference_implIS3_Lb1ELb0EPfS7_N6thrust23THRUST_200600_302600_NS5minusIfEEEE10hipError_tPvRmT2_T3_mT4_P12ihipStream_tbEUlT_E_NS1_11comp_targetILNS1_3genE3ELNS1_11target_archE908ELNS1_3gpuE7ELNS1_3repE0EEENS1_30default_config_static_selectorELNS0_4arch9wavefront6targetE1EEEvT1_.kd
    .uniform_work_group_size: 1
    .uses_dynamic_stack: false
    .vgpr_count:     0
    .vgpr_spill_count: 0
    .wavefront_size: 64
  - .args:
      - .offset:         0
        .size:           56
        .value_kind:     by_value
    .group_segment_fixed_size: 11264
    .kernarg_segment_align: 8
    .kernarg_segment_size: 56
    .language:       OpenCL C
    .language_version:
      - 2
      - 0
    .max_flat_workgroup_size: 256
    .name:           _ZN7rocprim17ROCPRIM_400000_NS6detail17trampoline_kernelINS0_14default_configENS1_35adjacent_difference_config_selectorILb1EfEEZNS1_24adjacent_difference_implIS3_Lb1ELb0EPfS7_N6thrust23THRUST_200600_302600_NS5minusIfEEEE10hipError_tPvRmT2_T3_mT4_P12ihipStream_tbEUlT_E_NS1_11comp_targetILNS1_3genE2ELNS1_11target_archE906ELNS1_3gpuE6ELNS1_3repE0EEENS1_30default_config_static_selectorELNS0_4arch9wavefront6targetE1EEEvT1_
    .private_segment_fixed_size: 0
    .sgpr_count:     36
    .sgpr_spill_count: 0
    .symbol:         _ZN7rocprim17ROCPRIM_400000_NS6detail17trampoline_kernelINS0_14default_configENS1_35adjacent_difference_config_selectorILb1EfEEZNS1_24adjacent_difference_implIS3_Lb1ELb0EPfS7_N6thrust23THRUST_200600_302600_NS5minusIfEEEE10hipError_tPvRmT2_T3_mT4_P12ihipStream_tbEUlT_E_NS1_11comp_targetILNS1_3genE2ELNS1_11target_archE906ELNS1_3gpuE6ELNS1_3repE0EEENS1_30default_config_static_selectorELNS0_4arch9wavefront6targetE1EEEvT1_.kd
    .uniform_work_group_size: 1
    .uses_dynamic_stack: false
    .vgpr_count:     27
    .vgpr_spill_count: 0
    .wavefront_size: 64
  - .args:
      - .offset:         0
        .size:           56
        .value_kind:     by_value
    .group_segment_fixed_size: 0
    .kernarg_segment_align: 8
    .kernarg_segment_size: 56
    .language:       OpenCL C
    .language_version:
      - 2
      - 0
    .max_flat_workgroup_size: 128
    .name:           _ZN7rocprim17ROCPRIM_400000_NS6detail17trampoline_kernelINS0_14default_configENS1_35adjacent_difference_config_selectorILb1EfEEZNS1_24adjacent_difference_implIS3_Lb1ELb0EPfS7_N6thrust23THRUST_200600_302600_NS5minusIfEEEE10hipError_tPvRmT2_T3_mT4_P12ihipStream_tbEUlT_E_NS1_11comp_targetILNS1_3genE9ELNS1_11target_archE1100ELNS1_3gpuE3ELNS1_3repE0EEENS1_30default_config_static_selectorELNS0_4arch9wavefront6targetE1EEEvT1_
    .private_segment_fixed_size: 0
    .sgpr_count:     4
    .sgpr_spill_count: 0
    .symbol:         _ZN7rocprim17ROCPRIM_400000_NS6detail17trampoline_kernelINS0_14default_configENS1_35adjacent_difference_config_selectorILb1EfEEZNS1_24adjacent_difference_implIS3_Lb1ELb0EPfS7_N6thrust23THRUST_200600_302600_NS5minusIfEEEE10hipError_tPvRmT2_T3_mT4_P12ihipStream_tbEUlT_E_NS1_11comp_targetILNS1_3genE9ELNS1_11target_archE1100ELNS1_3gpuE3ELNS1_3repE0EEENS1_30default_config_static_selectorELNS0_4arch9wavefront6targetE1EEEvT1_.kd
    .uniform_work_group_size: 1
    .uses_dynamic_stack: false
    .vgpr_count:     0
    .vgpr_spill_count: 0
    .wavefront_size: 64
  - .args:
      - .offset:         0
        .size:           56
        .value_kind:     by_value
    .group_segment_fixed_size: 0
    .kernarg_segment_align: 8
    .kernarg_segment_size: 56
    .language:       OpenCL C
    .language_version:
      - 2
      - 0
    .max_flat_workgroup_size: 32
    .name:           _ZN7rocprim17ROCPRIM_400000_NS6detail17trampoline_kernelINS0_14default_configENS1_35adjacent_difference_config_selectorILb1EfEEZNS1_24adjacent_difference_implIS3_Lb1ELb0EPfS7_N6thrust23THRUST_200600_302600_NS5minusIfEEEE10hipError_tPvRmT2_T3_mT4_P12ihipStream_tbEUlT_E_NS1_11comp_targetILNS1_3genE8ELNS1_11target_archE1030ELNS1_3gpuE2ELNS1_3repE0EEENS1_30default_config_static_selectorELNS0_4arch9wavefront6targetE1EEEvT1_
    .private_segment_fixed_size: 0
    .sgpr_count:     4
    .sgpr_spill_count: 0
    .symbol:         _ZN7rocprim17ROCPRIM_400000_NS6detail17trampoline_kernelINS0_14default_configENS1_35adjacent_difference_config_selectorILb1EfEEZNS1_24adjacent_difference_implIS3_Lb1ELb0EPfS7_N6thrust23THRUST_200600_302600_NS5minusIfEEEE10hipError_tPvRmT2_T3_mT4_P12ihipStream_tbEUlT_E_NS1_11comp_targetILNS1_3genE8ELNS1_11target_archE1030ELNS1_3gpuE2ELNS1_3repE0EEENS1_30default_config_static_selectorELNS0_4arch9wavefront6targetE1EEEvT1_.kd
    .uniform_work_group_size: 1
    .uses_dynamic_stack: false
    .vgpr_count:     0
    .vgpr_spill_count: 0
    .wavefront_size: 64
  - .args:
      - .offset:         0
        .size:           56
        .value_kind:     by_value
    .group_segment_fixed_size: 0
    .kernarg_segment_align: 8
    .kernarg_segment_size: 56
    .language:       OpenCL C
    .language_version:
      - 2
      - 0
    .max_flat_workgroup_size: 128
    .name:           _ZN7rocprim17ROCPRIM_400000_NS6detail17trampoline_kernelINS0_14default_configENS1_35adjacent_difference_config_selectorILb0EfEEZNS1_24adjacent_difference_implIS3_Lb0ELb0EPfS7_N6thrust23THRUST_200600_302600_NS4plusIfEEEE10hipError_tPvRmT2_T3_mT4_P12ihipStream_tbEUlT_E_NS1_11comp_targetILNS1_3genE0ELNS1_11target_archE4294967295ELNS1_3gpuE0ELNS1_3repE0EEENS1_30default_config_static_selectorELNS0_4arch9wavefront6targetE1EEEvT1_
    .private_segment_fixed_size: 0
    .sgpr_count:     4
    .sgpr_spill_count: 0
    .symbol:         _ZN7rocprim17ROCPRIM_400000_NS6detail17trampoline_kernelINS0_14default_configENS1_35adjacent_difference_config_selectorILb0EfEEZNS1_24adjacent_difference_implIS3_Lb0ELb0EPfS7_N6thrust23THRUST_200600_302600_NS4plusIfEEEE10hipError_tPvRmT2_T3_mT4_P12ihipStream_tbEUlT_E_NS1_11comp_targetILNS1_3genE0ELNS1_11target_archE4294967295ELNS1_3gpuE0ELNS1_3repE0EEENS1_30default_config_static_selectorELNS0_4arch9wavefront6targetE1EEEvT1_.kd
    .uniform_work_group_size: 1
    .uses_dynamic_stack: false
    .vgpr_count:     0
    .vgpr_spill_count: 0
    .wavefront_size: 64
  - .args:
      - .offset:         0
        .size:           56
        .value_kind:     by_value
    .group_segment_fixed_size: 0
    .kernarg_segment_align: 8
    .kernarg_segment_size: 56
    .language:       OpenCL C
    .language_version:
      - 2
      - 0
    .max_flat_workgroup_size: 1024
    .name:           _ZN7rocprim17ROCPRIM_400000_NS6detail17trampoline_kernelINS0_14default_configENS1_35adjacent_difference_config_selectorILb0EfEEZNS1_24adjacent_difference_implIS3_Lb0ELb0EPfS7_N6thrust23THRUST_200600_302600_NS4plusIfEEEE10hipError_tPvRmT2_T3_mT4_P12ihipStream_tbEUlT_E_NS1_11comp_targetILNS1_3genE10ELNS1_11target_archE1201ELNS1_3gpuE5ELNS1_3repE0EEENS1_30default_config_static_selectorELNS0_4arch9wavefront6targetE1EEEvT1_
    .private_segment_fixed_size: 0
    .sgpr_count:     4
    .sgpr_spill_count: 0
    .symbol:         _ZN7rocprim17ROCPRIM_400000_NS6detail17trampoline_kernelINS0_14default_configENS1_35adjacent_difference_config_selectorILb0EfEEZNS1_24adjacent_difference_implIS3_Lb0ELb0EPfS7_N6thrust23THRUST_200600_302600_NS4plusIfEEEE10hipError_tPvRmT2_T3_mT4_P12ihipStream_tbEUlT_E_NS1_11comp_targetILNS1_3genE10ELNS1_11target_archE1201ELNS1_3gpuE5ELNS1_3repE0EEENS1_30default_config_static_selectorELNS0_4arch9wavefront6targetE1EEEvT1_.kd
    .uniform_work_group_size: 1
    .uses_dynamic_stack: false
    .vgpr_count:     0
    .vgpr_spill_count: 0
    .wavefront_size: 64
  - .args:
      - .offset:         0
        .size:           56
        .value_kind:     by_value
    .group_segment_fixed_size: 0
    .kernarg_segment_align: 8
    .kernarg_segment_size: 56
    .language:       OpenCL C
    .language_version:
      - 2
      - 0
    .max_flat_workgroup_size: 64
    .name:           _ZN7rocprim17ROCPRIM_400000_NS6detail17trampoline_kernelINS0_14default_configENS1_35adjacent_difference_config_selectorILb0EfEEZNS1_24adjacent_difference_implIS3_Lb0ELb0EPfS7_N6thrust23THRUST_200600_302600_NS4plusIfEEEE10hipError_tPvRmT2_T3_mT4_P12ihipStream_tbEUlT_E_NS1_11comp_targetILNS1_3genE5ELNS1_11target_archE942ELNS1_3gpuE9ELNS1_3repE0EEENS1_30default_config_static_selectorELNS0_4arch9wavefront6targetE1EEEvT1_
    .private_segment_fixed_size: 0
    .sgpr_count:     4
    .sgpr_spill_count: 0
    .symbol:         _ZN7rocprim17ROCPRIM_400000_NS6detail17trampoline_kernelINS0_14default_configENS1_35adjacent_difference_config_selectorILb0EfEEZNS1_24adjacent_difference_implIS3_Lb0ELb0EPfS7_N6thrust23THRUST_200600_302600_NS4plusIfEEEE10hipError_tPvRmT2_T3_mT4_P12ihipStream_tbEUlT_E_NS1_11comp_targetILNS1_3genE5ELNS1_11target_archE942ELNS1_3gpuE9ELNS1_3repE0EEENS1_30default_config_static_selectorELNS0_4arch9wavefront6targetE1EEEvT1_.kd
    .uniform_work_group_size: 1
    .uses_dynamic_stack: false
    .vgpr_count:     0
    .vgpr_spill_count: 0
    .wavefront_size: 64
  - .args:
      - .offset:         0
        .size:           56
        .value_kind:     by_value
    .group_segment_fixed_size: 0
    .kernarg_segment_align: 8
    .kernarg_segment_size: 56
    .language:       OpenCL C
    .language_version:
      - 2
      - 0
    .max_flat_workgroup_size: 512
    .name:           _ZN7rocprim17ROCPRIM_400000_NS6detail17trampoline_kernelINS0_14default_configENS1_35adjacent_difference_config_selectorILb0EfEEZNS1_24adjacent_difference_implIS3_Lb0ELb0EPfS7_N6thrust23THRUST_200600_302600_NS4plusIfEEEE10hipError_tPvRmT2_T3_mT4_P12ihipStream_tbEUlT_E_NS1_11comp_targetILNS1_3genE4ELNS1_11target_archE910ELNS1_3gpuE8ELNS1_3repE0EEENS1_30default_config_static_selectorELNS0_4arch9wavefront6targetE1EEEvT1_
    .private_segment_fixed_size: 0
    .sgpr_count:     4
    .sgpr_spill_count: 0
    .symbol:         _ZN7rocprim17ROCPRIM_400000_NS6detail17trampoline_kernelINS0_14default_configENS1_35adjacent_difference_config_selectorILb0EfEEZNS1_24adjacent_difference_implIS3_Lb0ELb0EPfS7_N6thrust23THRUST_200600_302600_NS4plusIfEEEE10hipError_tPvRmT2_T3_mT4_P12ihipStream_tbEUlT_E_NS1_11comp_targetILNS1_3genE4ELNS1_11target_archE910ELNS1_3gpuE8ELNS1_3repE0EEENS1_30default_config_static_selectorELNS0_4arch9wavefront6targetE1EEEvT1_.kd
    .uniform_work_group_size: 1
    .uses_dynamic_stack: false
    .vgpr_count:     0
    .vgpr_spill_count: 0
    .wavefront_size: 64
  - .args:
      - .offset:         0
        .size:           56
        .value_kind:     by_value
    .group_segment_fixed_size: 0
    .kernarg_segment_align: 8
    .kernarg_segment_size: 56
    .language:       OpenCL C
    .language_version:
      - 2
      - 0
    .max_flat_workgroup_size: 128
    .name:           _ZN7rocprim17ROCPRIM_400000_NS6detail17trampoline_kernelINS0_14default_configENS1_35adjacent_difference_config_selectorILb0EfEEZNS1_24adjacent_difference_implIS3_Lb0ELb0EPfS7_N6thrust23THRUST_200600_302600_NS4plusIfEEEE10hipError_tPvRmT2_T3_mT4_P12ihipStream_tbEUlT_E_NS1_11comp_targetILNS1_3genE3ELNS1_11target_archE908ELNS1_3gpuE7ELNS1_3repE0EEENS1_30default_config_static_selectorELNS0_4arch9wavefront6targetE1EEEvT1_
    .private_segment_fixed_size: 0
    .sgpr_count:     4
    .sgpr_spill_count: 0
    .symbol:         _ZN7rocprim17ROCPRIM_400000_NS6detail17trampoline_kernelINS0_14default_configENS1_35adjacent_difference_config_selectorILb0EfEEZNS1_24adjacent_difference_implIS3_Lb0ELb0EPfS7_N6thrust23THRUST_200600_302600_NS4plusIfEEEE10hipError_tPvRmT2_T3_mT4_P12ihipStream_tbEUlT_E_NS1_11comp_targetILNS1_3genE3ELNS1_11target_archE908ELNS1_3gpuE7ELNS1_3repE0EEENS1_30default_config_static_selectorELNS0_4arch9wavefront6targetE1EEEvT1_.kd
    .uniform_work_group_size: 1
    .uses_dynamic_stack: false
    .vgpr_count:     0
    .vgpr_spill_count: 0
    .wavefront_size: 64
  - .args:
      - .offset:         0
        .size:           56
        .value_kind:     by_value
    .group_segment_fixed_size: 20480
    .kernarg_segment_align: 8
    .kernarg_segment_size: 56
    .language:       OpenCL C
    .language_version:
      - 2
      - 0
    .max_flat_workgroup_size: 1024
    .name:           _ZN7rocprim17ROCPRIM_400000_NS6detail17trampoline_kernelINS0_14default_configENS1_35adjacent_difference_config_selectorILb0EfEEZNS1_24adjacent_difference_implIS3_Lb0ELb0EPfS7_N6thrust23THRUST_200600_302600_NS4plusIfEEEE10hipError_tPvRmT2_T3_mT4_P12ihipStream_tbEUlT_E_NS1_11comp_targetILNS1_3genE2ELNS1_11target_archE906ELNS1_3gpuE6ELNS1_3repE0EEENS1_30default_config_static_selectorELNS0_4arch9wavefront6targetE1EEEvT1_
    .private_segment_fixed_size: 0
    .sgpr_count:     27
    .sgpr_spill_count: 0
    .symbol:         _ZN7rocprim17ROCPRIM_400000_NS6detail17trampoline_kernelINS0_14default_configENS1_35adjacent_difference_config_selectorILb0EfEEZNS1_24adjacent_difference_implIS3_Lb0ELb0EPfS7_N6thrust23THRUST_200600_302600_NS4plusIfEEEE10hipError_tPvRmT2_T3_mT4_P12ihipStream_tbEUlT_E_NS1_11comp_targetILNS1_3genE2ELNS1_11target_archE906ELNS1_3gpuE6ELNS1_3repE0EEENS1_30default_config_static_selectorELNS0_4arch9wavefront6targetE1EEEvT1_.kd
    .uniform_work_group_size: 1
    .uses_dynamic_stack: false
    .vgpr_count:     17
    .vgpr_spill_count: 0
    .wavefront_size: 64
  - .args:
      - .offset:         0
        .size:           56
        .value_kind:     by_value
    .group_segment_fixed_size: 0
    .kernarg_segment_align: 8
    .kernarg_segment_size: 56
    .language:       OpenCL C
    .language_version:
      - 2
      - 0
    .max_flat_workgroup_size: 1024
    .name:           _ZN7rocprim17ROCPRIM_400000_NS6detail17trampoline_kernelINS0_14default_configENS1_35adjacent_difference_config_selectorILb0EfEEZNS1_24adjacent_difference_implIS3_Lb0ELb0EPfS7_N6thrust23THRUST_200600_302600_NS4plusIfEEEE10hipError_tPvRmT2_T3_mT4_P12ihipStream_tbEUlT_E_NS1_11comp_targetILNS1_3genE9ELNS1_11target_archE1100ELNS1_3gpuE3ELNS1_3repE0EEENS1_30default_config_static_selectorELNS0_4arch9wavefront6targetE1EEEvT1_
    .private_segment_fixed_size: 0
    .sgpr_count:     4
    .sgpr_spill_count: 0
    .symbol:         _ZN7rocprim17ROCPRIM_400000_NS6detail17trampoline_kernelINS0_14default_configENS1_35adjacent_difference_config_selectorILb0EfEEZNS1_24adjacent_difference_implIS3_Lb0ELb0EPfS7_N6thrust23THRUST_200600_302600_NS4plusIfEEEE10hipError_tPvRmT2_T3_mT4_P12ihipStream_tbEUlT_E_NS1_11comp_targetILNS1_3genE9ELNS1_11target_archE1100ELNS1_3gpuE3ELNS1_3repE0EEENS1_30default_config_static_selectorELNS0_4arch9wavefront6targetE1EEEvT1_.kd
    .uniform_work_group_size: 1
    .uses_dynamic_stack: false
    .vgpr_count:     0
    .vgpr_spill_count: 0
    .wavefront_size: 64
  - .args:
      - .offset:         0
        .size:           56
        .value_kind:     by_value
    .group_segment_fixed_size: 0
    .kernarg_segment_align: 8
    .kernarg_segment_size: 56
    .language:       OpenCL C
    .language_version:
      - 2
      - 0
    .max_flat_workgroup_size: 1024
    .name:           _ZN7rocprim17ROCPRIM_400000_NS6detail17trampoline_kernelINS0_14default_configENS1_35adjacent_difference_config_selectorILb0EfEEZNS1_24adjacent_difference_implIS3_Lb0ELb0EPfS7_N6thrust23THRUST_200600_302600_NS4plusIfEEEE10hipError_tPvRmT2_T3_mT4_P12ihipStream_tbEUlT_E_NS1_11comp_targetILNS1_3genE8ELNS1_11target_archE1030ELNS1_3gpuE2ELNS1_3repE0EEENS1_30default_config_static_selectorELNS0_4arch9wavefront6targetE1EEEvT1_
    .private_segment_fixed_size: 0
    .sgpr_count:     4
    .sgpr_spill_count: 0
    .symbol:         _ZN7rocprim17ROCPRIM_400000_NS6detail17trampoline_kernelINS0_14default_configENS1_35adjacent_difference_config_selectorILb0EfEEZNS1_24adjacent_difference_implIS3_Lb0ELb0EPfS7_N6thrust23THRUST_200600_302600_NS4plusIfEEEE10hipError_tPvRmT2_T3_mT4_P12ihipStream_tbEUlT_E_NS1_11comp_targetILNS1_3genE8ELNS1_11target_archE1030ELNS1_3gpuE2ELNS1_3repE0EEENS1_30default_config_static_selectorELNS0_4arch9wavefront6targetE1EEEvT1_.kd
    .uniform_work_group_size: 1
    .uses_dynamic_stack: false
    .vgpr_count:     0
    .vgpr_spill_count: 0
    .wavefront_size: 64
  - .args:
      - .offset:         0
        .size:           56
        .value_kind:     by_value
    .group_segment_fixed_size: 0
    .kernarg_segment_align: 8
    .kernarg_segment_size: 56
    .language:       OpenCL C
    .language_version:
      - 2
      - 0
    .max_flat_workgroup_size: 128
    .name:           _ZN7rocprim17ROCPRIM_400000_NS6detail17trampoline_kernelINS0_14default_configENS1_25transform_config_selectorIfLb0EEEZNS1_14transform_implILb0ES3_S5_NS0_18transform_iteratorINS0_17counting_iteratorImlEEZNS1_24adjacent_difference_implIS3_Lb1ELb0EPfSB_N6thrust23THRUST_200600_302600_NS4plusIfEEEE10hipError_tPvRmT2_T3_mT4_P12ihipStream_tbEUlmE_fEESB_NS0_8identityIvEEEESG_SJ_SK_mSL_SN_bEUlT_E_NS1_11comp_targetILNS1_3genE0ELNS1_11target_archE4294967295ELNS1_3gpuE0ELNS1_3repE0EEENS1_30default_config_static_selectorELNS0_4arch9wavefront6targetE1EEEvT1_
    .private_segment_fixed_size: 0
    .sgpr_count:     4
    .sgpr_spill_count: 0
    .symbol:         _ZN7rocprim17ROCPRIM_400000_NS6detail17trampoline_kernelINS0_14default_configENS1_25transform_config_selectorIfLb0EEEZNS1_14transform_implILb0ES3_S5_NS0_18transform_iteratorINS0_17counting_iteratorImlEEZNS1_24adjacent_difference_implIS3_Lb1ELb0EPfSB_N6thrust23THRUST_200600_302600_NS4plusIfEEEE10hipError_tPvRmT2_T3_mT4_P12ihipStream_tbEUlmE_fEESB_NS0_8identityIvEEEESG_SJ_SK_mSL_SN_bEUlT_E_NS1_11comp_targetILNS1_3genE0ELNS1_11target_archE4294967295ELNS1_3gpuE0ELNS1_3repE0EEENS1_30default_config_static_selectorELNS0_4arch9wavefront6targetE1EEEvT1_.kd
    .uniform_work_group_size: 1
    .uses_dynamic_stack: false
    .vgpr_count:     0
    .vgpr_spill_count: 0
    .wavefront_size: 64
  - .args:
      - .offset:         0
        .size:           56
        .value_kind:     by_value
    .group_segment_fixed_size: 0
    .kernarg_segment_align: 8
    .kernarg_segment_size: 56
    .language:       OpenCL C
    .language_version:
      - 2
      - 0
    .max_flat_workgroup_size: 256
    .name:           _ZN7rocprim17ROCPRIM_400000_NS6detail17trampoline_kernelINS0_14default_configENS1_25transform_config_selectorIfLb0EEEZNS1_14transform_implILb0ES3_S5_NS0_18transform_iteratorINS0_17counting_iteratorImlEEZNS1_24adjacent_difference_implIS3_Lb1ELb0EPfSB_N6thrust23THRUST_200600_302600_NS4plusIfEEEE10hipError_tPvRmT2_T3_mT4_P12ihipStream_tbEUlmE_fEESB_NS0_8identityIvEEEESG_SJ_SK_mSL_SN_bEUlT_E_NS1_11comp_targetILNS1_3genE5ELNS1_11target_archE942ELNS1_3gpuE9ELNS1_3repE0EEENS1_30default_config_static_selectorELNS0_4arch9wavefront6targetE1EEEvT1_
    .private_segment_fixed_size: 0
    .sgpr_count:     4
    .sgpr_spill_count: 0
    .symbol:         _ZN7rocprim17ROCPRIM_400000_NS6detail17trampoline_kernelINS0_14default_configENS1_25transform_config_selectorIfLb0EEEZNS1_14transform_implILb0ES3_S5_NS0_18transform_iteratorINS0_17counting_iteratorImlEEZNS1_24adjacent_difference_implIS3_Lb1ELb0EPfSB_N6thrust23THRUST_200600_302600_NS4plusIfEEEE10hipError_tPvRmT2_T3_mT4_P12ihipStream_tbEUlmE_fEESB_NS0_8identityIvEEEESG_SJ_SK_mSL_SN_bEUlT_E_NS1_11comp_targetILNS1_3genE5ELNS1_11target_archE942ELNS1_3gpuE9ELNS1_3repE0EEENS1_30default_config_static_selectorELNS0_4arch9wavefront6targetE1EEEvT1_.kd
    .uniform_work_group_size: 1
    .uses_dynamic_stack: false
    .vgpr_count:     0
    .vgpr_spill_count: 0
    .wavefront_size: 64
  - .args:
      - .offset:         0
        .size:           56
        .value_kind:     by_value
    .group_segment_fixed_size: 0
    .kernarg_segment_align: 8
    .kernarg_segment_size: 56
    .language:       OpenCL C
    .language_version:
      - 2
      - 0
    .max_flat_workgroup_size: 1024
    .name:           _ZN7rocprim17ROCPRIM_400000_NS6detail17trampoline_kernelINS0_14default_configENS1_25transform_config_selectorIfLb0EEEZNS1_14transform_implILb0ES3_S5_NS0_18transform_iteratorINS0_17counting_iteratorImlEEZNS1_24adjacent_difference_implIS3_Lb1ELb0EPfSB_N6thrust23THRUST_200600_302600_NS4plusIfEEEE10hipError_tPvRmT2_T3_mT4_P12ihipStream_tbEUlmE_fEESB_NS0_8identityIvEEEESG_SJ_SK_mSL_SN_bEUlT_E_NS1_11comp_targetILNS1_3genE4ELNS1_11target_archE910ELNS1_3gpuE8ELNS1_3repE0EEENS1_30default_config_static_selectorELNS0_4arch9wavefront6targetE1EEEvT1_
    .private_segment_fixed_size: 0
    .sgpr_count:     4
    .sgpr_spill_count: 0
    .symbol:         _ZN7rocprim17ROCPRIM_400000_NS6detail17trampoline_kernelINS0_14default_configENS1_25transform_config_selectorIfLb0EEEZNS1_14transform_implILb0ES3_S5_NS0_18transform_iteratorINS0_17counting_iteratorImlEEZNS1_24adjacent_difference_implIS3_Lb1ELb0EPfSB_N6thrust23THRUST_200600_302600_NS4plusIfEEEE10hipError_tPvRmT2_T3_mT4_P12ihipStream_tbEUlmE_fEESB_NS0_8identityIvEEEESG_SJ_SK_mSL_SN_bEUlT_E_NS1_11comp_targetILNS1_3genE4ELNS1_11target_archE910ELNS1_3gpuE8ELNS1_3repE0EEENS1_30default_config_static_selectorELNS0_4arch9wavefront6targetE1EEEvT1_.kd
    .uniform_work_group_size: 1
    .uses_dynamic_stack: false
    .vgpr_count:     0
    .vgpr_spill_count: 0
    .wavefront_size: 64
  - .args:
      - .offset:         0
        .size:           56
        .value_kind:     by_value
    .group_segment_fixed_size: 0
    .kernarg_segment_align: 8
    .kernarg_segment_size: 56
    .language:       OpenCL C
    .language_version:
      - 2
      - 0
    .max_flat_workgroup_size: 128
    .name:           _ZN7rocprim17ROCPRIM_400000_NS6detail17trampoline_kernelINS0_14default_configENS1_25transform_config_selectorIfLb0EEEZNS1_14transform_implILb0ES3_S5_NS0_18transform_iteratorINS0_17counting_iteratorImlEEZNS1_24adjacent_difference_implIS3_Lb1ELb0EPfSB_N6thrust23THRUST_200600_302600_NS4plusIfEEEE10hipError_tPvRmT2_T3_mT4_P12ihipStream_tbEUlmE_fEESB_NS0_8identityIvEEEESG_SJ_SK_mSL_SN_bEUlT_E_NS1_11comp_targetILNS1_3genE3ELNS1_11target_archE908ELNS1_3gpuE7ELNS1_3repE0EEENS1_30default_config_static_selectorELNS0_4arch9wavefront6targetE1EEEvT1_
    .private_segment_fixed_size: 0
    .sgpr_count:     4
    .sgpr_spill_count: 0
    .symbol:         _ZN7rocprim17ROCPRIM_400000_NS6detail17trampoline_kernelINS0_14default_configENS1_25transform_config_selectorIfLb0EEEZNS1_14transform_implILb0ES3_S5_NS0_18transform_iteratorINS0_17counting_iteratorImlEEZNS1_24adjacent_difference_implIS3_Lb1ELb0EPfSB_N6thrust23THRUST_200600_302600_NS4plusIfEEEE10hipError_tPvRmT2_T3_mT4_P12ihipStream_tbEUlmE_fEESB_NS0_8identityIvEEEESG_SJ_SK_mSL_SN_bEUlT_E_NS1_11comp_targetILNS1_3genE3ELNS1_11target_archE908ELNS1_3gpuE7ELNS1_3repE0EEENS1_30default_config_static_selectorELNS0_4arch9wavefront6targetE1EEEvT1_.kd
    .uniform_work_group_size: 1
    .uses_dynamic_stack: false
    .vgpr_count:     0
    .vgpr_spill_count: 0
    .wavefront_size: 64
  - .args:
      - .offset:         0
        .size:           56
        .value_kind:     by_value
      - .offset:         56
        .size:           4
        .value_kind:     hidden_block_count_x
      - .offset:         60
        .size:           4
        .value_kind:     hidden_block_count_y
      - .offset:         64
        .size:           4
        .value_kind:     hidden_block_count_z
      - .offset:         68
        .size:           2
        .value_kind:     hidden_group_size_x
      - .offset:         70
        .size:           2
        .value_kind:     hidden_group_size_y
      - .offset:         72
        .size:           2
        .value_kind:     hidden_group_size_z
      - .offset:         74
        .size:           2
        .value_kind:     hidden_remainder_x
      - .offset:         76
        .size:           2
        .value_kind:     hidden_remainder_y
      - .offset:         78
        .size:           2
        .value_kind:     hidden_remainder_z
      - .offset:         96
        .size:           8
        .value_kind:     hidden_global_offset_x
      - .offset:         104
        .size:           8
        .value_kind:     hidden_global_offset_y
      - .offset:         112
        .size:           8
        .value_kind:     hidden_global_offset_z
      - .offset:         120
        .size:           2
        .value_kind:     hidden_grid_dims
    .group_segment_fixed_size: 0
    .kernarg_segment_align: 8
    .kernarg_segment_size: 312
    .language:       OpenCL C
    .language_version:
      - 2
      - 0
    .max_flat_workgroup_size: 1024
    .name:           _ZN7rocprim17ROCPRIM_400000_NS6detail17trampoline_kernelINS0_14default_configENS1_25transform_config_selectorIfLb0EEEZNS1_14transform_implILb0ES3_S5_NS0_18transform_iteratorINS0_17counting_iteratorImlEEZNS1_24adjacent_difference_implIS3_Lb1ELb0EPfSB_N6thrust23THRUST_200600_302600_NS4plusIfEEEE10hipError_tPvRmT2_T3_mT4_P12ihipStream_tbEUlmE_fEESB_NS0_8identityIvEEEESG_SJ_SK_mSL_SN_bEUlT_E_NS1_11comp_targetILNS1_3genE2ELNS1_11target_archE906ELNS1_3gpuE6ELNS1_3repE0EEENS1_30default_config_static_selectorELNS0_4arch9wavefront6targetE1EEEvT1_
    .private_segment_fixed_size: 0
    .sgpr_count:     22
    .sgpr_spill_count: 0
    .symbol:         _ZN7rocprim17ROCPRIM_400000_NS6detail17trampoline_kernelINS0_14default_configENS1_25transform_config_selectorIfLb0EEEZNS1_14transform_implILb0ES3_S5_NS0_18transform_iteratorINS0_17counting_iteratorImlEEZNS1_24adjacent_difference_implIS3_Lb1ELb0EPfSB_N6thrust23THRUST_200600_302600_NS4plusIfEEEE10hipError_tPvRmT2_T3_mT4_P12ihipStream_tbEUlmE_fEESB_NS0_8identityIvEEEESG_SJ_SK_mSL_SN_bEUlT_E_NS1_11comp_targetILNS1_3genE2ELNS1_11target_archE906ELNS1_3gpuE6ELNS1_3repE0EEENS1_30default_config_static_selectorELNS0_4arch9wavefront6targetE1EEEvT1_.kd
    .uniform_work_group_size: 1
    .uses_dynamic_stack: false
    .vgpr_count:     7
    .vgpr_spill_count: 0
    .wavefront_size: 64
  - .args:
      - .offset:         0
        .size:           56
        .value_kind:     by_value
    .group_segment_fixed_size: 0
    .kernarg_segment_align: 8
    .kernarg_segment_size: 56
    .language:       OpenCL C
    .language_version:
      - 2
      - 0
    .max_flat_workgroup_size: 512
    .name:           _ZN7rocprim17ROCPRIM_400000_NS6detail17trampoline_kernelINS0_14default_configENS1_25transform_config_selectorIfLb0EEEZNS1_14transform_implILb0ES3_S5_NS0_18transform_iteratorINS0_17counting_iteratorImlEEZNS1_24adjacent_difference_implIS3_Lb1ELb0EPfSB_N6thrust23THRUST_200600_302600_NS4plusIfEEEE10hipError_tPvRmT2_T3_mT4_P12ihipStream_tbEUlmE_fEESB_NS0_8identityIvEEEESG_SJ_SK_mSL_SN_bEUlT_E_NS1_11comp_targetILNS1_3genE10ELNS1_11target_archE1201ELNS1_3gpuE5ELNS1_3repE0EEENS1_30default_config_static_selectorELNS0_4arch9wavefront6targetE1EEEvT1_
    .private_segment_fixed_size: 0
    .sgpr_count:     4
    .sgpr_spill_count: 0
    .symbol:         _ZN7rocprim17ROCPRIM_400000_NS6detail17trampoline_kernelINS0_14default_configENS1_25transform_config_selectorIfLb0EEEZNS1_14transform_implILb0ES3_S5_NS0_18transform_iteratorINS0_17counting_iteratorImlEEZNS1_24adjacent_difference_implIS3_Lb1ELb0EPfSB_N6thrust23THRUST_200600_302600_NS4plusIfEEEE10hipError_tPvRmT2_T3_mT4_P12ihipStream_tbEUlmE_fEESB_NS0_8identityIvEEEESG_SJ_SK_mSL_SN_bEUlT_E_NS1_11comp_targetILNS1_3genE10ELNS1_11target_archE1201ELNS1_3gpuE5ELNS1_3repE0EEENS1_30default_config_static_selectorELNS0_4arch9wavefront6targetE1EEEvT1_.kd
    .uniform_work_group_size: 1
    .uses_dynamic_stack: false
    .vgpr_count:     0
    .vgpr_spill_count: 0
    .wavefront_size: 64
  - .args:
      - .offset:         0
        .size:           56
        .value_kind:     by_value
    .group_segment_fixed_size: 0
    .kernarg_segment_align: 8
    .kernarg_segment_size: 56
    .language:       OpenCL C
    .language_version:
      - 2
      - 0
    .max_flat_workgroup_size: 512
    .name:           _ZN7rocprim17ROCPRIM_400000_NS6detail17trampoline_kernelINS0_14default_configENS1_25transform_config_selectorIfLb0EEEZNS1_14transform_implILb0ES3_S5_NS0_18transform_iteratorINS0_17counting_iteratorImlEEZNS1_24adjacent_difference_implIS3_Lb1ELb0EPfSB_N6thrust23THRUST_200600_302600_NS4plusIfEEEE10hipError_tPvRmT2_T3_mT4_P12ihipStream_tbEUlmE_fEESB_NS0_8identityIvEEEESG_SJ_SK_mSL_SN_bEUlT_E_NS1_11comp_targetILNS1_3genE10ELNS1_11target_archE1200ELNS1_3gpuE4ELNS1_3repE0EEENS1_30default_config_static_selectorELNS0_4arch9wavefront6targetE1EEEvT1_
    .private_segment_fixed_size: 0
    .sgpr_count:     4
    .sgpr_spill_count: 0
    .symbol:         _ZN7rocprim17ROCPRIM_400000_NS6detail17trampoline_kernelINS0_14default_configENS1_25transform_config_selectorIfLb0EEEZNS1_14transform_implILb0ES3_S5_NS0_18transform_iteratorINS0_17counting_iteratorImlEEZNS1_24adjacent_difference_implIS3_Lb1ELb0EPfSB_N6thrust23THRUST_200600_302600_NS4plusIfEEEE10hipError_tPvRmT2_T3_mT4_P12ihipStream_tbEUlmE_fEESB_NS0_8identityIvEEEESG_SJ_SK_mSL_SN_bEUlT_E_NS1_11comp_targetILNS1_3genE10ELNS1_11target_archE1200ELNS1_3gpuE4ELNS1_3repE0EEENS1_30default_config_static_selectorELNS0_4arch9wavefront6targetE1EEEvT1_.kd
    .uniform_work_group_size: 1
    .uses_dynamic_stack: false
    .vgpr_count:     0
    .vgpr_spill_count: 0
    .wavefront_size: 64
  - .args:
      - .offset:         0
        .size:           56
        .value_kind:     by_value
    .group_segment_fixed_size: 0
    .kernarg_segment_align: 8
    .kernarg_segment_size: 56
    .language:       OpenCL C
    .language_version:
      - 2
      - 0
    .max_flat_workgroup_size: 1024
    .name:           _ZN7rocprim17ROCPRIM_400000_NS6detail17trampoline_kernelINS0_14default_configENS1_25transform_config_selectorIfLb0EEEZNS1_14transform_implILb0ES3_S5_NS0_18transform_iteratorINS0_17counting_iteratorImlEEZNS1_24adjacent_difference_implIS3_Lb1ELb0EPfSB_N6thrust23THRUST_200600_302600_NS4plusIfEEEE10hipError_tPvRmT2_T3_mT4_P12ihipStream_tbEUlmE_fEESB_NS0_8identityIvEEEESG_SJ_SK_mSL_SN_bEUlT_E_NS1_11comp_targetILNS1_3genE9ELNS1_11target_archE1100ELNS1_3gpuE3ELNS1_3repE0EEENS1_30default_config_static_selectorELNS0_4arch9wavefront6targetE1EEEvT1_
    .private_segment_fixed_size: 0
    .sgpr_count:     4
    .sgpr_spill_count: 0
    .symbol:         _ZN7rocprim17ROCPRIM_400000_NS6detail17trampoline_kernelINS0_14default_configENS1_25transform_config_selectorIfLb0EEEZNS1_14transform_implILb0ES3_S5_NS0_18transform_iteratorINS0_17counting_iteratorImlEEZNS1_24adjacent_difference_implIS3_Lb1ELb0EPfSB_N6thrust23THRUST_200600_302600_NS4plusIfEEEE10hipError_tPvRmT2_T3_mT4_P12ihipStream_tbEUlmE_fEESB_NS0_8identityIvEEEESG_SJ_SK_mSL_SN_bEUlT_E_NS1_11comp_targetILNS1_3genE9ELNS1_11target_archE1100ELNS1_3gpuE3ELNS1_3repE0EEENS1_30default_config_static_selectorELNS0_4arch9wavefront6targetE1EEEvT1_.kd
    .uniform_work_group_size: 1
    .uses_dynamic_stack: false
    .vgpr_count:     0
    .vgpr_spill_count: 0
    .wavefront_size: 64
  - .args:
      - .offset:         0
        .size:           56
        .value_kind:     by_value
    .group_segment_fixed_size: 0
    .kernarg_segment_align: 8
    .kernarg_segment_size: 56
    .language:       OpenCL C
    .language_version:
      - 2
      - 0
    .max_flat_workgroup_size: 256
    .name:           _ZN7rocprim17ROCPRIM_400000_NS6detail17trampoline_kernelINS0_14default_configENS1_25transform_config_selectorIfLb0EEEZNS1_14transform_implILb0ES3_S5_NS0_18transform_iteratorINS0_17counting_iteratorImlEEZNS1_24adjacent_difference_implIS3_Lb1ELb0EPfSB_N6thrust23THRUST_200600_302600_NS4plusIfEEEE10hipError_tPvRmT2_T3_mT4_P12ihipStream_tbEUlmE_fEESB_NS0_8identityIvEEEESG_SJ_SK_mSL_SN_bEUlT_E_NS1_11comp_targetILNS1_3genE8ELNS1_11target_archE1030ELNS1_3gpuE2ELNS1_3repE0EEENS1_30default_config_static_selectorELNS0_4arch9wavefront6targetE1EEEvT1_
    .private_segment_fixed_size: 0
    .sgpr_count:     4
    .sgpr_spill_count: 0
    .symbol:         _ZN7rocprim17ROCPRIM_400000_NS6detail17trampoline_kernelINS0_14default_configENS1_25transform_config_selectorIfLb0EEEZNS1_14transform_implILb0ES3_S5_NS0_18transform_iteratorINS0_17counting_iteratorImlEEZNS1_24adjacent_difference_implIS3_Lb1ELb0EPfSB_N6thrust23THRUST_200600_302600_NS4plusIfEEEE10hipError_tPvRmT2_T3_mT4_P12ihipStream_tbEUlmE_fEESB_NS0_8identityIvEEEESG_SJ_SK_mSL_SN_bEUlT_E_NS1_11comp_targetILNS1_3genE8ELNS1_11target_archE1030ELNS1_3gpuE2ELNS1_3repE0EEENS1_30default_config_static_selectorELNS0_4arch9wavefront6targetE1EEEvT1_.kd
    .uniform_work_group_size: 1
    .uses_dynamic_stack: false
    .vgpr_count:     0
    .vgpr_spill_count: 0
    .wavefront_size: 64
  - .args:
      - .offset:         0
        .size:           56
        .value_kind:     by_value
    .group_segment_fixed_size: 0
    .kernarg_segment_align: 8
    .kernarg_segment_size: 56
    .language:       OpenCL C
    .language_version:
      - 2
      - 0
    .max_flat_workgroup_size: 1024
    .name:           _ZN7rocprim17ROCPRIM_400000_NS6detail17trampoline_kernelINS0_14default_configENS1_35adjacent_difference_config_selectorILb1EfEEZNS1_24adjacent_difference_implIS3_Lb1ELb0EPfS7_N6thrust23THRUST_200600_302600_NS4plusIfEEEE10hipError_tPvRmT2_T3_mT4_P12ihipStream_tbEUlT_E_NS1_11comp_targetILNS1_3genE0ELNS1_11target_archE4294967295ELNS1_3gpuE0ELNS1_3repE0EEENS1_30default_config_static_selectorELNS0_4arch9wavefront6targetE1EEEvT1_
    .private_segment_fixed_size: 0
    .sgpr_count:     4
    .sgpr_spill_count: 0
    .symbol:         _ZN7rocprim17ROCPRIM_400000_NS6detail17trampoline_kernelINS0_14default_configENS1_35adjacent_difference_config_selectorILb1EfEEZNS1_24adjacent_difference_implIS3_Lb1ELb0EPfS7_N6thrust23THRUST_200600_302600_NS4plusIfEEEE10hipError_tPvRmT2_T3_mT4_P12ihipStream_tbEUlT_E_NS1_11comp_targetILNS1_3genE0ELNS1_11target_archE4294967295ELNS1_3gpuE0ELNS1_3repE0EEENS1_30default_config_static_selectorELNS0_4arch9wavefront6targetE1EEEvT1_.kd
    .uniform_work_group_size: 1
    .uses_dynamic_stack: false
    .vgpr_count:     0
    .vgpr_spill_count: 0
    .wavefront_size: 64
  - .args:
      - .offset:         0
        .size:           56
        .value_kind:     by_value
    .group_segment_fixed_size: 0
    .kernarg_segment_align: 8
    .kernarg_segment_size: 56
    .language:       OpenCL C
    .language_version:
      - 2
      - 0
    .max_flat_workgroup_size: 128
    .name:           _ZN7rocprim17ROCPRIM_400000_NS6detail17trampoline_kernelINS0_14default_configENS1_35adjacent_difference_config_selectorILb1EfEEZNS1_24adjacent_difference_implIS3_Lb1ELb0EPfS7_N6thrust23THRUST_200600_302600_NS4plusIfEEEE10hipError_tPvRmT2_T3_mT4_P12ihipStream_tbEUlT_E_NS1_11comp_targetILNS1_3genE10ELNS1_11target_archE1201ELNS1_3gpuE5ELNS1_3repE0EEENS1_30default_config_static_selectorELNS0_4arch9wavefront6targetE1EEEvT1_
    .private_segment_fixed_size: 0
    .sgpr_count:     4
    .sgpr_spill_count: 0
    .symbol:         _ZN7rocprim17ROCPRIM_400000_NS6detail17trampoline_kernelINS0_14default_configENS1_35adjacent_difference_config_selectorILb1EfEEZNS1_24adjacent_difference_implIS3_Lb1ELb0EPfS7_N6thrust23THRUST_200600_302600_NS4plusIfEEEE10hipError_tPvRmT2_T3_mT4_P12ihipStream_tbEUlT_E_NS1_11comp_targetILNS1_3genE10ELNS1_11target_archE1201ELNS1_3gpuE5ELNS1_3repE0EEENS1_30default_config_static_selectorELNS0_4arch9wavefront6targetE1EEEvT1_.kd
    .uniform_work_group_size: 1
    .uses_dynamic_stack: false
    .vgpr_count:     0
    .vgpr_spill_count: 0
    .wavefront_size: 64
  - .args:
      - .offset:         0
        .size:           56
        .value_kind:     by_value
    .group_segment_fixed_size: 0
    .kernarg_segment_align: 8
    .kernarg_segment_size: 56
    .language:       OpenCL C
    .language_version:
      - 2
      - 0
    .max_flat_workgroup_size: 256
    .name:           _ZN7rocprim17ROCPRIM_400000_NS6detail17trampoline_kernelINS0_14default_configENS1_35adjacent_difference_config_selectorILb1EfEEZNS1_24adjacent_difference_implIS3_Lb1ELb0EPfS7_N6thrust23THRUST_200600_302600_NS4plusIfEEEE10hipError_tPvRmT2_T3_mT4_P12ihipStream_tbEUlT_E_NS1_11comp_targetILNS1_3genE5ELNS1_11target_archE942ELNS1_3gpuE9ELNS1_3repE0EEENS1_30default_config_static_selectorELNS0_4arch9wavefront6targetE1EEEvT1_
    .private_segment_fixed_size: 0
    .sgpr_count:     4
    .sgpr_spill_count: 0
    .symbol:         _ZN7rocprim17ROCPRIM_400000_NS6detail17trampoline_kernelINS0_14default_configENS1_35adjacent_difference_config_selectorILb1EfEEZNS1_24adjacent_difference_implIS3_Lb1ELb0EPfS7_N6thrust23THRUST_200600_302600_NS4plusIfEEEE10hipError_tPvRmT2_T3_mT4_P12ihipStream_tbEUlT_E_NS1_11comp_targetILNS1_3genE5ELNS1_11target_archE942ELNS1_3gpuE9ELNS1_3repE0EEENS1_30default_config_static_selectorELNS0_4arch9wavefront6targetE1EEEvT1_.kd
    .uniform_work_group_size: 1
    .uses_dynamic_stack: false
    .vgpr_count:     0
    .vgpr_spill_count: 0
    .wavefront_size: 64
  - .args:
      - .offset:         0
        .size:           56
        .value_kind:     by_value
    .group_segment_fixed_size: 0
    .kernarg_segment_align: 8
    .kernarg_segment_size: 56
    .language:       OpenCL C
    .language_version:
      - 2
      - 0
    .max_flat_workgroup_size: 512
    .name:           _ZN7rocprim17ROCPRIM_400000_NS6detail17trampoline_kernelINS0_14default_configENS1_35adjacent_difference_config_selectorILb1EfEEZNS1_24adjacent_difference_implIS3_Lb1ELb0EPfS7_N6thrust23THRUST_200600_302600_NS4plusIfEEEE10hipError_tPvRmT2_T3_mT4_P12ihipStream_tbEUlT_E_NS1_11comp_targetILNS1_3genE4ELNS1_11target_archE910ELNS1_3gpuE8ELNS1_3repE0EEENS1_30default_config_static_selectorELNS0_4arch9wavefront6targetE1EEEvT1_
    .private_segment_fixed_size: 0
    .sgpr_count:     4
    .sgpr_spill_count: 0
    .symbol:         _ZN7rocprim17ROCPRIM_400000_NS6detail17trampoline_kernelINS0_14default_configENS1_35adjacent_difference_config_selectorILb1EfEEZNS1_24adjacent_difference_implIS3_Lb1ELb0EPfS7_N6thrust23THRUST_200600_302600_NS4plusIfEEEE10hipError_tPvRmT2_T3_mT4_P12ihipStream_tbEUlT_E_NS1_11comp_targetILNS1_3genE4ELNS1_11target_archE910ELNS1_3gpuE8ELNS1_3repE0EEENS1_30default_config_static_selectorELNS0_4arch9wavefront6targetE1EEEvT1_.kd
    .uniform_work_group_size: 1
    .uses_dynamic_stack: false
    .vgpr_count:     0
    .vgpr_spill_count: 0
    .wavefront_size: 64
  - .args:
      - .offset:         0
        .size:           56
        .value_kind:     by_value
    .group_segment_fixed_size: 0
    .kernarg_segment_align: 8
    .kernarg_segment_size: 56
    .language:       OpenCL C
    .language_version:
      - 2
      - 0
    .max_flat_workgroup_size: 1024
    .name:           _ZN7rocprim17ROCPRIM_400000_NS6detail17trampoline_kernelINS0_14default_configENS1_35adjacent_difference_config_selectorILb1EfEEZNS1_24adjacent_difference_implIS3_Lb1ELb0EPfS7_N6thrust23THRUST_200600_302600_NS4plusIfEEEE10hipError_tPvRmT2_T3_mT4_P12ihipStream_tbEUlT_E_NS1_11comp_targetILNS1_3genE3ELNS1_11target_archE908ELNS1_3gpuE7ELNS1_3repE0EEENS1_30default_config_static_selectorELNS0_4arch9wavefront6targetE1EEEvT1_
    .private_segment_fixed_size: 0
    .sgpr_count:     4
    .sgpr_spill_count: 0
    .symbol:         _ZN7rocprim17ROCPRIM_400000_NS6detail17trampoline_kernelINS0_14default_configENS1_35adjacent_difference_config_selectorILb1EfEEZNS1_24adjacent_difference_implIS3_Lb1ELb0EPfS7_N6thrust23THRUST_200600_302600_NS4plusIfEEEE10hipError_tPvRmT2_T3_mT4_P12ihipStream_tbEUlT_E_NS1_11comp_targetILNS1_3genE3ELNS1_11target_archE908ELNS1_3gpuE7ELNS1_3repE0EEENS1_30default_config_static_selectorELNS0_4arch9wavefront6targetE1EEEvT1_.kd
    .uniform_work_group_size: 1
    .uses_dynamic_stack: false
    .vgpr_count:     0
    .vgpr_spill_count: 0
    .wavefront_size: 64
  - .args:
      - .offset:         0
        .size:           56
        .value_kind:     by_value
    .group_segment_fixed_size: 11264
    .kernarg_segment_align: 8
    .kernarg_segment_size: 56
    .language:       OpenCL C
    .language_version:
      - 2
      - 0
    .max_flat_workgroup_size: 256
    .name:           _ZN7rocprim17ROCPRIM_400000_NS6detail17trampoline_kernelINS0_14default_configENS1_35adjacent_difference_config_selectorILb1EfEEZNS1_24adjacent_difference_implIS3_Lb1ELb0EPfS7_N6thrust23THRUST_200600_302600_NS4plusIfEEEE10hipError_tPvRmT2_T3_mT4_P12ihipStream_tbEUlT_E_NS1_11comp_targetILNS1_3genE2ELNS1_11target_archE906ELNS1_3gpuE6ELNS1_3repE0EEENS1_30default_config_static_selectorELNS0_4arch9wavefront6targetE1EEEvT1_
    .private_segment_fixed_size: 0
    .sgpr_count:     36
    .sgpr_spill_count: 0
    .symbol:         _ZN7rocprim17ROCPRIM_400000_NS6detail17trampoline_kernelINS0_14default_configENS1_35adjacent_difference_config_selectorILb1EfEEZNS1_24adjacent_difference_implIS3_Lb1ELb0EPfS7_N6thrust23THRUST_200600_302600_NS4plusIfEEEE10hipError_tPvRmT2_T3_mT4_P12ihipStream_tbEUlT_E_NS1_11comp_targetILNS1_3genE2ELNS1_11target_archE906ELNS1_3gpuE6ELNS1_3repE0EEENS1_30default_config_static_selectorELNS0_4arch9wavefront6targetE1EEEvT1_.kd
    .uniform_work_group_size: 1
    .uses_dynamic_stack: false
    .vgpr_count:     27
    .vgpr_spill_count: 0
    .wavefront_size: 64
  - .args:
      - .offset:         0
        .size:           56
        .value_kind:     by_value
    .group_segment_fixed_size: 0
    .kernarg_segment_align: 8
    .kernarg_segment_size: 56
    .language:       OpenCL C
    .language_version:
      - 2
      - 0
    .max_flat_workgroup_size: 128
    .name:           _ZN7rocprim17ROCPRIM_400000_NS6detail17trampoline_kernelINS0_14default_configENS1_35adjacent_difference_config_selectorILb1EfEEZNS1_24adjacent_difference_implIS3_Lb1ELb0EPfS7_N6thrust23THRUST_200600_302600_NS4plusIfEEEE10hipError_tPvRmT2_T3_mT4_P12ihipStream_tbEUlT_E_NS1_11comp_targetILNS1_3genE9ELNS1_11target_archE1100ELNS1_3gpuE3ELNS1_3repE0EEENS1_30default_config_static_selectorELNS0_4arch9wavefront6targetE1EEEvT1_
    .private_segment_fixed_size: 0
    .sgpr_count:     4
    .sgpr_spill_count: 0
    .symbol:         _ZN7rocprim17ROCPRIM_400000_NS6detail17trampoline_kernelINS0_14default_configENS1_35adjacent_difference_config_selectorILb1EfEEZNS1_24adjacent_difference_implIS3_Lb1ELb0EPfS7_N6thrust23THRUST_200600_302600_NS4plusIfEEEE10hipError_tPvRmT2_T3_mT4_P12ihipStream_tbEUlT_E_NS1_11comp_targetILNS1_3genE9ELNS1_11target_archE1100ELNS1_3gpuE3ELNS1_3repE0EEENS1_30default_config_static_selectorELNS0_4arch9wavefront6targetE1EEEvT1_.kd
    .uniform_work_group_size: 1
    .uses_dynamic_stack: false
    .vgpr_count:     0
    .vgpr_spill_count: 0
    .wavefront_size: 64
  - .args:
      - .offset:         0
        .size:           56
        .value_kind:     by_value
    .group_segment_fixed_size: 0
    .kernarg_segment_align: 8
    .kernarg_segment_size: 56
    .language:       OpenCL C
    .language_version:
      - 2
      - 0
    .max_flat_workgroup_size: 32
    .name:           _ZN7rocprim17ROCPRIM_400000_NS6detail17trampoline_kernelINS0_14default_configENS1_35adjacent_difference_config_selectorILb1EfEEZNS1_24adjacent_difference_implIS3_Lb1ELb0EPfS7_N6thrust23THRUST_200600_302600_NS4plusIfEEEE10hipError_tPvRmT2_T3_mT4_P12ihipStream_tbEUlT_E_NS1_11comp_targetILNS1_3genE8ELNS1_11target_archE1030ELNS1_3gpuE2ELNS1_3repE0EEENS1_30default_config_static_selectorELNS0_4arch9wavefront6targetE1EEEvT1_
    .private_segment_fixed_size: 0
    .sgpr_count:     4
    .sgpr_spill_count: 0
    .symbol:         _ZN7rocprim17ROCPRIM_400000_NS6detail17trampoline_kernelINS0_14default_configENS1_35adjacent_difference_config_selectorILb1EfEEZNS1_24adjacent_difference_implIS3_Lb1ELb0EPfS7_N6thrust23THRUST_200600_302600_NS4plusIfEEEE10hipError_tPvRmT2_T3_mT4_P12ihipStream_tbEUlT_E_NS1_11comp_targetILNS1_3genE8ELNS1_11target_archE1030ELNS1_3gpuE2ELNS1_3repE0EEENS1_30default_config_static_selectorELNS0_4arch9wavefront6targetE1EEEvT1_.kd
    .uniform_work_group_size: 1
    .uses_dynamic_stack: false
    .vgpr_count:     0
    .vgpr_spill_count: 0
    .wavefront_size: 64
  - .args:
      - .offset:         0
        .size:           16
        .value_kind:     by_value
      - .offset:         16
        .size:           8
        .value_kind:     by_value
      - .offset:         24
        .size:           8
        .value_kind:     by_value
    .group_segment_fixed_size: 0
    .kernarg_segment_align: 8
    .kernarg_segment_size: 32
    .language:       OpenCL C
    .language_version:
      - 2
      - 0
    .max_flat_workgroup_size: 256
    .name:           _ZN6thrust23THRUST_200600_302600_NS11hip_rocprim14__parallel_for6kernelILj256ENS1_20__uninitialized_fill7functorINS0_10device_ptrIyEEyEEmLj1EEEvT0_T1_SA_
    .private_segment_fixed_size: 0
    .sgpr_count:     20
    .sgpr_spill_count: 0
    .symbol:         _ZN6thrust23THRUST_200600_302600_NS11hip_rocprim14__parallel_for6kernelILj256ENS1_20__uninitialized_fill7functorINS0_10device_ptrIyEEyEEmLj1EEEvT0_T1_SA_.kd
    .uniform_work_group_size: 1
    .uses_dynamic_stack: false
    .vgpr_count:     5
    .vgpr_spill_count: 0
    .wavefront_size: 64
  - .args:
      - .offset:         0
        .size:           56
        .value_kind:     by_value
    .group_segment_fixed_size: 0
    .kernarg_segment_align: 8
    .kernarg_segment_size: 56
    .language:       OpenCL C
    .language_version:
      - 2
      - 0
    .max_flat_workgroup_size: 128
    .name:           _ZN7rocprim17ROCPRIM_400000_NS6detail17trampoline_kernelINS0_14default_configENS1_35adjacent_difference_config_selectorILb0EyEEZNS1_24adjacent_difference_implIS3_Lb0ELb0EPyS7_N6thrust23THRUST_200600_302600_NS5minusIyEEEE10hipError_tPvRmT2_T3_mT4_P12ihipStream_tbEUlT_E_NS1_11comp_targetILNS1_3genE0ELNS1_11target_archE4294967295ELNS1_3gpuE0ELNS1_3repE0EEENS1_30default_config_static_selectorELNS0_4arch9wavefront6targetE1EEEvT1_
    .private_segment_fixed_size: 0
    .sgpr_count:     4
    .sgpr_spill_count: 0
    .symbol:         _ZN7rocprim17ROCPRIM_400000_NS6detail17trampoline_kernelINS0_14default_configENS1_35adjacent_difference_config_selectorILb0EyEEZNS1_24adjacent_difference_implIS3_Lb0ELb0EPyS7_N6thrust23THRUST_200600_302600_NS5minusIyEEEE10hipError_tPvRmT2_T3_mT4_P12ihipStream_tbEUlT_E_NS1_11comp_targetILNS1_3genE0ELNS1_11target_archE4294967295ELNS1_3gpuE0ELNS1_3repE0EEENS1_30default_config_static_selectorELNS0_4arch9wavefront6targetE1EEEvT1_.kd
    .uniform_work_group_size: 1
    .uses_dynamic_stack: false
    .vgpr_count:     0
    .vgpr_spill_count: 0
    .wavefront_size: 64
  - .args:
      - .offset:         0
        .size:           56
        .value_kind:     by_value
    .group_segment_fixed_size: 0
    .kernarg_segment_align: 8
    .kernarg_segment_size: 56
    .language:       OpenCL C
    .language_version:
      - 2
      - 0
    .max_flat_workgroup_size: 128
    .name:           _ZN7rocprim17ROCPRIM_400000_NS6detail17trampoline_kernelINS0_14default_configENS1_35adjacent_difference_config_selectorILb0EyEEZNS1_24adjacent_difference_implIS3_Lb0ELb0EPyS7_N6thrust23THRUST_200600_302600_NS5minusIyEEEE10hipError_tPvRmT2_T3_mT4_P12ihipStream_tbEUlT_E_NS1_11comp_targetILNS1_3genE10ELNS1_11target_archE1201ELNS1_3gpuE5ELNS1_3repE0EEENS1_30default_config_static_selectorELNS0_4arch9wavefront6targetE1EEEvT1_
    .private_segment_fixed_size: 0
    .sgpr_count:     4
    .sgpr_spill_count: 0
    .symbol:         _ZN7rocprim17ROCPRIM_400000_NS6detail17trampoline_kernelINS0_14default_configENS1_35adjacent_difference_config_selectorILb0EyEEZNS1_24adjacent_difference_implIS3_Lb0ELb0EPyS7_N6thrust23THRUST_200600_302600_NS5minusIyEEEE10hipError_tPvRmT2_T3_mT4_P12ihipStream_tbEUlT_E_NS1_11comp_targetILNS1_3genE10ELNS1_11target_archE1201ELNS1_3gpuE5ELNS1_3repE0EEENS1_30default_config_static_selectorELNS0_4arch9wavefront6targetE1EEEvT1_.kd
    .uniform_work_group_size: 1
    .uses_dynamic_stack: false
    .vgpr_count:     0
    .vgpr_spill_count: 0
    .wavefront_size: 64
  - .args:
      - .offset:         0
        .size:           56
        .value_kind:     by_value
    .group_segment_fixed_size: 0
    .kernarg_segment_align: 8
    .kernarg_segment_size: 56
    .language:       OpenCL C
    .language_version:
      - 2
      - 0
    .max_flat_workgroup_size: 64
    .name:           _ZN7rocprim17ROCPRIM_400000_NS6detail17trampoline_kernelINS0_14default_configENS1_35adjacent_difference_config_selectorILb0EyEEZNS1_24adjacent_difference_implIS3_Lb0ELb0EPyS7_N6thrust23THRUST_200600_302600_NS5minusIyEEEE10hipError_tPvRmT2_T3_mT4_P12ihipStream_tbEUlT_E_NS1_11comp_targetILNS1_3genE5ELNS1_11target_archE942ELNS1_3gpuE9ELNS1_3repE0EEENS1_30default_config_static_selectorELNS0_4arch9wavefront6targetE1EEEvT1_
    .private_segment_fixed_size: 0
    .sgpr_count:     4
    .sgpr_spill_count: 0
    .symbol:         _ZN7rocprim17ROCPRIM_400000_NS6detail17trampoline_kernelINS0_14default_configENS1_35adjacent_difference_config_selectorILb0EyEEZNS1_24adjacent_difference_implIS3_Lb0ELb0EPyS7_N6thrust23THRUST_200600_302600_NS5minusIyEEEE10hipError_tPvRmT2_T3_mT4_P12ihipStream_tbEUlT_E_NS1_11comp_targetILNS1_3genE5ELNS1_11target_archE942ELNS1_3gpuE9ELNS1_3repE0EEENS1_30default_config_static_selectorELNS0_4arch9wavefront6targetE1EEEvT1_.kd
    .uniform_work_group_size: 1
    .uses_dynamic_stack: false
    .vgpr_count:     0
    .vgpr_spill_count: 0
    .wavefront_size: 64
  - .args:
      - .offset:         0
        .size:           56
        .value_kind:     by_value
    .group_segment_fixed_size: 0
    .kernarg_segment_align: 8
    .kernarg_segment_size: 56
    .language:       OpenCL C
    .language_version:
      - 2
      - 0
    .max_flat_workgroup_size: 256
    .name:           _ZN7rocprim17ROCPRIM_400000_NS6detail17trampoline_kernelINS0_14default_configENS1_35adjacent_difference_config_selectorILb0EyEEZNS1_24adjacent_difference_implIS3_Lb0ELb0EPyS7_N6thrust23THRUST_200600_302600_NS5minusIyEEEE10hipError_tPvRmT2_T3_mT4_P12ihipStream_tbEUlT_E_NS1_11comp_targetILNS1_3genE4ELNS1_11target_archE910ELNS1_3gpuE8ELNS1_3repE0EEENS1_30default_config_static_selectorELNS0_4arch9wavefront6targetE1EEEvT1_
    .private_segment_fixed_size: 0
    .sgpr_count:     4
    .sgpr_spill_count: 0
    .symbol:         _ZN7rocprim17ROCPRIM_400000_NS6detail17trampoline_kernelINS0_14default_configENS1_35adjacent_difference_config_selectorILb0EyEEZNS1_24adjacent_difference_implIS3_Lb0ELb0EPyS7_N6thrust23THRUST_200600_302600_NS5minusIyEEEE10hipError_tPvRmT2_T3_mT4_P12ihipStream_tbEUlT_E_NS1_11comp_targetILNS1_3genE4ELNS1_11target_archE910ELNS1_3gpuE8ELNS1_3repE0EEENS1_30default_config_static_selectorELNS0_4arch9wavefront6targetE1EEEvT1_.kd
    .uniform_work_group_size: 1
    .uses_dynamic_stack: false
    .vgpr_count:     0
    .vgpr_spill_count: 0
    .wavefront_size: 64
  - .args:
      - .offset:         0
        .size:           56
        .value_kind:     by_value
    .group_segment_fixed_size: 0
    .kernarg_segment_align: 8
    .kernarg_segment_size: 56
    .language:       OpenCL C
    .language_version:
      - 2
      - 0
    .max_flat_workgroup_size: 128
    .name:           _ZN7rocprim17ROCPRIM_400000_NS6detail17trampoline_kernelINS0_14default_configENS1_35adjacent_difference_config_selectorILb0EyEEZNS1_24adjacent_difference_implIS3_Lb0ELb0EPyS7_N6thrust23THRUST_200600_302600_NS5minusIyEEEE10hipError_tPvRmT2_T3_mT4_P12ihipStream_tbEUlT_E_NS1_11comp_targetILNS1_3genE3ELNS1_11target_archE908ELNS1_3gpuE7ELNS1_3repE0EEENS1_30default_config_static_selectorELNS0_4arch9wavefront6targetE1EEEvT1_
    .private_segment_fixed_size: 0
    .sgpr_count:     4
    .sgpr_spill_count: 0
    .symbol:         _ZN7rocprim17ROCPRIM_400000_NS6detail17trampoline_kernelINS0_14default_configENS1_35adjacent_difference_config_selectorILb0EyEEZNS1_24adjacent_difference_implIS3_Lb0ELb0EPyS7_N6thrust23THRUST_200600_302600_NS5minusIyEEEE10hipError_tPvRmT2_T3_mT4_P12ihipStream_tbEUlT_E_NS1_11comp_targetILNS1_3genE3ELNS1_11target_archE908ELNS1_3gpuE7ELNS1_3repE0EEENS1_30default_config_static_selectorELNS0_4arch9wavefront6targetE1EEEvT1_.kd
    .uniform_work_group_size: 1
    .uses_dynamic_stack: false
    .vgpr_count:     0
    .vgpr_spill_count: 0
    .wavefront_size: 64
  - .args:
      - .offset:         0
        .size:           56
        .value_kind:     by_value
    .group_segment_fixed_size: 2112
    .kernarg_segment_align: 8
    .kernarg_segment_size: 56
    .language:       OpenCL C
    .language_version:
      - 2
      - 0
    .max_flat_workgroup_size: 128
    .name:           _ZN7rocprim17ROCPRIM_400000_NS6detail17trampoline_kernelINS0_14default_configENS1_35adjacent_difference_config_selectorILb0EyEEZNS1_24adjacent_difference_implIS3_Lb0ELb0EPyS7_N6thrust23THRUST_200600_302600_NS5minusIyEEEE10hipError_tPvRmT2_T3_mT4_P12ihipStream_tbEUlT_E_NS1_11comp_targetILNS1_3genE2ELNS1_11target_archE906ELNS1_3gpuE6ELNS1_3repE0EEENS1_30default_config_static_selectorELNS0_4arch9wavefront6targetE1EEEvT1_
    .private_segment_fixed_size: 0
    .sgpr_count:     26
    .sgpr_spill_count: 0
    .symbol:         _ZN7rocprim17ROCPRIM_400000_NS6detail17trampoline_kernelINS0_14default_configENS1_35adjacent_difference_config_selectorILb0EyEEZNS1_24adjacent_difference_implIS3_Lb0ELb0EPyS7_N6thrust23THRUST_200600_302600_NS5minusIyEEEE10hipError_tPvRmT2_T3_mT4_P12ihipStream_tbEUlT_E_NS1_11comp_targetILNS1_3genE2ELNS1_11target_archE906ELNS1_3gpuE6ELNS1_3repE0EEENS1_30default_config_static_selectorELNS0_4arch9wavefront6targetE1EEEvT1_.kd
    .uniform_work_group_size: 1
    .uses_dynamic_stack: false
    .vgpr_count:     15
    .vgpr_spill_count: 0
    .wavefront_size: 64
  - .args:
      - .offset:         0
        .size:           56
        .value_kind:     by_value
    .group_segment_fixed_size: 0
    .kernarg_segment_align: 8
    .kernarg_segment_size: 56
    .language:       OpenCL C
    .language_version:
      - 2
      - 0
    .max_flat_workgroup_size: 512
    .name:           _ZN7rocprim17ROCPRIM_400000_NS6detail17trampoline_kernelINS0_14default_configENS1_35adjacent_difference_config_selectorILb0EyEEZNS1_24adjacent_difference_implIS3_Lb0ELb0EPyS7_N6thrust23THRUST_200600_302600_NS5minusIyEEEE10hipError_tPvRmT2_T3_mT4_P12ihipStream_tbEUlT_E_NS1_11comp_targetILNS1_3genE9ELNS1_11target_archE1100ELNS1_3gpuE3ELNS1_3repE0EEENS1_30default_config_static_selectorELNS0_4arch9wavefront6targetE1EEEvT1_
    .private_segment_fixed_size: 0
    .sgpr_count:     4
    .sgpr_spill_count: 0
    .symbol:         _ZN7rocprim17ROCPRIM_400000_NS6detail17trampoline_kernelINS0_14default_configENS1_35adjacent_difference_config_selectorILb0EyEEZNS1_24adjacent_difference_implIS3_Lb0ELb0EPyS7_N6thrust23THRUST_200600_302600_NS5minusIyEEEE10hipError_tPvRmT2_T3_mT4_P12ihipStream_tbEUlT_E_NS1_11comp_targetILNS1_3genE9ELNS1_11target_archE1100ELNS1_3gpuE3ELNS1_3repE0EEENS1_30default_config_static_selectorELNS0_4arch9wavefront6targetE1EEEvT1_.kd
    .uniform_work_group_size: 1
    .uses_dynamic_stack: false
    .vgpr_count:     0
    .vgpr_spill_count: 0
    .wavefront_size: 64
  - .args:
      - .offset:         0
        .size:           56
        .value_kind:     by_value
    .group_segment_fixed_size: 0
    .kernarg_segment_align: 8
    .kernarg_segment_size: 56
    .language:       OpenCL C
    .language_version:
      - 2
      - 0
    .max_flat_workgroup_size: 1024
    .name:           _ZN7rocprim17ROCPRIM_400000_NS6detail17trampoline_kernelINS0_14default_configENS1_35adjacent_difference_config_selectorILb0EyEEZNS1_24adjacent_difference_implIS3_Lb0ELb0EPyS7_N6thrust23THRUST_200600_302600_NS5minusIyEEEE10hipError_tPvRmT2_T3_mT4_P12ihipStream_tbEUlT_E_NS1_11comp_targetILNS1_3genE8ELNS1_11target_archE1030ELNS1_3gpuE2ELNS1_3repE0EEENS1_30default_config_static_selectorELNS0_4arch9wavefront6targetE1EEEvT1_
    .private_segment_fixed_size: 0
    .sgpr_count:     4
    .sgpr_spill_count: 0
    .symbol:         _ZN7rocprim17ROCPRIM_400000_NS6detail17trampoline_kernelINS0_14default_configENS1_35adjacent_difference_config_selectorILb0EyEEZNS1_24adjacent_difference_implIS3_Lb0ELb0EPyS7_N6thrust23THRUST_200600_302600_NS5minusIyEEEE10hipError_tPvRmT2_T3_mT4_P12ihipStream_tbEUlT_E_NS1_11comp_targetILNS1_3genE8ELNS1_11target_archE1030ELNS1_3gpuE2ELNS1_3repE0EEENS1_30default_config_static_selectorELNS0_4arch9wavefront6targetE1EEEvT1_.kd
    .uniform_work_group_size: 1
    .uses_dynamic_stack: false
    .vgpr_count:     0
    .vgpr_spill_count: 0
    .wavefront_size: 64
  - .args:
      - .offset:         0
        .size:           56
        .value_kind:     by_value
    .group_segment_fixed_size: 0
    .kernarg_segment_align: 8
    .kernarg_segment_size: 56
    .language:       OpenCL C
    .language_version:
      - 2
      - 0
    .max_flat_workgroup_size: 128
    .name:           _ZN7rocprim17ROCPRIM_400000_NS6detail17trampoline_kernelINS0_14default_configENS1_25transform_config_selectorIyLb0EEEZNS1_14transform_implILb0ES3_S5_NS0_18transform_iteratorINS0_17counting_iteratorImlEEZNS1_24adjacent_difference_implIS3_Lb1ELb0EPySB_N6thrust23THRUST_200600_302600_NS5minusIyEEEE10hipError_tPvRmT2_T3_mT4_P12ihipStream_tbEUlmE_yEESB_NS0_8identityIvEEEESG_SJ_SK_mSL_SN_bEUlT_E_NS1_11comp_targetILNS1_3genE0ELNS1_11target_archE4294967295ELNS1_3gpuE0ELNS1_3repE0EEENS1_30default_config_static_selectorELNS0_4arch9wavefront6targetE1EEEvT1_
    .private_segment_fixed_size: 0
    .sgpr_count:     4
    .sgpr_spill_count: 0
    .symbol:         _ZN7rocprim17ROCPRIM_400000_NS6detail17trampoline_kernelINS0_14default_configENS1_25transform_config_selectorIyLb0EEEZNS1_14transform_implILb0ES3_S5_NS0_18transform_iteratorINS0_17counting_iteratorImlEEZNS1_24adjacent_difference_implIS3_Lb1ELb0EPySB_N6thrust23THRUST_200600_302600_NS5minusIyEEEE10hipError_tPvRmT2_T3_mT4_P12ihipStream_tbEUlmE_yEESB_NS0_8identityIvEEEESG_SJ_SK_mSL_SN_bEUlT_E_NS1_11comp_targetILNS1_3genE0ELNS1_11target_archE4294967295ELNS1_3gpuE0ELNS1_3repE0EEENS1_30default_config_static_selectorELNS0_4arch9wavefront6targetE1EEEvT1_.kd
    .uniform_work_group_size: 1
    .uses_dynamic_stack: false
    .vgpr_count:     0
    .vgpr_spill_count: 0
    .wavefront_size: 64
  - .args:
      - .offset:         0
        .size:           56
        .value_kind:     by_value
    .group_segment_fixed_size: 0
    .kernarg_segment_align: 8
    .kernarg_segment_size: 56
    .language:       OpenCL C
    .language_version:
      - 2
      - 0
    .max_flat_workgroup_size: 512
    .name:           _ZN7rocprim17ROCPRIM_400000_NS6detail17trampoline_kernelINS0_14default_configENS1_25transform_config_selectorIyLb0EEEZNS1_14transform_implILb0ES3_S5_NS0_18transform_iteratorINS0_17counting_iteratorImlEEZNS1_24adjacent_difference_implIS3_Lb1ELb0EPySB_N6thrust23THRUST_200600_302600_NS5minusIyEEEE10hipError_tPvRmT2_T3_mT4_P12ihipStream_tbEUlmE_yEESB_NS0_8identityIvEEEESG_SJ_SK_mSL_SN_bEUlT_E_NS1_11comp_targetILNS1_3genE5ELNS1_11target_archE942ELNS1_3gpuE9ELNS1_3repE0EEENS1_30default_config_static_selectorELNS0_4arch9wavefront6targetE1EEEvT1_
    .private_segment_fixed_size: 0
    .sgpr_count:     4
    .sgpr_spill_count: 0
    .symbol:         _ZN7rocprim17ROCPRIM_400000_NS6detail17trampoline_kernelINS0_14default_configENS1_25transform_config_selectorIyLb0EEEZNS1_14transform_implILb0ES3_S5_NS0_18transform_iteratorINS0_17counting_iteratorImlEEZNS1_24adjacent_difference_implIS3_Lb1ELb0EPySB_N6thrust23THRUST_200600_302600_NS5minusIyEEEE10hipError_tPvRmT2_T3_mT4_P12ihipStream_tbEUlmE_yEESB_NS0_8identityIvEEEESG_SJ_SK_mSL_SN_bEUlT_E_NS1_11comp_targetILNS1_3genE5ELNS1_11target_archE942ELNS1_3gpuE9ELNS1_3repE0EEENS1_30default_config_static_selectorELNS0_4arch9wavefront6targetE1EEEvT1_.kd
    .uniform_work_group_size: 1
    .uses_dynamic_stack: false
    .vgpr_count:     0
    .vgpr_spill_count: 0
    .wavefront_size: 64
  - .args:
      - .offset:         0
        .size:           56
        .value_kind:     by_value
    .group_segment_fixed_size: 0
    .kernarg_segment_align: 8
    .kernarg_segment_size: 56
    .language:       OpenCL C
    .language_version:
      - 2
      - 0
    .max_flat_workgroup_size: 256
    .name:           _ZN7rocprim17ROCPRIM_400000_NS6detail17trampoline_kernelINS0_14default_configENS1_25transform_config_selectorIyLb0EEEZNS1_14transform_implILb0ES3_S5_NS0_18transform_iteratorINS0_17counting_iteratorImlEEZNS1_24adjacent_difference_implIS3_Lb1ELb0EPySB_N6thrust23THRUST_200600_302600_NS5minusIyEEEE10hipError_tPvRmT2_T3_mT4_P12ihipStream_tbEUlmE_yEESB_NS0_8identityIvEEEESG_SJ_SK_mSL_SN_bEUlT_E_NS1_11comp_targetILNS1_3genE4ELNS1_11target_archE910ELNS1_3gpuE8ELNS1_3repE0EEENS1_30default_config_static_selectorELNS0_4arch9wavefront6targetE1EEEvT1_
    .private_segment_fixed_size: 0
    .sgpr_count:     4
    .sgpr_spill_count: 0
    .symbol:         _ZN7rocprim17ROCPRIM_400000_NS6detail17trampoline_kernelINS0_14default_configENS1_25transform_config_selectorIyLb0EEEZNS1_14transform_implILb0ES3_S5_NS0_18transform_iteratorINS0_17counting_iteratorImlEEZNS1_24adjacent_difference_implIS3_Lb1ELb0EPySB_N6thrust23THRUST_200600_302600_NS5minusIyEEEE10hipError_tPvRmT2_T3_mT4_P12ihipStream_tbEUlmE_yEESB_NS0_8identityIvEEEESG_SJ_SK_mSL_SN_bEUlT_E_NS1_11comp_targetILNS1_3genE4ELNS1_11target_archE910ELNS1_3gpuE8ELNS1_3repE0EEENS1_30default_config_static_selectorELNS0_4arch9wavefront6targetE1EEEvT1_.kd
    .uniform_work_group_size: 1
    .uses_dynamic_stack: false
    .vgpr_count:     0
    .vgpr_spill_count: 0
    .wavefront_size: 64
  - .args:
      - .offset:         0
        .size:           56
        .value_kind:     by_value
    .group_segment_fixed_size: 0
    .kernarg_segment_align: 8
    .kernarg_segment_size: 56
    .language:       OpenCL C
    .language_version:
      - 2
      - 0
    .max_flat_workgroup_size: 128
    .name:           _ZN7rocprim17ROCPRIM_400000_NS6detail17trampoline_kernelINS0_14default_configENS1_25transform_config_selectorIyLb0EEEZNS1_14transform_implILb0ES3_S5_NS0_18transform_iteratorINS0_17counting_iteratorImlEEZNS1_24adjacent_difference_implIS3_Lb1ELb0EPySB_N6thrust23THRUST_200600_302600_NS5minusIyEEEE10hipError_tPvRmT2_T3_mT4_P12ihipStream_tbEUlmE_yEESB_NS0_8identityIvEEEESG_SJ_SK_mSL_SN_bEUlT_E_NS1_11comp_targetILNS1_3genE3ELNS1_11target_archE908ELNS1_3gpuE7ELNS1_3repE0EEENS1_30default_config_static_selectorELNS0_4arch9wavefront6targetE1EEEvT1_
    .private_segment_fixed_size: 0
    .sgpr_count:     4
    .sgpr_spill_count: 0
    .symbol:         _ZN7rocprim17ROCPRIM_400000_NS6detail17trampoline_kernelINS0_14default_configENS1_25transform_config_selectorIyLb0EEEZNS1_14transform_implILb0ES3_S5_NS0_18transform_iteratorINS0_17counting_iteratorImlEEZNS1_24adjacent_difference_implIS3_Lb1ELb0EPySB_N6thrust23THRUST_200600_302600_NS5minusIyEEEE10hipError_tPvRmT2_T3_mT4_P12ihipStream_tbEUlmE_yEESB_NS0_8identityIvEEEESG_SJ_SK_mSL_SN_bEUlT_E_NS1_11comp_targetILNS1_3genE3ELNS1_11target_archE908ELNS1_3gpuE7ELNS1_3repE0EEENS1_30default_config_static_selectorELNS0_4arch9wavefront6targetE1EEEvT1_.kd
    .uniform_work_group_size: 1
    .uses_dynamic_stack: false
    .vgpr_count:     0
    .vgpr_spill_count: 0
    .wavefront_size: 64
  - .args:
      - .offset:         0
        .size:           56
        .value_kind:     by_value
      - .offset:         56
        .size:           4
        .value_kind:     hidden_block_count_x
      - .offset:         60
        .size:           4
        .value_kind:     hidden_block_count_y
      - .offset:         64
        .size:           4
        .value_kind:     hidden_block_count_z
      - .offset:         68
        .size:           2
        .value_kind:     hidden_group_size_x
      - .offset:         70
        .size:           2
        .value_kind:     hidden_group_size_y
      - .offset:         72
        .size:           2
        .value_kind:     hidden_group_size_z
      - .offset:         74
        .size:           2
        .value_kind:     hidden_remainder_x
      - .offset:         76
        .size:           2
        .value_kind:     hidden_remainder_y
      - .offset:         78
        .size:           2
        .value_kind:     hidden_remainder_z
      - .offset:         96
        .size:           8
        .value_kind:     hidden_global_offset_x
      - .offset:         104
        .size:           8
        .value_kind:     hidden_global_offset_y
      - .offset:         112
        .size:           8
        .value_kind:     hidden_global_offset_z
      - .offset:         120
        .size:           2
        .value_kind:     hidden_grid_dims
    .group_segment_fixed_size: 0
    .kernarg_segment_align: 8
    .kernarg_segment_size: 312
    .language:       OpenCL C
    .language_version:
      - 2
      - 0
    .max_flat_workgroup_size: 512
    .name:           _ZN7rocprim17ROCPRIM_400000_NS6detail17trampoline_kernelINS0_14default_configENS1_25transform_config_selectorIyLb0EEEZNS1_14transform_implILb0ES3_S5_NS0_18transform_iteratorINS0_17counting_iteratorImlEEZNS1_24adjacent_difference_implIS3_Lb1ELb0EPySB_N6thrust23THRUST_200600_302600_NS5minusIyEEEE10hipError_tPvRmT2_T3_mT4_P12ihipStream_tbEUlmE_yEESB_NS0_8identityIvEEEESG_SJ_SK_mSL_SN_bEUlT_E_NS1_11comp_targetILNS1_3genE2ELNS1_11target_archE906ELNS1_3gpuE6ELNS1_3repE0EEENS1_30default_config_static_selectorELNS0_4arch9wavefront6targetE1EEEvT1_
    .private_segment_fixed_size: 0
    .sgpr_count:     16
    .sgpr_spill_count: 0
    .symbol:         _ZN7rocprim17ROCPRIM_400000_NS6detail17trampoline_kernelINS0_14default_configENS1_25transform_config_selectorIyLb0EEEZNS1_14transform_implILb0ES3_S5_NS0_18transform_iteratorINS0_17counting_iteratorImlEEZNS1_24adjacent_difference_implIS3_Lb1ELb0EPySB_N6thrust23THRUST_200600_302600_NS5minusIyEEEE10hipError_tPvRmT2_T3_mT4_P12ihipStream_tbEUlmE_yEESB_NS0_8identityIvEEEESG_SJ_SK_mSL_SN_bEUlT_E_NS1_11comp_targetILNS1_3genE2ELNS1_11target_archE906ELNS1_3gpuE6ELNS1_3repE0EEENS1_30default_config_static_selectorELNS0_4arch9wavefront6targetE1EEEvT1_.kd
    .uniform_work_group_size: 1
    .uses_dynamic_stack: false
    .vgpr_count:     5
    .vgpr_spill_count: 0
    .wavefront_size: 64
  - .args:
      - .offset:         0
        .size:           56
        .value_kind:     by_value
    .group_segment_fixed_size: 0
    .kernarg_segment_align: 8
    .kernarg_segment_size: 56
    .language:       OpenCL C
    .language_version:
      - 2
      - 0
    .max_flat_workgroup_size: 1024
    .name:           _ZN7rocprim17ROCPRIM_400000_NS6detail17trampoline_kernelINS0_14default_configENS1_25transform_config_selectorIyLb0EEEZNS1_14transform_implILb0ES3_S5_NS0_18transform_iteratorINS0_17counting_iteratorImlEEZNS1_24adjacent_difference_implIS3_Lb1ELb0EPySB_N6thrust23THRUST_200600_302600_NS5minusIyEEEE10hipError_tPvRmT2_T3_mT4_P12ihipStream_tbEUlmE_yEESB_NS0_8identityIvEEEESG_SJ_SK_mSL_SN_bEUlT_E_NS1_11comp_targetILNS1_3genE10ELNS1_11target_archE1201ELNS1_3gpuE5ELNS1_3repE0EEENS1_30default_config_static_selectorELNS0_4arch9wavefront6targetE1EEEvT1_
    .private_segment_fixed_size: 0
    .sgpr_count:     4
    .sgpr_spill_count: 0
    .symbol:         _ZN7rocprim17ROCPRIM_400000_NS6detail17trampoline_kernelINS0_14default_configENS1_25transform_config_selectorIyLb0EEEZNS1_14transform_implILb0ES3_S5_NS0_18transform_iteratorINS0_17counting_iteratorImlEEZNS1_24adjacent_difference_implIS3_Lb1ELb0EPySB_N6thrust23THRUST_200600_302600_NS5minusIyEEEE10hipError_tPvRmT2_T3_mT4_P12ihipStream_tbEUlmE_yEESB_NS0_8identityIvEEEESG_SJ_SK_mSL_SN_bEUlT_E_NS1_11comp_targetILNS1_3genE10ELNS1_11target_archE1201ELNS1_3gpuE5ELNS1_3repE0EEENS1_30default_config_static_selectorELNS0_4arch9wavefront6targetE1EEEvT1_.kd
    .uniform_work_group_size: 1
    .uses_dynamic_stack: false
    .vgpr_count:     0
    .vgpr_spill_count: 0
    .wavefront_size: 64
  - .args:
      - .offset:         0
        .size:           56
        .value_kind:     by_value
    .group_segment_fixed_size: 0
    .kernarg_segment_align: 8
    .kernarg_segment_size: 56
    .language:       OpenCL C
    .language_version:
      - 2
      - 0
    .max_flat_workgroup_size: 512
    .name:           _ZN7rocprim17ROCPRIM_400000_NS6detail17trampoline_kernelINS0_14default_configENS1_25transform_config_selectorIyLb0EEEZNS1_14transform_implILb0ES3_S5_NS0_18transform_iteratorINS0_17counting_iteratorImlEEZNS1_24adjacent_difference_implIS3_Lb1ELb0EPySB_N6thrust23THRUST_200600_302600_NS5minusIyEEEE10hipError_tPvRmT2_T3_mT4_P12ihipStream_tbEUlmE_yEESB_NS0_8identityIvEEEESG_SJ_SK_mSL_SN_bEUlT_E_NS1_11comp_targetILNS1_3genE10ELNS1_11target_archE1200ELNS1_3gpuE4ELNS1_3repE0EEENS1_30default_config_static_selectorELNS0_4arch9wavefront6targetE1EEEvT1_
    .private_segment_fixed_size: 0
    .sgpr_count:     4
    .sgpr_spill_count: 0
    .symbol:         _ZN7rocprim17ROCPRIM_400000_NS6detail17trampoline_kernelINS0_14default_configENS1_25transform_config_selectorIyLb0EEEZNS1_14transform_implILb0ES3_S5_NS0_18transform_iteratorINS0_17counting_iteratorImlEEZNS1_24adjacent_difference_implIS3_Lb1ELb0EPySB_N6thrust23THRUST_200600_302600_NS5minusIyEEEE10hipError_tPvRmT2_T3_mT4_P12ihipStream_tbEUlmE_yEESB_NS0_8identityIvEEEESG_SJ_SK_mSL_SN_bEUlT_E_NS1_11comp_targetILNS1_3genE10ELNS1_11target_archE1200ELNS1_3gpuE4ELNS1_3repE0EEENS1_30default_config_static_selectorELNS0_4arch9wavefront6targetE1EEEvT1_.kd
    .uniform_work_group_size: 1
    .uses_dynamic_stack: false
    .vgpr_count:     0
    .vgpr_spill_count: 0
    .wavefront_size: 64
  - .args:
      - .offset:         0
        .size:           56
        .value_kind:     by_value
    .group_segment_fixed_size: 0
    .kernarg_segment_align: 8
    .kernarg_segment_size: 56
    .language:       OpenCL C
    .language_version:
      - 2
      - 0
    .max_flat_workgroup_size: 512
    .name:           _ZN7rocprim17ROCPRIM_400000_NS6detail17trampoline_kernelINS0_14default_configENS1_25transform_config_selectorIyLb0EEEZNS1_14transform_implILb0ES3_S5_NS0_18transform_iteratorINS0_17counting_iteratorImlEEZNS1_24adjacent_difference_implIS3_Lb1ELb0EPySB_N6thrust23THRUST_200600_302600_NS5minusIyEEEE10hipError_tPvRmT2_T3_mT4_P12ihipStream_tbEUlmE_yEESB_NS0_8identityIvEEEESG_SJ_SK_mSL_SN_bEUlT_E_NS1_11comp_targetILNS1_3genE9ELNS1_11target_archE1100ELNS1_3gpuE3ELNS1_3repE0EEENS1_30default_config_static_selectorELNS0_4arch9wavefront6targetE1EEEvT1_
    .private_segment_fixed_size: 0
    .sgpr_count:     4
    .sgpr_spill_count: 0
    .symbol:         _ZN7rocprim17ROCPRIM_400000_NS6detail17trampoline_kernelINS0_14default_configENS1_25transform_config_selectorIyLb0EEEZNS1_14transform_implILb0ES3_S5_NS0_18transform_iteratorINS0_17counting_iteratorImlEEZNS1_24adjacent_difference_implIS3_Lb1ELb0EPySB_N6thrust23THRUST_200600_302600_NS5minusIyEEEE10hipError_tPvRmT2_T3_mT4_P12ihipStream_tbEUlmE_yEESB_NS0_8identityIvEEEESG_SJ_SK_mSL_SN_bEUlT_E_NS1_11comp_targetILNS1_3genE9ELNS1_11target_archE1100ELNS1_3gpuE3ELNS1_3repE0EEENS1_30default_config_static_selectorELNS0_4arch9wavefront6targetE1EEEvT1_.kd
    .uniform_work_group_size: 1
    .uses_dynamic_stack: false
    .vgpr_count:     0
    .vgpr_spill_count: 0
    .wavefront_size: 64
  - .args:
      - .offset:         0
        .size:           56
        .value_kind:     by_value
    .group_segment_fixed_size: 0
    .kernarg_segment_align: 8
    .kernarg_segment_size: 56
    .language:       OpenCL C
    .language_version:
      - 2
      - 0
    .max_flat_workgroup_size: 512
    .name:           _ZN7rocprim17ROCPRIM_400000_NS6detail17trampoline_kernelINS0_14default_configENS1_25transform_config_selectorIyLb0EEEZNS1_14transform_implILb0ES3_S5_NS0_18transform_iteratorINS0_17counting_iteratorImlEEZNS1_24adjacent_difference_implIS3_Lb1ELb0EPySB_N6thrust23THRUST_200600_302600_NS5minusIyEEEE10hipError_tPvRmT2_T3_mT4_P12ihipStream_tbEUlmE_yEESB_NS0_8identityIvEEEESG_SJ_SK_mSL_SN_bEUlT_E_NS1_11comp_targetILNS1_3genE8ELNS1_11target_archE1030ELNS1_3gpuE2ELNS1_3repE0EEENS1_30default_config_static_selectorELNS0_4arch9wavefront6targetE1EEEvT1_
    .private_segment_fixed_size: 0
    .sgpr_count:     4
    .sgpr_spill_count: 0
    .symbol:         _ZN7rocprim17ROCPRIM_400000_NS6detail17trampoline_kernelINS0_14default_configENS1_25transform_config_selectorIyLb0EEEZNS1_14transform_implILb0ES3_S5_NS0_18transform_iteratorINS0_17counting_iteratorImlEEZNS1_24adjacent_difference_implIS3_Lb1ELb0EPySB_N6thrust23THRUST_200600_302600_NS5minusIyEEEE10hipError_tPvRmT2_T3_mT4_P12ihipStream_tbEUlmE_yEESB_NS0_8identityIvEEEESG_SJ_SK_mSL_SN_bEUlT_E_NS1_11comp_targetILNS1_3genE8ELNS1_11target_archE1030ELNS1_3gpuE2ELNS1_3repE0EEENS1_30default_config_static_selectorELNS0_4arch9wavefront6targetE1EEEvT1_.kd
    .uniform_work_group_size: 1
    .uses_dynamic_stack: false
    .vgpr_count:     0
    .vgpr_spill_count: 0
    .wavefront_size: 64
  - .args:
      - .offset:         0
        .size:           56
        .value_kind:     by_value
    .group_segment_fixed_size: 0
    .kernarg_segment_align: 8
    .kernarg_segment_size: 56
    .language:       OpenCL C
    .language_version:
      - 2
      - 0
    .max_flat_workgroup_size: 512
    .name:           _ZN7rocprim17ROCPRIM_400000_NS6detail17trampoline_kernelINS0_14default_configENS1_35adjacent_difference_config_selectorILb1EyEEZNS1_24adjacent_difference_implIS3_Lb1ELb0EPyS7_N6thrust23THRUST_200600_302600_NS5minusIyEEEE10hipError_tPvRmT2_T3_mT4_P12ihipStream_tbEUlT_E_NS1_11comp_targetILNS1_3genE0ELNS1_11target_archE4294967295ELNS1_3gpuE0ELNS1_3repE0EEENS1_30default_config_static_selectorELNS0_4arch9wavefront6targetE1EEEvT1_
    .private_segment_fixed_size: 0
    .sgpr_count:     4
    .sgpr_spill_count: 0
    .symbol:         _ZN7rocprim17ROCPRIM_400000_NS6detail17trampoline_kernelINS0_14default_configENS1_35adjacent_difference_config_selectorILb1EyEEZNS1_24adjacent_difference_implIS3_Lb1ELb0EPyS7_N6thrust23THRUST_200600_302600_NS5minusIyEEEE10hipError_tPvRmT2_T3_mT4_P12ihipStream_tbEUlT_E_NS1_11comp_targetILNS1_3genE0ELNS1_11target_archE4294967295ELNS1_3gpuE0ELNS1_3repE0EEENS1_30default_config_static_selectorELNS0_4arch9wavefront6targetE1EEEvT1_.kd
    .uniform_work_group_size: 1
    .uses_dynamic_stack: false
    .vgpr_count:     0
    .vgpr_spill_count: 0
    .wavefront_size: 64
  - .args:
      - .offset:         0
        .size:           56
        .value_kind:     by_value
    .group_segment_fixed_size: 0
    .kernarg_segment_align: 8
    .kernarg_segment_size: 56
    .language:       OpenCL C
    .language_version:
      - 2
      - 0
    .max_flat_workgroup_size: 32
    .name:           _ZN7rocprim17ROCPRIM_400000_NS6detail17trampoline_kernelINS0_14default_configENS1_35adjacent_difference_config_selectorILb1EyEEZNS1_24adjacent_difference_implIS3_Lb1ELb0EPyS7_N6thrust23THRUST_200600_302600_NS5minusIyEEEE10hipError_tPvRmT2_T3_mT4_P12ihipStream_tbEUlT_E_NS1_11comp_targetILNS1_3genE10ELNS1_11target_archE1201ELNS1_3gpuE5ELNS1_3repE0EEENS1_30default_config_static_selectorELNS0_4arch9wavefront6targetE1EEEvT1_
    .private_segment_fixed_size: 0
    .sgpr_count:     4
    .sgpr_spill_count: 0
    .symbol:         _ZN7rocprim17ROCPRIM_400000_NS6detail17trampoline_kernelINS0_14default_configENS1_35adjacent_difference_config_selectorILb1EyEEZNS1_24adjacent_difference_implIS3_Lb1ELb0EPyS7_N6thrust23THRUST_200600_302600_NS5minusIyEEEE10hipError_tPvRmT2_T3_mT4_P12ihipStream_tbEUlT_E_NS1_11comp_targetILNS1_3genE10ELNS1_11target_archE1201ELNS1_3gpuE5ELNS1_3repE0EEENS1_30default_config_static_selectorELNS0_4arch9wavefront6targetE1EEEvT1_.kd
    .uniform_work_group_size: 1
    .uses_dynamic_stack: false
    .vgpr_count:     0
    .vgpr_spill_count: 0
    .wavefront_size: 64
  - .args:
      - .offset:         0
        .size:           56
        .value_kind:     by_value
    .group_segment_fixed_size: 0
    .kernarg_segment_align: 8
    .kernarg_segment_size: 56
    .language:       OpenCL C
    .language_version:
      - 2
      - 0
    .max_flat_workgroup_size: 256
    .name:           _ZN7rocprim17ROCPRIM_400000_NS6detail17trampoline_kernelINS0_14default_configENS1_35adjacent_difference_config_selectorILb1EyEEZNS1_24adjacent_difference_implIS3_Lb1ELb0EPyS7_N6thrust23THRUST_200600_302600_NS5minusIyEEEE10hipError_tPvRmT2_T3_mT4_P12ihipStream_tbEUlT_E_NS1_11comp_targetILNS1_3genE5ELNS1_11target_archE942ELNS1_3gpuE9ELNS1_3repE0EEENS1_30default_config_static_selectorELNS0_4arch9wavefront6targetE1EEEvT1_
    .private_segment_fixed_size: 0
    .sgpr_count:     4
    .sgpr_spill_count: 0
    .symbol:         _ZN7rocprim17ROCPRIM_400000_NS6detail17trampoline_kernelINS0_14default_configENS1_35adjacent_difference_config_selectorILb1EyEEZNS1_24adjacent_difference_implIS3_Lb1ELb0EPyS7_N6thrust23THRUST_200600_302600_NS5minusIyEEEE10hipError_tPvRmT2_T3_mT4_P12ihipStream_tbEUlT_E_NS1_11comp_targetILNS1_3genE5ELNS1_11target_archE942ELNS1_3gpuE9ELNS1_3repE0EEENS1_30default_config_static_selectorELNS0_4arch9wavefront6targetE1EEEvT1_.kd
    .uniform_work_group_size: 1
    .uses_dynamic_stack: false
    .vgpr_count:     0
    .vgpr_spill_count: 0
    .wavefront_size: 64
  - .args:
      - .offset:         0
        .size:           56
        .value_kind:     by_value
    .group_segment_fixed_size: 0
    .kernarg_segment_align: 8
    .kernarg_segment_size: 56
    .language:       OpenCL C
    .language_version:
      - 2
      - 0
    .max_flat_workgroup_size: 512
    .name:           _ZN7rocprim17ROCPRIM_400000_NS6detail17trampoline_kernelINS0_14default_configENS1_35adjacent_difference_config_selectorILb1EyEEZNS1_24adjacent_difference_implIS3_Lb1ELb0EPyS7_N6thrust23THRUST_200600_302600_NS5minusIyEEEE10hipError_tPvRmT2_T3_mT4_P12ihipStream_tbEUlT_E_NS1_11comp_targetILNS1_3genE4ELNS1_11target_archE910ELNS1_3gpuE8ELNS1_3repE0EEENS1_30default_config_static_selectorELNS0_4arch9wavefront6targetE1EEEvT1_
    .private_segment_fixed_size: 0
    .sgpr_count:     4
    .sgpr_spill_count: 0
    .symbol:         _ZN7rocprim17ROCPRIM_400000_NS6detail17trampoline_kernelINS0_14default_configENS1_35adjacent_difference_config_selectorILb1EyEEZNS1_24adjacent_difference_implIS3_Lb1ELb0EPyS7_N6thrust23THRUST_200600_302600_NS5minusIyEEEE10hipError_tPvRmT2_T3_mT4_P12ihipStream_tbEUlT_E_NS1_11comp_targetILNS1_3genE4ELNS1_11target_archE910ELNS1_3gpuE8ELNS1_3repE0EEENS1_30default_config_static_selectorELNS0_4arch9wavefront6targetE1EEEvT1_.kd
    .uniform_work_group_size: 1
    .uses_dynamic_stack: false
    .vgpr_count:     0
    .vgpr_spill_count: 0
    .wavefront_size: 64
  - .args:
      - .offset:         0
        .size:           56
        .value_kind:     by_value
    .group_segment_fixed_size: 0
    .kernarg_segment_align: 8
    .kernarg_segment_size: 56
    .language:       OpenCL C
    .language_version:
      - 2
      - 0
    .max_flat_workgroup_size: 512
    .name:           _ZN7rocprim17ROCPRIM_400000_NS6detail17trampoline_kernelINS0_14default_configENS1_35adjacent_difference_config_selectorILb1EyEEZNS1_24adjacent_difference_implIS3_Lb1ELb0EPyS7_N6thrust23THRUST_200600_302600_NS5minusIyEEEE10hipError_tPvRmT2_T3_mT4_P12ihipStream_tbEUlT_E_NS1_11comp_targetILNS1_3genE3ELNS1_11target_archE908ELNS1_3gpuE7ELNS1_3repE0EEENS1_30default_config_static_selectorELNS0_4arch9wavefront6targetE1EEEvT1_
    .private_segment_fixed_size: 0
    .sgpr_count:     4
    .sgpr_spill_count: 0
    .symbol:         _ZN7rocprim17ROCPRIM_400000_NS6detail17trampoline_kernelINS0_14default_configENS1_35adjacent_difference_config_selectorILb1EyEEZNS1_24adjacent_difference_implIS3_Lb1ELb0EPyS7_N6thrust23THRUST_200600_302600_NS5minusIyEEEE10hipError_tPvRmT2_T3_mT4_P12ihipStream_tbEUlT_E_NS1_11comp_targetILNS1_3genE3ELNS1_11target_archE908ELNS1_3gpuE7ELNS1_3repE0EEENS1_30default_config_static_selectorELNS0_4arch9wavefront6targetE1EEEvT1_.kd
    .uniform_work_group_size: 1
    .uses_dynamic_stack: false
    .vgpr_count:     0
    .vgpr_spill_count: 0
    .wavefront_size: 64
  - .args:
      - .offset:         0
        .size:           56
        .value_kind:     by_value
    .group_segment_fixed_size: 11264
    .kernarg_segment_align: 8
    .kernarg_segment_size: 56
    .language:       OpenCL C
    .language_version:
      - 2
      - 0
    .max_flat_workgroup_size: 128
    .name:           _ZN7rocprim17ROCPRIM_400000_NS6detail17trampoline_kernelINS0_14default_configENS1_35adjacent_difference_config_selectorILb1EyEEZNS1_24adjacent_difference_implIS3_Lb1ELb0EPyS7_N6thrust23THRUST_200600_302600_NS5minusIyEEEE10hipError_tPvRmT2_T3_mT4_P12ihipStream_tbEUlT_E_NS1_11comp_targetILNS1_3genE2ELNS1_11target_archE906ELNS1_3gpuE6ELNS1_3repE0EEENS1_30default_config_static_selectorELNS0_4arch9wavefront6targetE1EEEvT1_
    .private_segment_fixed_size: 0
    .sgpr_count:     33
    .sgpr_spill_count: 0
    .symbol:         _ZN7rocprim17ROCPRIM_400000_NS6detail17trampoline_kernelINS0_14default_configENS1_35adjacent_difference_config_selectorILb1EyEEZNS1_24adjacent_difference_implIS3_Lb1ELb0EPyS7_N6thrust23THRUST_200600_302600_NS5minusIyEEEE10hipError_tPvRmT2_T3_mT4_P12ihipStream_tbEUlT_E_NS1_11comp_targetILNS1_3genE2ELNS1_11target_archE906ELNS1_3gpuE6ELNS1_3repE0EEENS1_30default_config_static_selectorELNS0_4arch9wavefront6targetE1EEEvT1_.kd
    .uniform_work_group_size: 1
    .uses_dynamic_stack: false
    .vgpr_count:     48
    .vgpr_spill_count: 0
    .wavefront_size: 64
  - .args:
      - .offset:         0
        .size:           56
        .value_kind:     by_value
    .group_segment_fixed_size: 0
    .kernarg_segment_align: 8
    .kernarg_segment_size: 56
    .language:       OpenCL C
    .language_version:
      - 2
      - 0
    .max_flat_workgroup_size: 128
    .name:           _ZN7rocprim17ROCPRIM_400000_NS6detail17trampoline_kernelINS0_14default_configENS1_35adjacent_difference_config_selectorILb1EyEEZNS1_24adjacent_difference_implIS3_Lb1ELb0EPyS7_N6thrust23THRUST_200600_302600_NS5minusIyEEEE10hipError_tPvRmT2_T3_mT4_P12ihipStream_tbEUlT_E_NS1_11comp_targetILNS1_3genE9ELNS1_11target_archE1100ELNS1_3gpuE3ELNS1_3repE0EEENS1_30default_config_static_selectorELNS0_4arch9wavefront6targetE1EEEvT1_
    .private_segment_fixed_size: 0
    .sgpr_count:     4
    .sgpr_spill_count: 0
    .symbol:         _ZN7rocprim17ROCPRIM_400000_NS6detail17trampoline_kernelINS0_14default_configENS1_35adjacent_difference_config_selectorILb1EyEEZNS1_24adjacent_difference_implIS3_Lb1ELb0EPyS7_N6thrust23THRUST_200600_302600_NS5minusIyEEEE10hipError_tPvRmT2_T3_mT4_P12ihipStream_tbEUlT_E_NS1_11comp_targetILNS1_3genE9ELNS1_11target_archE1100ELNS1_3gpuE3ELNS1_3repE0EEENS1_30default_config_static_selectorELNS0_4arch9wavefront6targetE1EEEvT1_.kd
    .uniform_work_group_size: 1
    .uses_dynamic_stack: false
    .vgpr_count:     0
    .vgpr_spill_count: 0
    .wavefront_size: 64
  - .args:
      - .offset:         0
        .size:           56
        .value_kind:     by_value
    .group_segment_fixed_size: 0
    .kernarg_segment_align: 8
    .kernarg_segment_size: 56
    .language:       OpenCL C
    .language_version:
      - 2
      - 0
    .max_flat_workgroup_size: 32
    .name:           _ZN7rocprim17ROCPRIM_400000_NS6detail17trampoline_kernelINS0_14default_configENS1_35adjacent_difference_config_selectorILb1EyEEZNS1_24adjacent_difference_implIS3_Lb1ELb0EPyS7_N6thrust23THRUST_200600_302600_NS5minusIyEEEE10hipError_tPvRmT2_T3_mT4_P12ihipStream_tbEUlT_E_NS1_11comp_targetILNS1_3genE8ELNS1_11target_archE1030ELNS1_3gpuE2ELNS1_3repE0EEENS1_30default_config_static_selectorELNS0_4arch9wavefront6targetE1EEEvT1_
    .private_segment_fixed_size: 0
    .sgpr_count:     4
    .sgpr_spill_count: 0
    .symbol:         _ZN7rocprim17ROCPRIM_400000_NS6detail17trampoline_kernelINS0_14default_configENS1_35adjacent_difference_config_selectorILb1EyEEZNS1_24adjacent_difference_implIS3_Lb1ELb0EPyS7_N6thrust23THRUST_200600_302600_NS5minusIyEEEE10hipError_tPvRmT2_T3_mT4_P12ihipStream_tbEUlT_E_NS1_11comp_targetILNS1_3genE8ELNS1_11target_archE1030ELNS1_3gpuE2ELNS1_3repE0EEENS1_30default_config_static_selectorELNS0_4arch9wavefront6targetE1EEEvT1_.kd
    .uniform_work_group_size: 1
    .uses_dynamic_stack: false
    .vgpr_count:     0
    .vgpr_spill_count: 0
    .wavefront_size: 64
  - .args:
      - .offset:         0
        .size:           56
        .value_kind:     by_value
    .group_segment_fixed_size: 0
    .kernarg_segment_align: 8
    .kernarg_segment_size: 56
    .language:       OpenCL C
    .language_version:
      - 2
      - 0
    .max_flat_workgroup_size: 128
    .name:           _ZN7rocprim17ROCPRIM_400000_NS6detail17trampoline_kernelINS0_14default_configENS1_35adjacent_difference_config_selectorILb0EyEEZNS1_24adjacent_difference_implIS3_Lb0ELb0EPyS7_N6thrust23THRUST_200600_302600_NS4plusIyEEEE10hipError_tPvRmT2_T3_mT4_P12ihipStream_tbEUlT_E_NS1_11comp_targetILNS1_3genE0ELNS1_11target_archE4294967295ELNS1_3gpuE0ELNS1_3repE0EEENS1_30default_config_static_selectorELNS0_4arch9wavefront6targetE1EEEvT1_
    .private_segment_fixed_size: 0
    .sgpr_count:     4
    .sgpr_spill_count: 0
    .symbol:         _ZN7rocprim17ROCPRIM_400000_NS6detail17trampoline_kernelINS0_14default_configENS1_35adjacent_difference_config_selectorILb0EyEEZNS1_24adjacent_difference_implIS3_Lb0ELb0EPyS7_N6thrust23THRUST_200600_302600_NS4plusIyEEEE10hipError_tPvRmT2_T3_mT4_P12ihipStream_tbEUlT_E_NS1_11comp_targetILNS1_3genE0ELNS1_11target_archE4294967295ELNS1_3gpuE0ELNS1_3repE0EEENS1_30default_config_static_selectorELNS0_4arch9wavefront6targetE1EEEvT1_.kd
    .uniform_work_group_size: 1
    .uses_dynamic_stack: false
    .vgpr_count:     0
    .vgpr_spill_count: 0
    .wavefront_size: 64
  - .args:
      - .offset:         0
        .size:           56
        .value_kind:     by_value
    .group_segment_fixed_size: 0
    .kernarg_segment_align: 8
    .kernarg_segment_size: 56
    .language:       OpenCL C
    .language_version:
      - 2
      - 0
    .max_flat_workgroup_size: 128
    .name:           _ZN7rocprim17ROCPRIM_400000_NS6detail17trampoline_kernelINS0_14default_configENS1_35adjacent_difference_config_selectorILb0EyEEZNS1_24adjacent_difference_implIS3_Lb0ELb0EPyS7_N6thrust23THRUST_200600_302600_NS4plusIyEEEE10hipError_tPvRmT2_T3_mT4_P12ihipStream_tbEUlT_E_NS1_11comp_targetILNS1_3genE10ELNS1_11target_archE1201ELNS1_3gpuE5ELNS1_3repE0EEENS1_30default_config_static_selectorELNS0_4arch9wavefront6targetE1EEEvT1_
    .private_segment_fixed_size: 0
    .sgpr_count:     4
    .sgpr_spill_count: 0
    .symbol:         _ZN7rocprim17ROCPRIM_400000_NS6detail17trampoline_kernelINS0_14default_configENS1_35adjacent_difference_config_selectorILb0EyEEZNS1_24adjacent_difference_implIS3_Lb0ELb0EPyS7_N6thrust23THRUST_200600_302600_NS4plusIyEEEE10hipError_tPvRmT2_T3_mT4_P12ihipStream_tbEUlT_E_NS1_11comp_targetILNS1_3genE10ELNS1_11target_archE1201ELNS1_3gpuE5ELNS1_3repE0EEENS1_30default_config_static_selectorELNS0_4arch9wavefront6targetE1EEEvT1_.kd
    .uniform_work_group_size: 1
    .uses_dynamic_stack: false
    .vgpr_count:     0
    .vgpr_spill_count: 0
    .wavefront_size: 64
  - .args:
      - .offset:         0
        .size:           56
        .value_kind:     by_value
    .group_segment_fixed_size: 0
    .kernarg_segment_align: 8
    .kernarg_segment_size: 56
    .language:       OpenCL C
    .language_version:
      - 2
      - 0
    .max_flat_workgroup_size: 64
    .name:           _ZN7rocprim17ROCPRIM_400000_NS6detail17trampoline_kernelINS0_14default_configENS1_35adjacent_difference_config_selectorILb0EyEEZNS1_24adjacent_difference_implIS3_Lb0ELb0EPyS7_N6thrust23THRUST_200600_302600_NS4plusIyEEEE10hipError_tPvRmT2_T3_mT4_P12ihipStream_tbEUlT_E_NS1_11comp_targetILNS1_3genE5ELNS1_11target_archE942ELNS1_3gpuE9ELNS1_3repE0EEENS1_30default_config_static_selectorELNS0_4arch9wavefront6targetE1EEEvT1_
    .private_segment_fixed_size: 0
    .sgpr_count:     4
    .sgpr_spill_count: 0
    .symbol:         _ZN7rocprim17ROCPRIM_400000_NS6detail17trampoline_kernelINS0_14default_configENS1_35adjacent_difference_config_selectorILb0EyEEZNS1_24adjacent_difference_implIS3_Lb0ELb0EPyS7_N6thrust23THRUST_200600_302600_NS4plusIyEEEE10hipError_tPvRmT2_T3_mT4_P12ihipStream_tbEUlT_E_NS1_11comp_targetILNS1_3genE5ELNS1_11target_archE942ELNS1_3gpuE9ELNS1_3repE0EEENS1_30default_config_static_selectorELNS0_4arch9wavefront6targetE1EEEvT1_.kd
    .uniform_work_group_size: 1
    .uses_dynamic_stack: false
    .vgpr_count:     0
    .vgpr_spill_count: 0
    .wavefront_size: 64
  - .args:
      - .offset:         0
        .size:           56
        .value_kind:     by_value
    .group_segment_fixed_size: 0
    .kernarg_segment_align: 8
    .kernarg_segment_size: 56
    .language:       OpenCL C
    .language_version:
      - 2
      - 0
    .max_flat_workgroup_size: 256
    .name:           _ZN7rocprim17ROCPRIM_400000_NS6detail17trampoline_kernelINS0_14default_configENS1_35adjacent_difference_config_selectorILb0EyEEZNS1_24adjacent_difference_implIS3_Lb0ELb0EPyS7_N6thrust23THRUST_200600_302600_NS4plusIyEEEE10hipError_tPvRmT2_T3_mT4_P12ihipStream_tbEUlT_E_NS1_11comp_targetILNS1_3genE4ELNS1_11target_archE910ELNS1_3gpuE8ELNS1_3repE0EEENS1_30default_config_static_selectorELNS0_4arch9wavefront6targetE1EEEvT1_
    .private_segment_fixed_size: 0
    .sgpr_count:     4
    .sgpr_spill_count: 0
    .symbol:         _ZN7rocprim17ROCPRIM_400000_NS6detail17trampoline_kernelINS0_14default_configENS1_35adjacent_difference_config_selectorILb0EyEEZNS1_24adjacent_difference_implIS3_Lb0ELb0EPyS7_N6thrust23THRUST_200600_302600_NS4plusIyEEEE10hipError_tPvRmT2_T3_mT4_P12ihipStream_tbEUlT_E_NS1_11comp_targetILNS1_3genE4ELNS1_11target_archE910ELNS1_3gpuE8ELNS1_3repE0EEENS1_30default_config_static_selectorELNS0_4arch9wavefront6targetE1EEEvT1_.kd
    .uniform_work_group_size: 1
    .uses_dynamic_stack: false
    .vgpr_count:     0
    .vgpr_spill_count: 0
    .wavefront_size: 64
  - .args:
      - .offset:         0
        .size:           56
        .value_kind:     by_value
    .group_segment_fixed_size: 0
    .kernarg_segment_align: 8
    .kernarg_segment_size: 56
    .language:       OpenCL C
    .language_version:
      - 2
      - 0
    .max_flat_workgroup_size: 128
    .name:           _ZN7rocprim17ROCPRIM_400000_NS6detail17trampoline_kernelINS0_14default_configENS1_35adjacent_difference_config_selectorILb0EyEEZNS1_24adjacent_difference_implIS3_Lb0ELb0EPyS7_N6thrust23THRUST_200600_302600_NS4plusIyEEEE10hipError_tPvRmT2_T3_mT4_P12ihipStream_tbEUlT_E_NS1_11comp_targetILNS1_3genE3ELNS1_11target_archE908ELNS1_3gpuE7ELNS1_3repE0EEENS1_30default_config_static_selectorELNS0_4arch9wavefront6targetE1EEEvT1_
    .private_segment_fixed_size: 0
    .sgpr_count:     4
    .sgpr_spill_count: 0
    .symbol:         _ZN7rocprim17ROCPRIM_400000_NS6detail17trampoline_kernelINS0_14default_configENS1_35adjacent_difference_config_selectorILb0EyEEZNS1_24adjacent_difference_implIS3_Lb0ELb0EPyS7_N6thrust23THRUST_200600_302600_NS4plusIyEEEE10hipError_tPvRmT2_T3_mT4_P12ihipStream_tbEUlT_E_NS1_11comp_targetILNS1_3genE3ELNS1_11target_archE908ELNS1_3gpuE7ELNS1_3repE0EEENS1_30default_config_static_selectorELNS0_4arch9wavefront6targetE1EEEvT1_.kd
    .uniform_work_group_size: 1
    .uses_dynamic_stack: false
    .vgpr_count:     0
    .vgpr_spill_count: 0
    .wavefront_size: 64
  - .args:
      - .offset:         0
        .size:           56
        .value_kind:     by_value
    .group_segment_fixed_size: 2112
    .kernarg_segment_align: 8
    .kernarg_segment_size: 56
    .language:       OpenCL C
    .language_version:
      - 2
      - 0
    .max_flat_workgroup_size: 128
    .name:           _ZN7rocprim17ROCPRIM_400000_NS6detail17trampoline_kernelINS0_14default_configENS1_35adjacent_difference_config_selectorILb0EyEEZNS1_24adjacent_difference_implIS3_Lb0ELb0EPyS7_N6thrust23THRUST_200600_302600_NS4plusIyEEEE10hipError_tPvRmT2_T3_mT4_P12ihipStream_tbEUlT_E_NS1_11comp_targetILNS1_3genE2ELNS1_11target_archE906ELNS1_3gpuE6ELNS1_3repE0EEENS1_30default_config_static_selectorELNS0_4arch9wavefront6targetE1EEEvT1_
    .private_segment_fixed_size: 0
    .sgpr_count:     26
    .sgpr_spill_count: 0
    .symbol:         _ZN7rocprim17ROCPRIM_400000_NS6detail17trampoline_kernelINS0_14default_configENS1_35adjacent_difference_config_selectorILb0EyEEZNS1_24adjacent_difference_implIS3_Lb0ELb0EPyS7_N6thrust23THRUST_200600_302600_NS4plusIyEEEE10hipError_tPvRmT2_T3_mT4_P12ihipStream_tbEUlT_E_NS1_11comp_targetILNS1_3genE2ELNS1_11target_archE906ELNS1_3gpuE6ELNS1_3repE0EEENS1_30default_config_static_selectorELNS0_4arch9wavefront6targetE1EEEvT1_.kd
    .uniform_work_group_size: 1
    .uses_dynamic_stack: false
    .vgpr_count:     15
    .vgpr_spill_count: 0
    .wavefront_size: 64
  - .args:
      - .offset:         0
        .size:           56
        .value_kind:     by_value
    .group_segment_fixed_size: 0
    .kernarg_segment_align: 8
    .kernarg_segment_size: 56
    .language:       OpenCL C
    .language_version:
      - 2
      - 0
    .max_flat_workgroup_size: 512
    .name:           _ZN7rocprim17ROCPRIM_400000_NS6detail17trampoline_kernelINS0_14default_configENS1_35adjacent_difference_config_selectorILb0EyEEZNS1_24adjacent_difference_implIS3_Lb0ELb0EPyS7_N6thrust23THRUST_200600_302600_NS4plusIyEEEE10hipError_tPvRmT2_T3_mT4_P12ihipStream_tbEUlT_E_NS1_11comp_targetILNS1_3genE9ELNS1_11target_archE1100ELNS1_3gpuE3ELNS1_3repE0EEENS1_30default_config_static_selectorELNS0_4arch9wavefront6targetE1EEEvT1_
    .private_segment_fixed_size: 0
    .sgpr_count:     4
    .sgpr_spill_count: 0
    .symbol:         _ZN7rocprim17ROCPRIM_400000_NS6detail17trampoline_kernelINS0_14default_configENS1_35adjacent_difference_config_selectorILb0EyEEZNS1_24adjacent_difference_implIS3_Lb0ELb0EPyS7_N6thrust23THRUST_200600_302600_NS4plusIyEEEE10hipError_tPvRmT2_T3_mT4_P12ihipStream_tbEUlT_E_NS1_11comp_targetILNS1_3genE9ELNS1_11target_archE1100ELNS1_3gpuE3ELNS1_3repE0EEENS1_30default_config_static_selectorELNS0_4arch9wavefront6targetE1EEEvT1_.kd
    .uniform_work_group_size: 1
    .uses_dynamic_stack: false
    .vgpr_count:     0
    .vgpr_spill_count: 0
    .wavefront_size: 64
  - .args:
      - .offset:         0
        .size:           56
        .value_kind:     by_value
    .group_segment_fixed_size: 0
    .kernarg_segment_align: 8
    .kernarg_segment_size: 56
    .language:       OpenCL C
    .language_version:
      - 2
      - 0
    .max_flat_workgroup_size: 1024
    .name:           _ZN7rocprim17ROCPRIM_400000_NS6detail17trampoline_kernelINS0_14default_configENS1_35adjacent_difference_config_selectorILb0EyEEZNS1_24adjacent_difference_implIS3_Lb0ELb0EPyS7_N6thrust23THRUST_200600_302600_NS4plusIyEEEE10hipError_tPvRmT2_T3_mT4_P12ihipStream_tbEUlT_E_NS1_11comp_targetILNS1_3genE8ELNS1_11target_archE1030ELNS1_3gpuE2ELNS1_3repE0EEENS1_30default_config_static_selectorELNS0_4arch9wavefront6targetE1EEEvT1_
    .private_segment_fixed_size: 0
    .sgpr_count:     4
    .sgpr_spill_count: 0
    .symbol:         _ZN7rocprim17ROCPRIM_400000_NS6detail17trampoline_kernelINS0_14default_configENS1_35adjacent_difference_config_selectorILb0EyEEZNS1_24adjacent_difference_implIS3_Lb0ELb0EPyS7_N6thrust23THRUST_200600_302600_NS4plusIyEEEE10hipError_tPvRmT2_T3_mT4_P12ihipStream_tbEUlT_E_NS1_11comp_targetILNS1_3genE8ELNS1_11target_archE1030ELNS1_3gpuE2ELNS1_3repE0EEENS1_30default_config_static_selectorELNS0_4arch9wavefront6targetE1EEEvT1_.kd
    .uniform_work_group_size: 1
    .uses_dynamic_stack: false
    .vgpr_count:     0
    .vgpr_spill_count: 0
    .wavefront_size: 64
  - .args:
      - .offset:         0
        .size:           56
        .value_kind:     by_value
    .group_segment_fixed_size: 0
    .kernarg_segment_align: 8
    .kernarg_segment_size: 56
    .language:       OpenCL C
    .language_version:
      - 2
      - 0
    .max_flat_workgroup_size: 128
    .name:           _ZN7rocprim17ROCPRIM_400000_NS6detail17trampoline_kernelINS0_14default_configENS1_25transform_config_selectorIyLb0EEEZNS1_14transform_implILb0ES3_S5_NS0_18transform_iteratorINS0_17counting_iteratorImlEEZNS1_24adjacent_difference_implIS3_Lb1ELb0EPySB_N6thrust23THRUST_200600_302600_NS4plusIyEEEE10hipError_tPvRmT2_T3_mT4_P12ihipStream_tbEUlmE_yEESB_NS0_8identityIvEEEESG_SJ_SK_mSL_SN_bEUlT_E_NS1_11comp_targetILNS1_3genE0ELNS1_11target_archE4294967295ELNS1_3gpuE0ELNS1_3repE0EEENS1_30default_config_static_selectorELNS0_4arch9wavefront6targetE1EEEvT1_
    .private_segment_fixed_size: 0
    .sgpr_count:     4
    .sgpr_spill_count: 0
    .symbol:         _ZN7rocprim17ROCPRIM_400000_NS6detail17trampoline_kernelINS0_14default_configENS1_25transform_config_selectorIyLb0EEEZNS1_14transform_implILb0ES3_S5_NS0_18transform_iteratorINS0_17counting_iteratorImlEEZNS1_24adjacent_difference_implIS3_Lb1ELb0EPySB_N6thrust23THRUST_200600_302600_NS4plusIyEEEE10hipError_tPvRmT2_T3_mT4_P12ihipStream_tbEUlmE_yEESB_NS0_8identityIvEEEESG_SJ_SK_mSL_SN_bEUlT_E_NS1_11comp_targetILNS1_3genE0ELNS1_11target_archE4294967295ELNS1_3gpuE0ELNS1_3repE0EEENS1_30default_config_static_selectorELNS0_4arch9wavefront6targetE1EEEvT1_.kd
    .uniform_work_group_size: 1
    .uses_dynamic_stack: false
    .vgpr_count:     0
    .vgpr_spill_count: 0
    .wavefront_size: 64
  - .args:
      - .offset:         0
        .size:           56
        .value_kind:     by_value
    .group_segment_fixed_size: 0
    .kernarg_segment_align: 8
    .kernarg_segment_size: 56
    .language:       OpenCL C
    .language_version:
      - 2
      - 0
    .max_flat_workgroup_size: 512
    .name:           _ZN7rocprim17ROCPRIM_400000_NS6detail17trampoline_kernelINS0_14default_configENS1_25transform_config_selectorIyLb0EEEZNS1_14transform_implILb0ES3_S5_NS0_18transform_iteratorINS0_17counting_iteratorImlEEZNS1_24adjacent_difference_implIS3_Lb1ELb0EPySB_N6thrust23THRUST_200600_302600_NS4plusIyEEEE10hipError_tPvRmT2_T3_mT4_P12ihipStream_tbEUlmE_yEESB_NS0_8identityIvEEEESG_SJ_SK_mSL_SN_bEUlT_E_NS1_11comp_targetILNS1_3genE5ELNS1_11target_archE942ELNS1_3gpuE9ELNS1_3repE0EEENS1_30default_config_static_selectorELNS0_4arch9wavefront6targetE1EEEvT1_
    .private_segment_fixed_size: 0
    .sgpr_count:     4
    .sgpr_spill_count: 0
    .symbol:         _ZN7rocprim17ROCPRIM_400000_NS6detail17trampoline_kernelINS0_14default_configENS1_25transform_config_selectorIyLb0EEEZNS1_14transform_implILb0ES3_S5_NS0_18transform_iteratorINS0_17counting_iteratorImlEEZNS1_24adjacent_difference_implIS3_Lb1ELb0EPySB_N6thrust23THRUST_200600_302600_NS4plusIyEEEE10hipError_tPvRmT2_T3_mT4_P12ihipStream_tbEUlmE_yEESB_NS0_8identityIvEEEESG_SJ_SK_mSL_SN_bEUlT_E_NS1_11comp_targetILNS1_3genE5ELNS1_11target_archE942ELNS1_3gpuE9ELNS1_3repE0EEENS1_30default_config_static_selectorELNS0_4arch9wavefront6targetE1EEEvT1_.kd
    .uniform_work_group_size: 1
    .uses_dynamic_stack: false
    .vgpr_count:     0
    .vgpr_spill_count: 0
    .wavefront_size: 64
  - .args:
      - .offset:         0
        .size:           56
        .value_kind:     by_value
    .group_segment_fixed_size: 0
    .kernarg_segment_align: 8
    .kernarg_segment_size: 56
    .language:       OpenCL C
    .language_version:
      - 2
      - 0
    .max_flat_workgroup_size: 256
    .name:           _ZN7rocprim17ROCPRIM_400000_NS6detail17trampoline_kernelINS0_14default_configENS1_25transform_config_selectorIyLb0EEEZNS1_14transform_implILb0ES3_S5_NS0_18transform_iteratorINS0_17counting_iteratorImlEEZNS1_24adjacent_difference_implIS3_Lb1ELb0EPySB_N6thrust23THRUST_200600_302600_NS4plusIyEEEE10hipError_tPvRmT2_T3_mT4_P12ihipStream_tbEUlmE_yEESB_NS0_8identityIvEEEESG_SJ_SK_mSL_SN_bEUlT_E_NS1_11comp_targetILNS1_3genE4ELNS1_11target_archE910ELNS1_3gpuE8ELNS1_3repE0EEENS1_30default_config_static_selectorELNS0_4arch9wavefront6targetE1EEEvT1_
    .private_segment_fixed_size: 0
    .sgpr_count:     4
    .sgpr_spill_count: 0
    .symbol:         _ZN7rocprim17ROCPRIM_400000_NS6detail17trampoline_kernelINS0_14default_configENS1_25transform_config_selectorIyLb0EEEZNS1_14transform_implILb0ES3_S5_NS0_18transform_iteratorINS0_17counting_iteratorImlEEZNS1_24adjacent_difference_implIS3_Lb1ELb0EPySB_N6thrust23THRUST_200600_302600_NS4plusIyEEEE10hipError_tPvRmT2_T3_mT4_P12ihipStream_tbEUlmE_yEESB_NS0_8identityIvEEEESG_SJ_SK_mSL_SN_bEUlT_E_NS1_11comp_targetILNS1_3genE4ELNS1_11target_archE910ELNS1_3gpuE8ELNS1_3repE0EEENS1_30default_config_static_selectorELNS0_4arch9wavefront6targetE1EEEvT1_.kd
    .uniform_work_group_size: 1
    .uses_dynamic_stack: false
    .vgpr_count:     0
    .vgpr_spill_count: 0
    .wavefront_size: 64
  - .args:
      - .offset:         0
        .size:           56
        .value_kind:     by_value
    .group_segment_fixed_size: 0
    .kernarg_segment_align: 8
    .kernarg_segment_size: 56
    .language:       OpenCL C
    .language_version:
      - 2
      - 0
    .max_flat_workgroup_size: 128
    .name:           _ZN7rocprim17ROCPRIM_400000_NS6detail17trampoline_kernelINS0_14default_configENS1_25transform_config_selectorIyLb0EEEZNS1_14transform_implILb0ES3_S5_NS0_18transform_iteratorINS0_17counting_iteratorImlEEZNS1_24adjacent_difference_implIS3_Lb1ELb0EPySB_N6thrust23THRUST_200600_302600_NS4plusIyEEEE10hipError_tPvRmT2_T3_mT4_P12ihipStream_tbEUlmE_yEESB_NS0_8identityIvEEEESG_SJ_SK_mSL_SN_bEUlT_E_NS1_11comp_targetILNS1_3genE3ELNS1_11target_archE908ELNS1_3gpuE7ELNS1_3repE0EEENS1_30default_config_static_selectorELNS0_4arch9wavefront6targetE1EEEvT1_
    .private_segment_fixed_size: 0
    .sgpr_count:     4
    .sgpr_spill_count: 0
    .symbol:         _ZN7rocprim17ROCPRIM_400000_NS6detail17trampoline_kernelINS0_14default_configENS1_25transform_config_selectorIyLb0EEEZNS1_14transform_implILb0ES3_S5_NS0_18transform_iteratorINS0_17counting_iteratorImlEEZNS1_24adjacent_difference_implIS3_Lb1ELb0EPySB_N6thrust23THRUST_200600_302600_NS4plusIyEEEE10hipError_tPvRmT2_T3_mT4_P12ihipStream_tbEUlmE_yEESB_NS0_8identityIvEEEESG_SJ_SK_mSL_SN_bEUlT_E_NS1_11comp_targetILNS1_3genE3ELNS1_11target_archE908ELNS1_3gpuE7ELNS1_3repE0EEENS1_30default_config_static_selectorELNS0_4arch9wavefront6targetE1EEEvT1_.kd
    .uniform_work_group_size: 1
    .uses_dynamic_stack: false
    .vgpr_count:     0
    .vgpr_spill_count: 0
    .wavefront_size: 64
  - .args:
      - .offset:         0
        .size:           56
        .value_kind:     by_value
      - .offset:         56
        .size:           4
        .value_kind:     hidden_block_count_x
      - .offset:         60
        .size:           4
        .value_kind:     hidden_block_count_y
      - .offset:         64
        .size:           4
        .value_kind:     hidden_block_count_z
      - .offset:         68
        .size:           2
        .value_kind:     hidden_group_size_x
      - .offset:         70
        .size:           2
        .value_kind:     hidden_group_size_y
      - .offset:         72
        .size:           2
        .value_kind:     hidden_group_size_z
      - .offset:         74
        .size:           2
        .value_kind:     hidden_remainder_x
      - .offset:         76
        .size:           2
        .value_kind:     hidden_remainder_y
      - .offset:         78
        .size:           2
        .value_kind:     hidden_remainder_z
      - .offset:         96
        .size:           8
        .value_kind:     hidden_global_offset_x
      - .offset:         104
        .size:           8
        .value_kind:     hidden_global_offset_y
      - .offset:         112
        .size:           8
        .value_kind:     hidden_global_offset_z
      - .offset:         120
        .size:           2
        .value_kind:     hidden_grid_dims
    .group_segment_fixed_size: 0
    .kernarg_segment_align: 8
    .kernarg_segment_size: 312
    .language:       OpenCL C
    .language_version:
      - 2
      - 0
    .max_flat_workgroup_size: 512
    .name:           _ZN7rocprim17ROCPRIM_400000_NS6detail17trampoline_kernelINS0_14default_configENS1_25transform_config_selectorIyLb0EEEZNS1_14transform_implILb0ES3_S5_NS0_18transform_iteratorINS0_17counting_iteratorImlEEZNS1_24adjacent_difference_implIS3_Lb1ELb0EPySB_N6thrust23THRUST_200600_302600_NS4plusIyEEEE10hipError_tPvRmT2_T3_mT4_P12ihipStream_tbEUlmE_yEESB_NS0_8identityIvEEEESG_SJ_SK_mSL_SN_bEUlT_E_NS1_11comp_targetILNS1_3genE2ELNS1_11target_archE906ELNS1_3gpuE6ELNS1_3repE0EEENS1_30default_config_static_selectorELNS0_4arch9wavefront6targetE1EEEvT1_
    .private_segment_fixed_size: 0
    .sgpr_count:     16
    .sgpr_spill_count: 0
    .symbol:         _ZN7rocprim17ROCPRIM_400000_NS6detail17trampoline_kernelINS0_14default_configENS1_25transform_config_selectorIyLb0EEEZNS1_14transform_implILb0ES3_S5_NS0_18transform_iteratorINS0_17counting_iteratorImlEEZNS1_24adjacent_difference_implIS3_Lb1ELb0EPySB_N6thrust23THRUST_200600_302600_NS4plusIyEEEE10hipError_tPvRmT2_T3_mT4_P12ihipStream_tbEUlmE_yEESB_NS0_8identityIvEEEESG_SJ_SK_mSL_SN_bEUlT_E_NS1_11comp_targetILNS1_3genE2ELNS1_11target_archE906ELNS1_3gpuE6ELNS1_3repE0EEENS1_30default_config_static_selectorELNS0_4arch9wavefront6targetE1EEEvT1_.kd
    .uniform_work_group_size: 1
    .uses_dynamic_stack: false
    .vgpr_count:     5
    .vgpr_spill_count: 0
    .wavefront_size: 64
  - .args:
      - .offset:         0
        .size:           56
        .value_kind:     by_value
    .group_segment_fixed_size: 0
    .kernarg_segment_align: 8
    .kernarg_segment_size: 56
    .language:       OpenCL C
    .language_version:
      - 2
      - 0
    .max_flat_workgroup_size: 1024
    .name:           _ZN7rocprim17ROCPRIM_400000_NS6detail17trampoline_kernelINS0_14default_configENS1_25transform_config_selectorIyLb0EEEZNS1_14transform_implILb0ES3_S5_NS0_18transform_iteratorINS0_17counting_iteratorImlEEZNS1_24adjacent_difference_implIS3_Lb1ELb0EPySB_N6thrust23THRUST_200600_302600_NS4plusIyEEEE10hipError_tPvRmT2_T3_mT4_P12ihipStream_tbEUlmE_yEESB_NS0_8identityIvEEEESG_SJ_SK_mSL_SN_bEUlT_E_NS1_11comp_targetILNS1_3genE10ELNS1_11target_archE1201ELNS1_3gpuE5ELNS1_3repE0EEENS1_30default_config_static_selectorELNS0_4arch9wavefront6targetE1EEEvT1_
    .private_segment_fixed_size: 0
    .sgpr_count:     4
    .sgpr_spill_count: 0
    .symbol:         _ZN7rocprim17ROCPRIM_400000_NS6detail17trampoline_kernelINS0_14default_configENS1_25transform_config_selectorIyLb0EEEZNS1_14transform_implILb0ES3_S5_NS0_18transform_iteratorINS0_17counting_iteratorImlEEZNS1_24adjacent_difference_implIS3_Lb1ELb0EPySB_N6thrust23THRUST_200600_302600_NS4plusIyEEEE10hipError_tPvRmT2_T3_mT4_P12ihipStream_tbEUlmE_yEESB_NS0_8identityIvEEEESG_SJ_SK_mSL_SN_bEUlT_E_NS1_11comp_targetILNS1_3genE10ELNS1_11target_archE1201ELNS1_3gpuE5ELNS1_3repE0EEENS1_30default_config_static_selectorELNS0_4arch9wavefront6targetE1EEEvT1_.kd
    .uniform_work_group_size: 1
    .uses_dynamic_stack: false
    .vgpr_count:     0
    .vgpr_spill_count: 0
    .wavefront_size: 64
  - .args:
      - .offset:         0
        .size:           56
        .value_kind:     by_value
    .group_segment_fixed_size: 0
    .kernarg_segment_align: 8
    .kernarg_segment_size: 56
    .language:       OpenCL C
    .language_version:
      - 2
      - 0
    .max_flat_workgroup_size: 512
    .name:           _ZN7rocprim17ROCPRIM_400000_NS6detail17trampoline_kernelINS0_14default_configENS1_25transform_config_selectorIyLb0EEEZNS1_14transform_implILb0ES3_S5_NS0_18transform_iteratorINS0_17counting_iteratorImlEEZNS1_24adjacent_difference_implIS3_Lb1ELb0EPySB_N6thrust23THRUST_200600_302600_NS4plusIyEEEE10hipError_tPvRmT2_T3_mT4_P12ihipStream_tbEUlmE_yEESB_NS0_8identityIvEEEESG_SJ_SK_mSL_SN_bEUlT_E_NS1_11comp_targetILNS1_3genE10ELNS1_11target_archE1200ELNS1_3gpuE4ELNS1_3repE0EEENS1_30default_config_static_selectorELNS0_4arch9wavefront6targetE1EEEvT1_
    .private_segment_fixed_size: 0
    .sgpr_count:     4
    .sgpr_spill_count: 0
    .symbol:         _ZN7rocprim17ROCPRIM_400000_NS6detail17trampoline_kernelINS0_14default_configENS1_25transform_config_selectorIyLb0EEEZNS1_14transform_implILb0ES3_S5_NS0_18transform_iteratorINS0_17counting_iteratorImlEEZNS1_24adjacent_difference_implIS3_Lb1ELb0EPySB_N6thrust23THRUST_200600_302600_NS4plusIyEEEE10hipError_tPvRmT2_T3_mT4_P12ihipStream_tbEUlmE_yEESB_NS0_8identityIvEEEESG_SJ_SK_mSL_SN_bEUlT_E_NS1_11comp_targetILNS1_3genE10ELNS1_11target_archE1200ELNS1_3gpuE4ELNS1_3repE0EEENS1_30default_config_static_selectorELNS0_4arch9wavefront6targetE1EEEvT1_.kd
    .uniform_work_group_size: 1
    .uses_dynamic_stack: false
    .vgpr_count:     0
    .vgpr_spill_count: 0
    .wavefront_size: 64
  - .args:
      - .offset:         0
        .size:           56
        .value_kind:     by_value
    .group_segment_fixed_size: 0
    .kernarg_segment_align: 8
    .kernarg_segment_size: 56
    .language:       OpenCL C
    .language_version:
      - 2
      - 0
    .max_flat_workgroup_size: 512
    .name:           _ZN7rocprim17ROCPRIM_400000_NS6detail17trampoline_kernelINS0_14default_configENS1_25transform_config_selectorIyLb0EEEZNS1_14transform_implILb0ES3_S5_NS0_18transform_iteratorINS0_17counting_iteratorImlEEZNS1_24adjacent_difference_implIS3_Lb1ELb0EPySB_N6thrust23THRUST_200600_302600_NS4plusIyEEEE10hipError_tPvRmT2_T3_mT4_P12ihipStream_tbEUlmE_yEESB_NS0_8identityIvEEEESG_SJ_SK_mSL_SN_bEUlT_E_NS1_11comp_targetILNS1_3genE9ELNS1_11target_archE1100ELNS1_3gpuE3ELNS1_3repE0EEENS1_30default_config_static_selectorELNS0_4arch9wavefront6targetE1EEEvT1_
    .private_segment_fixed_size: 0
    .sgpr_count:     4
    .sgpr_spill_count: 0
    .symbol:         _ZN7rocprim17ROCPRIM_400000_NS6detail17trampoline_kernelINS0_14default_configENS1_25transform_config_selectorIyLb0EEEZNS1_14transform_implILb0ES3_S5_NS0_18transform_iteratorINS0_17counting_iteratorImlEEZNS1_24adjacent_difference_implIS3_Lb1ELb0EPySB_N6thrust23THRUST_200600_302600_NS4plusIyEEEE10hipError_tPvRmT2_T3_mT4_P12ihipStream_tbEUlmE_yEESB_NS0_8identityIvEEEESG_SJ_SK_mSL_SN_bEUlT_E_NS1_11comp_targetILNS1_3genE9ELNS1_11target_archE1100ELNS1_3gpuE3ELNS1_3repE0EEENS1_30default_config_static_selectorELNS0_4arch9wavefront6targetE1EEEvT1_.kd
    .uniform_work_group_size: 1
    .uses_dynamic_stack: false
    .vgpr_count:     0
    .vgpr_spill_count: 0
    .wavefront_size: 64
  - .args:
      - .offset:         0
        .size:           56
        .value_kind:     by_value
    .group_segment_fixed_size: 0
    .kernarg_segment_align: 8
    .kernarg_segment_size: 56
    .language:       OpenCL C
    .language_version:
      - 2
      - 0
    .max_flat_workgroup_size: 512
    .name:           _ZN7rocprim17ROCPRIM_400000_NS6detail17trampoline_kernelINS0_14default_configENS1_25transform_config_selectorIyLb0EEEZNS1_14transform_implILb0ES3_S5_NS0_18transform_iteratorINS0_17counting_iteratorImlEEZNS1_24adjacent_difference_implIS3_Lb1ELb0EPySB_N6thrust23THRUST_200600_302600_NS4plusIyEEEE10hipError_tPvRmT2_T3_mT4_P12ihipStream_tbEUlmE_yEESB_NS0_8identityIvEEEESG_SJ_SK_mSL_SN_bEUlT_E_NS1_11comp_targetILNS1_3genE8ELNS1_11target_archE1030ELNS1_3gpuE2ELNS1_3repE0EEENS1_30default_config_static_selectorELNS0_4arch9wavefront6targetE1EEEvT1_
    .private_segment_fixed_size: 0
    .sgpr_count:     4
    .sgpr_spill_count: 0
    .symbol:         _ZN7rocprim17ROCPRIM_400000_NS6detail17trampoline_kernelINS0_14default_configENS1_25transform_config_selectorIyLb0EEEZNS1_14transform_implILb0ES3_S5_NS0_18transform_iteratorINS0_17counting_iteratorImlEEZNS1_24adjacent_difference_implIS3_Lb1ELb0EPySB_N6thrust23THRUST_200600_302600_NS4plusIyEEEE10hipError_tPvRmT2_T3_mT4_P12ihipStream_tbEUlmE_yEESB_NS0_8identityIvEEEESG_SJ_SK_mSL_SN_bEUlT_E_NS1_11comp_targetILNS1_3genE8ELNS1_11target_archE1030ELNS1_3gpuE2ELNS1_3repE0EEENS1_30default_config_static_selectorELNS0_4arch9wavefront6targetE1EEEvT1_.kd
    .uniform_work_group_size: 1
    .uses_dynamic_stack: false
    .vgpr_count:     0
    .vgpr_spill_count: 0
    .wavefront_size: 64
  - .args:
      - .offset:         0
        .size:           56
        .value_kind:     by_value
    .group_segment_fixed_size: 0
    .kernarg_segment_align: 8
    .kernarg_segment_size: 56
    .language:       OpenCL C
    .language_version:
      - 2
      - 0
    .max_flat_workgroup_size: 512
    .name:           _ZN7rocprim17ROCPRIM_400000_NS6detail17trampoline_kernelINS0_14default_configENS1_35adjacent_difference_config_selectorILb1EyEEZNS1_24adjacent_difference_implIS3_Lb1ELb0EPyS7_N6thrust23THRUST_200600_302600_NS4plusIyEEEE10hipError_tPvRmT2_T3_mT4_P12ihipStream_tbEUlT_E_NS1_11comp_targetILNS1_3genE0ELNS1_11target_archE4294967295ELNS1_3gpuE0ELNS1_3repE0EEENS1_30default_config_static_selectorELNS0_4arch9wavefront6targetE1EEEvT1_
    .private_segment_fixed_size: 0
    .sgpr_count:     4
    .sgpr_spill_count: 0
    .symbol:         _ZN7rocprim17ROCPRIM_400000_NS6detail17trampoline_kernelINS0_14default_configENS1_35adjacent_difference_config_selectorILb1EyEEZNS1_24adjacent_difference_implIS3_Lb1ELb0EPyS7_N6thrust23THRUST_200600_302600_NS4plusIyEEEE10hipError_tPvRmT2_T3_mT4_P12ihipStream_tbEUlT_E_NS1_11comp_targetILNS1_3genE0ELNS1_11target_archE4294967295ELNS1_3gpuE0ELNS1_3repE0EEENS1_30default_config_static_selectorELNS0_4arch9wavefront6targetE1EEEvT1_.kd
    .uniform_work_group_size: 1
    .uses_dynamic_stack: false
    .vgpr_count:     0
    .vgpr_spill_count: 0
    .wavefront_size: 64
  - .args:
      - .offset:         0
        .size:           56
        .value_kind:     by_value
    .group_segment_fixed_size: 0
    .kernarg_segment_align: 8
    .kernarg_segment_size: 56
    .language:       OpenCL C
    .language_version:
      - 2
      - 0
    .max_flat_workgroup_size: 32
    .name:           _ZN7rocprim17ROCPRIM_400000_NS6detail17trampoline_kernelINS0_14default_configENS1_35adjacent_difference_config_selectorILb1EyEEZNS1_24adjacent_difference_implIS3_Lb1ELb0EPyS7_N6thrust23THRUST_200600_302600_NS4plusIyEEEE10hipError_tPvRmT2_T3_mT4_P12ihipStream_tbEUlT_E_NS1_11comp_targetILNS1_3genE10ELNS1_11target_archE1201ELNS1_3gpuE5ELNS1_3repE0EEENS1_30default_config_static_selectorELNS0_4arch9wavefront6targetE1EEEvT1_
    .private_segment_fixed_size: 0
    .sgpr_count:     4
    .sgpr_spill_count: 0
    .symbol:         _ZN7rocprim17ROCPRIM_400000_NS6detail17trampoline_kernelINS0_14default_configENS1_35adjacent_difference_config_selectorILb1EyEEZNS1_24adjacent_difference_implIS3_Lb1ELb0EPyS7_N6thrust23THRUST_200600_302600_NS4plusIyEEEE10hipError_tPvRmT2_T3_mT4_P12ihipStream_tbEUlT_E_NS1_11comp_targetILNS1_3genE10ELNS1_11target_archE1201ELNS1_3gpuE5ELNS1_3repE0EEENS1_30default_config_static_selectorELNS0_4arch9wavefront6targetE1EEEvT1_.kd
    .uniform_work_group_size: 1
    .uses_dynamic_stack: false
    .vgpr_count:     0
    .vgpr_spill_count: 0
    .wavefront_size: 64
  - .args:
      - .offset:         0
        .size:           56
        .value_kind:     by_value
    .group_segment_fixed_size: 0
    .kernarg_segment_align: 8
    .kernarg_segment_size: 56
    .language:       OpenCL C
    .language_version:
      - 2
      - 0
    .max_flat_workgroup_size: 256
    .name:           _ZN7rocprim17ROCPRIM_400000_NS6detail17trampoline_kernelINS0_14default_configENS1_35adjacent_difference_config_selectorILb1EyEEZNS1_24adjacent_difference_implIS3_Lb1ELb0EPyS7_N6thrust23THRUST_200600_302600_NS4plusIyEEEE10hipError_tPvRmT2_T3_mT4_P12ihipStream_tbEUlT_E_NS1_11comp_targetILNS1_3genE5ELNS1_11target_archE942ELNS1_3gpuE9ELNS1_3repE0EEENS1_30default_config_static_selectorELNS0_4arch9wavefront6targetE1EEEvT1_
    .private_segment_fixed_size: 0
    .sgpr_count:     4
    .sgpr_spill_count: 0
    .symbol:         _ZN7rocprim17ROCPRIM_400000_NS6detail17trampoline_kernelINS0_14default_configENS1_35adjacent_difference_config_selectorILb1EyEEZNS1_24adjacent_difference_implIS3_Lb1ELb0EPyS7_N6thrust23THRUST_200600_302600_NS4plusIyEEEE10hipError_tPvRmT2_T3_mT4_P12ihipStream_tbEUlT_E_NS1_11comp_targetILNS1_3genE5ELNS1_11target_archE942ELNS1_3gpuE9ELNS1_3repE0EEENS1_30default_config_static_selectorELNS0_4arch9wavefront6targetE1EEEvT1_.kd
    .uniform_work_group_size: 1
    .uses_dynamic_stack: false
    .vgpr_count:     0
    .vgpr_spill_count: 0
    .wavefront_size: 64
  - .args:
      - .offset:         0
        .size:           56
        .value_kind:     by_value
    .group_segment_fixed_size: 0
    .kernarg_segment_align: 8
    .kernarg_segment_size: 56
    .language:       OpenCL C
    .language_version:
      - 2
      - 0
    .max_flat_workgroup_size: 512
    .name:           _ZN7rocprim17ROCPRIM_400000_NS6detail17trampoline_kernelINS0_14default_configENS1_35adjacent_difference_config_selectorILb1EyEEZNS1_24adjacent_difference_implIS3_Lb1ELb0EPyS7_N6thrust23THRUST_200600_302600_NS4plusIyEEEE10hipError_tPvRmT2_T3_mT4_P12ihipStream_tbEUlT_E_NS1_11comp_targetILNS1_3genE4ELNS1_11target_archE910ELNS1_3gpuE8ELNS1_3repE0EEENS1_30default_config_static_selectorELNS0_4arch9wavefront6targetE1EEEvT1_
    .private_segment_fixed_size: 0
    .sgpr_count:     4
    .sgpr_spill_count: 0
    .symbol:         _ZN7rocprim17ROCPRIM_400000_NS6detail17trampoline_kernelINS0_14default_configENS1_35adjacent_difference_config_selectorILb1EyEEZNS1_24adjacent_difference_implIS3_Lb1ELb0EPyS7_N6thrust23THRUST_200600_302600_NS4plusIyEEEE10hipError_tPvRmT2_T3_mT4_P12ihipStream_tbEUlT_E_NS1_11comp_targetILNS1_3genE4ELNS1_11target_archE910ELNS1_3gpuE8ELNS1_3repE0EEENS1_30default_config_static_selectorELNS0_4arch9wavefront6targetE1EEEvT1_.kd
    .uniform_work_group_size: 1
    .uses_dynamic_stack: false
    .vgpr_count:     0
    .vgpr_spill_count: 0
    .wavefront_size: 64
  - .args:
      - .offset:         0
        .size:           56
        .value_kind:     by_value
    .group_segment_fixed_size: 0
    .kernarg_segment_align: 8
    .kernarg_segment_size: 56
    .language:       OpenCL C
    .language_version:
      - 2
      - 0
    .max_flat_workgroup_size: 512
    .name:           _ZN7rocprim17ROCPRIM_400000_NS6detail17trampoline_kernelINS0_14default_configENS1_35adjacent_difference_config_selectorILb1EyEEZNS1_24adjacent_difference_implIS3_Lb1ELb0EPyS7_N6thrust23THRUST_200600_302600_NS4plusIyEEEE10hipError_tPvRmT2_T3_mT4_P12ihipStream_tbEUlT_E_NS1_11comp_targetILNS1_3genE3ELNS1_11target_archE908ELNS1_3gpuE7ELNS1_3repE0EEENS1_30default_config_static_selectorELNS0_4arch9wavefront6targetE1EEEvT1_
    .private_segment_fixed_size: 0
    .sgpr_count:     4
    .sgpr_spill_count: 0
    .symbol:         _ZN7rocprim17ROCPRIM_400000_NS6detail17trampoline_kernelINS0_14default_configENS1_35adjacent_difference_config_selectorILb1EyEEZNS1_24adjacent_difference_implIS3_Lb1ELb0EPyS7_N6thrust23THRUST_200600_302600_NS4plusIyEEEE10hipError_tPvRmT2_T3_mT4_P12ihipStream_tbEUlT_E_NS1_11comp_targetILNS1_3genE3ELNS1_11target_archE908ELNS1_3gpuE7ELNS1_3repE0EEENS1_30default_config_static_selectorELNS0_4arch9wavefront6targetE1EEEvT1_.kd
    .uniform_work_group_size: 1
    .uses_dynamic_stack: false
    .vgpr_count:     0
    .vgpr_spill_count: 0
    .wavefront_size: 64
  - .args:
      - .offset:         0
        .size:           56
        .value_kind:     by_value
    .group_segment_fixed_size: 11264
    .kernarg_segment_align: 8
    .kernarg_segment_size: 56
    .language:       OpenCL C
    .language_version:
      - 2
      - 0
    .max_flat_workgroup_size: 128
    .name:           _ZN7rocprim17ROCPRIM_400000_NS6detail17trampoline_kernelINS0_14default_configENS1_35adjacent_difference_config_selectorILb1EyEEZNS1_24adjacent_difference_implIS3_Lb1ELb0EPyS7_N6thrust23THRUST_200600_302600_NS4plusIyEEEE10hipError_tPvRmT2_T3_mT4_P12ihipStream_tbEUlT_E_NS1_11comp_targetILNS1_3genE2ELNS1_11target_archE906ELNS1_3gpuE6ELNS1_3repE0EEENS1_30default_config_static_selectorELNS0_4arch9wavefront6targetE1EEEvT1_
    .private_segment_fixed_size: 0
    .sgpr_count:     33
    .sgpr_spill_count: 0
    .symbol:         _ZN7rocprim17ROCPRIM_400000_NS6detail17trampoline_kernelINS0_14default_configENS1_35adjacent_difference_config_selectorILb1EyEEZNS1_24adjacent_difference_implIS3_Lb1ELb0EPyS7_N6thrust23THRUST_200600_302600_NS4plusIyEEEE10hipError_tPvRmT2_T3_mT4_P12ihipStream_tbEUlT_E_NS1_11comp_targetILNS1_3genE2ELNS1_11target_archE906ELNS1_3gpuE6ELNS1_3repE0EEENS1_30default_config_static_selectorELNS0_4arch9wavefront6targetE1EEEvT1_.kd
    .uniform_work_group_size: 1
    .uses_dynamic_stack: false
    .vgpr_count:     48
    .vgpr_spill_count: 0
    .wavefront_size: 64
  - .args:
      - .offset:         0
        .size:           56
        .value_kind:     by_value
    .group_segment_fixed_size: 0
    .kernarg_segment_align: 8
    .kernarg_segment_size: 56
    .language:       OpenCL C
    .language_version:
      - 2
      - 0
    .max_flat_workgroup_size: 128
    .name:           _ZN7rocprim17ROCPRIM_400000_NS6detail17trampoline_kernelINS0_14default_configENS1_35adjacent_difference_config_selectorILb1EyEEZNS1_24adjacent_difference_implIS3_Lb1ELb0EPyS7_N6thrust23THRUST_200600_302600_NS4plusIyEEEE10hipError_tPvRmT2_T3_mT4_P12ihipStream_tbEUlT_E_NS1_11comp_targetILNS1_3genE9ELNS1_11target_archE1100ELNS1_3gpuE3ELNS1_3repE0EEENS1_30default_config_static_selectorELNS0_4arch9wavefront6targetE1EEEvT1_
    .private_segment_fixed_size: 0
    .sgpr_count:     4
    .sgpr_spill_count: 0
    .symbol:         _ZN7rocprim17ROCPRIM_400000_NS6detail17trampoline_kernelINS0_14default_configENS1_35adjacent_difference_config_selectorILb1EyEEZNS1_24adjacent_difference_implIS3_Lb1ELb0EPyS7_N6thrust23THRUST_200600_302600_NS4plusIyEEEE10hipError_tPvRmT2_T3_mT4_P12ihipStream_tbEUlT_E_NS1_11comp_targetILNS1_3genE9ELNS1_11target_archE1100ELNS1_3gpuE3ELNS1_3repE0EEENS1_30default_config_static_selectorELNS0_4arch9wavefront6targetE1EEEvT1_.kd
    .uniform_work_group_size: 1
    .uses_dynamic_stack: false
    .vgpr_count:     0
    .vgpr_spill_count: 0
    .wavefront_size: 64
  - .args:
      - .offset:         0
        .size:           56
        .value_kind:     by_value
    .group_segment_fixed_size: 0
    .kernarg_segment_align: 8
    .kernarg_segment_size: 56
    .language:       OpenCL C
    .language_version:
      - 2
      - 0
    .max_flat_workgroup_size: 32
    .name:           _ZN7rocprim17ROCPRIM_400000_NS6detail17trampoline_kernelINS0_14default_configENS1_35adjacent_difference_config_selectorILb1EyEEZNS1_24adjacent_difference_implIS3_Lb1ELb0EPyS7_N6thrust23THRUST_200600_302600_NS4plusIyEEEE10hipError_tPvRmT2_T3_mT4_P12ihipStream_tbEUlT_E_NS1_11comp_targetILNS1_3genE8ELNS1_11target_archE1030ELNS1_3gpuE2ELNS1_3repE0EEENS1_30default_config_static_selectorELNS0_4arch9wavefront6targetE1EEEvT1_
    .private_segment_fixed_size: 0
    .sgpr_count:     4
    .sgpr_spill_count: 0
    .symbol:         _ZN7rocprim17ROCPRIM_400000_NS6detail17trampoline_kernelINS0_14default_configENS1_35adjacent_difference_config_selectorILb1EyEEZNS1_24adjacent_difference_implIS3_Lb1ELb0EPyS7_N6thrust23THRUST_200600_302600_NS4plusIyEEEE10hipError_tPvRmT2_T3_mT4_P12ihipStream_tbEUlT_E_NS1_11comp_targetILNS1_3genE8ELNS1_11target_archE1030ELNS1_3gpuE2ELNS1_3repE0EEENS1_30default_config_static_selectorELNS0_4arch9wavefront6targetE1EEEvT1_.kd
    .uniform_work_group_size: 1
    .uses_dynamic_stack: false
    .vgpr_count:     0
    .vgpr_spill_count: 0
    .wavefront_size: 64
  - .args:
      - .offset:         0
        .size:           16
        .value_kind:     by_value
      - .offset:         16
        .size:           8
        .value_kind:     by_value
      - .offset:         24
        .size:           8
        .value_kind:     by_value
    .group_segment_fixed_size: 0
    .kernarg_segment_align: 8
    .kernarg_segment_size: 32
    .language:       OpenCL C
    .language_version:
      - 2
      - 0
    .max_flat_workgroup_size: 256
    .name:           _ZN6thrust23THRUST_200600_302600_NS11hip_rocprim14__parallel_for6kernelILj256ENS1_20__uninitialized_fill7functorINS0_10device_ptrIjEEjEEmLj1EEEvT0_T1_SA_
    .private_segment_fixed_size: 0
    .sgpr_count:     20
    .sgpr_spill_count: 0
    .symbol:         _ZN6thrust23THRUST_200600_302600_NS11hip_rocprim14__parallel_for6kernelILj256ENS1_20__uninitialized_fill7functorINS0_10device_ptrIjEEjEEmLj1EEEvT0_T1_SA_.kd
    .uniform_work_group_size: 1
    .uses_dynamic_stack: false
    .vgpr_count:     4
    .vgpr_spill_count: 0
    .wavefront_size: 64
  - .args:
      - .offset:         0
        .size:           56
        .value_kind:     by_value
    .group_segment_fixed_size: 0
    .kernarg_segment_align: 8
    .kernarg_segment_size: 56
    .language:       OpenCL C
    .language_version:
      - 2
      - 0
    .max_flat_workgroup_size: 128
    .name:           _ZN7rocprim17ROCPRIM_400000_NS6detail17trampoline_kernelINS0_14default_configENS1_35adjacent_difference_config_selectorILb0EjEEZNS1_24adjacent_difference_implIS3_Lb0ELb0EPjS7_N6thrust23THRUST_200600_302600_NS5minusIjEEEE10hipError_tPvRmT2_T3_mT4_P12ihipStream_tbEUlT_E_NS1_11comp_targetILNS1_3genE0ELNS1_11target_archE4294967295ELNS1_3gpuE0ELNS1_3repE0EEENS1_30default_config_static_selectorELNS0_4arch9wavefront6targetE1EEEvT1_
    .private_segment_fixed_size: 0
    .sgpr_count:     4
    .sgpr_spill_count: 0
    .symbol:         _ZN7rocprim17ROCPRIM_400000_NS6detail17trampoline_kernelINS0_14default_configENS1_35adjacent_difference_config_selectorILb0EjEEZNS1_24adjacent_difference_implIS3_Lb0ELb0EPjS7_N6thrust23THRUST_200600_302600_NS5minusIjEEEE10hipError_tPvRmT2_T3_mT4_P12ihipStream_tbEUlT_E_NS1_11comp_targetILNS1_3genE0ELNS1_11target_archE4294967295ELNS1_3gpuE0ELNS1_3repE0EEENS1_30default_config_static_selectorELNS0_4arch9wavefront6targetE1EEEvT1_.kd
    .uniform_work_group_size: 1
    .uses_dynamic_stack: false
    .vgpr_count:     0
    .vgpr_spill_count: 0
    .wavefront_size: 64
  - .args:
      - .offset:         0
        .size:           56
        .value_kind:     by_value
    .group_segment_fixed_size: 0
    .kernarg_segment_align: 8
    .kernarg_segment_size: 56
    .language:       OpenCL C
    .language_version:
      - 2
      - 0
    .max_flat_workgroup_size: 128
    .name:           _ZN7rocprim17ROCPRIM_400000_NS6detail17trampoline_kernelINS0_14default_configENS1_35adjacent_difference_config_selectorILb0EjEEZNS1_24adjacent_difference_implIS3_Lb0ELb0EPjS7_N6thrust23THRUST_200600_302600_NS5minusIjEEEE10hipError_tPvRmT2_T3_mT4_P12ihipStream_tbEUlT_E_NS1_11comp_targetILNS1_3genE10ELNS1_11target_archE1201ELNS1_3gpuE5ELNS1_3repE0EEENS1_30default_config_static_selectorELNS0_4arch9wavefront6targetE1EEEvT1_
    .private_segment_fixed_size: 0
    .sgpr_count:     4
    .sgpr_spill_count: 0
    .symbol:         _ZN7rocprim17ROCPRIM_400000_NS6detail17trampoline_kernelINS0_14default_configENS1_35adjacent_difference_config_selectorILb0EjEEZNS1_24adjacent_difference_implIS3_Lb0ELb0EPjS7_N6thrust23THRUST_200600_302600_NS5minusIjEEEE10hipError_tPvRmT2_T3_mT4_P12ihipStream_tbEUlT_E_NS1_11comp_targetILNS1_3genE10ELNS1_11target_archE1201ELNS1_3gpuE5ELNS1_3repE0EEENS1_30default_config_static_selectorELNS0_4arch9wavefront6targetE1EEEvT1_.kd
    .uniform_work_group_size: 1
    .uses_dynamic_stack: false
    .vgpr_count:     0
    .vgpr_spill_count: 0
    .wavefront_size: 64
  - .args:
      - .offset:         0
        .size:           56
        .value_kind:     by_value
    .group_segment_fixed_size: 0
    .kernarg_segment_align: 8
    .kernarg_segment_size: 56
    .language:       OpenCL C
    .language_version:
      - 2
      - 0
    .max_flat_workgroup_size: 64
    .name:           _ZN7rocprim17ROCPRIM_400000_NS6detail17trampoline_kernelINS0_14default_configENS1_35adjacent_difference_config_selectorILb0EjEEZNS1_24adjacent_difference_implIS3_Lb0ELb0EPjS7_N6thrust23THRUST_200600_302600_NS5minusIjEEEE10hipError_tPvRmT2_T3_mT4_P12ihipStream_tbEUlT_E_NS1_11comp_targetILNS1_3genE5ELNS1_11target_archE942ELNS1_3gpuE9ELNS1_3repE0EEENS1_30default_config_static_selectorELNS0_4arch9wavefront6targetE1EEEvT1_
    .private_segment_fixed_size: 0
    .sgpr_count:     4
    .sgpr_spill_count: 0
    .symbol:         _ZN7rocprim17ROCPRIM_400000_NS6detail17trampoline_kernelINS0_14default_configENS1_35adjacent_difference_config_selectorILb0EjEEZNS1_24adjacent_difference_implIS3_Lb0ELb0EPjS7_N6thrust23THRUST_200600_302600_NS5minusIjEEEE10hipError_tPvRmT2_T3_mT4_P12ihipStream_tbEUlT_E_NS1_11comp_targetILNS1_3genE5ELNS1_11target_archE942ELNS1_3gpuE9ELNS1_3repE0EEENS1_30default_config_static_selectorELNS0_4arch9wavefront6targetE1EEEvT1_.kd
    .uniform_work_group_size: 1
    .uses_dynamic_stack: false
    .vgpr_count:     0
    .vgpr_spill_count: 0
    .wavefront_size: 64
  - .args:
      - .offset:         0
        .size:           56
        .value_kind:     by_value
    .group_segment_fixed_size: 0
    .kernarg_segment_align: 8
    .kernarg_segment_size: 56
    .language:       OpenCL C
    .language_version:
      - 2
      - 0
    .max_flat_workgroup_size: 512
    .name:           _ZN7rocprim17ROCPRIM_400000_NS6detail17trampoline_kernelINS0_14default_configENS1_35adjacent_difference_config_selectorILb0EjEEZNS1_24adjacent_difference_implIS3_Lb0ELb0EPjS7_N6thrust23THRUST_200600_302600_NS5minusIjEEEE10hipError_tPvRmT2_T3_mT4_P12ihipStream_tbEUlT_E_NS1_11comp_targetILNS1_3genE4ELNS1_11target_archE910ELNS1_3gpuE8ELNS1_3repE0EEENS1_30default_config_static_selectorELNS0_4arch9wavefront6targetE1EEEvT1_
    .private_segment_fixed_size: 0
    .sgpr_count:     4
    .sgpr_spill_count: 0
    .symbol:         _ZN7rocprim17ROCPRIM_400000_NS6detail17trampoline_kernelINS0_14default_configENS1_35adjacent_difference_config_selectorILb0EjEEZNS1_24adjacent_difference_implIS3_Lb0ELb0EPjS7_N6thrust23THRUST_200600_302600_NS5minusIjEEEE10hipError_tPvRmT2_T3_mT4_P12ihipStream_tbEUlT_E_NS1_11comp_targetILNS1_3genE4ELNS1_11target_archE910ELNS1_3gpuE8ELNS1_3repE0EEENS1_30default_config_static_selectorELNS0_4arch9wavefront6targetE1EEEvT1_.kd
    .uniform_work_group_size: 1
    .uses_dynamic_stack: false
    .vgpr_count:     0
    .vgpr_spill_count: 0
    .wavefront_size: 64
  - .args:
      - .offset:         0
        .size:           56
        .value_kind:     by_value
    .group_segment_fixed_size: 0
    .kernarg_segment_align: 8
    .kernarg_segment_size: 56
    .language:       OpenCL C
    .language_version:
      - 2
      - 0
    .max_flat_workgroup_size: 128
    .name:           _ZN7rocprim17ROCPRIM_400000_NS6detail17trampoline_kernelINS0_14default_configENS1_35adjacent_difference_config_selectorILb0EjEEZNS1_24adjacent_difference_implIS3_Lb0ELb0EPjS7_N6thrust23THRUST_200600_302600_NS5minusIjEEEE10hipError_tPvRmT2_T3_mT4_P12ihipStream_tbEUlT_E_NS1_11comp_targetILNS1_3genE3ELNS1_11target_archE908ELNS1_3gpuE7ELNS1_3repE0EEENS1_30default_config_static_selectorELNS0_4arch9wavefront6targetE1EEEvT1_
    .private_segment_fixed_size: 0
    .sgpr_count:     4
    .sgpr_spill_count: 0
    .symbol:         _ZN7rocprim17ROCPRIM_400000_NS6detail17trampoline_kernelINS0_14default_configENS1_35adjacent_difference_config_selectorILb0EjEEZNS1_24adjacent_difference_implIS3_Lb0ELb0EPjS7_N6thrust23THRUST_200600_302600_NS5minusIjEEEE10hipError_tPvRmT2_T3_mT4_P12ihipStream_tbEUlT_E_NS1_11comp_targetILNS1_3genE3ELNS1_11target_archE908ELNS1_3gpuE7ELNS1_3repE0EEENS1_30default_config_static_selectorELNS0_4arch9wavefront6targetE1EEEvT1_.kd
    .uniform_work_group_size: 1
    .uses_dynamic_stack: false
    .vgpr_count:     0
    .vgpr_spill_count: 0
    .wavefront_size: 64
  - .args:
      - .offset:         0
        .size:           56
        .value_kind:     by_value
    .group_segment_fixed_size: 20480
    .kernarg_segment_align: 8
    .kernarg_segment_size: 56
    .language:       OpenCL C
    .language_version:
      - 2
      - 0
    .max_flat_workgroup_size: 1024
    .name:           _ZN7rocprim17ROCPRIM_400000_NS6detail17trampoline_kernelINS0_14default_configENS1_35adjacent_difference_config_selectorILb0EjEEZNS1_24adjacent_difference_implIS3_Lb0ELb0EPjS7_N6thrust23THRUST_200600_302600_NS5minusIjEEEE10hipError_tPvRmT2_T3_mT4_P12ihipStream_tbEUlT_E_NS1_11comp_targetILNS1_3genE2ELNS1_11target_archE906ELNS1_3gpuE6ELNS1_3repE0EEENS1_30default_config_static_selectorELNS0_4arch9wavefront6targetE1EEEvT1_
    .private_segment_fixed_size: 0
    .sgpr_count:     27
    .sgpr_spill_count: 0
    .symbol:         _ZN7rocprim17ROCPRIM_400000_NS6detail17trampoline_kernelINS0_14default_configENS1_35adjacent_difference_config_selectorILb0EjEEZNS1_24adjacent_difference_implIS3_Lb0ELb0EPjS7_N6thrust23THRUST_200600_302600_NS5minusIjEEEE10hipError_tPvRmT2_T3_mT4_P12ihipStream_tbEUlT_E_NS1_11comp_targetILNS1_3genE2ELNS1_11target_archE906ELNS1_3gpuE6ELNS1_3repE0EEENS1_30default_config_static_selectorELNS0_4arch9wavefront6targetE1EEEvT1_.kd
    .uniform_work_group_size: 1
    .uses_dynamic_stack: false
    .vgpr_count:     17
    .vgpr_spill_count: 0
    .wavefront_size: 64
  - .args:
      - .offset:         0
        .size:           56
        .value_kind:     by_value
    .group_segment_fixed_size: 0
    .kernarg_segment_align: 8
    .kernarg_segment_size: 56
    .language:       OpenCL C
    .language_version:
      - 2
      - 0
    .max_flat_workgroup_size: 1024
    .name:           _ZN7rocprim17ROCPRIM_400000_NS6detail17trampoline_kernelINS0_14default_configENS1_35adjacent_difference_config_selectorILb0EjEEZNS1_24adjacent_difference_implIS3_Lb0ELb0EPjS7_N6thrust23THRUST_200600_302600_NS5minusIjEEEE10hipError_tPvRmT2_T3_mT4_P12ihipStream_tbEUlT_E_NS1_11comp_targetILNS1_3genE9ELNS1_11target_archE1100ELNS1_3gpuE3ELNS1_3repE0EEENS1_30default_config_static_selectorELNS0_4arch9wavefront6targetE1EEEvT1_
    .private_segment_fixed_size: 0
    .sgpr_count:     4
    .sgpr_spill_count: 0
    .symbol:         _ZN7rocprim17ROCPRIM_400000_NS6detail17trampoline_kernelINS0_14default_configENS1_35adjacent_difference_config_selectorILb0EjEEZNS1_24adjacent_difference_implIS3_Lb0ELb0EPjS7_N6thrust23THRUST_200600_302600_NS5minusIjEEEE10hipError_tPvRmT2_T3_mT4_P12ihipStream_tbEUlT_E_NS1_11comp_targetILNS1_3genE9ELNS1_11target_archE1100ELNS1_3gpuE3ELNS1_3repE0EEENS1_30default_config_static_selectorELNS0_4arch9wavefront6targetE1EEEvT1_.kd
    .uniform_work_group_size: 1
    .uses_dynamic_stack: false
    .vgpr_count:     0
    .vgpr_spill_count: 0
    .wavefront_size: 64
  - .args:
      - .offset:         0
        .size:           56
        .value_kind:     by_value
    .group_segment_fixed_size: 0
    .kernarg_segment_align: 8
    .kernarg_segment_size: 56
    .language:       OpenCL C
    .language_version:
      - 2
      - 0
    .max_flat_workgroup_size: 1024
    .name:           _ZN7rocprim17ROCPRIM_400000_NS6detail17trampoline_kernelINS0_14default_configENS1_35adjacent_difference_config_selectorILb0EjEEZNS1_24adjacent_difference_implIS3_Lb0ELb0EPjS7_N6thrust23THRUST_200600_302600_NS5minusIjEEEE10hipError_tPvRmT2_T3_mT4_P12ihipStream_tbEUlT_E_NS1_11comp_targetILNS1_3genE8ELNS1_11target_archE1030ELNS1_3gpuE2ELNS1_3repE0EEENS1_30default_config_static_selectorELNS0_4arch9wavefront6targetE1EEEvT1_
    .private_segment_fixed_size: 0
    .sgpr_count:     4
    .sgpr_spill_count: 0
    .symbol:         _ZN7rocprim17ROCPRIM_400000_NS6detail17trampoline_kernelINS0_14default_configENS1_35adjacent_difference_config_selectorILb0EjEEZNS1_24adjacent_difference_implIS3_Lb0ELb0EPjS7_N6thrust23THRUST_200600_302600_NS5minusIjEEEE10hipError_tPvRmT2_T3_mT4_P12ihipStream_tbEUlT_E_NS1_11comp_targetILNS1_3genE8ELNS1_11target_archE1030ELNS1_3gpuE2ELNS1_3repE0EEENS1_30default_config_static_selectorELNS0_4arch9wavefront6targetE1EEEvT1_.kd
    .uniform_work_group_size: 1
    .uses_dynamic_stack: false
    .vgpr_count:     0
    .vgpr_spill_count: 0
    .wavefront_size: 64
  - .args:
      - .offset:         0
        .size:           56
        .value_kind:     by_value
    .group_segment_fixed_size: 0
    .kernarg_segment_align: 8
    .kernarg_segment_size: 56
    .language:       OpenCL C
    .language_version:
      - 2
      - 0
    .max_flat_workgroup_size: 128
    .name:           _ZN7rocprim17ROCPRIM_400000_NS6detail17trampoline_kernelINS0_14default_configENS1_25transform_config_selectorIjLb0EEEZNS1_14transform_implILb0ES3_S5_NS0_18transform_iteratorINS0_17counting_iteratorImlEEZNS1_24adjacent_difference_implIS3_Lb1ELb0EPjSB_N6thrust23THRUST_200600_302600_NS5minusIjEEEE10hipError_tPvRmT2_T3_mT4_P12ihipStream_tbEUlmE_jEESB_NS0_8identityIvEEEESG_SJ_SK_mSL_SN_bEUlT_E_NS1_11comp_targetILNS1_3genE0ELNS1_11target_archE4294967295ELNS1_3gpuE0ELNS1_3repE0EEENS1_30default_config_static_selectorELNS0_4arch9wavefront6targetE1EEEvT1_
    .private_segment_fixed_size: 0
    .sgpr_count:     4
    .sgpr_spill_count: 0
    .symbol:         _ZN7rocprim17ROCPRIM_400000_NS6detail17trampoline_kernelINS0_14default_configENS1_25transform_config_selectorIjLb0EEEZNS1_14transform_implILb0ES3_S5_NS0_18transform_iteratorINS0_17counting_iteratorImlEEZNS1_24adjacent_difference_implIS3_Lb1ELb0EPjSB_N6thrust23THRUST_200600_302600_NS5minusIjEEEE10hipError_tPvRmT2_T3_mT4_P12ihipStream_tbEUlmE_jEESB_NS0_8identityIvEEEESG_SJ_SK_mSL_SN_bEUlT_E_NS1_11comp_targetILNS1_3genE0ELNS1_11target_archE4294967295ELNS1_3gpuE0ELNS1_3repE0EEENS1_30default_config_static_selectorELNS0_4arch9wavefront6targetE1EEEvT1_.kd
    .uniform_work_group_size: 1
    .uses_dynamic_stack: false
    .vgpr_count:     0
    .vgpr_spill_count: 0
    .wavefront_size: 64
  - .args:
      - .offset:         0
        .size:           56
        .value_kind:     by_value
    .group_segment_fixed_size: 0
    .kernarg_segment_align: 8
    .kernarg_segment_size: 56
    .language:       OpenCL C
    .language_version:
      - 2
      - 0
    .max_flat_workgroup_size: 512
    .name:           _ZN7rocprim17ROCPRIM_400000_NS6detail17trampoline_kernelINS0_14default_configENS1_25transform_config_selectorIjLb0EEEZNS1_14transform_implILb0ES3_S5_NS0_18transform_iteratorINS0_17counting_iteratorImlEEZNS1_24adjacent_difference_implIS3_Lb1ELb0EPjSB_N6thrust23THRUST_200600_302600_NS5minusIjEEEE10hipError_tPvRmT2_T3_mT4_P12ihipStream_tbEUlmE_jEESB_NS0_8identityIvEEEESG_SJ_SK_mSL_SN_bEUlT_E_NS1_11comp_targetILNS1_3genE5ELNS1_11target_archE942ELNS1_3gpuE9ELNS1_3repE0EEENS1_30default_config_static_selectorELNS0_4arch9wavefront6targetE1EEEvT1_
    .private_segment_fixed_size: 0
    .sgpr_count:     4
    .sgpr_spill_count: 0
    .symbol:         _ZN7rocprim17ROCPRIM_400000_NS6detail17trampoline_kernelINS0_14default_configENS1_25transform_config_selectorIjLb0EEEZNS1_14transform_implILb0ES3_S5_NS0_18transform_iteratorINS0_17counting_iteratorImlEEZNS1_24adjacent_difference_implIS3_Lb1ELb0EPjSB_N6thrust23THRUST_200600_302600_NS5minusIjEEEE10hipError_tPvRmT2_T3_mT4_P12ihipStream_tbEUlmE_jEESB_NS0_8identityIvEEEESG_SJ_SK_mSL_SN_bEUlT_E_NS1_11comp_targetILNS1_3genE5ELNS1_11target_archE942ELNS1_3gpuE9ELNS1_3repE0EEENS1_30default_config_static_selectorELNS0_4arch9wavefront6targetE1EEEvT1_.kd
    .uniform_work_group_size: 1
    .uses_dynamic_stack: false
    .vgpr_count:     0
    .vgpr_spill_count: 0
    .wavefront_size: 64
  - .args:
      - .offset:         0
        .size:           56
        .value_kind:     by_value
    .group_segment_fixed_size: 0
    .kernarg_segment_align: 8
    .kernarg_segment_size: 56
    .language:       OpenCL C
    .language_version:
      - 2
      - 0
    .max_flat_workgroup_size: 1024
    .name:           _ZN7rocprim17ROCPRIM_400000_NS6detail17trampoline_kernelINS0_14default_configENS1_25transform_config_selectorIjLb0EEEZNS1_14transform_implILb0ES3_S5_NS0_18transform_iteratorINS0_17counting_iteratorImlEEZNS1_24adjacent_difference_implIS3_Lb1ELb0EPjSB_N6thrust23THRUST_200600_302600_NS5minusIjEEEE10hipError_tPvRmT2_T3_mT4_P12ihipStream_tbEUlmE_jEESB_NS0_8identityIvEEEESG_SJ_SK_mSL_SN_bEUlT_E_NS1_11comp_targetILNS1_3genE4ELNS1_11target_archE910ELNS1_3gpuE8ELNS1_3repE0EEENS1_30default_config_static_selectorELNS0_4arch9wavefront6targetE1EEEvT1_
    .private_segment_fixed_size: 0
    .sgpr_count:     4
    .sgpr_spill_count: 0
    .symbol:         _ZN7rocprim17ROCPRIM_400000_NS6detail17trampoline_kernelINS0_14default_configENS1_25transform_config_selectorIjLb0EEEZNS1_14transform_implILb0ES3_S5_NS0_18transform_iteratorINS0_17counting_iteratorImlEEZNS1_24adjacent_difference_implIS3_Lb1ELb0EPjSB_N6thrust23THRUST_200600_302600_NS5minusIjEEEE10hipError_tPvRmT2_T3_mT4_P12ihipStream_tbEUlmE_jEESB_NS0_8identityIvEEEESG_SJ_SK_mSL_SN_bEUlT_E_NS1_11comp_targetILNS1_3genE4ELNS1_11target_archE910ELNS1_3gpuE8ELNS1_3repE0EEENS1_30default_config_static_selectorELNS0_4arch9wavefront6targetE1EEEvT1_.kd
    .uniform_work_group_size: 1
    .uses_dynamic_stack: false
    .vgpr_count:     0
    .vgpr_spill_count: 0
    .wavefront_size: 64
  - .args:
      - .offset:         0
        .size:           56
        .value_kind:     by_value
    .group_segment_fixed_size: 0
    .kernarg_segment_align: 8
    .kernarg_segment_size: 56
    .language:       OpenCL C
    .language_version:
      - 2
      - 0
    .max_flat_workgroup_size: 128
    .name:           _ZN7rocprim17ROCPRIM_400000_NS6detail17trampoline_kernelINS0_14default_configENS1_25transform_config_selectorIjLb0EEEZNS1_14transform_implILb0ES3_S5_NS0_18transform_iteratorINS0_17counting_iteratorImlEEZNS1_24adjacent_difference_implIS3_Lb1ELb0EPjSB_N6thrust23THRUST_200600_302600_NS5minusIjEEEE10hipError_tPvRmT2_T3_mT4_P12ihipStream_tbEUlmE_jEESB_NS0_8identityIvEEEESG_SJ_SK_mSL_SN_bEUlT_E_NS1_11comp_targetILNS1_3genE3ELNS1_11target_archE908ELNS1_3gpuE7ELNS1_3repE0EEENS1_30default_config_static_selectorELNS0_4arch9wavefront6targetE1EEEvT1_
    .private_segment_fixed_size: 0
    .sgpr_count:     4
    .sgpr_spill_count: 0
    .symbol:         _ZN7rocprim17ROCPRIM_400000_NS6detail17trampoline_kernelINS0_14default_configENS1_25transform_config_selectorIjLb0EEEZNS1_14transform_implILb0ES3_S5_NS0_18transform_iteratorINS0_17counting_iteratorImlEEZNS1_24adjacent_difference_implIS3_Lb1ELb0EPjSB_N6thrust23THRUST_200600_302600_NS5minusIjEEEE10hipError_tPvRmT2_T3_mT4_P12ihipStream_tbEUlmE_jEESB_NS0_8identityIvEEEESG_SJ_SK_mSL_SN_bEUlT_E_NS1_11comp_targetILNS1_3genE3ELNS1_11target_archE908ELNS1_3gpuE7ELNS1_3repE0EEENS1_30default_config_static_selectorELNS0_4arch9wavefront6targetE1EEEvT1_.kd
    .uniform_work_group_size: 1
    .uses_dynamic_stack: false
    .vgpr_count:     0
    .vgpr_spill_count: 0
    .wavefront_size: 64
  - .args:
      - .offset:         0
        .size:           56
        .value_kind:     by_value
      - .offset:         56
        .size:           4
        .value_kind:     hidden_block_count_x
      - .offset:         60
        .size:           4
        .value_kind:     hidden_block_count_y
      - .offset:         64
        .size:           4
        .value_kind:     hidden_block_count_z
      - .offset:         68
        .size:           2
        .value_kind:     hidden_group_size_x
      - .offset:         70
        .size:           2
        .value_kind:     hidden_group_size_y
      - .offset:         72
        .size:           2
        .value_kind:     hidden_group_size_z
      - .offset:         74
        .size:           2
        .value_kind:     hidden_remainder_x
      - .offset:         76
        .size:           2
        .value_kind:     hidden_remainder_y
      - .offset:         78
        .size:           2
        .value_kind:     hidden_remainder_z
      - .offset:         96
        .size:           8
        .value_kind:     hidden_global_offset_x
      - .offset:         104
        .size:           8
        .value_kind:     hidden_global_offset_y
      - .offset:         112
        .size:           8
        .value_kind:     hidden_global_offset_z
      - .offset:         120
        .size:           2
        .value_kind:     hidden_grid_dims
    .group_segment_fixed_size: 0
    .kernarg_segment_align: 8
    .kernarg_segment_size: 312
    .language:       OpenCL C
    .language_version:
      - 2
      - 0
    .max_flat_workgroup_size: 1024
    .name:           _ZN7rocprim17ROCPRIM_400000_NS6detail17trampoline_kernelINS0_14default_configENS1_25transform_config_selectorIjLb0EEEZNS1_14transform_implILb0ES3_S5_NS0_18transform_iteratorINS0_17counting_iteratorImlEEZNS1_24adjacent_difference_implIS3_Lb1ELb0EPjSB_N6thrust23THRUST_200600_302600_NS5minusIjEEEE10hipError_tPvRmT2_T3_mT4_P12ihipStream_tbEUlmE_jEESB_NS0_8identityIvEEEESG_SJ_SK_mSL_SN_bEUlT_E_NS1_11comp_targetILNS1_3genE2ELNS1_11target_archE906ELNS1_3gpuE6ELNS1_3repE0EEENS1_30default_config_static_selectorELNS0_4arch9wavefront6targetE1EEEvT1_
    .private_segment_fixed_size: 0
    .sgpr_count:     22
    .sgpr_spill_count: 0
    .symbol:         _ZN7rocprim17ROCPRIM_400000_NS6detail17trampoline_kernelINS0_14default_configENS1_25transform_config_selectorIjLb0EEEZNS1_14transform_implILb0ES3_S5_NS0_18transform_iteratorINS0_17counting_iteratorImlEEZNS1_24adjacent_difference_implIS3_Lb1ELb0EPjSB_N6thrust23THRUST_200600_302600_NS5minusIjEEEE10hipError_tPvRmT2_T3_mT4_P12ihipStream_tbEUlmE_jEESB_NS0_8identityIvEEEESG_SJ_SK_mSL_SN_bEUlT_E_NS1_11comp_targetILNS1_3genE2ELNS1_11target_archE906ELNS1_3gpuE6ELNS1_3repE0EEENS1_30default_config_static_selectorELNS0_4arch9wavefront6targetE1EEEvT1_.kd
    .uniform_work_group_size: 1
    .uses_dynamic_stack: false
    .vgpr_count:     7
    .vgpr_spill_count: 0
    .wavefront_size: 64
  - .args:
      - .offset:         0
        .size:           56
        .value_kind:     by_value
    .group_segment_fixed_size: 0
    .kernarg_segment_align: 8
    .kernarg_segment_size: 56
    .language:       OpenCL C
    .language_version:
      - 2
      - 0
    .max_flat_workgroup_size: 1024
    .name:           _ZN7rocprim17ROCPRIM_400000_NS6detail17trampoline_kernelINS0_14default_configENS1_25transform_config_selectorIjLb0EEEZNS1_14transform_implILb0ES3_S5_NS0_18transform_iteratorINS0_17counting_iteratorImlEEZNS1_24adjacent_difference_implIS3_Lb1ELb0EPjSB_N6thrust23THRUST_200600_302600_NS5minusIjEEEE10hipError_tPvRmT2_T3_mT4_P12ihipStream_tbEUlmE_jEESB_NS0_8identityIvEEEESG_SJ_SK_mSL_SN_bEUlT_E_NS1_11comp_targetILNS1_3genE10ELNS1_11target_archE1201ELNS1_3gpuE5ELNS1_3repE0EEENS1_30default_config_static_selectorELNS0_4arch9wavefront6targetE1EEEvT1_
    .private_segment_fixed_size: 0
    .sgpr_count:     4
    .sgpr_spill_count: 0
    .symbol:         _ZN7rocprim17ROCPRIM_400000_NS6detail17trampoline_kernelINS0_14default_configENS1_25transform_config_selectorIjLb0EEEZNS1_14transform_implILb0ES3_S5_NS0_18transform_iteratorINS0_17counting_iteratorImlEEZNS1_24adjacent_difference_implIS3_Lb1ELb0EPjSB_N6thrust23THRUST_200600_302600_NS5minusIjEEEE10hipError_tPvRmT2_T3_mT4_P12ihipStream_tbEUlmE_jEESB_NS0_8identityIvEEEESG_SJ_SK_mSL_SN_bEUlT_E_NS1_11comp_targetILNS1_3genE10ELNS1_11target_archE1201ELNS1_3gpuE5ELNS1_3repE0EEENS1_30default_config_static_selectorELNS0_4arch9wavefront6targetE1EEEvT1_.kd
    .uniform_work_group_size: 1
    .uses_dynamic_stack: false
    .vgpr_count:     0
    .vgpr_spill_count: 0
    .wavefront_size: 64
  - .args:
      - .offset:         0
        .size:           56
        .value_kind:     by_value
    .group_segment_fixed_size: 0
    .kernarg_segment_align: 8
    .kernarg_segment_size: 56
    .language:       OpenCL C
    .language_version:
      - 2
      - 0
    .max_flat_workgroup_size: 512
    .name:           _ZN7rocprim17ROCPRIM_400000_NS6detail17trampoline_kernelINS0_14default_configENS1_25transform_config_selectorIjLb0EEEZNS1_14transform_implILb0ES3_S5_NS0_18transform_iteratorINS0_17counting_iteratorImlEEZNS1_24adjacent_difference_implIS3_Lb1ELb0EPjSB_N6thrust23THRUST_200600_302600_NS5minusIjEEEE10hipError_tPvRmT2_T3_mT4_P12ihipStream_tbEUlmE_jEESB_NS0_8identityIvEEEESG_SJ_SK_mSL_SN_bEUlT_E_NS1_11comp_targetILNS1_3genE10ELNS1_11target_archE1200ELNS1_3gpuE4ELNS1_3repE0EEENS1_30default_config_static_selectorELNS0_4arch9wavefront6targetE1EEEvT1_
    .private_segment_fixed_size: 0
    .sgpr_count:     4
    .sgpr_spill_count: 0
    .symbol:         _ZN7rocprim17ROCPRIM_400000_NS6detail17trampoline_kernelINS0_14default_configENS1_25transform_config_selectorIjLb0EEEZNS1_14transform_implILb0ES3_S5_NS0_18transform_iteratorINS0_17counting_iteratorImlEEZNS1_24adjacent_difference_implIS3_Lb1ELb0EPjSB_N6thrust23THRUST_200600_302600_NS5minusIjEEEE10hipError_tPvRmT2_T3_mT4_P12ihipStream_tbEUlmE_jEESB_NS0_8identityIvEEEESG_SJ_SK_mSL_SN_bEUlT_E_NS1_11comp_targetILNS1_3genE10ELNS1_11target_archE1200ELNS1_3gpuE4ELNS1_3repE0EEENS1_30default_config_static_selectorELNS0_4arch9wavefront6targetE1EEEvT1_.kd
    .uniform_work_group_size: 1
    .uses_dynamic_stack: false
    .vgpr_count:     0
    .vgpr_spill_count: 0
    .wavefront_size: 64
  - .args:
      - .offset:         0
        .size:           56
        .value_kind:     by_value
    .group_segment_fixed_size: 0
    .kernarg_segment_align: 8
    .kernarg_segment_size: 56
    .language:       OpenCL C
    .language_version:
      - 2
      - 0
    .max_flat_workgroup_size: 64
    .name:           _ZN7rocprim17ROCPRIM_400000_NS6detail17trampoline_kernelINS0_14default_configENS1_25transform_config_selectorIjLb0EEEZNS1_14transform_implILb0ES3_S5_NS0_18transform_iteratorINS0_17counting_iteratorImlEEZNS1_24adjacent_difference_implIS3_Lb1ELb0EPjSB_N6thrust23THRUST_200600_302600_NS5minusIjEEEE10hipError_tPvRmT2_T3_mT4_P12ihipStream_tbEUlmE_jEESB_NS0_8identityIvEEEESG_SJ_SK_mSL_SN_bEUlT_E_NS1_11comp_targetILNS1_3genE9ELNS1_11target_archE1100ELNS1_3gpuE3ELNS1_3repE0EEENS1_30default_config_static_selectorELNS0_4arch9wavefront6targetE1EEEvT1_
    .private_segment_fixed_size: 0
    .sgpr_count:     4
    .sgpr_spill_count: 0
    .symbol:         _ZN7rocprim17ROCPRIM_400000_NS6detail17trampoline_kernelINS0_14default_configENS1_25transform_config_selectorIjLb0EEEZNS1_14transform_implILb0ES3_S5_NS0_18transform_iteratorINS0_17counting_iteratorImlEEZNS1_24adjacent_difference_implIS3_Lb1ELb0EPjSB_N6thrust23THRUST_200600_302600_NS5minusIjEEEE10hipError_tPvRmT2_T3_mT4_P12ihipStream_tbEUlmE_jEESB_NS0_8identityIvEEEESG_SJ_SK_mSL_SN_bEUlT_E_NS1_11comp_targetILNS1_3genE9ELNS1_11target_archE1100ELNS1_3gpuE3ELNS1_3repE0EEENS1_30default_config_static_selectorELNS0_4arch9wavefront6targetE1EEEvT1_.kd
    .uniform_work_group_size: 1
    .uses_dynamic_stack: false
    .vgpr_count:     0
    .vgpr_spill_count: 0
    .wavefront_size: 64
  - .args:
      - .offset:         0
        .size:           56
        .value_kind:     by_value
    .group_segment_fixed_size: 0
    .kernarg_segment_align: 8
    .kernarg_segment_size: 56
    .language:       OpenCL C
    .language_version:
      - 2
      - 0
    .max_flat_workgroup_size: 256
    .name:           _ZN7rocprim17ROCPRIM_400000_NS6detail17trampoline_kernelINS0_14default_configENS1_25transform_config_selectorIjLb0EEEZNS1_14transform_implILb0ES3_S5_NS0_18transform_iteratorINS0_17counting_iteratorImlEEZNS1_24adjacent_difference_implIS3_Lb1ELb0EPjSB_N6thrust23THRUST_200600_302600_NS5minusIjEEEE10hipError_tPvRmT2_T3_mT4_P12ihipStream_tbEUlmE_jEESB_NS0_8identityIvEEEESG_SJ_SK_mSL_SN_bEUlT_E_NS1_11comp_targetILNS1_3genE8ELNS1_11target_archE1030ELNS1_3gpuE2ELNS1_3repE0EEENS1_30default_config_static_selectorELNS0_4arch9wavefront6targetE1EEEvT1_
    .private_segment_fixed_size: 0
    .sgpr_count:     4
    .sgpr_spill_count: 0
    .symbol:         _ZN7rocprim17ROCPRIM_400000_NS6detail17trampoline_kernelINS0_14default_configENS1_25transform_config_selectorIjLb0EEEZNS1_14transform_implILb0ES3_S5_NS0_18transform_iteratorINS0_17counting_iteratorImlEEZNS1_24adjacent_difference_implIS3_Lb1ELb0EPjSB_N6thrust23THRUST_200600_302600_NS5minusIjEEEE10hipError_tPvRmT2_T3_mT4_P12ihipStream_tbEUlmE_jEESB_NS0_8identityIvEEEESG_SJ_SK_mSL_SN_bEUlT_E_NS1_11comp_targetILNS1_3genE8ELNS1_11target_archE1030ELNS1_3gpuE2ELNS1_3repE0EEENS1_30default_config_static_selectorELNS0_4arch9wavefront6targetE1EEEvT1_.kd
    .uniform_work_group_size: 1
    .uses_dynamic_stack: false
    .vgpr_count:     0
    .vgpr_spill_count: 0
    .wavefront_size: 64
  - .args:
      - .offset:         0
        .size:           56
        .value_kind:     by_value
    .group_segment_fixed_size: 0
    .kernarg_segment_align: 8
    .kernarg_segment_size: 56
    .language:       OpenCL C
    .language_version:
      - 2
      - 0
    .max_flat_workgroup_size: 1024
    .name:           _ZN7rocprim17ROCPRIM_400000_NS6detail17trampoline_kernelINS0_14default_configENS1_35adjacent_difference_config_selectorILb1EjEEZNS1_24adjacent_difference_implIS3_Lb1ELb0EPjS7_N6thrust23THRUST_200600_302600_NS5minusIjEEEE10hipError_tPvRmT2_T3_mT4_P12ihipStream_tbEUlT_E_NS1_11comp_targetILNS1_3genE0ELNS1_11target_archE4294967295ELNS1_3gpuE0ELNS1_3repE0EEENS1_30default_config_static_selectorELNS0_4arch9wavefront6targetE1EEEvT1_
    .private_segment_fixed_size: 0
    .sgpr_count:     4
    .sgpr_spill_count: 0
    .symbol:         _ZN7rocprim17ROCPRIM_400000_NS6detail17trampoline_kernelINS0_14default_configENS1_35adjacent_difference_config_selectorILb1EjEEZNS1_24adjacent_difference_implIS3_Lb1ELb0EPjS7_N6thrust23THRUST_200600_302600_NS5minusIjEEEE10hipError_tPvRmT2_T3_mT4_P12ihipStream_tbEUlT_E_NS1_11comp_targetILNS1_3genE0ELNS1_11target_archE4294967295ELNS1_3gpuE0ELNS1_3repE0EEENS1_30default_config_static_selectorELNS0_4arch9wavefront6targetE1EEEvT1_.kd
    .uniform_work_group_size: 1
    .uses_dynamic_stack: false
    .vgpr_count:     0
    .vgpr_spill_count: 0
    .wavefront_size: 64
  - .args:
      - .offset:         0
        .size:           56
        .value_kind:     by_value
    .group_segment_fixed_size: 0
    .kernarg_segment_align: 8
    .kernarg_segment_size: 56
    .language:       OpenCL C
    .language_version:
      - 2
      - 0
    .max_flat_workgroup_size: 32
    .name:           _ZN7rocprim17ROCPRIM_400000_NS6detail17trampoline_kernelINS0_14default_configENS1_35adjacent_difference_config_selectorILb1EjEEZNS1_24adjacent_difference_implIS3_Lb1ELb0EPjS7_N6thrust23THRUST_200600_302600_NS5minusIjEEEE10hipError_tPvRmT2_T3_mT4_P12ihipStream_tbEUlT_E_NS1_11comp_targetILNS1_3genE10ELNS1_11target_archE1201ELNS1_3gpuE5ELNS1_3repE0EEENS1_30default_config_static_selectorELNS0_4arch9wavefront6targetE1EEEvT1_
    .private_segment_fixed_size: 0
    .sgpr_count:     4
    .sgpr_spill_count: 0
    .symbol:         _ZN7rocprim17ROCPRIM_400000_NS6detail17trampoline_kernelINS0_14default_configENS1_35adjacent_difference_config_selectorILb1EjEEZNS1_24adjacent_difference_implIS3_Lb1ELb0EPjS7_N6thrust23THRUST_200600_302600_NS5minusIjEEEE10hipError_tPvRmT2_T3_mT4_P12ihipStream_tbEUlT_E_NS1_11comp_targetILNS1_3genE10ELNS1_11target_archE1201ELNS1_3gpuE5ELNS1_3repE0EEENS1_30default_config_static_selectorELNS0_4arch9wavefront6targetE1EEEvT1_.kd
    .uniform_work_group_size: 1
    .uses_dynamic_stack: false
    .vgpr_count:     0
    .vgpr_spill_count: 0
    .wavefront_size: 64
  - .args:
      - .offset:         0
        .size:           56
        .value_kind:     by_value
    .group_segment_fixed_size: 0
    .kernarg_segment_align: 8
    .kernarg_segment_size: 56
    .language:       OpenCL C
    .language_version:
      - 2
      - 0
    .max_flat_workgroup_size: 512
    .name:           _ZN7rocprim17ROCPRIM_400000_NS6detail17trampoline_kernelINS0_14default_configENS1_35adjacent_difference_config_selectorILb1EjEEZNS1_24adjacent_difference_implIS3_Lb1ELb0EPjS7_N6thrust23THRUST_200600_302600_NS5minusIjEEEE10hipError_tPvRmT2_T3_mT4_P12ihipStream_tbEUlT_E_NS1_11comp_targetILNS1_3genE5ELNS1_11target_archE942ELNS1_3gpuE9ELNS1_3repE0EEENS1_30default_config_static_selectorELNS0_4arch9wavefront6targetE1EEEvT1_
    .private_segment_fixed_size: 0
    .sgpr_count:     4
    .sgpr_spill_count: 0
    .symbol:         _ZN7rocprim17ROCPRIM_400000_NS6detail17trampoline_kernelINS0_14default_configENS1_35adjacent_difference_config_selectorILb1EjEEZNS1_24adjacent_difference_implIS3_Lb1ELb0EPjS7_N6thrust23THRUST_200600_302600_NS5minusIjEEEE10hipError_tPvRmT2_T3_mT4_P12ihipStream_tbEUlT_E_NS1_11comp_targetILNS1_3genE5ELNS1_11target_archE942ELNS1_3gpuE9ELNS1_3repE0EEENS1_30default_config_static_selectorELNS0_4arch9wavefront6targetE1EEEvT1_.kd
    .uniform_work_group_size: 1
    .uses_dynamic_stack: false
    .vgpr_count:     0
    .vgpr_spill_count: 0
    .wavefront_size: 64
  - .args:
      - .offset:         0
        .size:           56
        .value_kind:     by_value
    .group_segment_fixed_size: 0
    .kernarg_segment_align: 8
    .kernarg_segment_size: 56
    .language:       OpenCL C
    .language_version:
      - 2
      - 0
    .max_flat_workgroup_size: 512
    .name:           _ZN7rocprim17ROCPRIM_400000_NS6detail17trampoline_kernelINS0_14default_configENS1_35adjacent_difference_config_selectorILb1EjEEZNS1_24adjacent_difference_implIS3_Lb1ELb0EPjS7_N6thrust23THRUST_200600_302600_NS5minusIjEEEE10hipError_tPvRmT2_T3_mT4_P12ihipStream_tbEUlT_E_NS1_11comp_targetILNS1_3genE4ELNS1_11target_archE910ELNS1_3gpuE8ELNS1_3repE0EEENS1_30default_config_static_selectorELNS0_4arch9wavefront6targetE1EEEvT1_
    .private_segment_fixed_size: 0
    .sgpr_count:     4
    .sgpr_spill_count: 0
    .symbol:         _ZN7rocprim17ROCPRIM_400000_NS6detail17trampoline_kernelINS0_14default_configENS1_35adjacent_difference_config_selectorILb1EjEEZNS1_24adjacent_difference_implIS3_Lb1ELb0EPjS7_N6thrust23THRUST_200600_302600_NS5minusIjEEEE10hipError_tPvRmT2_T3_mT4_P12ihipStream_tbEUlT_E_NS1_11comp_targetILNS1_3genE4ELNS1_11target_archE910ELNS1_3gpuE8ELNS1_3repE0EEENS1_30default_config_static_selectorELNS0_4arch9wavefront6targetE1EEEvT1_.kd
    .uniform_work_group_size: 1
    .uses_dynamic_stack: false
    .vgpr_count:     0
    .vgpr_spill_count: 0
    .wavefront_size: 64
  - .args:
      - .offset:         0
        .size:           56
        .value_kind:     by_value
    .group_segment_fixed_size: 0
    .kernarg_segment_align: 8
    .kernarg_segment_size: 56
    .language:       OpenCL C
    .language_version:
      - 2
      - 0
    .max_flat_workgroup_size: 1024
    .name:           _ZN7rocprim17ROCPRIM_400000_NS6detail17trampoline_kernelINS0_14default_configENS1_35adjacent_difference_config_selectorILb1EjEEZNS1_24adjacent_difference_implIS3_Lb1ELb0EPjS7_N6thrust23THRUST_200600_302600_NS5minusIjEEEE10hipError_tPvRmT2_T3_mT4_P12ihipStream_tbEUlT_E_NS1_11comp_targetILNS1_3genE3ELNS1_11target_archE908ELNS1_3gpuE7ELNS1_3repE0EEENS1_30default_config_static_selectorELNS0_4arch9wavefront6targetE1EEEvT1_
    .private_segment_fixed_size: 0
    .sgpr_count:     4
    .sgpr_spill_count: 0
    .symbol:         _ZN7rocprim17ROCPRIM_400000_NS6detail17trampoline_kernelINS0_14default_configENS1_35adjacent_difference_config_selectorILb1EjEEZNS1_24adjacent_difference_implIS3_Lb1ELb0EPjS7_N6thrust23THRUST_200600_302600_NS5minusIjEEEE10hipError_tPvRmT2_T3_mT4_P12ihipStream_tbEUlT_E_NS1_11comp_targetILNS1_3genE3ELNS1_11target_archE908ELNS1_3gpuE7ELNS1_3repE0EEENS1_30default_config_static_selectorELNS0_4arch9wavefront6targetE1EEEvT1_.kd
    .uniform_work_group_size: 1
    .uses_dynamic_stack: false
    .vgpr_count:     0
    .vgpr_spill_count: 0
    .wavefront_size: 64
  - .args:
      - .offset:         0
        .size:           56
        .value_kind:     by_value
    .group_segment_fixed_size: 11264
    .kernarg_segment_align: 8
    .kernarg_segment_size: 56
    .language:       OpenCL C
    .language_version:
      - 2
      - 0
    .max_flat_workgroup_size: 256
    .name:           _ZN7rocprim17ROCPRIM_400000_NS6detail17trampoline_kernelINS0_14default_configENS1_35adjacent_difference_config_selectorILb1EjEEZNS1_24adjacent_difference_implIS3_Lb1ELb0EPjS7_N6thrust23THRUST_200600_302600_NS5minusIjEEEE10hipError_tPvRmT2_T3_mT4_P12ihipStream_tbEUlT_E_NS1_11comp_targetILNS1_3genE2ELNS1_11target_archE906ELNS1_3gpuE6ELNS1_3repE0EEENS1_30default_config_static_selectorELNS0_4arch9wavefront6targetE1EEEvT1_
    .private_segment_fixed_size: 0
    .sgpr_count:     36
    .sgpr_spill_count: 0
    .symbol:         _ZN7rocprim17ROCPRIM_400000_NS6detail17trampoline_kernelINS0_14default_configENS1_35adjacent_difference_config_selectorILb1EjEEZNS1_24adjacent_difference_implIS3_Lb1ELb0EPjS7_N6thrust23THRUST_200600_302600_NS5minusIjEEEE10hipError_tPvRmT2_T3_mT4_P12ihipStream_tbEUlT_E_NS1_11comp_targetILNS1_3genE2ELNS1_11target_archE906ELNS1_3gpuE6ELNS1_3repE0EEENS1_30default_config_static_selectorELNS0_4arch9wavefront6targetE1EEEvT1_.kd
    .uniform_work_group_size: 1
    .uses_dynamic_stack: false
    .vgpr_count:     27
    .vgpr_spill_count: 0
    .wavefront_size: 64
  - .args:
      - .offset:         0
        .size:           56
        .value_kind:     by_value
    .group_segment_fixed_size: 0
    .kernarg_segment_align: 8
    .kernarg_segment_size: 56
    .language:       OpenCL C
    .language_version:
      - 2
      - 0
    .max_flat_workgroup_size: 128
    .name:           _ZN7rocprim17ROCPRIM_400000_NS6detail17trampoline_kernelINS0_14default_configENS1_35adjacent_difference_config_selectorILb1EjEEZNS1_24adjacent_difference_implIS3_Lb1ELb0EPjS7_N6thrust23THRUST_200600_302600_NS5minusIjEEEE10hipError_tPvRmT2_T3_mT4_P12ihipStream_tbEUlT_E_NS1_11comp_targetILNS1_3genE9ELNS1_11target_archE1100ELNS1_3gpuE3ELNS1_3repE0EEENS1_30default_config_static_selectorELNS0_4arch9wavefront6targetE1EEEvT1_
    .private_segment_fixed_size: 0
    .sgpr_count:     4
    .sgpr_spill_count: 0
    .symbol:         _ZN7rocprim17ROCPRIM_400000_NS6detail17trampoline_kernelINS0_14default_configENS1_35adjacent_difference_config_selectorILb1EjEEZNS1_24adjacent_difference_implIS3_Lb1ELb0EPjS7_N6thrust23THRUST_200600_302600_NS5minusIjEEEE10hipError_tPvRmT2_T3_mT4_P12ihipStream_tbEUlT_E_NS1_11comp_targetILNS1_3genE9ELNS1_11target_archE1100ELNS1_3gpuE3ELNS1_3repE0EEENS1_30default_config_static_selectorELNS0_4arch9wavefront6targetE1EEEvT1_.kd
    .uniform_work_group_size: 1
    .uses_dynamic_stack: false
    .vgpr_count:     0
    .vgpr_spill_count: 0
    .wavefront_size: 64
  - .args:
      - .offset:         0
        .size:           56
        .value_kind:     by_value
    .group_segment_fixed_size: 0
    .kernarg_segment_align: 8
    .kernarg_segment_size: 56
    .language:       OpenCL C
    .language_version:
      - 2
      - 0
    .max_flat_workgroup_size: 32
    .name:           _ZN7rocprim17ROCPRIM_400000_NS6detail17trampoline_kernelINS0_14default_configENS1_35adjacent_difference_config_selectorILb1EjEEZNS1_24adjacent_difference_implIS3_Lb1ELb0EPjS7_N6thrust23THRUST_200600_302600_NS5minusIjEEEE10hipError_tPvRmT2_T3_mT4_P12ihipStream_tbEUlT_E_NS1_11comp_targetILNS1_3genE8ELNS1_11target_archE1030ELNS1_3gpuE2ELNS1_3repE0EEENS1_30default_config_static_selectorELNS0_4arch9wavefront6targetE1EEEvT1_
    .private_segment_fixed_size: 0
    .sgpr_count:     4
    .sgpr_spill_count: 0
    .symbol:         _ZN7rocprim17ROCPRIM_400000_NS6detail17trampoline_kernelINS0_14default_configENS1_35adjacent_difference_config_selectorILb1EjEEZNS1_24adjacent_difference_implIS3_Lb1ELb0EPjS7_N6thrust23THRUST_200600_302600_NS5minusIjEEEE10hipError_tPvRmT2_T3_mT4_P12ihipStream_tbEUlT_E_NS1_11comp_targetILNS1_3genE8ELNS1_11target_archE1030ELNS1_3gpuE2ELNS1_3repE0EEENS1_30default_config_static_selectorELNS0_4arch9wavefront6targetE1EEEvT1_.kd
    .uniform_work_group_size: 1
    .uses_dynamic_stack: false
    .vgpr_count:     0
    .vgpr_spill_count: 0
    .wavefront_size: 64
  - .args:
      - .offset:         0
        .size:           56
        .value_kind:     by_value
    .group_segment_fixed_size: 0
    .kernarg_segment_align: 8
    .kernarg_segment_size: 56
    .language:       OpenCL C
    .language_version:
      - 2
      - 0
    .max_flat_workgroup_size: 128
    .name:           _ZN7rocprim17ROCPRIM_400000_NS6detail17trampoline_kernelINS0_14default_configENS1_35adjacent_difference_config_selectorILb0EjEEZNS1_24adjacent_difference_implIS3_Lb0ELb0EPjS7_N6thrust23THRUST_200600_302600_NS4plusIjEEEE10hipError_tPvRmT2_T3_mT4_P12ihipStream_tbEUlT_E_NS1_11comp_targetILNS1_3genE0ELNS1_11target_archE4294967295ELNS1_3gpuE0ELNS1_3repE0EEENS1_30default_config_static_selectorELNS0_4arch9wavefront6targetE1EEEvT1_
    .private_segment_fixed_size: 0
    .sgpr_count:     4
    .sgpr_spill_count: 0
    .symbol:         _ZN7rocprim17ROCPRIM_400000_NS6detail17trampoline_kernelINS0_14default_configENS1_35adjacent_difference_config_selectorILb0EjEEZNS1_24adjacent_difference_implIS3_Lb0ELb0EPjS7_N6thrust23THRUST_200600_302600_NS4plusIjEEEE10hipError_tPvRmT2_T3_mT4_P12ihipStream_tbEUlT_E_NS1_11comp_targetILNS1_3genE0ELNS1_11target_archE4294967295ELNS1_3gpuE0ELNS1_3repE0EEENS1_30default_config_static_selectorELNS0_4arch9wavefront6targetE1EEEvT1_.kd
    .uniform_work_group_size: 1
    .uses_dynamic_stack: false
    .vgpr_count:     0
    .vgpr_spill_count: 0
    .wavefront_size: 64
  - .args:
      - .offset:         0
        .size:           56
        .value_kind:     by_value
    .group_segment_fixed_size: 0
    .kernarg_segment_align: 8
    .kernarg_segment_size: 56
    .language:       OpenCL C
    .language_version:
      - 2
      - 0
    .max_flat_workgroup_size: 128
    .name:           _ZN7rocprim17ROCPRIM_400000_NS6detail17trampoline_kernelINS0_14default_configENS1_35adjacent_difference_config_selectorILb0EjEEZNS1_24adjacent_difference_implIS3_Lb0ELb0EPjS7_N6thrust23THRUST_200600_302600_NS4plusIjEEEE10hipError_tPvRmT2_T3_mT4_P12ihipStream_tbEUlT_E_NS1_11comp_targetILNS1_3genE10ELNS1_11target_archE1201ELNS1_3gpuE5ELNS1_3repE0EEENS1_30default_config_static_selectorELNS0_4arch9wavefront6targetE1EEEvT1_
    .private_segment_fixed_size: 0
    .sgpr_count:     4
    .sgpr_spill_count: 0
    .symbol:         _ZN7rocprim17ROCPRIM_400000_NS6detail17trampoline_kernelINS0_14default_configENS1_35adjacent_difference_config_selectorILb0EjEEZNS1_24adjacent_difference_implIS3_Lb0ELb0EPjS7_N6thrust23THRUST_200600_302600_NS4plusIjEEEE10hipError_tPvRmT2_T3_mT4_P12ihipStream_tbEUlT_E_NS1_11comp_targetILNS1_3genE10ELNS1_11target_archE1201ELNS1_3gpuE5ELNS1_3repE0EEENS1_30default_config_static_selectorELNS0_4arch9wavefront6targetE1EEEvT1_.kd
    .uniform_work_group_size: 1
    .uses_dynamic_stack: false
    .vgpr_count:     0
    .vgpr_spill_count: 0
    .wavefront_size: 64
  - .args:
      - .offset:         0
        .size:           56
        .value_kind:     by_value
    .group_segment_fixed_size: 0
    .kernarg_segment_align: 8
    .kernarg_segment_size: 56
    .language:       OpenCL C
    .language_version:
      - 2
      - 0
    .max_flat_workgroup_size: 64
    .name:           _ZN7rocprim17ROCPRIM_400000_NS6detail17trampoline_kernelINS0_14default_configENS1_35adjacent_difference_config_selectorILb0EjEEZNS1_24adjacent_difference_implIS3_Lb0ELb0EPjS7_N6thrust23THRUST_200600_302600_NS4plusIjEEEE10hipError_tPvRmT2_T3_mT4_P12ihipStream_tbEUlT_E_NS1_11comp_targetILNS1_3genE5ELNS1_11target_archE942ELNS1_3gpuE9ELNS1_3repE0EEENS1_30default_config_static_selectorELNS0_4arch9wavefront6targetE1EEEvT1_
    .private_segment_fixed_size: 0
    .sgpr_count:     4
    .sgpr_spill_count: 0
    .symbol:         _ZN7rocprim17ROCPRIM_400000_NS6detail17trampoline_kernelINS0_14default_configENS1_35adjacent_difference_config_selectorILb0EjEEZNS1_24adjacent_difference_implIS3_Lb0ELb0EPjS7_N6thrust23THRUST_200600_302600_NS4plusIjEEEE10hipError_tPvRmT2_T3_mT4_P12ihipStream_tbEUlT_E_NS1_11comp_targetILNS1_3genE5ELNS1_11target_archE942ELNS1_3gpuE9ELNS1_3repE0EEENS1_30default_config_static_selectorELNS0_4arch9wavefront6targetE1EEEvT1_.kd
    .uniform_work_group_size: 1
    .uses_dynamic_stack: false
    .vgpr_count:     0
    .vgpr_spill_count: 0
    .wavefront_size: 64
  - .args:
      - .offset:         0
        .size:           56
        .value_kind:     by_value
    .group_segment_fixed_size: 0
    .kernarg_segment_align: 8
    .kernarg_segment_size: 56
    .language:       OpenCL C
    .language_version:
      - 2
      - 0
    .max_flat_workgroup_size: 512
    .name:           _ZN7rocprim17ROCPRIM_400000_NS6detail17trampoline_kernelINS0_14default_configENS1_35adjacent_difference_config_selectorILb0EjEEZNS1_24adjacent_difference_implIS3_Lb0ELb0EPjS7_N6thrust23THRUST_200600_302600_NS4plusIjEEEE10hipError_tPvRmT2_T3_mT4_P12ihipStream_tbEUlT_E_NS1_11comp_targetILNS1_3genE4ELNS1_11target_archE910ELNS1_3gpuE8ELNS1_3repE0EEENS1_30default_config_static_selectorELNS0_4arch9wavefront6targetE1EEEvT1_
    .private_segment_fixed_size: 0
    .sgpr_count:     4
    .sgpr_spill_count: 0
    .symbol:         _ZN7rocprim17ROCPRIM_400000_NS6detail17trampoline_kernelINS0_14default_configENS1_35adjacent_difference_config_selectorILb0EjEEZNS1_24adjacent_difference_implIS3_Lb0ELb0EPjS7_N6thrust23THRUST_200600_302600_NS4plusIjEEEE10hipError_tPvRmT2_T3_mT4_P12ihipStream_tbEUlT_E_NS1_11comp_targetILNS1_3genE4ELNS1_11target_archE910ELNS1_3gpuE8ELNS1_3repE0EEENS1_30default_config_static_selectorELNS0_4arch9wavefront6targetE1EEEvT1_.kd
    .uniform_work_group_size: 1
    .uses_dynamic_stack: false
    .vgpr_count:     0
    .vgpr_spill_count: 0
    .wavefront_size: 64
  - .args:
      - .offset:         0
        .size:           56
        .value_kind:     by_value
    .group_segment_fixed_size: 0
    .kernarg_segment_align: 8
    .kernarg_segment_size: 56
    .language:       OpenCL C
    .language_version:
      - 2
      - 0
    .max_flat_workgroup_size: 128
    .name:           _ZN7rocprim17ROCPRIM_400000_NS6detail17trampoline_kernelINS0_14default_configENS1_35adjacent_difference_config_selectorILb0EjEEZNS1_24adjacent_difference_implIS3_Lb0ELb0EPjS7_N6thrust23THRUST_200600_302600_NS4plusIjEEEE10hipError_tPvRmT2_T3_mT4_P12ihipStream_tbEUlT_E_NS1_11comp_targetILNS1_3genE3ELNS1_11target_archE908ELNS1_3gpuE7ELNS1_3repE0EEENS1_30default_config_static_selectorELNS0_4arch9wavefront6targetE1EEEvT1_
    .private_segment_fixed_size: 0
    .sgpr_count:     4
    .sgpr_spill_count: 0
    .symbol:         _ZN7rocprim17ROCPRIM_400000_NS6detail17trampoline_kernelINS0_14default_configENS1_35adjacent_difference_config_selectorILb0EjEEZNS1_24adjacent_difference_implIS3_Lb0ELb0EPjS7_N6thrust23THRUST_200600_302600_NS4plusIjEEEE10hipError_tPvRmT2_T3_mT4_P12ihipStream_tbEUlT_E_NS1_11comp_targetILNS1_3genE3ELNS1_11target_archE908ELNS1_3gpuE7ELNS1_3repE0EEENS1_30default_config_static_selectorELNS0_4arch9wavefront6targetE1EEEvT1_.kd
    .uniform_work_group_size: 1
    .uses_dynamic_stack: false
    .vgpr_count:     0
    .vgpr_spill_count: 0
    .wavefront_size: 64
  - .args:
      - .offset:         0
        .size:           56
        .value_kind:     by_value
    .group_segment_fixed_size: 20480
    .kernarg_segment_align: 8
    .kernarg_segment_size: 56
    .language:       OpenCL C
    .language_version:
      - 2
      - 0
    .max_flat_workgroup_size: 1024
    .name:           _ZN7rocprim17ROCPRIM_400000_NS6detail17trampoline_kernelINS0_14default_configENS1_35adjacent_difference_config_selectorILb0EjEEZNS1_24adjacent_difference_implIS3_Lb0ELb0EPjS7_N6thrust23THRUST_200600_302600_NS4plusIjEEEE10hipError_tPvRmT2_T3_mT4_P12ihipStream_tbEUlT_E_NS1_11comp_targetILNS1_3genE2ELNS1_11target_archE906ELNS1_3gpuE6ELNS1_3repE0EEENS1_30default_config_static_selectorELNS0_4arch9wavefront6targetE1EEEvT1_
    .private_segment_fixed_size: 0
    .sgpr_count:     27
    .sgpr_spill_count: 0
    .symbol:         _ZN7rocprim17ROCPRIM_400000_NS6detail17trampoline_kernelINS0_14default_configENS1_35adjacent_difference_config_selectorILb0EjEEZNS1_24adjacent_difference_implIS3_Lb0ELb0EPjS7_N6thrust23THRUST_200600_302600_NS4plusIjEEEE10hipError_tPvRmT2_T3_mT4_P12ihipStream_tbEUlT_E_NS1_11comp_targetILNS1_3genE2ELNS1_11target_archE906ELNS1_3gpuE6ELNS1_3repE0EEENS1_30default_config_static_selectorELNS0_4arch9wavefront6targetE1EEEvT1_.kd
    .uniform_work_group_size: 1
    .uses_dynamic_stack: false
    .vgpr_count:     17
    .vgpr_spill_count: 0
    .wavefront_size: 64
  - .args:
      - .offset:         0
        .size:           56
        .value_kind:     by_value
    .group_segment_fixed_size: 0
    .kernarg_segment_align: 8
    .kernarg_segment_size: 56
    .language:       OpenCL C
    .language_version:
      - 2
      - 0
    .max_flat_workgroup_size: 1024
    .name:           _ZN7rocprim17ROCPRIM_400000_NS6detail17trampoline_kernelINS0_14default_configENS1_35adjacent_difference_config_selectorILb0EjEEZNS1_24adjacent_difference_implIS3_Lb0ELb0EPjS7_N6thrust23THRUST_200600_302600_NS4plusIjEEEE10hipError_tPvRmT2_T3_mT4_P12ihipStream_tbEUlT_E_NS1_11comp_targetILNS1_3genE9ELNS1_11target_archE1100ELNS1_3gpuE3ELNS1_3repE0EEENS1_30default_config_static_selectorELNS0_4arch9wavefront6targetE1EEEvT1_
    .private_segment_fixed_size: 0
    .sgpr_count:     4
    .sgpr_spill_count: 0
    .symbol:         _ZN7rocprim17ROCPRIM_400000_NS6detail17trampoline_kernelINS0_14default_configENS1_35adjacent_difference_config_selectorILb0EjEEZNS1_24adjacent_difference_implIS3_Lb0ELb0EPjS7_N6thrust23THRUST_200600_302600_NS4plusIjEEEE10hipError_tPvRmT2_T3_mT4_P12ihipStream_tbEUlT_E_NS1_11comp_targetILNS1_3genE9ELNS1_11target_archE1100ELNS1_3gpuE3ELNS1_3repE0EEENS1_30default_config_static_selectorELNS0_4arch9wavefront6targetE1EEEvT1_.kd
    .uniform_work_group_size: 1
    .uses_dynamic_stack: false
    .vgpr_count:     0
    .vgpr_spill_count: 0
    .wavefront_size: 64
  - .args:
      - .offset:         0
        .size:           56
        .value_kind:     by_value
    .group_segment_fixed_size: 0
    .kernarg_segment_align: 8
    .kernarg_segment_size: 56
    .language:       OpenCL C
    .language_version:
      - 2
      - 0
    .max_flat_workgroup_size: 1024
    .name:           _ZN7rocprim17ROCPRIM_400000_NS6detail17trampoline_kernelINS0_14default_configENS1_35adjacent_difference_config_selectorILb0EjEEZNS1_24adjacent_difference_implIS3_Lb0ELb0EPjS7_N6thrust23THRUST_200600_302600_NS4plusIjEEEE10hipError_tPvRmT2_T3_mT4_P12ihipStream_tbEUlT_E_NS1_11comp_targetILNS1_3genE8ELNS1_11target_archE1030ELNS1_3gpuE2ELNS1_3repE0EEENS1_30default_config_static_selectorELNS0_4arch9wavefront6targetE1EEEvT1_
    .private_segment_fixed_size: 0
    .sgpr_count:     4
    .sgpr_spill_count: 0
    .symbol:         _ZN7rocprim17ROCPRIM_400000_NS6detail17trampoline_kernelINS0_14default_configENS1_35adjacent_difference_config_selectorILb0EjEEZNS1_24adjacent_difference_implIS3_Lb0ELb0EPjS7_N6thrust23THRUST_200600_302600_NS4plusIjEEEE10hipError_tPvRmT2_T3_mT4_P12ihipStream_tbEUlT_E_NS1_11comp_targetILNS1_3genE8ELNS1_11target_archE1030ELNS1_3gpuE2ELNS1_3repE0EEENS1_30default_config_static_selectorELNS0_4arch9wavefront6targetE1EEEvT1_.kd
    .uniform_work_group_size: 1
    .uses_dynamic_stack: false
    .vgpr_count:     0
    .vgpr_spill_count: 0
    .wavefront_size: 64
  - .args:
      - .offset:         0
        .size:           56
        .value_kind:     by_value
    .group_segment_fixed_size: 0
    .kernarg_segment_align: 8
    .kernarg_segment_size: 56
    .language:       OpenCL C
    .language_version:
      - 2
      - 0
    .max_flat_workgroup_size: 128
    .name:           _ZN7rocprim17ROCPRIM_400000_NS6detail17trampoline_kernelINS0_14default_configENS1_25transform_config_selectorIjLb0EEEZNS1_14transform_implILb0ES3_S5_NS0_18transform_iteratorINS0_17counting_iteratorImlEEZNS1_24adjacent_difference_implIS3_Lb1ELb0EPjSB_N6thrust23THRUST_200600_302600_NS4plusIjEEEE10hipError_tPvRmT2_T3_mT4_P12ihipStream_tbEUlmE_jEESB_NS0_8identityIvEEEESG_SJ_SK_mSL_SN_bEUlT_E_NS1_11comp_targetILNS1_3genE0ELNS1_11target_archE4294967295ELNS1_3gpuE0ELNS1_3repE0EEENS1_30default_config_static_selectorELNS0_4arch9wavefront6targetE1EEEvT1_
    .private_segment_fixed_size: 0
    .sgpr_count:     4
    .sgpr_spill_count: 0
    .symbol:         _ZN7rocprim17ROCPRIM_400000_NS6detail17trampoline_kernelINS0_14default_configENS1_25transform_config_selectorIjLb0EEEZNS1_14transform_implILb0ES3_S5_NS0_18transform_iteratorINS0_17counting_iteratorImlEEZNS1_24adjacent_difference_implIS3_Lb1ELb0EPjSB_N6thrust23THRUST_200600_302600_NS4plusIjEEEE10hipError_tPvRmT2_T3_mT4_P12ihipStream_tbEUlmE_jEESB_NS0_8identityIvEEEESG_SJ_SK_mSL_SN_bEUlT_E_NS1_11comp_targetILNS1_3genE0ELNS1_11target_archE4294967295ELNS1_3gpuE0ELNS1_3repE0EEENS1_30default_config_static_selectorELNS0_4arch9wavefront6targetE1EEEvT1_.kd
    .uniform_work_group_size: 1
    .uses_dynamic_stack: false
    .vgpr_count:     0
    .vgpr_spill_count: 0
    .wavefront_size: 64
  - .args:
      - .offset:         0
        .size:           56
        .value_kind:     by_value
    .group_segment_fixed_size: 0
    .kernarg_segment_align: 8
    .kernarg_segment_size: 56
    .language:       OpenCL C
    .language_version:
      - 2
      - 0
    .max_flat_workgroup_size: 512
    .name:           _ZN7rocprim17ROCPRIM_400000_NS6detail17trampoline_kernelINS0_14default_configENS1_25transform_config_selectorIjLb0EEEZNS1_14transform_implILb0ES3_S5_NS0_18transform_iteratorINS0_17counting_iteratorImlEEZNS1_24adjacent_difference_implIS3_Lb1ELb0EPjSB_N6thrust23THRUST_200600_302600_NS4plusIjEEEE10hipError_tPvRmT2_T3_mT4_P12ihipStream_tbEUlmE_jEESB_NS0_8identityIvEEEESG_SJ_SK_mSL_SN_bEUlT_E_NS1_11comp_targetILNS1_3genE5ELNS1_11target_archE942ELNS1_3gpuE9ELNS1_3repE0EEENS1_30default_config_static_selectorELNS0_4arch9wavefront6targetE1EEEvT1_
    .private_segment_fixed_size: 0
    .sgpr_count:     4
    .sgpr_spill_count: 0
    .symbol:         _ZN7rocprim17ROCPRIM_400000_NS6detail17trampoline_kernelINS0_14default_configENS1_25transform_config_selectorIjLb0EEEZNS1_14transform_implILb0ES3_S5_NS0_18transform_iteratorINS0_17counting_iteratorImlEEZNS1_24adjacent_difference_implIS3_Lb1ELb0EPjSB_N6thrust23THRUST_200600_302600_NS4plusIjEEEE10hipError_tPvRmT2_T3_mT4_P12ihipStream_tbEUlmE_jEESB_NS0_8identityIvEEEESG_SJ_SK_mSL_SN_bEUlT_E_NS1_11comp_targetILNS1_3genE5ELNS1_11target_archE942ELNS1_3gpuE9ELNS1_3repE0EEENS1_30default_config_static_selectorELNS0_4arch9wavefront6targetE1EEEvT1_.kd
    .uniform_work_group_size: 1
    .uses_dynamic_stack: false
    .vgpr_count:     0
    .vgpr_spill_count: 0
    .wavefront_size: 64
  - .args:
      - .offset:         0
        .size:           56
        .value_kind:     by_value
    .group_segment_fixed_size: 0
    .kernarg_segment_align: 8
    .kernarg_segment_size: 56
    .language:       OpenCL C
    .language_version:
      - 2
      - 0
    .max_flat_workgroup_size: 1024
    .name:           _ZN7rocprim17ROCPRIM_400000_NS6detail17trampoline_kernelINS0_14default_configENS1_25transform_config_selectorIjLb0EEEZNS1_14transform_implILb0ES3_S5_NS0_18transform_iteratorINS0_17counting_iteratorImlEEZNS1_24adjacent_difference_implIS3_Lb1ELb0EPjSB_N6thrust23THRUST_200600_302600_NS4plusIjEEEE10hipError_tPvRmT2_T3_mT4_P12ihipStream_tbEUlmE_jEESB_NS0_8identityIvEEEESG_SJ_SK_mSL_SN_bEUlT_E_NS1_11comp_targetILNS1_3genE4ELNS1_11target_archE910ELNS1_3gpuE8ELNS1_3repE0EEENS1_30default_config_static_selectorELNS0_4arch9wavefront6targetE1EEEvT1_
    .private_segment_fixed_size: 0
    .sgpr_count:     4
    .sgpr_spill_count: 0
    .symbol:         _ZN7rocprim17ROCPRIM_400000_NS6detail17trampoline_kernelINS0_14default_configENS1_25transform_config_selectorIjLb0EEEZNS1_14transform_implILb0ES3_S5_NS0_18transform_iteratorINS0_17counting_iteratorImlEEZNS1_24adjacent_difference_implIS3_Lb1ELb0EPjSB_N6thrust23THRUST_200600_302600_NS4plusIjEEEE10hipError_tPvRmT2_T3_mT4_P12ihipStream_tbEUlmE_jEESB_NS0_8identityIvEEEESG_SJ_SK_mSL_SN_bEUlT_E_NS1_11comp_targetILNS1_3genE4ELNS1_11target_archE910ELNS1_3gpuE8ELNS1_3repE0EEENS1_30default_config_static_selectorELNS0_4arch9wavefront6targetE1EEEvT1_.kd
    .uniform_work_group_size: 1
    .uses_dynamic_stack: false
    .vgpr_count:     0
    .vgpr_spill_count: 0
    .wavefront_size: 64
  - .args:
      - .offset:         0
        .size:           56
        .value_kind:     by_value
    .group_segment_fixed_size: 0
    .kernarg_segment_align: 8
    .kernarg_segment_size: 56
    .language:       OpenCL C
    .language_version:
      - 2
      - 0
    .max_flat_workgroup_size: 128
    .name:           _ZN7rocprim17ROCPRIM_400000_NS6detail17trampoline_kernelINS0_14default_configENS1_25transform_config_selectorIjLb0EEEZNS1_14transform_implILb0ES3_S5_NS0_18transform_iteratorINS0_17counting_iteratorImlEEZNS1_24adjacent_difference_implIS3_Lb1ELb0EPjSB_N6thrust23THRUST_200600_302600_NS4plusIjEEEE10hipError_tPvRmT2_T3_mT4_P12ihipStream_tbEUlmE_jEESB_NS0_8identityIvEEEESG_SJ_SK_mSL_SN_bEUlT_E_NS1_11comp_targetILNS1_3genE3ELNS1_11target_archE908ELNS1_3gpuE7ELNS1_3repE0EEENS1_30default_config_static_selectorELNS0_4arch9wavefront6targetE1EEEvT1_
    .private_segment_fixed_size: 0
    .sgpr_count:     4
    .sgpr_spill_count: 0
    .symbol:         _ZN7rocprim17ROCPRIM_400000_NS6detail17trampoline_kernelINS0_14default_configENS1_25transform_config_selectorIjLb0EEEZNS1_14transform_implILb0ES3_S5_NS0_18transform_iteratorINS0_17counting_iteratorImlEEZNS1_24adjacent_difference_implIS3_Lb1ELb0EPjSB_N6thrust23THRUST_200600_302600_NS4plusIjEEEE10hipError_tPvRmT2_T3_mT4_P12ihipStream_tbEUlmE_jEESB_NS0_8identityIvEEEESG_SJ_SK_mSL_SN_bEUlT_E_NS1_11comp_targetILNS1_3genE3ELNS1_11target_archE908ELNS1_3gpuE7ELNS1_3repE0EEENS1_30default_config_static_selectorELNS0_4arch9wavefront6targetE1EEEvT1_.kd
    .uniform_work_group_size: 1
    .uses_dynamic_stack: false
    .vgpr_count:     0
    .vgpr_spill_count: 0
    .wavefront_size: 64
  - .args:
      - .offset:         0
        .size:           56
        .value_kind:     by_value
      - .offset:         56
        .size:           4
        .value_kind:     hidden_block_count_x
      - .offset:         60
        .size:           4
        .value_kind:     hidden_block_count_y
      - .offset:         64
        .size:           4
        .value_kind:     hidden_block_count_z
      - .offset:         68
        .size:           2
        .value_kind:     hidden_group_size_x
      - .offset:         70
        .size:           2
        .value_kind:     hidden_group_size_y
      - .offset:         72
        .size:           2
        .value_kind:     hidden_group_size_z
      - .offset:         74
        .size:           2
        .value_kind:     hidden_remainder_x
      - .offset:         76
        .size:           2
        .value_kind:     hidden_remainder_y
      - .offset:         78
        .size:           2
        .value_kind:     hidden_remainder_z
      - .offset:         96
        .size:           8
        .value_kind:     hidden_global_offset_x
      - .offset:         104
        .size:           8
        .value_kind:     hidden_global_offset_y
      - .offset:         112
        .size:           8
        .value_kind:     hidden_global_offset_z
      - .offset:         120
        .size:           2
        .value_kind:     hidden_grid_dims
    .group_segment_fixed_size: 0
    .kernarg_segment_align: 8
    .kernarg_segment_size: 312
    .language:       OpenCL C
    .language_version:
      - 2
      - 0
    .max_flat_workgroup_size: 1024
    .name:           _ZN7rocprim17ROCPRIM_400000_NS6detail17trampoline_kernelINS0_14default_configENS1_25transform_config_selectorIjLb0EEEZNS1_14transform_implILb0ES3_S5_NS0_18transform_iteratorINS0_17counting_iteratorImlEEZNS1_24adjacent_difference_implIS3_Lb1ELb0EPjSB_N6thrust23THRUST_200600_302600_NS4plusIjEEEE10hipError_tPvRmT2_T3_mT4_P12ihipStream_tbEUlmE_jEESB_NS0_8identityIvEEEESG_SJ_SK_mSL_SN_bEUlT_E_NS1_11comp_targetILNS1_3genE2ELNS1_11target_archE906ELNS1_3gpuE6ELNS1_3repE0EEENS1_30default_config_static_selectorELNS0_4arch9wavefront6targetE1EEEvT1_
    .private_segment_fixed_size: 0
    .sgpr_count:     22
    .sgpr_spill_count: 0
    .symbol:         _ZN7rocprim17ROCPRIM_400000_NS6detail17trampoline_kernelINS0_14default_configENS1_25transform_config_selectorIjLb0EEEZNS1_14transform_implILb0ES3_S5_NS0_18transform_iteratorINS0_17counting_iteratorImlEEZNS1_24adjacent_difference_implIS3_Lb1ELb0EPjSB_N6thrust23THRUST_200600_302600_NS4plusIjEEEE10hipError_tPvRmT2_T3_mT4_P12ihipStream_tbEUlmE_jEESB_NS0_8identityIvEEEESG_SJ_SK_mSL_SN_bEUlT_E_NS1_11comp_targetILNS1_3genE2ELNS1_11target_archE906ELNS1_3gpuE6ELNS1_3repE0EEENS1_30default_config_static_selectorELNS0_4arch9wavefront6targetE1EEEvT1_.kd
    .uniform_work_group_size: 1
    .uses_dynamic_stack: false
    .vgpr_count:     7
    .vgpr_spill_count: 0
    .wavefront_size: 64
  - .args:
      - .offset:         0
        .size:           56
        .value_kind:     by_value
    .group_segment_fixed_size: 0
    .kernarg_segment_align: 8
    .kernarg_segment_size: 56
    .language:       OpenCL C
    .language_version:
      - 2
      - 0
    .max_flat_workgroup_size: 1024
    .name:           _ZN7rocprim17ROCPRIM_400000_NS6detail17trampoline_kernelINS0_14default_configENS1_25transform_config_selectorIjLb0EEEZNS1_14transform_implILb0ES3_S5_NS0_18transform_iteratorINS0_17counting_iteratorImlEEZNS1_24adjacent_difference_implIS3_Lb1ELb0EPjSB_N6thrust23THRUST_200600_302600_NS4plusIjEEEE10hipError_tPvRmT2_T3_mT4_P12ihipStream_tbEUlmE_jEESB_NS0_8identityIvEEEESG_SJ_SK_mSL_SN_bEUlT_E_NS1_11comp_targetILNS1_3genE10ELNS1_11target_archE1201ELNS1_3gpuE5ELNS1_3repE0EEENS1_30default_config_static_selectorELNS0_4arch9wavefront6targetE1EEEvT1_
    .private_segment_fixed_size: 0
    .sgpr_count:     4
    .sgpr_spill_count: 0
    .symbol:         _ZN7rocprim17ROCPRIM_400000_NS6detail17trampoline_kernelINS0_14default_configENS1_25transform_config_selectorIjLb0EEEZNS1_14transform_implILb0ES3_S5_NS0_18transform_iteratorINS0_17counting_iteratorImlEEZNS1_24adjacent_difference_implIS3_Lb1ELb0EPjSB_N6thrust23THRUST_200600_302600_NS4plusIjEEEE10hipError_tPvRmT2_T3_mT4_P12ihipStream_tbEUlmE_jEESB_NS0_8identityIvEEEESG_SJ_SK_mSL_SN_bEUlT_E_NS1_11comp_targetILNS1_3genE10ELNS1_11target_archE1201ELNS1_3gpuE5ELNS1_3repE0EEENS1_30default_config_static_selectorELNS0_4arch9wavefront6targetE1EEEvT1_.kd
    .uniform_work_group_size: 1
    .uses_dynamic_stack: false
    .vgpr_count:     0
    .vgpr_spill_count: 0
    .wavefront_size: 64
  - .args:
      - .offset:         0
        .size:           56
        .value_kind:     by_value
    .group_segment_fixed_size: 0
    .kernarg_segment_align: 8
    .kernarg_segment_size: 56
    .language:       OpenCL C
    .language_version:
      - 2
      - 0
    .max_flat_workgroup_size: 512
    .name:           _ZN7rocprim17ROCPRIM_400000_NS6detail17trampoline_kernelINS0_14default_configENS1_25transform_config_selectorIjLb0EEEZNS1_14transform_implILb0ES3_S5_NS0_18transform_iteratorINS0_17counting_iteratorImlEEZNS1_24adjacent_difference_implIS3_Lb1ELb0EPjSB_N6thrust23THRUST_200600_302600_NS4plusIjEEEE10hipError_tPvRmT2_T3_mT4_P12ihipStream_tbEUlmE_jEESB_NS0_8identityIvEEEESG_SJ_SK_mSL_SN_bEUlT_E_NS1_11comp_targetILNS1_3genE10ELNS1_11target_archE1200ELNS1_3gpuE4ELNS1_3repE0EEENS1_30default_config_static_selectorELNS0_4arch9wavefront6targetE1EEEvT1_
    .private_segment_fixed_size: 0
    .sgpr_count:     4
    .sgpr_spill_count: 0
    .symbol:         _ZN7rocprim17ROCPRIM_400000_NS6detail17trampoline_kernelINS0_14default_configENS1_25transform_config_selectorIjLb0EEEZNS1_14transform_implILb0ES3_S5_NS0_18transform_iteratorINS0_17counting_iteratorImlEEZNS1_24adjacent_difference_implIS3_Lb1ELb0EPjSB_N6thrust23THRUST_200600_302600_NS4plusIjEEEE10hipError_tPvRmT2_T3_mT4_P12ihipStream_tbEUlmE_jEESB_NS0_8identityIvEEEESG_SJ_SK_mSL_SN_bEUlT_E_NS1_11comp_targetILNS1_3genE10ELNS1_11target_archE1200ELNS1_3gpuE4ELNS1_3repE0EEENS1_30default_config_static_selectorELNS0_4arch9wavefront6targetE1EEEvT1_.kd
    .uniform_work_group_size: 1
    .uses_dynamic_stack: false
    .vgpr_count:     0
    .vgpr_spill_count: 0
    .wavefront_size: 64
  - .args:
      - .offset:         0
        .size:           56
        .value_kind:     by_value
    .group_segment_fixed_size: 0
    .kernarg_segment_align: 8
    .kernarg_segment_size: 56
    .language:       OpenCL C
    .language_version:
      - 2
      - 0
    .max_flat_workgroup_size: 64
    .name:           _ZN7rocprim17ROCPRIM_400000_NS6detail17trampoline_kernelINS0_14default_configENS1_25transform_config_selectorIjLb0EEEZNS1_14transform_implILb0ES3_S5_NS0_18transform_iteratorINS0_17counting_iteratorImlEEZNS1_24adjacent_difference_implIS3_Lb1ELb0EPjSB_N6thrust23THRUST_200600_302600_NS4plusIjEEEE10hipError_tPvRmT2_T3_mT4_P12ihipStream_tbEUlmE_jEESB_NS0_8identityIvEEEESG_SJ_SK_mSL_SN_bEUlT_E_NS1_11comp_targetILNS1_3genE9ELNS1_11target_archE1100ELNS1_3gpuE3ELNS1_3repE0EEENS1_30default_config_static_selectorELNS0_4arch9wavefront6targetE1EEEvT1_
    .private_segment_fixed_size: 0
    .sgpr_count:     4
    .sgpr_spill_count: 0
    .symbol:         _ZN7rocprim17ROCPRIM_400000_NS6detail17trampoline_kernelINS0_14default_configENS1_25transform_config_selectorIjLb0EEEZNS1_14transform_implILb0ES3_S5_NS0_18transform_iteratorINS0_17counting_iteratorImlEEZNS1_24adjacent_difference_implIS3_Lb1ELb0EPjSB_N6thrust23THRUST_200600_302600_NS4plusIjEEEE10hipError_tPvRmT2_T3_mT4_P12ihipStream_tbEUlmE_jEESB_NS0_8identityIvEEEESG_SJ_SK_mSL_SN_bEUlT_E_NS1_11comp_targetILNS1_3genE9ELNS1_11target_archE1100ELNS1_3gpuE3ELNS1_3repE0EEENS1_30default_config_static_selectorELNS0_4arch9wavefront6targetE1EEEvT1_.kd
    .uniform_work_group_size: 1
    .uses_dynamic_stack: false
    .vgpr_count:     0
    .vgpr_spill_count: 0
    .wavefront_size: 64
  - .args:
      - .offset:         0
        .size:           56
        .value_kind:     by_value
    .group_segment_fixed_size: 0
    .kernarg_segment_align: 8
    .kernarg_segment_size: 56
    .language:       OpenCL C
    .language_version:
      - 2
      - 0
    .max_flat_workgroup_size: 256
    .name:           _ZN7rocprim17ROCPRIM_400000_NS6detail17trampoline_kernelINS0_14default_configENS1_25transform_config_selectorIjLb0EEEZNS1_14transform_implILb0ES3_S5_NS0_18transform_iteratorINS0_17counting_iteratorImlEEZNS1_24adjacent_difference_implIS3_Lb1ELb0EPjSB_N6thrust23THRUST_200600_302600_NS4plusIjEEEE10hipError_tPvRmT2_T3_mT4_P12ihipStream_tbEUlmE_jEESB_NS0_8identityIvEEEESG_SJ_SK_mSL_SN_bEUlT_E_NS1_11comp_targetILNS1_3genE8ELNS1_11target_archE1030ELNS1_3gpuE2ELNS1_3repE0EEENS1_30default_config_static_selectorELNS0_4arch9wavefront6targetE1EEEvT1_
    .private_segment_fixed_size: 0
    .sgpr_count:     4
    .sgpr_spill_count: 0
    .symbol:         _ZN7rocprim17ROCPRIM_400000_NS6detail17trampoline_kernelINS0_14default_configENS1_25transform_config_selectorIjLb0EEEZNS1_14transform_implILb0ES3_S5_NS0_18transform_iteratorINS0_17counting_iteratorImlEEZNS1_24adjacent_difference_implIS3_Lb1ELb0EPjSB_N6thrust23THRUST_200600_302600_NS4plusIjEEEE10hipError_tPvRmT2_T3_mT4_P12ihipStream_tbEUlmE_jEESB_NS0_8identityIvEEEESG_SJ_SK_mSL_SN_bEUlT_E_NS1_11comp_targetILNS1_3genE8ELNS1_11target_archE1030ELNS1_3gpuE2ELNS1_3repE0EEENS1_30default_config_static_selectorELNS0_4arch9wavefront6targetE1EEEvT1_.kd
    .uniform_work_group_size: 1
    .uses_dynamic_stack: false
    .vgpr_count:     0
    .vgpr_spill_count: 0
    .wavefront_size: 64
  - .args:
      - .offset:         0
        .size:           56
        .value_kind:     by_value
    .group_segment_fixed_size: 0
    .kernarg_segment_align: 8
    .kernarg_segment_size: 56
    .language:       OpenCL C
    .language_version:
      - 2
      - 0
    .max_flat_workgroup_size: 1024
    .name:           _ZN7rocprim17ROCPRIM_400000_NS6detail17trampoline_kernelINS0_14default_configENS1_35adjacent_difference_config_selectorILb1EjEEZNS1_24adjacent_difference_implIS3_Lb1ELb0EPjS7_N6thrust23THRUST_200600_302600_NS4plusIjEEEE10hipError_tPvRmT2_T3_mT4_P12ihipStream_tbEUlT_E_NS1_11comp_targetILNS1_3genE0ELNS1_11target_archE4294967295ELNS1_3gpuE0ELNS1_3repE0EEENS1_30default_config_static_selectorELNS0_4arch9wavefront6targetE1EEEvT1_
    .private_segment_fixed_size: 0
    .sgpr_count:     4
    .sgpr_spill_count: 0
    .symbol:         _ZN7rocprim17ROCPRIM_400000_NS6detail17trampoline_kernelINS0_14default_configENS1_35adjacent_difference_config_selectorILb1EjEEZNS1_24adjacent_difference_implIS3_Lb1ELb0EPjS7_N6thrust23THRUST_200600_302600_NS4plusIjEEEE10hipError_tPvRmT2_T3_mT4_P12ihipStream_tbEUlT_E_NS1_11comp_targetILNS1_3genE0ELNS1_11target_archE4294967295ELNS1_3gpuE0ELNS1_3repE0EEENS1_30default_config_static_selectorELNS0_4arch9wavefront6targetE1EEEvT1_.kd
    .uniform_work_group_size: 1
    .uses_dynamic_stack: false
    .vgpr_count:     0
    .vgpr_spill_count: 0
    .wavefront_size: 64
  - .args:
      - .offset:         0
        .size:           56
        .value_kind:     by_value
    .group_segment_fixed_size: 0
    .kernarg_segment_align: 8
    .kernarg_segment_size: 56
    .language:       OpenCL C
    .language_version:
      - 2
      - 0
    .max_flat_workgroup_size: 32
    .name:           _ZN7rocprim17ROCPRIM_400000_NS6detail17trampoline_kernelINS0_14default_configENS1_35adjacent_difference_config_selectorILb1EjEEZNS1_24adjacent_difference_implIS3_Lb1ELb0EPjS7_N6thrust23THRUST_200600_302600_NS4plusIjEEEE10hipError_tPvRmT2_T3_mT4_P12ihipStream_tbEUlT_E_NS1_11comp_targetILNS1_3genE10ELNS1_11target_archE1201ELNS1_3gpuE5ELNS1_3repE0EEENS1_30default_config_static_selectorELNS0_4arch9wavefront6targetE1EEEvT1_
    .private_segment_fixed_size: 0
    .sgpr_count:     4
    .sgpr_spill_count: 0
    .symbol:         _ZN7rocprim17ROCPRIM_400000_NS6detail17trampoline_kernelINS0_14default_configENS1_35adjacent_difference_config_selectorILb1EjEEZNS1_24adjacent_difference_implIS3_Lb1ELb0EPjS7_N6thrust23THRUST_200600_302600_NS4plusIjEEEE10hipError_tPvRmT2_T3_mT4_P12ihipStream_tbEUlT_E_NS1_11comp_targetILNS1_3genE10ELNS1_11target_archE1201ELNS1_3gpuE5ELNS1_3repE0EEENS1_30default_config_static_selectorELNS0_4arch9wavefront6targetE1EEEvT1_.kd
    .uniform_work_group_size: 1
    .uses_dynamic_stack: false
    .vgpr_count:     0
    .vgpr_spill_count: 0
    .wavefront_size: 64
  - .args:
      - .offset:         0
        .size:           56
        .value_kind:     by_value
    .group_segment_fixed_size: 0
    .kernarg_segment_align: 8
    .kernarg_segment_size: 56
    .language:       OpenCL C
    .language_version:
      - 2
      - 0
    .max_flat_workgroup_size: 512
    .name:           _ZN7rocprim17ROCPRIM_400000_NS6detail17trampoline_kernelINS0_14default_configENS1_35adjacent_difference_config_selectorILb1EjEEZNS1_24adjacent_difference_implIS3_Lb1ELb0EPjS7_N6thrust23THRUST_200600_302600_NS4plusIjEEEE10hipError_tPvRmT2_T3_mT4_P12ihipStream_tbEUlT_E_NS1_11comp_targetILNS1_3genE5ELNS1_11target_archE942ELNS1_3gpuE9ELNS1_3repE0EEENS1_30default_config_static_selectorELNS0_4arch9wavefront6targetE1EEEvT1_
    .private_segment_fixed_size: 0
    .sgpr_count:     4
    .sgpr_spill_count: 0
    .symbol:         _ZN7rocprim17ROCPRIM_400000_NS6detail17trampoline_kernelINS0_14default_configENS1_35adjacent_difference_config_selectorILb1EjEEZNS1_24adjacent_difference_implIS3_Lb1ELb0EPjS7_N6thrust23THRUST_200600_302600_NS4plusIjEEEE10hipError_tPvRmT2_T3_mT4_P12ihipStream_tbEUlT_E_NS1_11comp_targetILNS1_3genE5ELNS1_11target_archE942ELNS1_3gpuE9ELNS1_3repE0EEENS1_30default_config_static_selectorELNS0_4arch9wavefront6targetE1EEEvT1_.kd
    .uniform_work_group_size: 1
    .uses_dynamic_stack: false
    .vgpr_count:     0
    .vgpr_spill_count: 0
    .wavefront_size: 64
  - .args:
      - .offset:         0
        .size:           56
        .value_kind:     by_value
    .group_segment_fixed_size: 0
    .kernarg_segment_align: 8
    .kernarg_segment_size: 56
    .language:       OpenCL C
    .language_version:
      - 2
      - 0
    .max_flat_workgroup_size: 512
    .name:           _ZN7rocprim17ROCPRIM_400000_NS6detail17trampoline_kernelINS0_14default_configENS1_35adjacent_difference_config_selectorILb1EjEEZNS1_24adjacent_difference_implIS3_Lb1ELb0EPjS7_N6thrust23THRUST_200600_302600_NS4plusIjEEEE10hipError_tPvRmT2_T3_mT4_P12ihipStream_tbEUlT_E_NS1_11comp_targetILNS1_3genE4ELNS1_11target_archE910ELNS1_3gpuE8ELNS1_3repE0EEENS1_30default_config_static_selectorELNS0_4arch9wavefront6targetE1EEEvT1_
    .private_segment_fixed_size: 0
    .sgpr_count:     4
    .sgpr_spill_count: 0
    .symbol:         _ZN7rocprim17ROCPRIM_400000_NS6detail17trampoline_kernelINS0_14default_configENS1_35adjacent_difference_config_selectorILb1EjEEZNS1_24adjacent_difference_implIS3_Lb1ELb0EPjS7_N6thrust23THRUST_200600_302600_NS4plusIjEEEE10hipError_tPvRmT2_T3_mT4_P12ihipStream_tbEUlT_E_NS1_11comp_targetILNS1_3genE4ELNS1_11target_archE910ELNS1_3gpuE8ELNS1_3repE0EEENS1_30default_config_static_selectorELNS0_4arch9wavefront6targetE1EEEvT1_.kd
    .uniform_work_group_size: 1
    .uses_dynamic_stack: false
    .vgpr_count:     0
    .vgpr_spill_count: 0
    .wavefront_size: 64
  - .args:
      - .offset:         0
        .size:           56
        .value_kind:     by_value
    .group_segment_fixed_size: 0
    .kernarg_segment_align: 8
    .kernarg_segment_size: 56
    .language:       OpenCL C
    .language_version:
      - 2
      - 0
    .max_flat_workgroup_size: 1024
    .name:           _ZN7rocprim17ROCPRIM_400000_NS6detail17trampoline_kernelINS0_14default_configENS1_35adjacent_difference_config_selectorILb1EjEEZNS1_24adjacent_difference_implIS3_Lb1ELb0EPjS7_N6thrust23THRUST_200600_302600_NS4plusIjEEEE10hipError_tPvRmT2_T3_mT4_P12ihipStream_tbEUlT_E_NS1_11comp_targetILNS1_3genE3ELNS1_11target_archE908ELNS1_3gpuE7ELNS1_3repE0EEENS1_30default_config_static_selectorELNS0_4arch9wavefront6targetE1EEEvT1_
    .private_segment_fixed_size: 0
    .sgpr_count:     4
    .sgpr_spill_count: 0
    .symbol:         _ZN7rocprim17ROCPRIM_400000_NS6detail17trampoline_kernelINS0_14default_configENS1_35adjacent_difference_config_selectorILb1EjEEZNS1_24adjacent_difference_implIS3_Lb1ELb0EPjS7_N6thrust23THRUST_200600_302600_NS4plusIjEEEE10hipError_tPvRmT2_T3_mT4_P12ihipStream_tbEUlT_E_NS1_11comp_targetILNS1_3genE3ELNS1_11target_archE908ELNS1_3gpuE7ELNS1_3repE0EEENS1_30default_config_static_selectorELNS0_4arch9wavefront6targetE1EEEvT1_.kd
    .uniform_work_group_size: 1
    .uses_dynamic_stack: false
    .vgpr_count:     0
    .vgpr_spill_count: 0
    .wavefront_size: 64
  - .args:
      - .offset:         0
        .size:           56
        .value_kind:     by_value
    .group_segment_fixed_size: 11264
    .kernarg_segment_align: 8
    .kernarg_segment_size: 56
    .language:       OpenCL C
    .language_version:
      - 2
      - 0
    .max_flat_workgroup_size: 256
    .name:           _ZN7rocprim17ROCPRIM_400000_NS6detail17trampoline_kernelINS0_14default_configENS1_35adjacent_difference_config_selectorILb1EjEEZNS1_24adjacent_difference_implIS3_Lb1ELb0EPjS7_N6thrust23THRUST_200600_302600_NS4plusIjEEEE10hipError_tPvRmT2_T3_mT4_P12ihipStream_tbEUlT_E_NS1_11comp_targetILNS1_3genE2ELNS1_11target_archE906ELNS1_3gpuE6ELNS1_3repE0EEENS1_30default_config_static_selectorELNS0_4arch9wavefront6targetE1EEEvT1_
    .private_segment_fixed_size: 0
    .sgpr_count:     33
    .sgpr_spill_count: 0
    .symbol:         _ZN7rocprim17ROCPRIM_400000_NS6detail17trampoline_kernelINS0_14default_configENS1_35adjacent_difference_config_selectorILb1EjEEZNS1_24adjacent_difference_implIS3_Lb1ELb0EPjS7_N6thrust23THRUST_200600_302600_NS4plusIjEEEE10hipError_tPvRmT2_T3_mT4_P12ihipStream_tbEUlT_E_NS1_11comp_targetILNS1_3genE2ELNS1_11target_archE906ELNS1_3gpuE6ELNS1_3repE0EEENS1_30default_config_static_selectorELNS0_4arch9wavefront6targetE1EEEvT1_.kd
    .uniform_work_group_size: 1
    .uses_dynamic_stack: false
    .vgpr_count:     27
    .vgpr_spill_count: 0
    .wavefront_size: 64
  - .args:
      - .offset:         0
        .size:           56
        .value_kind:     by_value
    .group_segment_fixed_size: 0
    .kernarg_segment_align: 8
    .kernarg_segment_size: 56
    .language:       OpenCL C
    .language_version:
      - 2
      - 0
    .max_flat_workgroup_size: 128
    .name:           _ZN7rocprim17ROCPRIM_400000_NS6detail17trampoline_kernelINS0_14default_configENS1_35adjacent_difference_config_selectorILb1EjEEZNS1_24adjacent_difference_implIS3_Lb1ELb0EPjS7_N6thrust23THRUST_200600_302600_NS4plusIjEEEE10hipError_tPvRmT2_T3_mT4_P12ihipStream_tbEUlT_E_NS1_11comp_targetILNS1_3genE9ELNS1_11target_archE1100ELNS1_3gpuE3ELNS1_3repE0EEENS1_30default_config_static_selectorELNS0_4arch9wavefront6targetE1EEEvT1_
    .private_segment_fixed_size: 0
    .sgpr_count:     4
    .sgpr_spill_count: 0
    .symbol:         _ZN7rocprim17ROCPRIM_400000_NS6detail17trampoline_kernelINS0_14default_configENS1_35adjacent_difference_config_selectorILb1EjEEZNS1_24adjacent_difference_implIS3_Lb1ELb0EPjS7_N6thrust23THRUST_200600_302600_NS4plusIjEEEE10hipError_tPvRmT2_T3_mT4_P12ihipStream_tbEUlT_E_NS1_11comp_targetILNS1_3genE9ELNS1_11target_archE1100ELNS1_3gpuE3ELNS1_3repE0EEENS1_30default_config_static_selectorELNS0_4arch9wavefront6targetE1EEEvT1_.kd
    .uniform_work_group_size: 1
    .uses_dynamic_stack: false
    .vgpr_count:     0
    .vgpr_spill_count: 0
    .wavefront_size: 64
  - .args:
      - .offset:         0
        .size:           56
        .value_kind:     by_value
    .group_segment_fixed_size: 0
    .kernarg_segment_align: 8
    .kernarg_segment_size: 56
    .language:       OpenCL C
    .language_version:
      - 2
      - 0
    .max_flat_workgroup_size: 32
    .name:           _ZN7rocprim17ROCPRIM_400000_NS6detail17trampoline_kernelINS0_14default_configENS1_35adjacent_difference_config_selectorILb1EjEEZNS1_24adjacent_difference_implIS3_Lb1ELb0EPjS7_N6thrust23THRUST_200600_302600_NS4plusIjEEEE10hipError_tPvRmT2_T3_mT4_P12ihipStream_tbEUlT_E_NS1_11comp_targetILNS1_3genE8ELNS1_11target_archE1030ELNS1_3gpuE2ELNS1_3repE0EEENS1_30default_config_static_selectorELNS0_4arch9wavefront6targetE1EEEvT1_
    .private_segment_fixed_size: 0
    .sgpr_count:     4
    .sgpr_spill_count: 0
    .symbol:         _ZN7rocprim17ROCPRIM_400000_NS6detail17trampoline_kernelINS0_14default_configENS1_35adjacent_difference_config_selectorILb1EjEEZNS1_24adjacent_difference_implIS3_Lb1ELb0EPjS7_N6thrust23THRUST_200600_302600_NS4plusIjEEEE10hipError_tPvRmT2_T3_mT4_P12ihipStream_tbEUlT_E_NS1_11comp_targetILNS1_3genE8ELNS1_11target_archE1030ELNS1_3gpuE2ELNS1_3repE0EEENS1_30default_config_static_selectorELNS0_4arch9wavefront6targetE1EEEvT1_.kd
    .uniform_work_group_size: 1
    .uses_dynamic_stack: false
    .vgpr_count:     0
    .vgpr_spill_count: 0
    .wavefront_size: 64
  - .args:
      - .offset:         0
        .size:           16
        .value_kind:     by_value
      - .offset:         16
        .size:           8
        .value_kind:     by_value
      - .offset:         24
        .size:           8
        .value_kind:     by_value
    .group_segment_fixed_size: 0
    .kernarg_segment_align: 8
    .kernarg_segment_size: 32
    .language:       OpenCL C
    .language_version:
      - 2
      - 0
    .max_flat_workgroup_size: 256
    .name:           _ZN6thrust23THRUST_200600_302600_NS11hip_rocprim14__parallel_for6kernelILj256ENS1_20__uninitialized_fill7functorINS0_10device_ptrItEEtEEmLj1EEEvT0_T1_SA_
    .private_segment_fixed_size: 0
    .sgpr_count:     20
    .sgpr_spill_count: 0
    .symbol:         _ZN6thrust23THRUST_200600_302600_NS11hip_rocprim14__parallel_for6kernelILj256ENS1_20__uninitialized_fill7functorINS0_10device_ptrItEEtEEmLj1EEEvT0_T1_SA_.kd
    .uniform_work_group_size: 1
    .uses_dynamic_stack: false
    .vgpr_count:     4
    .vgpr_spill_count: 0
    .wavefront_size: 64
  - .args:
      - .offset:         0
        .size:           56
        .value_kind:     by_value
    .group_segment_fixed_size: 0
    .kernarg_segment_align: 8
    .kernarg_segment_size: 56
    .language:       OpenCL C
    .language_version:
      - 2
      - 0
    .max_flat_workgroup_size: 64
    .name:           _ZN7rocprim17ROCPRIM_400000_NS6detail17trampoline_kernelINS0_14default_configENS1_35adjacent_difference_config_selectorILb0EtEEZNS1_24adjacent_difference_implIS3_Lb0ELb0EPtS7_N6thrust23THRUST_200600_302600_NS5minusItEEEE10hipError_tPvRmT2_T3_mT4_P12ihipStream_tbEUlT_E_NS1_11comp_targetILNS1_3genE0ELNS1_11target_archE4294967295ELNS1_3gpuE0ELNS1_3repE0EEENS1_30default_config_static_selectorELNS0_4arch9wavefront6targetE1EEEvT1_
    .private_segment_fixed_size: 0
    .sgpr_count:     4
    .sgpr_spill_count: 0
    .symbol:         _ZN7rocprim17ROCPRIM_400000_NS6detail17trampoline_kernelINS0_14default_configENS1_35adjacent_difference_config_selectorILb0EtEEZNS1_24adjacent_difference_implIS3_Lb0ELb0EPtS7_N6thrust23THRUST_200600_302600_NS5minusItEEEE10hipError_tPvRmT2_T3_mT4_P12ihipStream_tbEUlT_E_NS1_11comp_targetILNS1_3genE0ELNS1_11target_archE4294967295ELNS1_3gpuE0ELNS1_3repE0EEENS1_30default_config_static_selectorELNS0_4arch9wavefront6targetE1EEEvT1_.kd
    .uniform_work_group_size: 1
    .uses_dynamic_stack: false
    .vgpr_count:     0
    .vgpr_spill_count: 0
    .wavefront_size: 64
  - .args:
      - .offset:         0
        .size:           56
        .value_kind:     by_value
    .group_segment_fixed_size: 0
    .kernarg_segment_align: 8
    .kernarg_segment_size: 56
    .language:       OpenCL C
    .language_version:
      - 2
      - 0
    .max_flat_workgroup_size: 128
    .name:           _ZN7rocprim17ROCPRIM_400000_NS6detail17trampoline_kernelINS0_14default_configENS1_35adjacent_difference_config_selectorILb0EtEEZNS1_24adjacent_difference_implIS3_Lb0ELb0EPtS7_N6thrust23THRUST_200600_302600_NS5minusItEEEE10hipError_tPvRmT2_T3_mT4_P12ihipStream_tbEUlT_E_NS1_11comp_targetILNS1_3genE10ELNS1_11target_archE1201ELNS1_3gpuE5ELNS1_3repE0EEENS1_30default_config_static_selectorELNS0_4arch9wavefront6targetE1EEEvT1_
    .private_segment_fixed_size: 0
    .sgpr_count:     4
    .sgpr_spill_count: 0
    .symbol:         _ZN7rocprim17ROCPRIM_400000_NS6detail17trampoline_kernelINS0_14default_configENS1_35adjacent_difference_config_selectorILb0EtEEZNS1_24adjacent_difference_implIS3_Lb0ELb0EPtS7_N6thrust23THRUST_200600_302600_NS5minusItEEEE10hipError_tPvRmT2_T3_mT4_P12ihipStream_tbEUlT_E_NS1_11comp_targetILNS1_3genE10ELNS1_11target_archE1201ELNS1_3gpuE5ELNS1_3repE0EEENS1_30default_config_static_selectorELNS0_4arch9wavefront6targetE1EEEvT1_.kd
    .uniform_work_group_size: 1
    .uses_dynamic_stack: false
    .vgpr_count:     0
    .vgpr_spill_count: 0
    .wavefront_size: 64
  - .args:
      - .offset:         0
        .size:           56
        .value_kind:     by_value
    .group_segment_fixed_size: 0
    .kernarg_segment_align: 8
    .kernarg_segment_size: 56
    .language:       OpenCL C
    .language_version:
      - 2
      - 0
    .max_flat_workgroup_size: 256
    .name:           _ZN7rocprim17ROCPRIM_400000_NS6detail17trampoline_kernelINS0_14default_configENS1_35adjacent_difference_config_selectorILb0EtEEZNS1_24adjacent_difference_implIS3_Lb0ELb0EPtS7_N6thrust23THRUST_200600_302600_NS5minusItEEEE10hipError_tPvRmT2_T3_mT4_P12ihipStream_tbEUlT_E_NS1_11comp_targetILNS1_3genE5ELNS1_11target_archE942ELNS1_3gpuE9ELNS1_3repE0EEENS1_30default_config_static_selectorELNS0_4arch9wavefront6targetE1EEEvT1_
    .private_segment_fixed_size: 0
    .sgpr_count:     4
    .sgpr_spill_count: 0
    .symbol:         _ZN7rocprim17ROCPRIM_400000_NS6detail17trampoline_kernelINS0_14default_configENS1_35adjacent_difference_config_selectorILb0EtEEZNS1_24adjacent_difference_implIS3_Lb0ELb0EPtS7_N6thrust23THRUST_200600_302600_NS5minusItEEEE10hipError_tPvRmT2_T3_mT4_P12ihipStream_tbEUlT_E_NS1_11comp_targetILNS1_3genE5ELNS1_11target_archE942ELNS1_3gpuE9ELNS1_3repE0EEENS1_30default_config_static_selectorELNS0_4arch9wavefront6targetE1EEEvT1_.kd
    .uniform_work_group_size: 1
    .uses_dynamic_stack: false
    .vgpr_count:     0
    .vgpr_spill_count: 0
    .wavefront_size: 64
  - .args:
      - .offset:         0
        .size:           56
        .value_kind:     by_value
    .group_segment_fixed_size: 0
    .kernarg_segment_align: 8
    .kernarg_segment_size: 56
    .language:       OpenCL C
    .language_version:
      - 2
      - 0
    .max_flat_workgroup_size: 64
    .name:           _ZN7rocprim17ROCPRIM_400000_NS6detail17trampoline_kernelINS0_14default_configENS1_35adjacent_difference_config_selectorILb0EtEEZNS1_24adjacent_difference_implIS3_Lb0ELb0EPtS7_N6thrust23THRUST_200600_302600_NS5minusItEEEE10hipError_tPvRmT2_T3_mT4_P12ihipStream_tbEUlT_E_NS1_11comp_targetILNS1_3genE4ELNS1_11target_archE910ELNS1_3gpuE8ELNS1_3repE0EEENS1_30default_config_static_selectorELNS0_4arch9wavefront6targetE1EEEvT1_
    .private_segment_fixed_size: 0
    .sgpr_count:     4
    .sgpr_spill_count: 0
    .symbol:         _ZN7rocprim17ROCPRIM_400000_NS6detail17trampoline_kernelINS0_14default_configENS1_35adjacent_difference_config_selectorILb0EtEEZNS1_24adjacent_difference_implIS3_Lb0ELb0EPtS7_N6thrust23THRUST_200600_302600_NS5minusItEEEE10hipError_tPvRmT2_T3_mT4_P12ihipStream_tbEUlT_E_NS1_11comp_targetILNS1_3genE4ELNS1_11target_archE910ELNS1_3gpuE8ELNS1_3repE0EEENS1_30default_config_static_selectorELNS0_4arch9wavefront6targetE1EEEvT1_.kd
    .uniform_work_group_size: 1
    .uses_dynamic_stack: false
    .vgpr_count:     0
    .vgpr_spill_count: 0
    .wavefront_size: 64
  - .args:
      - .offset:         0
        .size:           56
        .value_kind:     by_value
    .group_segment_fixed_size: 0
    .kernarg_segment_align: 8
    .kernarg_segment_size: 56
    .language:       OpenCL C
    .language_version:
      - 2
      - 0
    .max_flat_workgroup_size: 64
    .name:           _ZN7rocprim17ROCPRIM_400000_NS6detail17trampoline_kernelINS0_14default_configENS1_35adjacent_difference_config_selectorILb0EtEEZNS1_24adjacent_difference_implIS3_Lb0ELb0EPtS7_N6thrust23THRUST_200600_302600_NS5minusItEEEE10hipError_tPvRmT2_T3_mT4_P12ihipStream_tbEUlT_E_NS1_11comp_targetILNS1_3genE3ELNS1_11target_archE908ELNS1_3gpuE7ELNS1_3repE0EEENS1_30default_config_static_selectorELNS0_4arch9wavefront6targetE1EEEvT1_
    .private_segment_fixed_size: 0
    .sgpr_count:     4
    .sgpr_spill_count: 0
    .symbol:         _ZN7rocprim17ROCPRIM_400000_NS6detail17trampoline_kernelINS0_14default_configENS1_35adjacent_difference_config_selectorILb0EtEEZNS1_24adjacent_difference_implIS3_Lb0ELb0EPtS7_N6thrust23THRUST_200600_302600_NS5minusItEEEE10hipError_tPvRmT2_T3_mT4_P12ihipStream_tbEUlT_E_NS1_11comp_targetILNS1_3genE3ELNS1_11target_archE908ELNS1_3gpuE7ELNS1_3repE0EEENS1_30default_config_static_selectorELNS0_4arch9wavefront6targetE1EEEvT1_.kd
    .uniform_work_group_size: 1
    .uses_dynamic_stack: false
    .vgpr_count:     0
    .vgpr_spill_count: 0
    .wavefront_size: 64
  - .args:
      - .offset:         0
        .size:           56
        .value_kind:     by_value
    .group_segment_fixed_size: 896
    .kernarg_segment_align: 8
    .kernarg_segment_size: 56
    .language:       OpenCL C
    .language_version:
      - 2
      - 0
    .max_flat_workgroup_size: 64
    .name:           _ZN7rocprim17ROCPRIM_400000_NS6detail17trampoline_kernelINS0_14default_configENS1_35adjacent_difference_config_selectorILb0EtEEZNS1_24adjacent_difference_implIS3_Lb0ELb0EPtS7_N6thrust23THRUST_200600_302600_NS5minusItEEEE10hipError_tPvRmT2_T3_mT4_P12ihipStream_tbEUlT_E_NS1_11comp_targetILNS1_3genE2ELNS1_11target_archE906ELNS1_3gpuE6ELNS1_3repE0EEENS1_30default_config_static_selectorELNS0_4arch9wavefront6targetE1EEEvT1_
    .private_segment_fixed_size: 0
    .sgpr_count:     27
    .sgpr_spill_count: 0
    .symbol:         _ZN7rocprim17ROCPRIM_400000_NS6detail17trampoline_kernelINS0_14default_configENS1_35adjacent_difference_config_selectorILb0EtEEZNS1_24adjacent_difference_implIS3_Lb0ELb0EPtS7_N6thrust23THRUST_200600_302600_NS5minusItEEEE10hipError_tPvRmT2_T3_mT4_P12ihipStream_tbEUlT_E_NS1_11comp_targetILNS1_3genE2ELNS1_11target_archE906ELNS1_3gpuE6ELNS1_3repE0EEENS1_30default_config_static_selectorELNS0_4arch9wavefront6targetE1EEEvT1_.kd
    .uniform_work_group_size: 1
    .uses_dynamic_stack: false
    .vgpr_count:     18
    .vgpr_spill_count: 0
    .wavefront_size: 64
  - .args:
      - .offset:         0
        .size:           56
        .value_kind:     by_value
    .group_segment_fixed_size: 0
    .kernarg_segment_align: 8
    .kernarg_segment_size: 56
    .language:       OpenCL C
    .language_version:
      - 2
      - 0
    .max_flat_workgroup_size: 64
    .name:           _ZN7rocprim17ROCPRIM_400000_NS6detail17trampoline_kernelINS0_14default_configENS1_35adjacent_difference_config_selectorILb0EtEEZNS1_24adjacent_difference_implIS3_Lb0ELb0EPtS7_N6thrust23THRUST_200600_302600_NS5minusItEEEE10hipError_tPvRmT2_T3_mT4_P12ihipStream_tbEUlT_E_NS1_11comp_targetILNS1_3genE9ELNS1_11target_archE1100ELNS1_3gpuE3ELNS1_3repE0EEENS1_30default_config_static_selectorELNS0_4arch9wavefront6targetE1EEEvT1_
    .private_segment_fixed_size: 0
    .sgpr_count:     4
    .sgpr_spill_count: 0
    .symbol:         _ZN7rocprim17ROCPRIM_400000_NS6detail17trampoline_kernelINS0_14default_configENS1_35adjacent_difference_config_selectorILb0EtEEZNS1_24adjacent_difference_implIS3_Lb0ELb0EPtS7_N6thrust23THRUST_200600_302600_NS5minusItEEEE10hipError_tPvRmT2_T3_mT4_P12ihipStream_tbEUlT_E_NS1_11comp_targetILNS1_3genE9ELNS1_11target_archE1100ELNS1_3gpuE3ELNS1_3repE0EEENS1_30default_config_static_selectorELNS0_4arch9wavefront6targetE1EEEvT1_.kd
    .uniform_work_group_size: 1
    .uses_dynamic_stack: false
    .vgpr_count:     0
    .vgpr_spill_count: 0
    .wavefront_size: 64
  - .args:
      - .offset:         0
        .size:           56
        .value_kind:     by_value
    .group_segment_fixed_size: 0
    .kernarg_segment_align: 8
    .kernarg_segment_size: 56
    .language:       OpenCL C
    .language_version:
      - 2
      - 0
    .max_flat_workgroup_size: 1024
    .name:           _ZN7rocprim17ROCPRIM_400000_NS6detail17trampoline_kernelINS0_14default_configENS1_35adjacent_difference_config_selectorILb0EtEEZNS1_24adjacent_difference_implIS3_Lb0ELb0EPtS7_N6thrust23THRUST_200600_302600_NS5minusItEEEE10hipError_tPvRmT2_T3_mT4_P12ihipStream_tbEUlT_E_NS1_11comp_targetILNS1_3genE8ELNS1_11target_archE1030ELNS1_3gpuE2ELNS1_3repE0EEENS1_30default_config_static_selectorELNS0_4arch9wavefront6targetE1EEEvT1_
    .private_segment_fixed_size: 0
    .sgpr_count:     4
    .sgpr_spill_count: 0
    .symbol:         _ZN7rocprim17ROCPRIM_400000_NS6detail17trampoline_kernelINS0_14default_configENS1_35adjacent_difference_config_selectorILb0EtEEZNS1_24adjacent_difference_implIS3_Lb0ELb0EPtS7_N6thrust23THRUST_200600_302600_NS5minusItEEEE10hipError_tPvRmT2_T3_mT4_P12ihipStream_tbEUlT_E_NS1_11comp_targetILNS1_3genE8ELNS1_11target_archE1030ELNS1_3gpuE2ELNS1_3repE0EEENS1_30default_config_static_selectorELNS0_4arch9wavefront6targetE1EEEvT1_.kd
    .uniform_work_group_size: 1
    .uses_dynamic_stack: false
    .vgpr_count:     0
    .vgpr_spill_count: 0
    .wavefront_size: 64
  - .args:
      - .offset:         0
        .size:           56
        .value_kind:     by_value
    .group_segment_fixed_size: 0
    .kernarg_segment_align: 8
    .kernarg_segment_size: 56
    .language:       OpenCL C
    .language_version:
      - 2
      - 0
    .max_flat_workgroup_size: 128
    .name:           _ZN7rocprim17ROCPRIM_400000_NS6detail17trampoline_kernelINS0_14default_configENS1_25transform_config_selectorItLb0EEEZNS1_14transform_implILb0ES3_S5_NS0_18transform_iteratorINS0_17counting_iteratorImlEEZNS1_24adjacent_difference_implIS3_Lb1ELb0EPtSB_N6thrust23THRUST_200600_302600_NS5minusItEEEE10hipError_tPvRmT2_T3_mT4_P12ihipStream_tbEUlmE_tEESB_NS0_8identityIvEEEESG_SJ_SK_mSL_SN_bEUlT_E_NS1_11comp_targetILNS1_3genE0ELNS1_11target_archE4294967295ELNS1_3gpuE0ELNS1_3repE0EEENS1_30default_config_static_selectorELNS0_4arch9wavefront6targetE1EEEvT1_
    .private_segment_fixed_size: 0
    .sgpr_count:     4
    .sgpr_spill_count: 0
    .symbol:         _ZN7rocprim17ROCPRIM_400000_NS6detail17trampoline_kernelINS0_14default_configENS1_25transform_config_selectorItLb0EEEZNS1_14transform_implILb0ES3_S5_NS0_18transform_iteratorINS0_17counting_iteratorImlEEZNS1_24adjacent_difference_implIS3_Lb1ELb0EPtSB_N6thrust23THRUST_200600_302600_NS5minusItEEEE10hipError_tPvRmT2_T3_mT4_P12ihipStream_tbEUlmE_tEESB_NS0_8identityIvEEEESG_SJ_SK_mSL_SN_bEUlT_E_NS1_11comp_targetILNS1_3genE0ELNS1_11target_archE4294967295ELNS1_3gpuE0ELNS1_3repE0EEENS1_30default_config_static_selectorELNS0_4arch9wavefront6targetE1EEEvT1_.kd
    .uniform_work_group_size: 1
    .uses_dynamic_stack: false
    .vgpr_count:     0
    .vgpr_spill_count: 0
    .wavefront_size: 64
  - .args:
      - .offset:         0
        .size:           56
        .value_kind:     by_value
    .group_segment_fixed_size: 0
    .kernarg_segment_align: 8
    .kernarg_segment_size: 56
    .language:       OpenCL C
    .language_version:
      - 2
      - 0
    .max_flat_workgroup_size: 256
    .name:           _ZN7rocprim17ROCPRIM_400000_NS6detail17trampoline_kernelINS0_14default_configENS1_25transform_config_selectorItLb0EEEZNS1_14transform_implILb0ES3_S5_NS0_18transform_iteratorINS0_17counting_iteratorImlEEZNS1_24adjacent_difference_implIS3_Lb1ELb0EPtSB_N6thrust23THRUST_200600_302600_NS5minusItEEEE10hipError_tPvRmT2_T3_mT4_P12ihipStream_tbEUlmE_tEESB_NS0_8identityIvEEEESG_SJ_SK_mSL_SN_bEUlT_E_NS1_11comp_targetILNS1_3genE5ELNS1_11target_archE942ELNS1_3gpuE9ELNS1_3repE0EEENS1_30default_config_static_selectorELNS0_4arch9wavefront6targetE1EEEvT1_
    .private_segment_fixed_size: 0
    .sgpr_count:     4
    .sgpr_spill_count: 0
    .symbol:         _ZN7rocprim17ROCPRIM_400000_NS6detail17trampoline_kernelINS0_14default_configENS1_25transform_config_selectorItLb0EEEZNS1_14transform_implILb0ES3_S5_NS0_18transform_iteratorINS0_17counting_iteratorImlEEZNS1_24adjacent_difference_implIS3_Lb1ELb0EPtSB_N6thrust23THRUST_200600_302600_NS5minusItEEEE10hipError_tPvRmT2_T3_mT4_P12ihipStream_tbEUlmE_tEESB_NS0_8identityIvEEEESG_SJ_SK_mSL_SN_bEUlT_E_NS1_11comp_targetILNS1_3genE5ELNS1_11target_archE942ELNS1_3gpuE9ELNS1_3repE0EEENS1_30default_config_static_selectorELNS0_4arch9wavefront6targetE1EEEvT1_.kd
    .uniform_work_group_size: 1
    .uses_dynamic_stack: false
    .vgpr_count:     0
    .vgpr_spill_count: 0
    .wavefront_size: 64
  - .args:
      - .offset:         0
        .size:           56
        .value_kind:     by_value
    .group_segment_fixed_size: 0
    .kernarg_segment_align: 8
    .kernarg_segment_size: 56
    .language:       OpenCL C
    .language_version:
      - 2
      - 0
    .max_flat_workgroup_size: 64
    .name:           _ZN7rocprim17ROCPRIM_400000_NS6detail17trampoline_kernelINS0_14default_configENS1_25transform_config_selectorItLb0EEEZNS1_14transform_implILb0ES3_S5_NS0_18transform_iteratorINS0_17counting_iteratorImlEEZNS1_24adjacent_difference_implIS3_Lb1ELb0EPtSB_N6thrust23THRUST_200600_302600_NS5minusItEEEE10hipError_tPvRmT2_T3_mT4_P12ihipStream_tbEUlmE_tEESB_NS0_8identityIvEEEESG_SJ_SK_mSL_SN_bEUlT_E_NS1_11comp_targetILNS1_3genE4ELNS1_11target_archE910ELNS1_3gpuE8ELNS1_3repE0EEENS1_30default_config_static_selectorELNS0_4arch9wavefront6targetE1EEEvT1_
    .private_segment_fixed_size: 0
    .sgpr_count:     4
    .sgpr_spill_count: 0
    .symbol:         _ZN7rocprim17ROCPRIM_400000_NS6detail17trampoline_kernelINS0_14default_configENS1_25transform_config_selectorItLb0EEEZNS1_14transform_implILb0ES3_S5_NS0_18transform_iteratorINS0_17counting_iteratorImlEEZNS1_24adjacent_difference_implIS3_Lb1ELb0EPtSB_N6thrust23THRUST_200600_302600_NS5minusItEEEE10hipError_tPvRmT2_T3_mT4_P12ihipStream_tbEUlmE_tEESB_NS0_8identityIvEEEESG_SJ_SK_mSL_SN_bEUlT_E_NS1_11comp_targetILNS1_3genE4ELNS1_11target_archE910ELNS1_3gpuE8ELNS1_3repE0EEENS1_30default_config_static_selectorELNS0_4arch9wavefront6targetE1EEEvT1_.kd
    .uniform_work_group_size: 1
    .uses_dynamic_stack: false
    .vgpr_count:     0
    .vgpr_spill_count: 0
    .wavefront_size: 64
  - .args:
      - .offset:         0
        .size:           56
        .value_kind:     by_value
    .group_segment_fixed_size: 0
    .kernarg_segment_align: 8
    .kernarg_segment_size: 56
    .language:       OpenCL C
    .language_version:
      - 2
      - 0
    .max_flat_workgroup_size: 128
    .name:           _ZN7rocprim17ROCPRIM_400000_NS6detail17trampoline_kernelINS0_14default_configENS1_25transform_config_selectorItLb0EEEZNS1_14transform_implILb0ES3_S5_NS0_18transform_iteratorINS0_17counting_iteratorImlEEZNS1_24adjacent_difference_implIS3_Lb1ELb0EPtSB_N6thrust23THRUST_200600_302600_NS5minusItEEEE10hipError_tPvRmT2_T3_mT4_P12ihipStream_tbEUlmE_tEESB_NS0_8identityIvEEEESG_SJ_SK_mSL_SN_bEUlT_E_NS1_11comp_targetILNS1_3genE3ELNS1_11target_archE908ELNS1_3gpuE7ELNS1_3repE0EEENS1_30default_config_static_selectorELNS0_4arch9wavefront6targetE1EEEvT1_
    .private_segment_fixed_size: 0
    .sgpr_count:     4
    .sgpr_spill_count: 0
    .symbol:         _ZN7rocprim17ROCPRIM_400000_NS6detail17trampoline_kernelINS0_14default_configENS1_25transform_config_selectorItLb0EEEZNS1_14transform_implILb0ES3_S5_NS0_18transform_iteratorINS0_17counting_iteratorImlEEZNS1_24adjacent_difference_implIS3_Lb1ELb0EPtSB_N6thrust23THRUST_200600_302600_NS5minusItEEEE10hipError_tPvRmT2_T3_mT4_P12ihipStream_tbEUlmE_tEESB_NS0_8identityIvEEEESG_SJ_SK_mSL_SN_bEUlT_E_NS1_11comp_targetILNS1_3genE3ELNS1_11target_archE908ELNS1_3gpuE7ELNS1_3repE0EEENS1_30default_config_static_selectorELNS0_4arch9wavefront6targetE1EEEvT1_.kd
    .uniform_work_group_size: 1
    .uses_dynamic_stack: false
    .vgpr_count:     0
    .vgpr_spill_count: 0
    .wavefront_size: 64
  - .args:
      - .offset:         0
        .size:           56
        .value_kind:     by_value
      - .offset:         56
        .size:           4
        .value_kind:     hidden_block_count_x
      - .offset:         60
        .size:           4
        .value_kind:     hidden_block_count_y
      - .offset:         64
        .size:           4
        .value_kind:     hidden_block_count_z
      - .offset:         68
        .size:           2
        .value_kind:     hidden_group_size_x
      - .offset:         70
        .size:           2
        .value_kind:     hidden_group_size_y
      - .offset:         72
        .size:           2
        .value_kind:     hidden_group_size_z
      - .offset:         74
        .size:           2
        .value_kind:     hidden_remainder_x
      - .offset:         76
        .size:           2
        .value_kind:     hidden_remainder_y
      - .offset:         78
        .size:           2
        .value_kind:     hidden_remainder_z
      - .offset:         96
        .size:           8
        .value_kind:     hidden_global_offset_x
      - .offset:         104
        .size:           8
        .value_kind:     hidden_global_offset_y
      - .offset:         112
        .size:           8
        .value_kind:     hidden_global_offset_z
      - .offset:         120
        .size:           2
        .value_kind:     hidden_grid_dims
    .group_segment_fixed_size: 0
    .kernarg_segment_align: 8
    .kernarg_segment_size: 312
    .language:       OpenCL C
    .language_version:
      - 2
      - 0
    .max_flat_workgroup_size: 512
    .name:           _ZN7rocprim17ROCPRIM_400000_NS6detail17trampoline_kernelINS0_14default_configENS1_25transform_config_selectorItLb0EEEZNS1_14transform_implILb0ES3_S5_NS0_18transform_iteratorINS0_17counting_iteratorImlEEZNS1_24adjacent_difference_implIS3_Lb1ELb0EPtSB_N6thrust23THRUST_200600_302600_NS5minusItEEEE10hipError_tPvRmT2_T3_mT4_P12ihipStream_tbEUlmE_tEESB_NS0_8identityIvEEEESG_SJ_SK_mSL_SN_bEUlT_E_NS1_11comp_targetILNS1_3genE2ELNS1_11target_archE906ELNS1_3gpuE6ELNS1_3repE0EEENS1_30default_config_static_selectorELNS0_4arch9wavefront6targetE1EEEvT1_
    .private_segment_fixed_size: 0
    .sgpr_count:     26
    .sgpr_spill_count: 0
    .symbol:         _ZN7rocprim17ROCPRIM_400000_NS6detail17trampoline_kernelINS0_14default_configENS1_25transform_config_selectorItLb0EEEZNS1_14transform_implILb0ES3_S5_NS0_18transform_iteratorINS0_17counting_iteratorImlEEZNS1_24adjacent_difference_implIS3_Lb1ELb0EPtSB_N6thrust23THRUST_200600_302600_NS5minusItEEEE10hipError_tPvRmT2_T3_mT4_P12ihipStream_tbEUlmE_tEESB_NS0_8identityIvEEEESG_SJ_SK_mSL_SN_bEUlT_E_NS1_11comp_targetILNS1_3genE2ELNS1_11target_archE906ELNS1_3gpuE6ELNS1_3repE0EEENS1_30default_config_static_selectorELNS0_4arch9wavefront6targetE1EEEvT1_.kd
    .uniform_work_group_size: 1
    .uses_dynamic_stack: false
    .vgpr_count:     12
    .vgpr_spill_count: 0
    .wavefront_size: 64
  - .args:
      - .offset:         0
        .size:           56
        .value_kind:     by_value
    .group_segment_fixed_size: 0
    .kernarg_segment_align: 8
    .kernarg_segment_size: 56
    .language:       OpenCL C
    .language_version:
      - 2
      - 0
    .max_flat_workgroup_size: 1024
    .name:           _ZN7rocprim17ROCPRIM_400000_NS6detail17trampoline_kernelINS0_14default_configENS1_25transform_config_selectorItLb0EEEZNS1_14transform_implILb0ES3_S5_NS0_18transform_iteratorINS0_17counting_iteratorImlEEZNS1_24adjacent_difference_implIS3_Lb1ELb0EPtSB_N6thrust23THRUST_200600_302600_NS5minusItEEEE10hipError_tPvRmT2_T3_mT4_P12ihipStream_tbEUlmE_tEESB_NS0_8identityIvEEEESG_SJ_SK_mSL_SN_bEUlT_E_NS1_11comp_targetILNS1_3genE10ELNS1_11target_archE1201ELNS1_3gpuE5ELNS1_3repE0EEENS1_30default_config_static_selectorELNS0_4arch9wavefront6targetE1EEEvT1_
    .private_segment_fixed_size: 0
    .sgpr_count:     4
    .sgpr_spill_count: 0
    .symbol:         _ZN7rocprim17ROCPRIM_400000_NS6detail17trampoline_kernelINS0_14default_configENS1_25transform_config_selectorItLb0EEEZNS1_14transform_implILb0ES3_S5_NS0_18transform_iteratorINS0_17counting_iteratorImlEEZNS1_24adjacent_difference_implIS3_Lb1ELb0EPtSB_N6thrust23THRUST_200600_302600_NS5minusItEEEE10hipError_tPvRmT2_T3_mT4_P12ihipStream_tbEUlmE_tEESB_NS0_8identityIvEEEESG_SJ_SK_mSL_SN_bEUlT_E_NS1_11comp_targetILNS1_3genE10ELNS1_11target_archE1201ELNS1_3gpuE5ELNS1_3repE0EEENS1_30default_config_static_selectorELNS0_4arch9wavefront6targetE1EEEvT1_.kd
    .uniform_work_group_size: 1
    .uses_dynamic_stack: false
    .vgpr_count:     0
    .vgpr_spill_count: 0
    .wavefront_size: 64
  - .args:
      - .offset:         0
        .size:           56
        .value_kind:     by_value
    .group_segment_fixed_size: 0
    .kernarg_segment_align: 8
    .kernarg_segment_size: 56
    .language:       OpenCL C
    .language_version:
      - 2
      - 0
    .max_flat_workgroup_size: 512
    .name:           _ZN7rocprim17ROCPRIM_400000_NS6detail17trampoline_kernelINS0_14default_configENS1_25transform_config_selectorItLb0EEEZNS1_14transform_implILb0ES3_S5_NS0_18transform_iteratorINS0_17counting_iteratorImlEEZNS1_24adjacent_difference_implIS3_Lb1ELb0EPtSB_N6thrust23THRUST_200600_302600_NS5minusItEEEE10hipError_tPvRmT2_T3_mT4_P12ihipStream_tbEUlmE_tEESB_NS0_8identityIvEEEESG_SJ_SK_mSL_SN_bEUlT_E_NS1_11comp_targetILNS1_3genE10ELNS1_11target_archE1200ELNS1_3gpuE4ELNS1_3repE0EEENS1_30default_config_static_selectorELNS0_4arch9wavefront6targetE1EEEvT1_
    .private_segment_fixed_size: 0
    .sgpr_count:     4
    .sgpr_spill_count: 0
    .symbol:         _ZN7rocprim17ROCPRIM_400000_NS6detail17trampoline_kernelINS0_14default_configENS1_25transform_config_selectorItLb0EEEZNS1_14transform_implILb0ES3_S5_NS0_18transform_iteratorINS0_17counting_iteratorImlEEZNS1_24adjacent_difference_implIS3_Lb1ELb0EPtSB_N6thrust23THRUST_200600_302600_NS5minusItEEEE10hipError_tPvRmT2_T3_mT4_P12ihipStream_tbEUlmE_tEESB_NS0_8identityIvEEEESG_SJ_SK_mSL_SN_bEUlT_E_NS1_11comp_targetILNS1_3genE10ELNS1_11target_archE1200ELNS1_3gpuE4ELNS1_3repE0EEENS1_30default_config_static_selectorELNS0_4arch9wavefront6targetE1EEEvT1_.kd
    .uniform_work_group_size: 1
    .uses_dynamic_stack: false
    .vgpr_count:     0
    .vgpr_spill_count: 0
    .wavefront_size: 64
  - .args:
      - .offset:         0
        .size:           56
        .value_kind:     by_value
    .group_segment_fixed_size: 0
    .kernarg_segment_align: 8
    .kernarg_segment_size: 56
    .language:       OpenCL C
    .language_version:
      - 2
      - 0
    .max_flat_workgroup_size: 1024
    .name:           _ZN7rocprim17ROCPRIM_400000_NS6detail17trampoline_kernelINS0_14default_configENS1_25transform_config_selectorItLb0EEEZNS1_14transform_implILb0ES3_S5_NS0_18transform_iteratorINS0_17counting_iteratorImlEEZNS1_24adjacent_difference_implIS3_Lb1ELb0EPtSB_N6thrust23THRUST_200600_302600_NS5minusItEEEE10hipError_tPvRmT2_T3_mT4_P12ihipStream_tbEUlmE_tEESB_NS0_8identityIvEEEESG_SJ_SK_mSL_SN_bEUlT_E_NS1_11comp_targetILNS1_3genE9ELNS1_11target_archE1100ELNS1_3gpuE3ELNS1_3repE0EEENS1_30default_config_static_selectorELNS0_4arch9wavefront6targetE1EEEvT1_
    .private_segment_fixed_size: 0
    .sgpr_count:     4
    .sgpr_spill_count: 0
    .symbol:         _ZN7rocprim17ROCPRIM_400000_NS6detail17trampoline_kernelINS0_14default_configENS1_25transform_config_selectorItLb0EEEZNS1_14transform_implILb0ES3_S5_NS0_18transform_iteratorINS0_17counting_iteratorImlEEZNS1_24adjacent_difference_implIS3_Lb1ELb0EPtSB_N6thrust23THRUST_200600_302600_NS5minusItEEEE10hipError_tPvRmT2_T3_mT4_P12ihipStream_tbEUlmE_tEESB_NS0_8identityIvEEEESG_SJ_SK_mSL_SN_bEUlT_E_NS1_11comp_targetILNS1_3genE9ELNS1_11target_archE1100ELNS1_3gpuE3ELNS1_3repE0EEENS1_30default_config_static_selectorELNS0_4arch9wavefront6targetE1EEEvT1_.kd
    .uniform_work_group_size: 1
    .uses_dynamic_stack: false
    .vgpr_count:     0
    .vgpr_spill_count: 0
    .wavefront_size: 64
  - .args:
      - .offset:         0
        .size:           56
        .value_kind:     by_value
    .group_segment_fixed_size: 0
    .kernarg_segment_align: 8
    .kernarg_segment_size: 56
    .language:       OpenCL C
    .language_version:
      - 2
      - 0
    .max_flat_workgroup_size: 1024
    .name:           _ZN7rocprim17ROCPRIM_400000_NS6detail17trampoline_kernelINS0_14default_configENS1_25transform_config_selectorItLb0EEEZNS1_14transform_implILb0ES3_S5_NS0_18transform_iteratorINS0_17counting_iteratorImlEEZNS1_24adjacent_difference_implIS3_Lb1ELb0EPtSB_N6thrust23THRUST_200600_302600_NS5minusItEEEE10hipError_tPvRmT2_T3_mT4_P12ihipStream_tbEUlmE_tEESB_NS0_8identityIvEEEESG_SJ_SK_mSL_SN_bEUlT_E_NS1_11comp_targetILNS1_3genE8ELNS1_11target_archE1030ELNS1_3gpuE2ELNS1_3repE0EEENS1_30default_config_static_selectorELNS0_4arch9wavefront6targetE1EEEvT1_
    .private_segment_fixed_size: 0
    .sgpr_count:     4
    .sgpr_spill_count: 0
    .symbol:         _ZN7rocprim17ROCPRIM_400000_NS6detail17trampoline_kernelINS0_14default_configENS1_25transform_config_selectorItLb0EEEZNS1_14transform_implILb0ES3_S5_NS0_18transform_iteratorINS0_17counting_iteratorImlEEZNS1_24adjacent_difference_implIS3_Lb1ELb0EPtSB_N6thrust23THRUST_200600_302600_NS5minusItEEEE10hipError_tPvRmT2_T3_mT4_P12ihipStream_tbEUlmE_tEESB_NS0_8identityIvEEEESG_SJ_SK_mSL_SN_bEUlT_E_NS1_11comp_targetILNS1_3genE8ELNS1_11target_archE1030ELNS1_3gpuE2ELNS1_3repE0EEENS1_30default_config_static_selectorELNS0_4arch9wavefront6targetE1EEEvT1_.kd
    .uniform_work_group_size: 1
    .uses_dynamic_stack: false
    .vgpr_count:     0
    .vgpr_spill_count: 0
    .wavefront_size: 64
  - .args:
      - .offset:         0
        .size:           56
        .value_kind:     by_value
    .group_segment_fixed_size: 0
    .kernarg_segment_align: 8
    .kernarg_segment_size: 56
    .language:       OpenCL C
    .language_version:
      - 2
      - 0
    .max_flat_workgroup_size: 32
    .name:           _ZN7rocprim17ROCPRIM_400000_NS6detail17trampoline_kernelINS0_14default_configENS1_35adjacent_difference_config_selectorILb1EtEEZNS1_24adjacent_difference_implIS3_Lb1ELb0EPtS7_N6thrust23THRUST_200600_302600_NS5minusItEEEE10hipError_tPvRmT2_T3_mT4_P12ihipStream_tbEUlT_E_NS1_11comp_targetILNS1_3genE0ELNS1_11target_archE4294967295ELNS1_3gpuE0ELNS1_3repE0EEENS1_30default_config_static_selectorELNS0_4arch9wavefront6targetE1EEEvT1_
    .private_segment_fixed_size: 0
    .sgpr_count:     4
    .sgpr_spill_count: 0
    .symbol:         _ZN7rocprim17ROCPRIM_400000_NS6detail17trampoline_kernelINS0_14default_configENS1_35adjacent_difference_config_selectorILb1EtEEZNS1_24adjacent_difference_implIS3_Lb1ELb0EPtS7_N6thrust23THRUST_200600_302600_NS5minusItEEEE10hipError_tPvRmT2_T3_mT4_P12ihipStream_tbEUlT_E_NS1_11comp_targetILNS1_3genE0ELNS1_11target_archE4294967295ELNS1_3gpuE0ELNS1_3repE0EEENS1_30default_config_static_selectorELNS0_4arch9wavefront6targetE1EEEvT1_.kd
    .uniform_work_group_size: 1
    .uses_dynamic_stack: false
    .vgpr_count:     0
    .vgpr_spill_count: 0
    .wavefront_size: 64
  - .args:
      - .offset:         0
        .size:           56
        .value_kind:     by_value
    .group_segment_fixed_size: 0
    .kernarg_segment_align: 8
    .kernarg_segment_size: 56
    .language:       OpenCL C
    .language_version:
      - 2
      - 0
    .max_flat_workgroup_size: 512
    .name:           _ZN7rocprim17ROCPRIM_400000_NS6detail17trampoline_kernelINS0_14default_configENS1_35adjacent_difference_config_selectorILb1EtEEZNS1_24adjacent_difference_implIS3_Lb1ELb0EPtS7_N6thrust23THRUST_200600_302600_NS5minusItEEEE10hipError_tPvRmT2_T3_mT4_P12ihipStream_tbEUlT_E_NS1_11comp_targetILNS1_3genE10ELNS1_11target_archE1201ELNS1_3gpuE5ELNS1_3repE0EEENS1_30default_config_static_selectorELNS0_4arch9wavefront6targetE1EEEvT1_
    .private_segment_fixed_size: 0
    .sgpr_count:     4
    .sgpr_spill_count: 0
    .symbol:         _ZN7rocprim17ROCPRIM_400000_NS6detail17trampoline_kernelINS0_14default_configENS1_35adjacent_difference_config_selectorILb1EtEEZNS1_24adjacent_difference_implIS3_Lb1ELb0EPtS7_N6thrust23THRUST_200600_302600_NS5minusItEEEE10hipError_tPvRmT2_T3_mT4_P12ihipStream_tbEUlT_E_NS1_11comp_targetILNS1_3genE10ELNS1_11target_archE1201ELNS1_3gpuE5ELNS1_3repE0EEENS1_30default_config_static_selectorELNS0_4arch9wavefront6targetE1EEEvT1_.kd
    .uniform_work_group_size: 1
    .uses_dynamic_stack: false
    .vgpr_count:     0
    .vgpr_spill_count: 0
    .wavefront_size: 64
  - .args:
      - .offset:         0
        .size:           56
        .value_kind:     by_value
    .group_segment_fixed_size: 0
    .kernarg_segment_align: 8
    .kernarg_segment_size: 56
    .language:       OpenCL C
    .language_version:
      - 2
      - 0
    .max_flat_workgroup_size: 64
    .name:           _ZN7rocprim17ROCPRIM_400000_NS6detail17trampoline_kernelINS0_14default_configENS1_35adjacent_difference_config_selectorILb1EtEEZNS1_24adjacent_difference_implIS3_Lb1ELb0EPtS7_N6thrust23THRUST_200600_302600_NS5minusItEEEE10hipError_tPvRmT2_T3_mT4_P12ihipStream_tbEUlT_E_NS1_11comp_targetILNS1_3genE5ELNS1_11target_archE942ELNS1_3gpuE9ELNS1_3repE0EEENS1_30default_config_static_selectorELNS0_4arch9wavefront6targetE1EEEvT1_
    .private_segment_fixed_size: 0
    .sgpr_count:     4
    .sgpr_spill_count: 0
    .symbol:         _ZN7rocprim17ROCPRIM_400000_NS6detail17trampoline_kernelINS0_14default_configENS1_35adjacent_difference_config_selectorILb1EtEEZNS1_24adjacent_difference_implIS3_Lb1ELb0EPtS7_N6thrust23THRUST_200600_302600_NS5minusItEEEE10hipError_tPvRmT2_T3_mT4_P12ihipStream_tbEUlT_E_NS1_11comp_targetILNS1_3genE5ELNS1_11target_archE942ELNS1_3gpuE9ELNS1_3repE0EEENS1_30default_config_static_selectorELNS0_4arch9wavefront6targetE1EEEvT1_.kd
    .uniform_work_group_size: 1
    .uses_dynamic_stack: false
    .vgpr_count:     0
    .vgpr_spill_count: 0
    .wavefront_size: 64
  - .args:
      - .offset:         0
        .size:           56
        .value_kind:     by_value
    .group_segment_fixed_size: 0
    .kernarg_segment_align: 8
    .kernarg_segment_size: 56
    .language:       OpenCL C
    .language_version:
      - 2
      - 0
    .max_flat_workgroup_size: 64
    .name:           _ZN7rocprim17ROCPRIM_400000_NS6detail17trampoline_kernelINS0_14default_configENS1_35adjacent_difference_config_selectorILb1EtEEZNS1_24adjacent_difference_implIS3_Lb1ELb0EPtS7_N6thrust23THRUST_200600_302600_NS5minusItEEEE10hipError_tPvRmT2_T3_mT4_P12ihipStream_tbEUlT_E_NS1_11comp_targetILNS1_3genE4ELNS1_11target_archE910ELNS1_3gpuE8ELNS1_3repE0EEENS1_30default_config_static_selectorELNS0_4arch9wavefront6targetE1EEEvT1_
    .private_segment_fixed_size: 0
    .sgpr_count:     4
    .sgpr_spill_count: 0
    .symbol:         _ZN7rocprim17ROCPRIM_400000_NS6detail17trampoline_kernelINS0_14default_configENS1_35adjacent_difference_config_selectorILb1EtEEZNS1_24adjacent_difference_implIS3_Lb1ELb0EPtS7_N6thrust23THRUST_200600_302600_NS5minusItEEEE10hipError_tPvRmT2_T3_mT4_P12ihipStream_tbEUlT_E_NS1_11comp_targetILNS1_3genE4ELNS1_11target_archE910ELNS1_3gpuE8ELNS1_3repE0EEENS1_30default_config_static_selectorELNS0_4arch9wavefront6targetE1EEEvT1_.kd
    .uniform_work_group_size: 1
    .uses_dynamic_stack: false
    .vgpr_count:     0
    .vgpr_spill_count: 0
    .wavefront_size: 64
  - .args:
      - .offset:         0
        .size:           56
        .value_kind:     by_value
    .group_segment_fixed_size: 0
    .kernarg_segment_align: 8
    .kernarg_segment_size: 56
    .language:       OpenCL C
    .language_version:
      - 2
      - 0
    .max_flat_workgroup_size: 32
    .name:           _ZN7rocprim17ROCPRIM_400000_NS6detail17trampoline_kernelINS0_14default_configENS1_35adjacent_difference_config_selectorILb1EtEEZNS1_24adjacent_difference_implIS3_Lb1ELb0EPtS7_N6thrust23THRUST_200600_302600_NS5minusItEEEE10hipError_tPvRmT2_T3_mT4_P12ihipStream_tbEUlT_E_NS1_11comp_targetILNS1_3genE3ELNS1_11target_archE908ELNS1_3gpuE7ELNS1_3repE0EEENS1_30default_config_static_selectorELNS0_4arch9wavefront6targetE1EEEvT1_
    .private_segment_fixed_size: 0
    .sgpr_count:     4
    .sgpr_spill_count: 0
    .symbol:         _ZN7rocprim17ROCPRIM_400000_NS6detail17trampoline_kernelINS0_14default_configENS1_35adjacent_difference_config_selectorILb1EtEEZNS1_24adjacent_difference_implIS3_Lb1ELb0EPtS7_N6thrust23THRUST_200600_302600_NS5minusItEEEE10hipError_tPvRmT2_T3_mT4_P12ihipStream_tbEUlT_E_NS1_11comp_targetILNS1_3genE3ELNS1_11target_archE908ELNS1_3gpuE7ELNS1_3repE0EEENS1_30default_config_static_selectorELNS0_4arch9wavefront6targetE1EEEvT1_.kd
    .uniform_work_group_size: 1
    .uses_dynamic_stack: false
    .vgpr_count:     0
    .vgpr_spill_count: 0
    .wavefront_size: 64
  - .args:
      - .offset:         0
        .size:           56
        .value_kind:     by_value
    .group_segment_fixed_size: 2176
    .kernarg_segment_align: 8
    .kernarg_segment_size: 56
    .language:       OpenCL C
    .language_version:
      - 2
      - 0
    .max_flat_workgroup_size: 64
    .name:           _ZN7rocprim17ROCPRIM_400000_NS6detail17trampoline_kernelINS0_14default_configENS1_35adjacent_difference_config_selectorILb1EtEEZNS1_24adjacent_difference_implIS3_Lb1ELb0EPtS7_N6thrust23THRUST_200600_302600_NS5minusItEEEE10hipError_tPvRmT2_T3_mT4_P12ihipStream_tbEUlT_E_NS1_11comp_targetILNS1_3genE2ELNS1_11target_archE906ELNS1_3gpuE6ELNS1_3repE0EEENS1_30default_config_static_selectorELNS0_4arch9wavefront6targetE1EEEvT1_
    .private_segment_fixed_size: 0
    .sgpr_count:     50
    .sgpr_spill_count: 0
    .symbol:         _ZN7rocprim17ROCPRIM_400000_NS6detail17trampoline_kernelINS0_14default_configENS1_35adjacent_difference_config_selectorILb1EtEEZNS1_24adjacent_difference_implIS3_Lb1ELb0EPtS7_N6thrust23THRUST_200600_302600_NS5minusItEEEE10hipError_tPvRmT2_T3_mT4_P12ihipStream_tbEUlT_E_NS1_11comp_targetILNS1_3genE2ELNS1_11target_archE906ELNS1_3gpuE6ELNS1_3repE0EEENS1_30default_config_static_selectorELNS0_4arch9wavefront6targetE1EEEvT1_.kd
    .uniform_work_group_size: 1
    .uses_dynamic_stack: false
    .vgpr_count:     40
    .vgpr_spill_count: 0
    .wavefront_size: 64
  - .args:
      - .offset:         0
        .size:           56
        .value_kind:     by_value
    .group_segment_fixed_size: 0
    .kernarg_segment_align: 8
    .kernarg_segment_size: 56
    .language:       OpenCL C
    .language_version:
      - 2
      - 0
    .max_flat_workgroup_size: 128
    .name:           _ZN7rocprim17ROCPRIM_400000_NS6detail17trampoline_kernelINS0_14default_configENS1_35adjacent_difference_config_selectorILb1EtEEZNS1_24adjacent_difference_implIS3_Lb1ELb0EPtS7_N6thrust23THRUST_200600_302600_NS5minusItEEEE10hipError_tPvRmT2_T3_mT4_P12ihipStream_tbEUlT_E_NS1_11comp_targetILNS1_3genE9ELNS1_11target_archE1100ELNS1_3gpuE3ELNS1_3repE0EEENS1_30default_config_static_selectorELNS0_4arch9wavefront6targetE1EEEvT1_
    .private_segment_fixed_size: 0
    .sgpr_count:     4
    .sgpr_spill_count: 0
    .symbol:         _ZN7rocprim17ROCPRIM_400000_NS6detail17trampoline_kernelINS0_14default_configENS1_35adjacent_difference_config_selectorILb1EtEEZNS1_24adjacent_difference_implIS3_Lb1ELb0EPtS7_N6thrust23THRUST_200600_302600_NS5minusItEEEE10hipError_tPvRmT2_T3_mT4_P12ihipStream_tbEUlT_E_NS1_11comp_targetILNS1_3genE9ELNS1_11target_archE1100ELNS1_3gpuE3ELNS1_3repE0EEENS1_30default_config_static_selectorELNS0_4arch9wavefront6targetE1EEEvT1_.kd
    .uniform_work_group_size: 1
    .uses_dynamic_stack: false
    .vgpr_count:     0
    .vgpr_spill_count: 0
    .wavefront_size: 64
  - .args:
      - .offset:         0
        .size:           56
        .value_kind:     by_value
    .group_segment_fixed_size: 0
    .kernarg_segment_align: 8
    .kernarg_segment_size: 56
    .language:       OpenCL C
    .language_version:
      - 2
      - 0
    .max_flat_workgroup_size: 512
    .name:           _ZN7rocprim17ROCPRIM_400000_NS6detail17trampoline_kernelINS0_14default_configENS1_35adjacent_difference_config_selectorILb1EtEEZNS1_24adjacent_difference_implIS3_Lb1ELb0EPtS7_N6thrust23THRUST_200600_302600_NS5minusItEEEE10hipError_tPvRmT2_T3_mT4_P12ihipStream_tbEUlT_E_NS1_11comp_targetILNS1_3genE8ELNS1_11target_archE1030ELNS1_3gpuE2ELNS1_3repE0EEENS1_30default_config_static_selectorELNS0_4arch9wavefront6targetE1EEEvT1_
    .private_segment_fixed_size: 0
    .sgpr_count:     4
    .sgpr_spill_count: 0
    .symbol:         _ZN7rocprim17ROCPRIM_400000_NS6detail17trampoline_kernelINS0_14default_configENS1_35adjacent_difference_config_selectorILb1EtEEZNS1_24adjacent_difference_implIS3_Lb1ELb0EPtS7_N6thrust23THRUST_200600_302600_NS5minusItEEEE10hipError_tPvRmT2_T3_mT4_P12ihipStream_tbEUlT_E_NS1_11comp_targetILNS1_3genE8ELNS1_11target_archE1030ELNS1_3gpuE2ELNS1_3repE0EEENS1_30default_config_static_selectorELNS0_4arch9wavefront6targetE1EEEvT1_.kd
    .uniform_work_group_size: 1
    .uses_dynamic_stack: false
    .vgpr_count:     0
    .vgpr_spill_count: 0
    .wavefront_size: 64
  - .args:
      - .offset:         0
        .size:           56
        .value_kind:     by_value
    .group_segment_fixed_size: 0
    .kernarg_segment_align: 8
    .kernarg_segment_size: 56
    .language:       OpenCL C
    .language_version:
      - 2
      - 0
    .max_flat_workgroup_size: 64
    .name:           _ZN7rocprim17ROCPRIM_400000_NS6detail17trampoline_kernelINS0_14default_configENS1_35adjacent_difference_config_selectorILb0EtEEZNS1_24adjacent_difference_implIS3_Lb0ELb0EPtS7_N6thrust23THRUST_200600_302600_NS4plusItEEEE10hipError_tPvRmT2_T3_mT4_P12ihipStream_tbEUlT_E_NS1_11comp_targetILNS1_3genE0ELNS1_11target_archE4294967295ELNS1_3gpuE0ELNS1_3repE0EEENS1_30default_config_static_selectorELNS0_4arch9wavefront6targetE1EEEvT1_
    .private_segment_fixed_size: 0
    .sgpr_count:     4
    .sgpr_spill_count: 0
    .symbol:         _ZN7rocprim17ROCPRIM_400000_NS6detail17trampoline_kernelINS0_14default_configENS1_35adjacent_difference_config_selectorILb0EtEEZNS1_24adjacent_difference_implIS3_Lb0ELb0EPtS7_N6thrust23THRUST_200600_302600_NS4plusItEEEE10hipError_tPvRmT2_T3_mT4_P12ihipStream_tbEUlT_E_NS1_11comp_targetILNS1_3genE0ELNS1_11target_archE4294967295ELNS1_3gpuE0ELNS1_3repE0EEENS1_30default_config_static_selectorELNS0_4arch9wavefront6targetE1EEEvT1_.kd
    .uniform_work_group_size: 1
    .uses_dynamic_stack: false
    .vgpr_count:     0
    .vgpr_spill_count: 0
    .wavefront_size: 64
  - .args:
      - .offset:         0
        .size:           56
        .value_kind:     by_value
    .group_segment_fixed_size: 0
    .kernarg_segment_align: 8
    .kernarg_segment_size: 56
    .language:       OpenCL C
    .language_version:
      - 2
      - 0
    .max_flat_workgroup_size: 128
    .name:           _ZN7rocprim17ROCPRIM_400000_NS6detail17trampoline_kernelINS0_14default_configENS1_35adjacent_difference_config_selectorILb0EtEEZNS1_24adjacent_difference_implIS3_Lb0ELb0EPtS7_N6thrust23THRUST_200600_302600_NS4plusItEEEE10hipError_tPvRmT2_T3_mT4_P12ihipStream_tbEUlT_E_NS1_11comp_targetILNS1_3genE10ELNS1_11target_archE1201ELNS1_3gpuE5ELNS1_3repE0EEENS1_30default_config_static_selectorELNS0_4arch9wavefront6targetE1EEEvT1_
    .private_segment_fixed_size: 0
    .sgpr_count:     4
    .sgpr_spill_count: 0
    .symbol:         _ZN7rocprim17ROCPRIM_400000_NS6detail17trampoline_kernelINS0_14default_configENS1_35adjacent_difference_config_selectorILb0EtEEZNS1_24adjacent_difference_implIS3_Lb0ELb0EPtS7_N6thrust23THRUST_200600_302600_NS4plusItEEEE10hipError_tPvRmT2_T3_mT4_P12ihipStream_tbEUlT_E_NS1_11comp_targetILNS1_3genE10ELNS1_11target_archE1201ELNS1_3gpuE5ELNS1_3repE0EEENS1_30default_config_static_selectorELNS0_4arch9wavefront6targetE1EEEvT1_.kd
    .uniform_work_group_size: 1
    .uses_dynamic_stack: false
    .vgpr_count:     0
    .vgpr_spill_count: 0
    .wavefront_size: 64
  - .args:
      - .offset:         0
        .size:           56
        .value_kind:     by_value
    .group_segment_fixed_size: 0
    .kernarg_segment_align: 8
    .kernarg_segment_size: 56
    .language:       OpenCL C
    .language_version:
      - 2
      - 0
    .max_flat_workgroup_size: 256
    .name:           _ZN7rocprim17ROCPRIM_400000_NS6detail17trampoline_kernelINS0_14default_configENS1_35adjacent_difference_config_selectorILb0EtEEZNS1_24adjacent_difference_implIS3_Lb0ELb0EPtS7_N6thrust23THRUST_200600_302600_NS4plusItEEEE10hipError_tPvRmT2_T3_mT4_P12ihipStream_tbEUlT_E_NS1_11comp_targetILNS1_3genE5ELNS1_11target_archE942ELNS1_3gpuE9ELNS1_3repE0EEENS1_30default_config_static_selectorELNS0_4arch9wavefront6targetE1EEEvT1_
    .private_segment_fixed_size: 0
    .sgpr_count:     4
    .sgpr_spill_count: 0
    .symbol:         _ZN7rocprim17ROCPRIM_400000_NS6detail17trampoline_kernelINS0_14default_configENS1_35adjacent_difference_config_selectorILb0EtEEZNS1_24adjacent_difference_implIS3_Lb0ELb0EPtS7_N6thrust23THRUST_200600_302600_NS4plusItEEEE10hipError_tPvRmT2_T3_mT4_P12ihipStream_tbEUlT_E_NS1_11comp_targetILNS1_3genE5ELNS1_11target_archE942ELNS1_3gpuE9ELNS1_3repE0EEENS1_30default_config_static_selectorELNS0_4arch9wavefront6targetE1EEEvT1_.kd
    .uniform_work_group_size: 1
    .uses_dynamic_stack: false
    .vgpr_count:     0
    .vgpr_spill_count: 0
    .wavefront_size: 64
  - .args:
      - .offset:         0
        .size:           56
        .value_kind:     by_value
    .group_segment_fixed_size: 0
    .kernarg_segment_align: 8
    .kernarg_segment_size: 56
    .language:       OpenCL C
    .language_version:
      - 2
      - 0
    .max_flat_workgroup_size: 64
    .name:           _ZN7rocprim17ROCPRIM_400000_NS6detail17trampoline_kernelINS0_14default_configENS1_35adjacent_difference_config_selectorILb0EtEEZNS1_24adjacent_difference_implIS3_Lb0ELb0EPtS7_N6thrust23THRUST_200600_302600_NS4plusItEEEE10hipError_tPvRmT2_T3_mT4_P12ihipStream_tbEUlT_E_NS1_11comp_targetILNS1_3genE4ELNS1_11target_archE910ELNS1_3gpuE8ELNS1_3repE0EEENS1_30default_config_static_selectorELNS0_4arch9wavefront6targetE1EEEvT1_
    .private_segment_fixed_size: 0
    .sgpr_count:     4
    .sgpr_spill_count: 0
    .symbol:         _ZN7rocprim17ROCPRIM_400000_NS6detail17trampoline_kernelINS0_14default_configENS1_35adjacent_difference_config_selectorILb0EtEEZNS1_24adjacent_difference_implIS3_Lb0ELb0EPtS7_N6thrust23THRUST_200600_302600_NS4plusItEEEE10hipError_tPvRmT2_T3_mT4_P12ihipStream_tbEUlT_E_NS1_11comp_targetILNS1_3genE4ELNS1_11target_archE910ELNS1_3gpuE8ELNS1_3repE0EEENS1_30default_config_static_selectorELNS0_4arch9wavefront6targetE1EEEvT1_.kd
    .uniform_work_group_size: 1
    .uses_dynamic_stack: false
    .vgpr_count:     0
    .vgpr_spill_count: 0
    .wavefront_size: 64
  - .args:
      - .offset:         0
        .size:           56
        .value_kind:     by_value
    .group_segment_fixed_size: 0
    .kernarg_segment_align: 8
    .kernarg_segment_size: 56
    .language:       OpenCL C
    .language_version:
      - 2
      - 0
    .max_flat_workgroup_size: 64
    .name:           _ZN7rocprim17ROCPRIM_400000_NS6detail17trampoline_kernelINS0_14default_configENS1_35adjacent_difference_config_selectorILb0EtEEZNS1_24adjacent_difference_implIS3_Lb0ELb0EPtS7_N6thrust23THRUST_200600_302600_NS4plusItEEEE10hipError_tPvRmT2_T3_mT4_P12ihipStream_tbEUlT_E_NS1_11comp_targetILNS1_3genE3ELNS1_11target_archE908ELNS1_3gpuE7ELNS1_3repE0EEENS1_30default_config_static_selectorELNS0_4arch9wavefront6targetE1EEEvT1_
    .private_segment_fixed_size: 0
    .sgpr_count:     4
    .sgpr_spill_count: 0
    .symbol:         _ZN7rocprim17ROCPRIM_400000_NS6detail17trampoline_kernelINS0_14default_configENS1_35adjacent_difference_config_selectorILb0EtEEZNS1_24adjacent_difference_implIS3_Lb0ELb0EPtS7_N6thrust23THRUST_200600_302600_NS4plusItEEEE10hipError_tPvRmT2_T3_mT4_P12ihipStream_tbEUlT_E_NS1_11comp_targetILNS1_3genE3ELNS1_11target_archE908ELNS1_3gpuE7ELNS1_3repE0EEENS1_30default_config_static_selectorELNS0_4arch9wavefront6targetE1EEEvT1_.kd
    .uniform_work_group_size: 1
    .uses_dynamic_stack: false
    .vgpr_count:     0
    .vgpr_spill_count: 0
    .wavefront_size: 64
  - .args:
      - .offset:         0
        .size:           56
        .value_kind:     by_value
    .group_segment_fixed_size: 896
    .kernarg_segment_align: 8
    .kernarg_segment_size: 56
    .language:       OpenCL C
    .language_version:
      - 2
      - 0
    .max_flat_workgroup_size: 64
    .name:           _ZN7rocprim17ROCPRIM_400000_NS6detail17trampoline_kernelINS0_14default_configENS1_35adjacent_difference_config_selectorILb0EtEEZNS1_24adjacent_difference_implIS3_Lb0ELb0EPtS7_N6thrust23THRUST_200600_302600_NS4plusItEEEE10hipError_tPvRmT2_T3_mT4_P12ihipStream_tbEUlT_E_NS1_11comp_targetILNS1_3genE2ELNS1_11target_archE906ELNS1_3gpuE6ELNS1_3repE0EEENS1_30default_config_static_selectorELNS0_4arch9wavefront6targetE1EEEvT1_
    .private_segment_fixed_size: 0
    .sgpr_count:     27
    .sgpr_spill_count: 0
    .symbol:         _ZN7rocprim17ROCPRIM_400000_NS6detail17trampoline_kernelINS0_14default_configENS1_35adjacent_difference_config_selectorILb0EtEEZNS1_24adjacent_difference_implIS3_Lb0ELb0EPtS7_N6thrust23THRUST_200600_302600_NS4plusItEEEE10hipError_tPvRmT2_T3_mT4_P12ihipStream_tbEUlT_E_NS1_11comp_targetILNS1_3genE2ELNS1_11target_archE906ELNS1_3gpuE6ELNS1_3repE0EEENS1_30default_config_static_selectorELNS0_4arch9wavefront6targetE1EEEvT1_.kd
    .uniform_work_group_size: 1
    .uses_dynamic_stack: false
    .vgpr_count:     18
    .vgpr_spill_count: 0
    .wavefront_size: 64
  - .args:
      - .offset:         0
        .size:           56
        .value_kind:     by_value
    .group_segment_fixed_size: 0
    .kernarg_segment_align: 8
    .kernarg_segment_size: 56
    .language:       OpenCL C
    .language_version:
      - 2
      - 0
    .max_flat_workgroup_size: 64
    .name:           _ZN7rocprim17ROCPRIM_400000_NS6detail17trampoline_kernelINS0_14default_configENS1_35adjacent_difference_config_selectorILb0EtEEZNS1_24adjacent_difference_implIS3_Lb0ELb0EPtS7_N6thrust23THRUST_200600_302600_NS4plusItEEEE10hipError_tPvRmT2_T3_mT4_P12ihipStream_tbEUlT_E_NS1_11comp_targetILNS1_3genE9ELNS1_11target_archE1100ELNS1_3gpuE3ELNS1_3repE0EEENS1_30default_config_static_selectorELNS0_4arch9wavefront6targetE1EEEvT1_
    .private_segment_fixed_size: 0
    .sgpr_count:     4
    .sgpr_spill_count: 0
    .symbol:         _ZN7rocprim17ROCPRIM_400000_NS6detail17trampoline_kernelINS0_14default_configENS1_35adjacent_difference_config_selectorILb0EtEEZNS1_24adjacent_difference_implIS3_Lb0ELb0EPtS7_N6thrust23THRUST_200600_302600_NS4plusItEEEE10hipError_tPvRmT2_T3_mT4_P12ihipStream_tbEUlT_E_NS1_11comp_targetILNS1_3genE9ELNS1_11target_archE1100ELNS1_3gpuE3ELNS1_3repE0EEENS1_30default_config_static_selectorELNS0_4arch9wavefront6targetE1EEEvT1_.kd
    .uniform_work_group_size: 1
    .uses_dynamic_stack: false
    .vgpr_count:     0
    .vgpr_spill_count: 0
    .wavefront_size: 64
  - .args:
      - .offset:         0
        .size:           56
        .value_kind:     by_value
    .group_segment_fixed_size: 0
    .kernarg_segment_align: 8
    .kernarg_segment_size: 56
    .language:       OpenCL C
    .language_version:
      - 2
      - 0
    .max_flat_workgroup_size: 1024
    .name:           _ZN7rocprim17ROCPRIM_400000_NS6detail17trampoline_kernelINS0_14default_configENS1_35adjacent_difference_config_selectorILb0EtEEZNS1_24adjacent_difference_implIS3_Lb0ELb0EPtS7_N6thrust23THRUST_200600_302600_NS4plusItEEEE10hipError_tPvRmT2_T3_mT4_P12ihipStream_tbEUlT_E_NS1_11comp_targetILNS1_3genE8ELNS1_11target_archE1030ELNS1_3gpuE2ELNS1_3repE0EEENS1_30default_config_static_selectorELNS0_4arch9wavefront6targetE1EEEvT1_
    .private_segment_fixed_size: 0
    .sgpr_count:     4
    .sgpr_spill_count: 0
    .symbol:         _ZN7rocprim17ROCPRIM_400000_NS6detail17trampoline_kernelINS0_14default_configENS1_35adjacent_difference_config_selectorILb0EtEEZNS1_24adjacent_difference_implIS3_Lb0ELb0EPtS7_N6thrust23THRUST_200600_302600_NS4plusItEEEE10hipError_tPvRmT2_T3_mT4_P12ihipStream_tbEUlT_E_NS1_11comp_targetILNS1_3genE8ELNS1_11target_archE1030ELNS1_3gpuE2ELNS1_3repE0EEENS1_30default_config_static_selectorELNS0_4arch9wavefront6targetE1EEEvT1_.kd
    .uniform_work_group_size: 1
    .uses_dynamic_stack: false
    .vgpr_count:     0
    .vgpr_spill_count: 0
    .wavefront_size: 64
  - .args:
      - .offset:         0
        .size:           56
        .value_kind:     by_value
    .group_segment_fixed_size: 0
    .kernarg_segment_align: 8
    .kernarg_segment_size: 56
    .language:       OpenCL C
    .language_version:
      - 2
      - 0
    .max_flat_workgroup_size: 128
    .name:           _ZN7rocprim17ROCPRIM_400000_NS6detail17trampoline_kernelINS0_14default_configENS1_25transform_config_selectorItLb0EEEZNS1_14transform_implILb0ES3_S5_NS0_18transform_iteratorINS0_17counting_iteratorImlEEZNS1_24adjacent_difference_implIS3_Lb1ELb0EPtSB_N6thrust23THRUST_200600_302600_NS4plusItEEEE10hipError_tPvRmT2_T3_mT4_P12ihipStream_tbEUlmE_tEESB_NS0_8identityIvEEEESG_SJ_SK_mSL_SN_bEUlT_E_NS1_11comp_targetILNS1_3genE0ELNS1_11target_archE4294967295ELNS1_3gpuE0ELNS1_3repE0EEENS1_30default_config_static_selectorELNS0_4arch9wavefront6targetE1EEEvT1_
    .private_segment_fixed_size: 0
    .sgpr_count:     4
    .sgpr_spill_count: 0
    .symbol:         _ZN7rocprim17ROCPRIM_400000_NS6detail17trampoline_kernelINS0_14default_configENS1_25transform_config_selectorItLb0EEEZNS1_14transform_implILb0ES3_S5_NS0_18transform_iteratorINS0_17counting_iteratorImlEEZNS1_24adjacent_difference_implIS3_Lb1ELb0EPtSB_N6thrust23THRUST_200600_302600_NS4plusItEEEE10hipError_tPvRmT2_T3_mT4_P12ihipStream_tbEUlmE_tEESB_NS0_8identityIvEEEESG_SJ_SK_mSL_SN_bEUlT_E_NS1_11comp_targetILNS1_3genE0ELNS1_11target_archE4294967295ELNS1_3gpuE0ELNS1_3repE0EEENS1_30default_config_static_selectorELNS0_4arch9wavefront6targetE1EEEvT1_.kd
    .uniform_work_group_size: 1
    .uses_dynamic_stack: false
    .vgpr_count:     0
    .vgpr_spill_count: 0
    .wavefront_size: 64
  - .args:
      - .offset:         0
        .size:           56
        .value_kind:     by_value
    .group_segment_fixed_size: 0
    .kernarg_segment_align: 8
    .kernarg_segment_size: 56
    .language:       OpenCL C
    .language_version:
      - 2
      - 0
    .max_flat_workgroup_size: 256
    .name:           _ZN7rocprim17ROCPRIM_400000_NS6detail17trampoline_kernelINS0_14default_configENS1_25transform_config_selectorItLb0EEEZNS1_14transform_implILb0ES3_S5_NS0_18transform_iteratorINS0_17counting_iteratorImlEEZNS1_24adjacent_difference_implIS3_Lb1ELb0EPtSB_N6thrust23THRUST_200600_302600_NS4plusItEEEE10hipError_tPvRmT2_T3_mT4_P12ihipStream_tbEUlmE_tEESB_NS0_8identityIvEEEESG_SJ_SK_mSL_SN_bEUlT_E_NS1_11comp_targetILNS1_3genE5ELNS1_11target_archE942ELNS1_3gpuE9ELNS1_3repE0EEENS1_30default_config_static_selectorELNS0_4arch9wavefront6targetE1EEEvT1_
    .private_segment_fixed_size: 0
    .sgpr_count:     4
    .sgpr_spill_count: 0
    .symbol:         _ZN7rocprim17ROCPRIM_400000_NS6detail17trampoline_kernelINS0_14default_configENS1_25transform_config_selectorItLb0EEEZNS1_14transform_implILb0ES3_S5_NS0_18transform_iteratorINS0_17counting_iteratorImlEEZNS1_24adjacent_difference_implIS3_Lb1ELb0EPtSB_N6thrust23THRUST_200600_302600_NS4plusItEEEE10hipError_tPvRmT2_T3_mT4_P12ihipStream_tbEUlmE_tEESB_NS0_8identityIvEEEESG_SJ_SK_mSL_SN_bEUlT_E_NS1_11comp_targetILNS1_3genE5ELNS1_11target_archE942ELNS1_3gpuE9ELNS1_3repE0EEENS1_30default_config_static_selectorELNS0_4arch9wavefront6targetE1EEEvT1_.kd
    .uniform_work_group_size: 1
    .uses_dynamic_stack: false
    .vgpr_count:     0
    .vgpr_spill_count: 0
    .wavefront_size: 64
  - .args:
      - .offset:         0
        .size:           56
        .value_kind:     by_value
    .group_segment_fixed_size: 0
    .kernarg_segment_align: 8
    .kernarg_segment_size: 56
    .language:       OpenCL C
    .language_version:
      - 2
      - 0
    .max_flat_workgroup_size: 64
    .name:           _ZN7rocprim17ROCPRIM_400000_NS6detail17trampoline_kernelINS0_14default_configENS1_25transform_config_selectorItLb0EEEZNS1_14transform_implILb0ES3_S5_NS0_18transform_iteratorINS0_17counting_iteratorImlEEZNS1_24adjacent_difference_implIS3_Lb1ELb0EPtSB_N6thrust23THRUST_200600_302600_NS4plusItEEEE10hipError_tPvRmT2_T3_mT4_P12ihipStream_tbEUlmE_tEESB_NS0_8identityIvEEEESG_SJ_SK_mSL_SN_bEUlT_E_NS1_11comp_targetILNS1_3genE4ELNS1_11target_archE910ELNS1_3gpuE8ELNS1_3repE0EEENS1_30default_config_static_selectorELNS0_4arch9wavefront6targetE1EEEvT1_
    .private_segment_fixed_size: 0
    .sgpr_count:     4
    .sgpr_spill_count: 0
    .symbol:         _ZN7rocprim17ROCPRIM_400000_NS6detail17trampoline_kernelINS0_14default_configENS1_25transform_config_selectorItLb0EEEZNS1_14transform_implILb0ES3_S5_NS0_18transform_iteratorINS0_17counting_iteratorImlEEZNS1_24adjacent_difference_implIS3_Lb1ELb0EPtSB_N6thrust23THRUST_200600_302600_NS4plusItEEEE10hipError_tPvRmT2_T3_mT4_P12ihipStream_tbEUlmE_tEESB_NS0_8identityIvEEEESG_SJ_SK_mSL_SN_bEUlT_E_NS1_11comp_targetILNS1_3genE4ELNS1_11target_archE910ELNS1_3gpuE8ELNS1_3repE0EEENS1_30default_config_static_selectorELNS0_4arch9wavefront6targetE1EEEvT1_.kd
    .uniform_work_group_size: 1
    .uses_dynamic_stack: false
    .vgpr_count:     0
    .vgpr_spill_count: 0
    .wavefront_size: 64
  - .args:
      - .offset:         0
        .size:           56
        .value_kind:     by_value
    .group_segment_fixed_size: 0
    .kernarg_segment_align: 8
    .kernarg_segment_size: 56
    .language:       OpenCL C
    .language_version:
      - 2
      - 0
    .max_flat_workgroup_size: 128
    .name:           _ZN7rocprim17ROCPRIM_400000_NS6detail17trampoline_kernelINS0_14default_configENS1_25transform_config_selectorItLb0EEEZNS1_14transform_implILb0ES3_S5_NS0_18transform_iteratorINS0_17counting_iteratorImlEEZNS1_24adjacent_difference_implIS3_Lb1ELb0EPtSB_N6thrust23THRUST_200600_302600_NS4plusItEEEE10hipError_tPvRmT2_T3_mT4_P12ihipStream_tbEUlmE_tEESB_NS0_8identityIvEEEESG_SJ_SK_mSL_SN_bEUlT_E_NS1_11comp_targetILNS1_3genE3ELNS1_11target_archE908ELNS1_3gpuE7ELNS1_3repE0EEENS1_30default_config_static_selectorELNS0_4arch9wavefront6targetE1EEEvT1_
    .private_segment_fixed_size: 0
    .sgpr_count:     4
    .sgpr_spill_count: 0
    .symbol:         _ZN7rocprim17ROCPRIM_400000_NS6detail17trampoline_kernelINS0_14default_configENS1_25transform_config_selectorItLb0EEEZNS1_14transform_implILb0ES3_S5_NS0_18transform_iteratorINS0_17counting_iteratorImlEEZNS1_24adjacent_difference_implIS3_Lb1ELb0EPtSB_N6thrust23THRUST_200600_302600_NS4plusItEEEE10hipError_tPvRmT2_T3_mT4_P12ihipStream_tbEUlmE_tEESB_NS0_8identityIvEEEESG_SJ_SK_mSL_SN_bEUlT_E_NS1_11comp_targetILNS1_3genE3ELNS1_11target_archE908ELNS1_3gpuE7ELNS1_3repE0EEENS1_30default_config_static_selectorELNS0_4arch9wavefront6targetE1EEEvT1_.kd
    .uniform_work_group_size: 1
    .uses_dynamic_stack: false
    .vgpr_count:     0
    .vgpr_spill_count: 0
    .wavefront_size: 64
  - .args:
      - .offset:         0
        .size:           56
        .value_kind:     by_value
      - .offset:         56
        .size:           4
        .value_kind:     hidden_block_count_x
      - .offset:         60
        .size:           4
        .value_kind:     hidden_block_count_y
      - .offset:         64
        .size:           4
        .value_kind:     hidden_block_count_z
      - .offset:         68
        .size:           2
        .value_kind:     hidden_group_size_x
      - .offset:         70
        .size:           2
        .value_kind:     hidden_group_size_y
      - .offset:         72
        .size:           2
        .value_kind:     hidden_group_size_z
      - .offset:         74
        .size:           2
        .value_kind:     hidden_remainder_x
      - .offset:         76
        .size:           2
        .value_kind:     hidden_remainder_y
      - .offset:         78
        .size:           2
        .value_kind:     hidden_remainder_z
      - .offset:         96
        .size:           8
        .value_kind:     hidden_global_offset_x
      - .offset:         104
        .size:           8
        .value_kind:     hidden_global_offset_y
      - .offset:         112
        .size:           8
        .value_kind:     hidden_global_offset_z
      - .offset:         120
        .size:           2
        .value_kind:     hidden_grid_dims
    .group_segment_fixed_size: 0
    .kernarg_segment_align: 8
    .kernarg_segment_size: 312
    .language:       OpenCL C
    .language_version:
      - 2
      - 0
    .max_flat_workgroup_size: 512
    .name:           _ZN7rocprim17ROCPRIM_400000_NS6detail17trampoline_kernelINS0_14default_configENS1_25transform_config_selectorItLb0EEEZNS1_14transform_implILb0ES3_S5_NS0_18transform_iteratorINS0_17counting_iteratorImlEEZNS1_24adjacent_difference_implIS3_Lb1ELb0EPtSB_N6thrust23THRUST_200600_302600_NS4plusItEEEE10hipError_tPvRmT2_T3_mT4_P12ihipStream_tbEUlmE_tEESB_NS0_8identityIvEEEESG_SJ_SK_mSL_SN_bEUlT_E_NS1_11comp_targetILNS1_3genE2ELNS1_11target_archE906ELNS1_3gpuE6ELNS1_3repE0EEENS1_30default_config_static_selectorELNS0_4arch9wavefront6targetE1EEEvT1_
    .private_segment_fixed_size: 0
    .sgpr_count:     26
    .sgpr_spill_count: 0
    .symbol:         _ZN7rocprim17ROCPRIM_400000_NS6detail17trampoline_kernelINS0_14default_configENS1_25transform_config_selectorItLb0EEEZNS1_14transform_implILb0ES3_S5_NS0_18transform_iteratorINS0_17counting_iteratorImlEEZNS1_24adjacent_difference_implIS3_Lb1ELb0EPtSB_N6thrust23THRUST_200600_302600_NS4plusItEEEE10hipError_tPvRmT2_T3_mT4_P12ihipStream_tbEUlmE_tEESB_NS0_8identityIvEEEESG_SJ_SK_mSL_SN_bEUlT_E_NS1_11comp_targetILNS1_3genE2ELNS1_11target_archE906ELNS1_3gpuE6ELNS1_3repE0EEENS1_30default_config_static_selectorELNS0_4arch9wavefront6targetE1EEEvT1_.kd
    .uniform_work_group_size: 1
    .uses_dynamic_stack: false
    .vgpr_count:     12
    .vgpr_spill_count: 0
    .wavefront_size: 64
  - .args:
      - .offset:         0
        .size:           56
        .value_kind:     by_value
    .group_segment_fixed_size: 0
    .kernarg_segment_align: 8
    .kernarg_segment_size: 56
    .language:       OpenCL C
    .language_version:
      - 2
      - 0
    .max_flat_workgroup_size: 1024
    .name:           _ZN7rocprim17ROCPRIM_400000_NS6detail17trampoline_kernelINS0_14default_configENS1_25transform_config_selectorItLb0EEEZNS1_14transform_implILb0ES3_S5_NS0_18transform_iteratorINS0_17counting_iteratorImlEEZNS1_24adjacent_difference_implIS3_Lb1ELb0EPtSB_N6thrust23THRUST_200600_302600_NS4plusItEEEE10hipError_tPvRmT2_T3_mT4_P12ihipStream_tbEUlmE_tEESB_NS0_8identityIvEEEESG_SJ_SK_mSL_SN_bEUlT_E_NS1_11comp_targetILNS1_3genE10ELNS1_11target_archE1201ELNS1_3gpuE5ELNS1_3repE0EEENS1_30default_config_static_selectorELNS0_4arch9wavefront6targetE1EEEvT1_
    .private_segment_fixed_size: 0
    .sgpr_count:     4
    .sgpr_spill_count: 0
    .symbol:         _ZN7rocprim17ROCPRIM_400000_NS6detail17trampoline_kernelINS0_14default_configENS1_25transform_config_selectorItLb0EEEZNS1_14transform_implILb0ES3_S5_NS0_18transform_iteratorINS0_17counting_iteratorImlEEZNS1_24adjacent_difference_implIS3_Lb1ELb0EPtSB_N6thrust23THRUST_200600_302600_NS4plusItEEEE10hipError_tPvRmT2_T3_mT4_P12ihipStream_tbEUlmE_tEESB_NS0_8identityIvEEEESG_SJ_SK_mSL_SN_bEUlT_E_NS1_11comp_targetILNS1_3genE10ELNS1_11target_archE1201ELNS1_3gpuE5ELNS1_3repE0EEENS1_30default_config_static_selectorELNS0_4arch9wavefront6targetE1EEEvT1_.kd
    .uniform_work_group_size: 1
    .uses_dynamic_stack: false
    .vgpr_count:     0
    .vgpr_spill_count: 0
    .wavefront_size: 64
  - .args:
      - .offset:         0
        .size:           56
        .value_kind:     by_value
    .group_segment_fixed_size: 0
    .kernarg_segment_align: 8
    .kernarg_segment_size: 56
    .language:       OpenCL C
    .language_version:
      - 2
      - 0
    .max_flat_workgroup_size: 512
    .name:           _ZN7rocprim17ROCPRIM_400000_NS6detail17trampoline_kernelINS0_14default_configENS1_25transform_config_selectorItLb0EEEZNS1_14transform_implILb0ES3_S5_NS0_18transform_iteratorINS0_17counting_iteratorImlEEZNS1_24adjacent_difference_implIS3_Lb1ELb0EPtSB_N6thrust23THRUST_200600_302600_NS4plusItEEEE10hipError_tPvRmT2_T3_mT4_P12ihipStream_tbEUlmE_tEESB_NS0_8identityIvEEEESG_SJ_SK_mSL_SN_bEUlT_E_NS1_11comp_targetILNS1_3genE10ELNS1_11target_archE1200ELNS1_3gpuE4ELNS1_3repE0EEENS1_30default_config_static_selectorELNS0_4arch9wavefront6targetE1EEEvT1_
    .private_segment_fixed_size: 0
    .sgpr_count:     4
    .sgpr_spill_count: 0
    .symbol:         _ZN7rocprim17ROCPRIM_400000_NS6detail17trampoline_kernelINS0_14default_configENS1_25transform_config_selectorItLb0EEEZNS1_14transform_implILb0ES3_S5_NS0_18transform_iteratorINS0_17counting_iteratorImlEEZNS1_24adjacent_difference_implIS3_Lb1ELb0EPtSB_N6thrust23THRUST_200600_302600_NS4plusItEEEE10hipError_tPvRmT2_T3_mT4_P12ihipStream_tbEUlmE_tEESB_NS0_8identityIvEEEESG_SJ_SK_mSL_SN_bEUlT_E_NS1_11comp_targetILNS1_3genE10ELNS1_11target_archE1200ELNS1_3gpuE4ELNS1_3repE0EEENS1_30default_config_static_selectorELNS0_4arch9wavefront6targetE1EEEvT1_.kd
    .uniform_work_group_size: 1
    .uses_dynamic_stack: false
    .vgpr_count:     0
    .vgpr_spill_count: 0
    .wavefront_size: 64
  - .args:
      - .offset:         0
        .size:           56
        .value_kind:     by_value
    .group_segment_fixed_size: 0
    .kernarg_segment_align: 8
    .kernarg_segment_size: 56
    .language:       OpenCL C
    .language_version:
      - 2
      - 0
    .max_flat_workgroup_size: 1024
    .name:           _ZN7rocprim17ROCPRIM_400000_NS6detail17trampoline_kernelINS0_14default_configENS1_25transform_config_selectorItLb0EEEZNS1_14transform_implILb0ES3_S5_NS0_18transform_iteratorINS0_17counting_iteratorImlEEZNS1_24adjacent_difference_implIS3_Lb1ELb0EPtSB_N6thrust23THRUST_200600_302600_NS4plusItEEEE10hipError_tPvRmT2_T3_mT4_P12ihipStream_tbEUlmE_tEESB_NS0_8identityIvEEEESG_SJ_SK_mSL_SN_bEUlT_E_NS1_11comp_targetILNS1_3genE9ELNS1_11target_archE1100ELNS1_3gpuE3ELNS1_3repE0EEENS1_30default_config_static_selectorELNS0_4arch9wavefront6targetE1EEEvT1_
    .private_segment_fixed_size: 0
    .sgpr_count:     4
    .sgpr_spill_count: 0
    .symbol:         _ZN7rocprim17ROCPRIM_400000_NS6detail17trampoline_kernelINS0_14default_configENS1_25transform_config_selectorItLb0EEEZNS1_14transform_implILb0ES3_S5_NS0_18transform_iteratorINS0_17counting_iteratorImlEEZNS1_24adjacent_difference_implIS3_Lb1ELb0EPtSB_N6thrust23THRUST_200600_302600_NS4plusItEEEE10hipError_tPvRmT2_T3_mT4_P12ihipStream_tbEUlmE_tEESB_NS0_8identityIvEEEESG_SJ_SK_mSL_SN_bEUlT_E_NS1_11comp_targetILNS1_3genE9ELNS1_11target_archE1100ELNS1_3gpuE3ELNS1_3repE0EEENS1_30default_config_static_selectorELNS0_4arch9wavefront6targetE1EEEvT1_.kd
    .uniform_work_group_size: 1
    .uses_dynamic_stack: false
    .vgpr_count:     0
    .vgpr_spill_count: 0
    .wavefront_size: 64
  - .args:
      - .offset:         0
        .size:           56
        .value_kind:     by_value
    .group_segment_fixed_size: 0
    .kernarg_segment_align: 8
    .kernarg_segment_size: 56
    .language:       OpenCL C
    .language_version:
      - 2
      - 0
    .max_flat_workgroup_size: 1024
    .name:           _ZN7rocprim17ROCPRIM_400000_NS6detail17trampoline_kernelINS0_14default_configENS1_25transform_config_selectorItLb0EEEZNS1_14transform_implILb0ES3_S5_NS0_18transform_iteratorINS0_17counting_iteratorImlEEZNS1_24adjacent_difference_implIS3_Lb1ELb0EPtSB_N6thrust23THRUST_200600_302600_NS4plusItEEEE10hipError_tPvRmT2_T3_mT4_P12ihipStream_tbEUlmE_tEESB_NS0_8identityIvEEEESG_SJ_SK_mSL_SN_bEUlT_E_NS1_11comp_targetILNS1_3genE8ELNS1_11target_archE1030ELNS1_3gpuE2ELNS1_3repE0EEENS1_30default_config_static_selectorELNS0_4arch9wavefront6targetE1EEEvT1_
    .private_segment_fixed_size: 0
    .sgpr_count:     4
    .sgpr_spill_count: 0
    .symbol:         _ZN7rocprim17ROCPRIM_400000_NS6detail17trampoline_kernelINS0_14default_configENS1_25transform_config_selectorItLb0EEEZNS1_14transform_implILb0ES3_S5_NS0_18transform_iteratorINS0_17counting_iteratorImlEEZNS1_24adjacent_difference_implIS3_Lb1ELb0EPtSB_N6thrust23THRUST_200600_302600_NS4plusItEEEE10hipError_tPvRmT2_T3_mT4_P12ihipStream_tbEUlmE_tEESB_NS0_8identityIvEEEESG_SJ_SK_mSL_SN_bEUlT_E_NS1_11comp_targetILNS1_3genE8ELNS1_11target_archE1030ELNS1_3gpuE2ELNS1_3repE0EEENS1_30default_config_static_selectorELNS0_4arch9wavefront6targetE1EEEvT1_.kd
    .uniform_work_group_size: 1
    .uses_dynamic_stack: false
    .vgpr_count:     0
    .vgpr_spill_count: 0
    .wavefront_size: 64
  - .args:
      - .offset:         0
        .size:           56
        .value_kind:     by_value
    .group_segment_fixed_size: 0
    .kernarg_segment_align: 8
    .kernarg_segment_size: 56
    .language:       OpenCL C
    .language_version:
      - 2
      - 0
    .max_flat_workgroup_size: 32
    .name:           _ZN7rocprim17ROCPRIM_400000_NS6detail17trampoline_kernelINS0_14default_configENS1_35adjacent_difference_config_selectorILb1EtEEZNS1_24adjacent_difference_implIS3_Lb1ELb0EPtS7_N6thrust23THRUST_200600_302600_NS4plusItEEEE10hipError_tPvRmT2_T3_mT4_P12ihipStream_tbEUlT_E_NS1_11comp_targetILNS1_3genE0ELNS1_11target_archE4294967295ELNS1_3gpuE0ELNS1_3repE0EEENS1_30default_config_static_selectorELNS0_4arch9wavefront6targetE1EEEvT1_
    .private_segment_fixed_size: 0
    .sgpr_count:     4
    .sgpr_spill_count: 0
    .symbol:         _ZN7rocprim17ROCPRIM_400000_NS6detail17trampoline_kernelINS0_14default_configENS1_35adjacent_difference_config_selectorILb1EtEEZNS1_24adjacent_difference_implIS3_Lb1ELb0EPtS7_N6thrust23THRUST_200600_302600_NS4plusItEEEE10hipError_tPvRmT2_T3_mT4_P12ihipStream_tbEUlT_E_NS1_11comp_targetILNS1_3genE0ELNS1_11target_archE4294967295ELNS1_3gpuE0ELNS1_3repE0EEENS1_30default_config_static_selectorELNS0_4arch9wavefront6targetE1EEEvT1_.kd
    .uniform_work_group_size: 1
    .uses_dynamic_stack: false
    .vgpr_count:     0
    .vgpr_spill_count: 0
    .wavefront_size: 64
  - .args:
      - .offset:         0
        .size:           56
        .value_kind:     by_value
    .group_segment_fixed_size: 0
    .kernarg_segment_align: 8
    .kernarg_segment_size: 56
    .language:       OpenCL C
    .language_version:
      - 2
      - 0
    .max_flat_workgroup_size: 512
    .name:           _ZN7rocprim17ROCPRIM_400000_NS6detail17trampoline_kernelINS0_14default_configENS1_35adjacent_difference_config_selectorILb1EtEEZNS1_24adjacent_difference_implIS3_Lb1ELb0EPtS7_N6thrust23THRUST_200600_302600_NS4plusItEEEE10hipError_tPvRmT2_T3_mT4_P12ihipStream_tbEUlT_E_NS1_11comp_targetILNS1_3genE10ELNS1_11target_archE1201ELNS1_3gpuE5ELNS1_3repE0EEENS1_30default_config_static_selectorELNS0_4arch9wavefront6targetE1EEEvT1_
    .private_segment_fixed_size: 0
    .sgpr_count:     4
    .sgpr_spill_count: 0
    .symbol:         _ZN7rocprim17ROCPRIM_400000_NS6detail17trampoline_kernelINS0_14default_configENS1_35adjacent_difference_config_selectorILb1EtEEZNS1_24adjacent_difference_implIS3_Lb1ELb0EPtS7_N6thrust23THRUST_200600_302600_NS4plusItEEEE10hipError_tPvRmT2_T3_mT4_P12ihipStream_tbEUlT_E_NS1_11comp_targetILNS1_3genE10ELNS1_11target_archE1201ELNS1_3gpuE5ELNS1_3repE0EEENS1_30default_config_static_selectorELNS0_4arch9wavefront6targetE1EEEvT1_.kd
    .uniform_work_group_size: 1
    .uses_dynamic_stack: false
    .vgpr_count:     0
    .vgpr_spill_count: 0
    .wavefront_size: 64
  - .args:
      - .offset:         0
        .size:           56
        .value_kind:     by_value
    .group_segment_fixed_size: 0
    .kernarg_segment_align: 8
    .kernarg_segment_size: 56
    .language:       OpenCL C
    .language_version:
      - 2
      - 0
    .max_flat_workgroup_size: 64
    .name:           _ZN7rocprim17ROCPRIM_400000_NS6detail17trampoline_kernelINS0_14default_configENS1_35adjacent_difference_config_selectorILb1EtEEZNS1_24adjacent_difference_implIS3_Lb1ELb0EPtS7_N6thrust23THRUST_200600_302600_NS4plusItEEEE10hipError_tPvRmT2_T3_mT4_P12ihipStream_tbEUlT_E_NS1_11comp_targetILNS1_3genE5ELNS1_11target_archE942ELNS1_3gpuE9ELNS1_3repE0EEENS1_30default_config_static_selectorELNS0_4arch9wavefront6targetE1EEEvT1_
    .private_segment_fixed_size: 0
    .sgpr_count:     4
    .sgpr_spill_count: 0
    .symbol:         _ZN7rocprim17ROCPRIM_400000_NS6detail17trampoline_kernelINS0_14default_configENS1_35adjacent_difference_config_selectorILb1EtEEZNS1_24adjacent_difference_implIS3_Lb1ELb0EPtS7_N6thrust23THRUST_200600_302600_NS4plusItEEEE10hipError_tPvRmT2_T3_mT4_P12ihipStream_tbEUlT_E_NS1_11comp_targetILNS1_3genE5ELNS1_11target_archE942ELNS1_3gpuE9ELNS1_3repE0EEENS1_30default_config_static_selectorELNS0_4arch9wavefront6targetE1EEEvT1_.kd
    .uniform_work_group_size: 1
    .uses_dynamic_stack: false
    .vgpr_count:     0
    .vgpr_spill_count: 0
    .wavefront_size: 64
  - .args:
      - .offset:         0
        .size:           56
        .value_kind:     by_value
    .group_segment_fixed_size: 0
    .kernarg_segment_align: 8
    .kernarg_segment_size: 56
    .language:       OpenCL C
    .language_version:
      - 2
      - 0
    .max_flat_workgroup_size: 64
    .name:           _ZN7rocprim17ROCPRIM_400000_NS6detail17trampoline_kernelINS0_14default_configENS1_35adjacent_difference_config_selectorILb1EtEEZNS1_24adjacent_difference_implIS3_Lb1ELb0EPtS7_N6thrust23THRUST_200600_302600_NS4plusItEEEE10hipError_tPvRmT2_T3_mT4_P12ihipStream_tbEUlT_E_NS1_11comp_targetILNS1_3genE4ELNS1_11target_archE910ELNS1_3gpuE8ELNS1_3repE0EEENS1_30default_config_static_selectorELNS0_4arch9wavefront6targetE1EEEvT1_
    .private_segment_fixed_size: 0
    .sgpr_count:     4
    .sgpr_spill_count: 0
    .symbol:         _ZN7rocprim17ROCPRIM_400000_NS6detail17trampoline_kernelINS0_14default_configENS1_35adjacent_difference_config_selectorILb1EtEEZNS1_24adjacent_difference_implIS3_Lb1ELb0EPtS7_N6thrust23THRUST_200600_302600_NS4plusItEEEE10hipError_tPvRmT2_T3_mT4_P12ihipStream_tbEUlT_E_NS1_11comp_targetILNS1_3genE4ELNS1_11target_archE910ELNS1_3gpuE8ELNS1_3repE0EEENS1_30default_config_static_selectorELNS0_4arch9wavefront6targetE1EEEvT1_.kd
    .uniform_work_group_size: 1
    .uses_dynamic_stack: false
    .vgpr_count:     0
    .vgpr_spill_count: 0
    .wavefront_size: 64
  - .args:
      - .offset:         0
        .size:           56
        .value_kind:     by_value
    .group_segment_fixed_size: 0
    .kernarg_segment_align: 8
    .kernarg_segment_size: 56
    .language:       OpenCL C
    .language_version:
      - 2
      - 0
    .max_flat_workgroup_size: 32
    .name:           _ZN7rocprim17ROCPRIM_400000_NS6detail17trampoline_kernelINS0_14default_configENS1_35adjacent_difference_config_selectorILb1EtEEZNS1_24adjacent_difference_implIS3_Lb1ELb0EPtS7_N6thrust23THRUST_200600_302600_NS4plusItEEEE10hipError_tPvRmT2_T3_mT4_P12ihipStream_tbEUlT_E_NS1_11comp_targetILNS1_3genE3ELNS1_11target_archE908ELNS1_3gpuE7ELNS1_3repE0EEENS1_30default_config_static_selectorELNS0_4arch9wavefront6targetE1EEEvT1_
    .private_segment_fixed_size: 0
    .sgpr_count:     4
    .sgpr_spill_count: 0
    .symbol:         _ZN7rocprim17ROCPRIM_400000_NS6detail17trampoline_kernelINS0_14default_configENS1_35adjacent_difference_config_selectorILb1EtEEZNS1_24adjacent_difference_implIS3_Lb1ELb0EPtS7_N6thrust23THRUST_200600_302600_NS4plusItEEEE10hipError_tPvRmT2_T3_mT4_P12ihipStream_tbEUlT_E_NS1_11comp_targetILNS1_3genE3ELNS1_11target_archE908ELNS1_3gpuE7ELNS1_3repE0EEENS1_30default_config_static_selectorELNS0_4arch9wavefront6targetE1EEEvT1_.kd
    .uniform_work_group_size: 1
    .uses_dynamic_stack: false
    .vgpr_count:     0
    .vgpr_spill_count: 0
    .wavefront_size: 64
  - .args:
      - .offset:         0
        .size:           56
        .value_kind:     by_value
    .group_segment_fixed_size: 2176
    .kernarg_segment_align: 8
    .kernarg_segment_size: 56
    .language:       OpenCL C
    .language_version:
      - 2
      - 0
    .max_flat_workgroup_size: 64
    .name:           _ZN7rocprim17ROCPRIM_400000_NS6detail17trampoline_kernelINS0_14default_configENS1_35adjacent_difference_config_selectorILb1EtEEZNS1_24adjacent_difference_implIS3_Lb1ELb0EPtS7_N6thrust23THRUST_200600_302600_NS4plusItEEEE10hipError_tPvRmT2_T3_mT4_P12ihipStream_tbEUlT_E_NS1_11comp_targetILNS1_3genE2ELNS1_11target_archE906ELNS1_3gpuE6ELNS1_3repE0EEENS1_30default_config_static_selectorELNS0_4arch9wavefront6targetE1EEEvT1_
    .private_segment_fixed_size: 0
    .sgpr_count:     33
    .sgpr_spill_count: 0
    .symbol:         _ZN7rocprim17ROCPRIM_400000_NS6detail17trampoline_kernelINS0_14default_configENS1_35adjacent_difference_config_selectorILb1EtEEZNS1_24adjacent_difference_implIS3_Lb1ELb0EPtS7_N6thrust23THRUST_200600_302600_NS4plusItEEEE10hipError_tPvRmT2_T3_mT4_P12ihipStream_tbEUlT_E_NS1_11comp_targetILNS1_3genE2ELNS1_11target_archE906ELNS1_3gpuE6ELNS1_3repE0EEENS1_30default_config_static_selectorELNS0_4arch9wavefront6targetE1EEEvT1_.kd
    .uniform_work_group_size: 1
    .uses_dynamic_stack: false
    .vgpr_count:     33
    .vgpr_spill_count: 0
    .wavefront_size: 64
  - .args:
      - .offset:         0
        .size:           56
        .value_kind:     by_value
    .group_segment_fixed_size: 0
    .kernarg_segment_align: 8
    .kernarg_segment_size: 56
    .language:       OpenCL C
    .language_version:
      - 2
      - 0
    .max_flat_workgroup_size: 128
    .name:           _ZN7rocprim17ROCPRIM_400000_NS6detail17trampoline_kernelINS0_14default_configENS1_35adjacent_difference_config_selectorILb1EtEEZNS1_24adjacent_difference_implIS3_Lb1ELb0EPtS7_N6thrust23THRUST_200600_302600_NS4plusItEEEE10hipError_tPvRmT2_T3_mT4_P12ihipStream_tbEUlT_E_NS1_11comp_targetILNS1_3genE9ELNS1_11target_archE1100ELNS1_3gpuE3ELNS1_3repE0EEENS1_30default_config_static_selectorELNS0_4arch9wavefront6targetE1EEEvT1_
    .private_segment_fixed_size: 0
    .sgpr_count:     4
    .sgpr_spill_count: 0
    .symbol:         _ZN7rocprim17ROCPRIM_400000_NS6detail17trampoline_kernelINS0_14default_configENS1_35adjacent_difference_config_selectorILb1EtEEZNS1_24adjacent_difference_implIS3_Lb1ELb0EPtS7_N6thrust23THRUST_200600_302600_NS4plusItEEEE10hipError_tPvRmT2_T3_mT4_P12ihipStream_tbEUlT_E_NS1_11comp_targetILNS1_3genE9ELNS1_11target_archE1100ELNS1_3gpuE3ELNS1_3repE0EEENS1_30default_config_static_selectorELNS0_4arch9wavefront6targetE1EEEvT1_.kd
    .uniform_work_group_size: 1
    .uses_dynamic_stack: false
    .vgpr_count:     0
    .vgpr_spill_count: 0
    .wavefront_size: 64
  - .args:
      - .offset:         0
        .size:           56
        .value_kind:     by_value
    .group_segment_fixed_size: 0
    .kernarg_segment_align: 8
    .kernarg_segment_size: 56
    .language:       OpenCL C
    .language_version:
      - 2
      - 0
    .max_flat_workgroup_size: 512
    .name:           _ZN7rocprim17ROCPRIM_400000_NS6detail17trampoline_kernelINS0_14default_configENS1_35adjacent_difference_config_selectorILb1EtEEZNS1_24adjacent_difference_implIS3_Lb1ELb0EPtS7_N6thrust23THRUST_200600_302600_NS4plusItEEEE10hipError_tPvRmT2_T3_mT4_P12ihipStream_tbEUlT_E_NS1_11comp_targetILNS1_3genE8ELNS1_11target_archE1030ELNS1_3gpuE2ELNS1_3repE0EEENS1_30default_config_static_selectorELNS0_4arch9wavefront6targetE1EEEvT1_
    .private_segment_fixed_size: 0
    .sgpr_count:     4
    .sgpr_spill_count: 0
    .symbol:         _ZN7rocprim17ROCPRIM_400000_NS6detail17trampoline_kernelINS0_14default_configENS1_35adjacent_difference_config_selectorILb1EtEEZNS1_24adjacent_difference_implIS3_Lb1ELb0EPtS7_N6thrust23THRUST_200600_302600_NS4plusItEEEE10hipError_tPvRmT2_T3_mT4_P12ihipStream_tbEUlT_E_NS1_11comp_targetILNS1_3genE8ELNS1_11target_archE1030ELNS1_3gpuE2ELNS1_3repE0EEENS1_30default_config_static_selectorELNS0_4arch9wavefront6targetE1EEEvT1_.kd
    .uniform_work_group_size: 1
    .uses_dynamic_stack: false
    .vgpr_count:     0
    .vgpr_spill_count: 0
    .wavefront_size: 64
  - .args:
      - .offset:         0
        .size:           16
        .value_kind:     by_value
      - .offset:         16
        .size:           8
        .value_kind:     by_value
      - .offset:         24
        .size:           8
        .value_kind:     by_value
    .group_segment_fixed_size: 0
    .kernarg_segment_align: 8
    .kernarg_segment_size: 32
    .language:       OpenCL C
    .language_version:
      - 2
      - 0
    .max_flat_workgroup_size: 256
    .name:           _ZN6thrust23THRUST_200600_302600_NS11hip_rocprim14__parallel_for6kernelILj256ENS1_20__uninitialized_fill7functorINS0_10device_ptrIxEExEEmLj1EEEvT0_T1_SA_
    .private_segment_fixed_size: 0
    .sgpr_count:     20
    .sgpr_spill_count: 0
    .symbol:         _ZN6thrust23THRUST_200600_302600_NS11hip_rocprim14__parallel_for6kernelILj256ENS1_20__uninitialized_fill7functorINS0_10device_ptrIxEExEEmLj1EEEvT0_T1_SA_.kd
    .uniform_work_group_size: 1
    .uses_dynamic_stack: false
    .vgpr_count:     5
    .vgpr_spill_count: 0
    .wavefront_size: 64
  - .args:
      - .offset:         0
        .size:           56
        .value_kind:     by_value
    .group_segment_fixed_size: 0
    .kernarg_segment_align: 8
    .kernarg_segment_size: 56
    .language:       OpenCL C
    .language_version:
      - 2
      - 0
    .max_flat_workgroup_size: 128
    .name:           _ZN7rocprim17ROCPRIM_400000_NS6detail17trampoline_kernelINS0_14default_configENS1_35adjacent_difference_config_selectorILb0ExEEZNS1_24adjacent_difference_implIS3_Lb0ELb0EPxS7_N6thrust23THRUST_200600_302600_NS5minusIxEEEE10hipError_tPvRmT2_T3_mT4_P12ihipStream_tbEUlT_E_NS1_11comp_targetILNS1_3genE0ELNS1_11target_archE4294967295ELNS1_3gpuE0ELNS1_3repE0EEENS1_30default_config_static_selectorELNS0_4arch9wavefront6targetE1EEEvT1_
    .private_segment_fixed_size: 0
    .sgpr_count:     4
    .sgpr_spill_count: 0
    .symbol:         _ZN7rocprim17ROCPRIM_400000_NS6detail17trampoline_kernelINS0_14default_configENS1_35adjacent_difference_config_selectorILb0ExEEZNS1_24adjacent_difference_implIS3_Lb0ELb0EPxS7_N6thrust23THRUST_200600_302600_NS5minusIxEEEE10hipError_tPvRmT2_T3_mT4_P12ihipStream_tbEUlT_E_NS1_11comp_targetILNS1_3genE0ELNS1_11target_archE4294967295ELNS1_3gpuE0ELNS1_3repE0EEENS1_30default_config_static_selectorELNS0_4arch9wavefront6targetE1EEEvT1_.kd
    .uniform_work_group_size: 1
    .uses_dynamic_stack: false
    .vgpr_count:     0
    .vgpr_spill_count: 0
    .wavefront_size: 64
  - .args:
      - .offset:         0
        .size:           56
        .value_kind:     by_value
    .group_segment_fixed_size: 0
    .kernarg_segment_align: 8
    .kernarg_segment_size: 56
    .language:       OpenCL C
    .language_version:
      - 2
      - 0
    .max_flat_workgroup_size: 128
    .name:           _ZN7rocprim17ROCPRIM_400000_NS6detail17trampoline_kernelINS0_14default_configENS1_35adjacent_difference_config_selectorILb0ExEEZNS1_24adjacent_difference_implIS3_Lb0ELb0EPxS7_N6thrust23THRUST_200600_302600_NS5minusIxEEEE10hipError_tPvRmT2_T3_mT4_P12ihipStream_tbEUlT_E_NS1_11comp_targetILNS1_3genE10ELNS1_11target_archE1201ELNS1_3gpuE5ELNS1_3repE0EEENS1_30default_config_static_selectorELNS0_4arch9wavefront6targetE1EEEvT1_
    .private_segment_fixed_size: 0
    .sgpr_count:     4
    .sgpr_spill_count: 0
    .symbol:         _ZN7rocprim17ROCPRIM_400000_NS6detail17trampoline_kernelINS0_14default_configENS1_35adjacent_difference_config_selectorILb0ExEEZNS1_24adjacent_difference_implIS3_Lb0ELb0EPxS7_N6thrust23THRUST_200600_302600_NS5minusIxEEEE10hipError_tPvRmT2_T3_mT4_P12ihipStream_tbEUlT_E_NS1_11comp_targetILNS1_3genE10ELNS1_11target_archE1201ELNS1_3gpuE5ELNS1_3repE0EEENS1_30default_config_static_selectorELNS0_4arch9wavefront6targetE1EEEvT1_.kd
    .uniform_work_group_size: 1
    .uses_dynamic_stack: false
    .vgpr_count:     0
    .vgpr_spill_count: 0
    .wavefront_size: 64
  - .args:
      - .offset:         0
        .size:           56
        .value_kind:     by_value
    .group_segment_fixed_size: 0
    .kernarg_segment_align: 8
    .kernarg_segment_size: 56
    .language:       OpenCL C
    .language_version:
      - 2
      - 0
    .max_flat_workgroup_size: 64
    .name:           _ZN7rocprim17ROCPRIM_400000_NS6detail17trampoline_kernelINS0_14default_configENS1_35adjacent_difference_config_selectorILb0ExEEZNS1_24adjacent_difference_implIS3_Lb0ELb0EPxS7_N6thrust23THRUST_200600_302600_NS5minusIxEEEE10hipError_tPvRmT2_T3_mT4_P12ihipStream_tbEUlT_E_NS1_11comp_targetILNS1_3genE5ELNS1_11target_archE942ELNS1_3gpuE9ELNS1_3repE0EEENS1_30default_config_static_selectorELNS0_4arch9wavefront6targetE1EEEvT1_
    .private_segment_fixed_size: 0
    .sgpr_count:     4
    .sgpr_spill_count: 0
    .symbol:         _ZN7rocprim17ROCPRIM_400000_NS6detail17trampoline_kernelINS0_14default_configENS1_35adjacent_difference_config_selectorILb0ExEEZNS1_24adjacent_difference_implIS3_Lb0ELb0EPxS7_N6thrust23THRUST_200600_302600_NS5minusIxEEEE10hipError_tPvRmT2_T3_mT4_P12ihipStream_tbEUlT_E_NS1_11comp_targetILNS1_3genE5ELNS1_11target_archE942ELNS1_3gpuE9ELNS1_3repE0EEENS1_30default_config_static_selectorELNS0_4arch9wavefront6targetE1EEEvT1_.kd
    .uniform_work_group_size: 1
    .uses_dynamic_stack: false
    .vgpr_count:     0
    .vgpr_spill_count: 0
    .wavefront_size: 64
  - .args:
      - .offset:         0
        .size:           56
        .value_kind:     by_value
    .group_segment_fixed_size: 0
    .kernarg_segment_align: 8
    .kernarg_segment_size: 56
    .language:       OpenCL C
    .language_version:
      - 2
      - 0
    .max_flat_workgroup_size: 256
    .name:           _ZN7rocprim17ROCPRIM_400000_NS6detail17trampoline_kernelINS0_14default_configENS1_35adjacent_difference_config_selectorILb0ExEEZNS1_24adjacent_difference_implIS3_Lb0ELb0EPxS7_N6thrust23THRUST_200600_302600_NS5minusIxEEEE10hipError_tPvRmT2_T3_mT4_P12ihipStream_tbEUlT_E_NS1_11comp_targetILNS1_3genE4ELNS1_11target_archE910ELNS1_3gpuE8ELNS1_3repE0EEENS1_30default_config_static_selectorELNS0_4arch9wavefront6targetE1EEEvT1_
    .private_segment_fixed_size: 0
    .sgpr_count:     4
    .sgpr_spill_count: 0
    .symbol:         _ZN7rocprim17ROCPRIM_400000_NS6detail17trampoline_kernelINS0_14default_configENS1_35adjacent_difference_config_selectorILb0ExEEZNS1_24adjacent_difference_implIS3_Lb0ELb0EPxS7_N6thrust23THRUST_200600_302600_NS5minusIxEEEE10hipError_tPvRmT2_T3_mT4_P12ihipStream_tbEUlT_E_NS1_11comp_targetILNS1_3genE4ELNS1_11target_archE910ELNS1_3gpuE8ELNS1_3repE0EEENS1_30default_config_static_selectorELNS0_4arch9wavefront6targetE1EEEvT1_.kd
    .uniform_work_group_size: 1
    .uses_dynamic_stack: false
    .vgpr_count:     0
    .vgpr_spill_count: 0
    .wavefront_size: 64
  - .args:
      - .offset:         0
        .size:           56
        .value_kind:     by_value
    .group_segment_fixed_size: 0
    .kernarg_segment_align: 8
    .kernarg_segment_size: 56
    .language:       OpenCL C
    .language_version:
      - 2
      - 0
    .max_flat_workgroup_size: 128
    .name:           _ZN7rocprim17ROCPRIM_400000_NS6detail17trampoline_kernelINS0_14default_configENS1_35adjacent_difference_config_selectorILb0ExEEZNS1_24adjacent_difference_implIS3_Lb0ELb0EPxS7_N6thrust23THRUST_200600_302600_NS5minusIxEEEE10hipError_tPvRmT2_T3_mT4_P12ihipStream_tbEUlT_E_NS1_11comp_targetILNS1_3genE3ELNS1_11target_archE908ELNS1_3gpuE7ELNS1_3repE0EEENS1_30default_config_static_selectorELNS0_4arch9wavefront6targetE1EEEvT1_
    .private_segment_fixed_size: 0
    .sgpr_count:     4
    .sgpr_spill_count: 0
    .symbol:         _ZN7rocprim17ROCPRIM_400000_NS6detail17trampoline_kernelINS0_14default_configENS1_35adjacent_difference_config_selectorILb0ExEEZNS1_24adjacent_difference_implIS3_Lb0ELb0EPxS7_N6thrust23THRUST_200600_302600_NS5minusIxEEEE10hipError_tPvRmT2_T3_mT4_P12ihipStream_tbEUlT_E_NS1_11comp_targetILNS1_3genE3ELNS1_11target_archE908ELNS1_3gpuE7ELNS1_3repE0EEENS1_30default_config_static_selectorELNS0_4arch9wavefront6targetE1EEEvT1_.kd
    .uniform_work_group_size: 1
    .uses_dynamic_stack: false
    .vgpr_count:     0
    .vgpr_spill_count: 0
    .wavefront_size: 64
  - .args:
      - .offset:         0
        .size:           56
        .value_kind:     by_value
    .group_segment_fixed_size: 2112
    .kernarg_segment_align: 8
    .kernarg_segment_size: 56
    .language:       OpenCL C
    .language_version:
      - 2
      - 0
    .max_flat_workgroup_size: 128
    .name:           _ZN7rocprim17ROCPRIM_400000_NS6detail17trampoline_kernelINS0_14default_configENS1_35adjacent_difference_config_selectorILb0ExEEZNS1_24adjacent_difference_implIS3_Lb0ELb0EPxS7_N6thrust23THRUST_200600_302600_NS5minusIxEEEE10hipError_tPvRmT2_T3_mT4_P12ihipStream_tbEUlT_E_NS1_11comp_targetILNS1_3genE2ELNS1_11target_archE906ELNS1_3gpuE6ELNS1_3repE0EEENS1_30default_config_static_selectorELNS0_4arch9wavefront6targetE1EEEvT1_
    .private_segment_fixed_size: 0
    .sgpr_count:     26
    .sgpr_spill_count: 0
    .symbol:         _ZN7rocprim17ROCPRIM_400000_NS6detail17trampoline_kernelINS0_14default_configENS1_35adjacent_difference_config_selectorILb0ExEEZNS1_24adjacent_difference_implIS3_Lb0ELb0EPxS7_N6thrust23THRUST_200600_302600_NS5minusIxEEEE10hipError_tPvRmT2_T3_mT4_P12ihipStream_tbEUlT_E_NS1_11comp_targetILNS1_3genE2ELNS1_11target_archE906ELNS1_3gpuE6ELNS1_3repE0EEENS1_30default_config_static_selectorELNS0_4arch9wavefront6targetE1EEEvT1_.kd
    .uniform_work_group_size: 1
    .uses_dynamic_stack: false
    .vgpr_count:     15
    .vgpr_spill_count: 0
    .wavefront_size: 64
  - .args:
      - .offset:         0
        .size:           56
        .value_kind:     by_value
    .group_segment_fixed_size: 0
    .kernarg_segment_align: 8
    .kernarg_segment_size: 56
    .language:       OpenCL C
    .language_version:
      - 2
      - 0
    .max_flat_workgroup_size: 512
    .name:           _ZN7rocprim17ROCPRIM_400000_NS6detail17trampoline_kernelINS0_14default_configENS1_35adjacent_difference_config_selectorILb0ExEEZNS1_24adjacent_difference_implIS3_Lb0ELb0EPxS7_N6thrust23THRUST_200600_302600_NS5minusIxEEEE10hipError_tPvRmT2_T3_mT4_P12ihipStream_tbEUlT_E_NS1_11comp_targetILNS1_3genE9ELNS1_11target_archE1100ELNS1_3gpuE3ELNS1_3repE0EEENS1_30default_config_static_selectorELNS0_4arch9wavefront6targetE1EEEvT1_
    .private_segment_fixed_size: 0
    .sgpr_count:     4
    .sgpr_spill_count: 0
    .symbol:         _ZN7rocprim17ROCPRIM_400000_NS6detail17trampoline_kernelINS0_14default_configENS1_35adjacent_difference_config_selectorILb0ExEEZNS1_24adjacent_difference_implIS3_Lb0ELb0EPxS7_N6thrust23THRUST_200600_302600_NS5minusIxEEEE10hipError_tPvRmT2_T3_mT4_P12ihipStream_tbEUlT_E_NS1_11comp_targetILNS1_3genE9ELNS1_11target_archE1100ELNS1_3gpuE3ELNS1_3repE0EEENS1_30default_config_static_selectorELNS0_4arch9wavefront6targetE1EEEvT1_.kd
    .uniform_work_group_size: 1
    .uses_dynamic_stack: false
    .vgpr_count:     0
    .vgpr_spill_count: 0
    .wavefront_size: 64
  - .args:
      - .offset:         0
        .size:           56
        .value_kind:     by_value
    .group_segment_fixed_size: 0
    .kernarg_segment_align: 8
    .kernarg_segment_size: 56
    .language:       OpenCL C
    .language_version:
      - 2
      - 0
    .max_flat_workgroup_size: 1024
    .name:           _ZN7rocprim17ROCPRIM_400000_NS6detail17trampoline_kernelINS0_14default_configENS1_35adjacent_difference_config_selectorILb0ExEEZNS1_24adjacent_difference_implIS3_Lb0ELb0EPxS7_N6thrust23THRUST_200600_302600_NS5minusIxEEEE10hipError_tPvRmT2_T3_mT4_P12ihipStream_tbEUlT_E_NS1_11comp_targetILNS1_3genE8ELNS1_11target_archE1030ELNS1_3gpuE2ELNS1_3repE0EEENS1_30default_config_static_selectorELNS0_4arch9wavefront6targetE1EEEvT1_
    .private_segment_fixed_size: 0
    .sgpr_count:     4
    .sgpr_spill_count: 0
    .symbol:         _ZN7rocprim17ROCPRIM_400000_NS6detail17trampoline_kernelINS0_14default_configENS1_35adjacent_difference_config_selectorILb0ExEEZNS1_24adjacent_difference_implIS3_Lb0ELb0EPxS7_N6thrust23THRUST_200600_302600_NS5minusIxEEEE10hipError_tPvRmT2_T3_mT4_P12ihipStream_tbEUlT_E_NS1_11comp_targetILNS1_3genE8ELNS1_11target_archE1030ELNS1_3gpuE2ELNS1_3repE0EEENS1_30default_config_static_selectorELNS0_4arch9wavefront6targetE1EEEvT1_.kd
    .uniform_work_group_size: 1
    .uses_dynamic_stack: false
    .vgpr_count:     0
    .vgpr_spill_count: 0
    .wavefront_size: 64
  - .args:
      - .offset:         0
        .size:           56
        .value_kind:     by_value
    .group_segment_fixed_size: 0
    .kernarg_segment_align: 8
    .kernarg_segment_size: 56
    .language:       OpenCL C
    .language_version:
      - 2
      - 0
    .max_flat_workgroup_size: 128
    .name:           _ZN7rocprim17ROCPRIM_400000_NS6detail17trampoline_kernelINS0_14default_configENS1_25transform_config_selectorIxLb0EEEZNS1_14transform_implILb0ES3_S5_NS0_18transform_iteratorINS0_17counting_iteratorImlEEZNS1_24adjacent_difference_implIS3_Lb1ELb0EPxSB_N6thrust23THRUST_200600_302600_NS5minusIxEEEE10hipError_tPvRmT2_T3_mT4_P12ihipStream_tbEUlmE_xEESB_NS0_8identityIvEEEESG_SJ_SK_mSL_SN_bEUlT_E_NS1_11comp_targetILNS1_3genE0ELNS1_11target_archE4294967295ELNS1_3gpuE0ELNS1_3repE0EEENS1_30default_config_static_selectorELNS0_4arch9wavefront6targetE1EEEvT1_
    .private_segment_fixed_size: 0
    .sgpr_count:     4
    .sgpr_spill_count: 0
    .symbol:         _ZN7rocprim17ROCPRIM_400000_NS6detail17trampoline_kernelINS0_14default_configENS1_25transform_config_selectorIxLb0EEEZNS1_14transform_implILb0ES3_S5_NS0_18transform_iteratorINS0_17counting_iteratorImlEEZNS1_24adjacent_difference_implIS3_Lb1ELb0EPxSB_N6thrust23THRUST_200600_302600_NS5minusIxEEEE10hipError_tPvRmT2_T3_mT4_P12ihipStream_tbEUlmE_xEESB_NS0_8identityIvEEEESG_SJ_SK_mSL_SN_bEUlT_E_NS1_11comp_targetILNS1_3genE0ELNS1_11target_archE4294967295ELNS1_3gpuE0ELNS1_3repE0EEENS1_30default_config_static_selectorELNS0_4arch9wavefront6targetE1EEEvT1_.kd
    .uniform_work_group_size: 1
    .uses_dynamic_stack: false
    .vgpr_count:     0
    .vgpr_spill_count: 0
    .wavefront_size: 64
  - .args:
      - .offset:         0
        .size:           56
        .value_kind:     by_value
    .group_segment_fixed_size: 0
    .kernarg_segment_align: 8
    .kernarg_segment_size: 56
    .language:       OpenCL C
    .language_version:
      - 2
      - 0
    .max_flat_workgroup_size: 512
    .name:           _ZN7rocprim17ROCPRIM_400000_NS6detail17trampoline_kernelINS0_14default_configENS1_25transform_config_selectorIxLb0EEEZNS1_14transform_implILb0ES3_S5_NS0_18transform_iteratorINS0_17counting_iteratorImlEEZNS1_24adjacent_difference_implIS3_Lb1ELb0EPxSB_N6thrust23THRUST_200600_302600_NS5minusIxEEEE10hipError_tPvRmT2_T3_mT4_P12ihipStream_tbEUlmE_xEESB_NS0_8identityIvEEEESG_SJ_SK_mSL_SN_bEUlT_E_NS1_11comp_targetILNS1_3genE5ELNS1_11target_archE942ELNS1_3gpuE9ELNS1_3repE0EEENS1_30default_config_static_selectorELNS0_4arch9wavefront6targetE1EEEvT1_
    .private_segment_fixed_size: 0
    .sgpr_count:     4
    .sgpr_spill_count: 0
    .symbol:         _ZN7rocprim17ROCPRIM_400000_NS6detail17trampoline_kernelINS0_14default_configENS1_25transform_config_selectorIxLb0EEEZNS1_14transform_implILb0ES3_S5_NS0_18transform_iteratorINS0_17counting_iteratorImlEEZNS1_24adjacent_difference_implIS3_Lb1ELb0EPxSB_N6thrust23THRUST_200600_302600_NS5minusIxEEEE10hipError_tPvRmT2_T3_mT4_P12ihipStream_tbEUlmE_xEESB_NS0_8identityIvEEEESG_SJ_SK_mSL_SN_bEUlT_E_NS1_11comp_targetILNS1_3genE5ELNS1_11target_archE942ELNS1_3gpuE9ELNS1_3repE0EEENS1_30default_config_static_selectorELNS0_4arch9wavefront6targetE1EEEvT1_.kd
    .uniform_work_group_size: 1
    .uses_dynamic_stack: false
    .vgpr_count:     0
    .vgpr_spill_count: 0
    .wavefront_size: 64
  - .args:
      - .offset:         0
        .size:           56
        .value_kind:     by_value
    .group_segment_fixed_size: 0
    .kernarg_segment_align: 8
    .kernarg_segment_size: 56
    .language:       OpenCL C
    .language_version:
      - 2
      - 0
    .max_flat_workgroup_size: 256
    .name:           _ZN7rocprim17ROCPRIM_400000_NS6detail17trampoline_kernelINS0_14default_configENS1_25transform_config_selectorIxLb0EEEZNS1_14transform_implILb0ES3_S5_NS0_18transform_iteratorINS0_17counting_iteratorImlEEZNS1_24adjacent_difference_implIS3_Lb1ELb0EPxSB_N6thrust23THRUST_200600_302600_NS5minusIxEEEE10hipError_tPvRmT2_T3_mT4_P12ihipStream_tbEUlmE_xEESB_NS0_8identityIvEEEESG_SJ_SK_mSL_SN_bEUlT_E_NS1_11comp_targetILNS1_3genE4ELNS1_11target_archE910ELNS1_3gpuE8ELNS1_3repE0EEENS1_30default_config_static_selectorELNS0_4arch9wavefront6targetE1EEEvT1_
    .private_segment_fixed_size: 0
    .sgpr_count:     4
    .sgpr_spill_count: 0
    .symbol:         _ZN7rocprim17ROCPRIM_400000_NS6detail17trampoline_kernelINS0_14default_configENS1_25transform_config_selectorIxLb0EEEZNS1_14transform_implILb0ES3_S5_NS0_18transform_iteratorINS0_17counting_iteratorImlEEZNS1_24adjacent_difference_implIS3_Lb1ELb0EPxSB_N6thrust23THRUST_200600_302600_NS5minusIxEEEE10hipError_tPvRmT2_T3_mT4_P12ihipStream_tbEUlmE_xEESB_NS0_8identityIvEEEESG_SJ_SK_mSL_SN_bEUlT_E_NS1_11comp_targetILNS1_3genE4ELNS1_11target_archE910ELNS1_3gpuE8ELNS1_3repE0EEENS1_30default_config_static_selectorELNS0_4arch9wavefront6targetE1EEEvT1_.kd
    .uniform_work_group_size: 1
    .uses_dynamic_stack: false
    .vgpr_count:     0
    .vgpr_spill_count: 0
    .wavefront_size: 64
  - .args:
      - .offset:         0
        .size:           56
        .value_kind:     by_value
    .group_segment_fixed_size: 0
    .kernarg_segment_align: 8
    .kernarg_segment_size: 56
    .language:       OpenCL C
    .language_version:
      - 2
      - 0
    .max_flat_workgroup_size: 128
    .name:           _ZN7rocprim17ROCPRIM_400000_NS6detail17trampoline_kernelINS0_14default_configENS1_25transform_config_selectorIxLb0EEEZNS1_14transform_implILb0ES3_S5_NS0_18transform_iteratorINS0_17counting_iteratorImlEEZNS1_24adjacent_difference_implIS3_Lb1ELb0EPxSB_N6thrust23THRUST_200600_302600_NS5minusIxEEEE10hipError_tPvRmT2_T3_mT4_P12ihipStream_tbEUlmE_xEESB_NS0_8identityIvEEEESG_SJ_SK_mSL_SN_bEUlT_E_NS1_11comp_targetILNS1_3genE3ELNS1_11target_archE908ELNS1_3gpuE7ELNS1_3repE0EEENS1_30default_config_static_selectorELNS0_4arch9wavefront6targetE1EEEvT1_
    .private_segment_fixed_size: 0
    .sgpr_count:     4
    .sgpr_spill_count: 0
    .symbol:         _ZN7rocprim17ROCPRIM_400000_NS6detail17trampoline_kernelINS0_14default_configENS1_25transform_config_selectorIxLb0EEEZNS1_14transform_implILb0ES3_S5_NS0_18transform_iteratorINS0_17counting_iteratorImlEEZNS1_24adjacent_difference_implIS3_Lb1ELb0EPxSB_N6thrust23THRUST_200600_302600_NS5minusIxEEEE10hipError_tPvRmT2_T3_mT4_P12ihipStream_tbEUlmE_xEESB_NS0_8identityIvEEEESG_SJ_SK_mSL_SN_bEUlT_E_NS1_11comp_targetILNS1_3genE3ELNS1_11target_archE908ELNS1_3gpuE7ELNS1_3repE0EEENS1_30default_config_static_selectorELNS0_4arch9wavefront6targetE1EEEvT1_.kd
    .uniform_work_group_size: 1
    .uses_dynamic_stack: false
    .vgpr_count:     0
    .vgpr_spill_count: 0
    .wavefront_size: 64
  - .args:
      - .offset:         0
        .size:           56
        .value_kind:     by_value
      - .offset:         56
        .size:           4
        .value_kind:     hidden_block_count_x
      - .offset:         60
        .size:           4
        .value_kind:     hidden_block_count_y
      - .offset:         64
        .size:           4
        .value_kind:     hidden_block_count_z
      - .offset:         68
        .size:           2
        .value_kind:     hidden_group_size_x
      - .offset:         70
        .size:           2
        .value_kind:     hidden_group_size_y
      - .offset:         72
        .size:           2
        .value_kind:     hidden_group_size_z
      - .offset:         74
        .size:           2
        .value_kind:     hidden_remainder_x
      - .offset:         76
        .size:           2
        .value_kind:     hidden_remainder_y
      - .offset:         78
        .size:           2
        .value_kind:     hidden_remainder_z
      - .offset:         96
        .size:           8
        .value_kind:     hidden_global_offset_x
      - .offset:         104
        .size:           8
        .value_kind:     hidden_global_offset_y
      - .offset:         112
        .size:           8
        .value_kind:     hidden_global_offset_z
      - .offset:         120
        .size:           2
        .value_kind:     hidden_grid_dims
    .group_segment_fixed_size: 0
    .kernarg_segment_align: 8
    .kernarg_segment_size: 312
    .language:       OpenCL C
    .language_version:
      - 2
      - 0
    .max_flat_workgroup_size: 512
    .name:           _ZN7rocprim17ROCPRIM_400000_NS6detail17trampoline_kernelINS0_14default_configENS1_25transform_config_selectorIxLb0EEEZNS1_14transform_implILb0ES3_S5_NS0_18transform_iteratorINS0_17counting_iteratorImlEEZNS1_24adjacent_difference_implIS3_Lb1ELb0EPxSB_N6thrust23THRUST_200600_302600_NS5minusIxEEEE10hipError_tPvRmT2_T3_mT4_P12ihipStream_tbEUlmE_xEESB_NS0_8identityIvEEEESG_SJ_SK_mSL_SN_bEUlT_E_NS1_11comp_targetILNS1_3genE2ELNS1_11target_archE906ELNS1_3gpuE6ELNS1_3repE0EEENS1_30default_config_static_selectorELNS0_4arch9wavefront6targetE1EEEvT1_
    .private_segment_fixed_size: 0
    .sgpr_count:     16
    .sgpr_spill_count: 0
    .symbol:         _ZN7rocprim17ROCPRIM_400000_NS6detail17trampoline_kernelINS0_14default_configENS1_25transform_config_selectorIxLb0EEEZNS1_14transform_implILb0ES3_S5_NS0_18transform_iteratorINS0_17counting_iteratorImlEEZNS1_24adjacent_difference_implIS3_Lb1ELb0EPxSB_N6thrust23THRUST_200600_302600_NS5minusIxEEEE10hipError_tPvRmT2_T3_mT4_P12ihipStream_tbEUlmE_xEESB_NS0_8identityIvEEEESG_SJ_SK_mSL_SN_bEUlT_E_NS1_11comp_targetILNS1_3genE2ELNS1_11target_archE906ELNS1_3gpuE6ELNS1_3repE0EEENS1_30default_config_static_selectorELNS0_4arch9wavefront6targetE1EEEvT1_.kd
    .uniform_work_group_size: 1
    .uses_dynamic_stack: false
    .vgpr_count:     5
    .vgpr_spill_count: 0
    .wavefront_size: 64
  - .args:
      - .offset:         0
        .size:           56
        .value_kind:     by_value
    .group_segment_fixed_size: 0
    .kernarg_segment_align: 8
    .kernarg_segment_size: 56
    .language:       OpenCL C
    .language_version:
      - 2
      - 0
    .max_flat_workgroup_size: 1024
    .name:           _ZN7rocprim17ROCPRIM_400000_NS6detail17trampoline_kernelINS0_14default_configENS1_25transform_config_selectorIxLb0EEEZNS1_14transform_implILb0ES3_S5_NS0_18transform_iteratorINS0_17counting_iteratorImlEEZNS1_24adjacent_difference_implIS3_Lb1ELb0EPxSB_N6thrust23THRUST_200600_302600_NS5minusIxEEEE10hipError_tPvRmT2_T3_mT4_P12ihipStream_tbEUlmE_xEESB_NS0_8identityIvEEEESG_SJ_SK_mSL_SN_bEUlT_E_NS1_11comp_targetILNS1_3genE10ELNS1_11target_archE1201ELNS1_3gpuE5ELNS1_3repE0EEENS1_30default_config_static_selectorELNS0_4arch9wavefront6targetE1EEEvT1_
    .private_segment_fixed_size: 0
    .sgpr_count:     4
    .sgpr_spill_count: 0
    .symbol:         _ZN7rocprim17ROCPRIM_400000_NS6detail17trampoline_kernelINS0_14default_configENS1_25transform_config_selectorIxLb0EEEZNS1_14transform_implILb0ES3_S5_NS0_18transform_iteratorINS0_17counting_iteratorImlEEZNS1_24adjacent_difference_implIS3_Lb1ELb0EPxSB_N6thrust23THRUST_200600_302600_NS5minusIxEEEE10hipError_tPvRmT2_T3_mT4_P12ihipStream_tbEUlmE_xEESB_NS0_8identityIvEEEESG_SJ_SK_mSL_SN_bEUlT_E_NS1_11comp_targetILNS1_3genE10ELNS1_11target_archE1201ELNS1_3gpuE5ELNS1_3repE0EEENS1_30default_config_static_selectorELNS0_4arch9wavefront6targetE1EEEvT1_.kd
    .uniform_work_group_size: 1
    .uses_dynamic_stack: false
    .vgpr_count:     0
    .vgpr_spill_count: 0
    .wavefront_size: 64
  - .args:
      - .offset:         0
        .size:           56
        .value_kind:     by_value
    .group_segment_fixed_size: 0
    .kernarg_segment_align: 8
    .kernarg_segment_size: 56
    .language:       OpenCL C
    .language_version:
      - 2
      - 0
    .max_flat_workgroup_size: 512
    .name:           _ZN7rocprim17ROCPRIM_400000_NS6detail17trampoline_kernelINS0_14default_configENS1_25transform_config_selectorIxLb0EEEZNS1_14transform_implILb0ES3_S5_NS0_18transform_iteratorINS0_17counting_iteratorImlEEZNS1_24adjacent_difference_implIS3_Lb1ELb0EPxSB_N6thrust23THRUST_200600_302600_NS5minusIxEEEE10hipError_tPvRmT2_T3_mT4_P12ihipStream_tbEUlmE_xEESB_NS0_8identityIvEEEESG_SJ_SK_mSL_SN_bEUlT_E_NS1_11comp_targetILNS1_3genE10ELNS1_11target_archE1200ELNS1_3gpuE4ELNS1_3repE0EEENS1_30default_config_static_selectorELNS0_4arch9wavefront6targetE1EEEvT1_
    .private_segment_fixed_size: 0
    .sgpr_count:     4
    .sgpr_spill_count: 0
    .symbol:         _ZN7rocprim17ROCPRIM_400000_NS6detail17trampoline_kernelINS0_14default_configENS1_25transform_config_selectorIxLb0EEEZNS1_14transform_implILb0ES3_S5_NS0_18transform_iteratorINS0_17counting_iteratorImlEEZNS1_24adjacent_difference_implIS3_Lb1ELb0EPxSB_N6thrust23THRUST_200600_302600_NS5minusIxEEEE10hipError_tPvRmT2_T3_mT4_P12ihipStream_tbEUlmE_xEESB_NS0_8identityIvEEEESG_SJ_SK_mSL_SN_bEUlT_E_NS1_11comp_targetILNS1_3genE10ELNS1_11target_archE1200ELNS1_3gpuE4ELNS1_3repE0EEENS1_30default_config_static_selectorELNS0_4arch9wavefront6targetE1EEEvT1_.kd
    .uniform_work_group_size: 1
    .uses_dynamic_stack: false
    .vgpr_count:     0
    .vgpr_spill_count: 0
    .wavefront_size: 64
  - .args:
      - .offset:         0
        .size:           56
        .value_kind:     by_value
    .group_segment_fixed_size: 0
    .kernarg_segment_align: 8
    .kernarg_segment_size: 56
    .language:       OpenCL C
    .language_version:
      - 2
      - 0
    .max_flat_workgroup_size: 512
    .name:           _ZN7rocprim17ROCPRIM_400000_NS6detail17trampoline_kernelINS0_14default_configENS1_25transform_config_selectorIxLb0EEEZNS1_14transform_implILb0ES3_S5_NS0_18transform_iteratorINS0_17counting_iteratorImlEEZNS1_24adjacent_difference_implIS3_Lb1ELb0EPxSB_N6thrust23THRUST_200600_302600_NS5minusIxEEEE10hipError_tPvRmT2_T3_mT4_P12ihipStream_tbEUlmE_xEESB_NS0_8identityIvEEEESG_SJ_SK_mSL_SN_bEUlT_E_NS1_11comp_targetILNS1_3genE9ELNS1_11target_archE1100ELNS1_3gpuE3ELNS1_3repE0EEENS1_30default_config_static_selectorELNS0_4arch9wavefront6targetE1EEEvT1_
    .private_segment_fixed_size: 0
    .sgpr_count:     4
    .sgpr_spill_count: 0
    .symbol:         _ZN7rocprim17ROCPRIM_400000_NS6detail17trampoline_kernelINS0_14default_configENS1_25transform_config_selectorIxLb0EEEZNS1_14transform_implILb0ES3_S5_NS0_18transform_iteratorINS0_17counting_iteratorImlEEZNS1_24adjacent_difference_implIS3_Lb1ELb0EPxSB_N6thrust23THRUST_200600_302600_NS5minusIxEEEE10hipError_tPvRmT2_T3_mT4_P12ihipStream_tbEUlmE_xEESB_NS0_8identityIvEEEESG_SJ_SK_mSL_SN_bEUlT_E_NS1_11comp_targetILNS1_3genE9ELNS1_11target_archE1100ELNS1_3gpuE3ELNS1_3repE0EEENS1_30default_config_static_selectorELNS0_4arch9wavefront6targetE1EEEvT1_.kd
    .uniform_work_group_size: 1
    .uses_dynamic_stack: false
    .vgpr_count:     0
    .vgpr_spill_count: 0
    .wavefront_size: 64
  - .args:
      - .offset:         0
        .size:           56
        .value_kind:     by_value
    .group_segment_fixed_size: 0
    .kernarg_segment_align: 8
    .kernarg_segment_size: 56
    .language:       OpenCL C
    .language_version:
      - 2
      - 0
    .max_flat_workgroup_size: 512
    .name:           _ZN7rocprim17ROCPRIM_400000_NS6detail17trampoline_kernelINS0_14default_configENS1_25transform_config_selectorIxLb0EEEZNS1_14transform_implILb0ES3_S5_NS0_18transform_iteratorINS0_17counting_iteratorImlEEZNS1_24adjacent_difference_implIS3_Lb1ELb0EPxSB_N6thrust23THRUST_200600_302600_NS5minusIxEEEE10hipError_tPvRmT2_T3_mT4_P12ihipStream_tbEUlmE_xEESB_NS0_8identityIvEEEESG_SJ_SK_mSL_SN_bEUlT_E_NS1_11comp_targetILNS1_3genE8ELNS1_11target_archE1030ELNS1_3gpuE2ELNS1_3repE0EEENS1_30default_config_static_selectorELNS0_4arch9wavefront6targetE1EEEvT1_
    .private_segment_fixed_size: 0
    .sgpr_count:     4
    .sgpr_spill_count: 0
    .symbol:         _ZN7rocprim17ROCPRIM_400000_NS6detail17trampoline_kernelINS0_14default_configENS1_25transform_config_selectorIxLb0EEEZNS1_14transform_implILb0ES3_S5_NS0_18transform_iteratorINS0_17counting_iteratorImlEEZNS1_24adjacent_difference_implIS3_Lb1ELb0EPxSB_N6thrust23THRUST_200600_302600_NS5minusIxEEEE10hipError_tPvRmT2_T3_mT4_P12ihipStream_tbEUlmE_xEESB_NS0_8identityIvEEEESG_SJ_SK_mSL_SN_bEUlT_E_NS1_11comp_targetILNS1_3genE8ELNS1_11target_archE1030ELNS1_3gpuE2ELNS1_3repE0EEENS1_30default_config_static_selectorELNS0_4arch9wavefront6targetE1EEEvT1_.kd
    .uniform_work_group_size: 1
    .uses_dynamic_stack: false
    .vgpr_count:     0
    .vgpr_spill_count: 0
    .wavefront_size: 64
  - .args:
      - .offset:         0
        .size:           56
        .value_kind:     by_value
    .group_segment_fixed_size: 0
    .kernarg_segment_align: 8
    .kernarg_segment_size: 56
    .language:       OpenCL C
    .language_version:
      - 2
      - 0
    .max_flat_workgroup_size: 512
    .name:           _ZN7rocprim17ROCPRIM_400000_NS6detail17trampoline_kernelINS0_14default_configENS1_35adjacent_difference_config_selectorILb1ExEEZNS1_24adjacent_difference_implIS3_Lb1ELb0EPxS7_N6thrust23THRUST_200600_302600_NS5minusIxEEEE10hipError_tPvRmT2_T3_mT4_P12ihipStream_tbEUlT_E_NS1_11comp_targetILNS1_3genE0ELNS1_11target_archE4294967295ELNS1_3gpuE0ELNS1_3repE0EEENS1_30default_config_static_selectorELNS0_4arch9wavefront6targetE1EEEvT1_
    .private_segment_fixed_size: 0
    .sgpr_count:     4
    .sgpr_spill_count: 0
    .symbol:         _ZN7rocprim17ROCPRIM_400000_NS6detail17trampoline_kernelINS0_14default_configENS1_35adjacent_difference_config_selectorILb1ExEEZNS1_24adjacent_difference_implIS3_Lb1ELb0EPxS7_N6thrust23THRUST_200600_302600_NS5minusIxEEEE10hipError_tPvRmT2_T3_mT4_P12ihipStream_tbEUlT_E_NS1_11comp_targetILNS1_3genE0ELNS1_11target_archE4294967295ELNS1_3gpuE0ELNS1_3repE0EEENS1_30default_config_static_selectorELNS0_4arch9wavefront6targetE1EEEvT1_.kd
    .uniform_work_group_size: 1
    .uses_dynamic_stack: false
    .vgpr_count:     0
    .vgpr_spill_count: 0
    .wavefront_size: 64
  - .args:
      - .offset:         0
        .size:           56
        .value_kind:     by_value
    .group_segment_fixed_size: 0
    .kernarg_segment_align: 8
    .kernarg_segment_size: 56
    .language:       OpenCL C
    .language_version:
      - 2
      - 0
    .max_flat_workgroup_size: 32
    .name:           _ZN7rocprim17ROCPRIM_400000_NS6detail17trampoline_kernelINS0_14default_configENS1_35adjacent_difference_config_selectorILb1ExEEZNS1_24adjacent_difference_implIS3_Lb1ELb0EPxS7_N6thrust23THRUST_200600_302600_NS5minusIxEEEE10hipError_tPvRmT2_T3_mT4_P12ihipStream_tbEUlT_E_NS1_11comp_targetILNS1_3genE10ELNS1_11target_archE1201ELNS1_3gpuE5ELNS1_3repE0EEENS1_30default_config_static_selectorELNS0_4arch9wavefront6targetE1EEEvT1_
    .private_segment_fixed_size: 0
    .sgpr_count:     4
    .sgpr_spill_count: 0
    .symbol:         _ZN7rocprim17ROCPRIM_400000_NS6detail17trampoline_kernelINS0_14default_configENS1_35adjacent_difference_config_selectorILb1ExEEZNS1_24adjacent_difference_implIS3_Lb1ELb0EPxS7_N6thrust23THRUST_200600_302600_NS5minusIxEEEE10hipError_tPvRmT2_T3_mT4_P12ihipStream_tbEUlT_E_NS1_11comp_targetILNS1_3genE10ELNS1_11target_archE1201ELNS1_3gpuE5ELNS1_3repE0EEENS1_30default_config_static_selectorELNS0_4arch9wavefront6targetE1EEEvT1_.kd
    .uniform_work_group_size: 1
    .uses_dynamic_stack: false
    .vgpr_count:     0
    .vgpr_spill_count: 0
    .wavefront_size: 64
  - .args:
      - .offset:         0
        .size:           56
        .value_kind:     by_value
    .group_segment_fixed_size: 0
    .kernarg_segment_align: 8
    .kernarg_segment_size: 56
    .language:       OpenCL C
    .language_version:
      - 2
      - 0
    .max_flat_workgroup_size: 256
    .name:           _ZN7rocprim17ROCPRIM_400000_NS6detail17trampoline_kernelINS0_14default_configENS1_35adjacent_difference_config_selectorILb1ExEEZNS1_24adjacent_difference_implIS3_Lb1ELb0EPxS7_N6thrust23THRUST_200600_302600_NS5minusIxEEEE10hipError_tPvRmT2_T3_mT4_P12ihipStream_tbEUlT_E_NS1_11comp_targetILNS1_3genE5ELNS1_11target_archE942ELNS1_3gpuE9ELNS1_3repE0EEENS1_30default_config_static_selectorELNS0_4arch9wavefront6targetE1EEEvT1_
    .private_segment_fixed_size: 0
    .sgpr_count:     4
    .sgpr_spill_count: 0
    .symbol:         _ZN7rocprim17ROCPRIM_400000_NS6detail17trampoline_kernelINS0_14default_configENS1_35adjacent_difference_config_selectorILb1ExEEZNS1_24adjacent_difference_implIS3_Lb1ELb0EPxS7_N6thrust23THRUST_200600_302600_NS5minusIxEEEE10hipError_tPvRmT2_T3_mT4_P12ihipStream_tbEUlT_E_NS1_11comp_targetILNS1_3genE5ELNS1_11target_archE942ELNS1_3gpuE9ELNS1_3repE0EEENS1_30default_config_static_selectorELNS0_4arch9wavefront6targetE1EEEvT1_.kd
    .uniform_work_group_size: 1
    .uses_dynamic_stack: false
    .vgpr_count:     0
    .vgpr_spill_count: 0
    .wavefront_size: 64
  - .args:
      - .offset:         0
        .size:           56
        .value_kind:     by_value
    .group_segment_fixed_size: 0
    .kernarg_segment_align: 8
    .kernarg_segment_size: 56
    .language:       OpenCL C
    .language_version:
      - 2
      - 0
    .max_flat_workgroup_size: 512
    .name:           _ZN7rocprim17ROCPRIM_400000_NS6detail17trampoline_kernelINS0_14default_configENS1_35adjacent_difference_config_selectorILb1ExEEZNS1_24adjacent_difference_implIS3_Lb1ELb0EPxS7_N6thrust23THRUST_200600_302600_NS5minusIxEEEE10hipError_tPvRmT2_T3_mT4_P12ihipStream_tbEUlT_E_NS1_11comp_targetILNS1_3genE4ELNS1_11target_archE910ELNS1_3gpuE8ELNS1_3repE0EEENS1_30default_config_static_selectorELNS0_4arch9wavefront6targetE1EEEvT1_
    .private_segment_fixed_size: 0
    .sgpr_count:     4
    .sgpr_spill_count: 0
    .symbol:         _ZN7rocprim17ROCPRIM_400000_NS6detail17trampoline_kernelINS0_14default_configENS1_35adjacent_difference_config_selectorILb1ExEEZNS1_24adjacent_difference_implIS3_Lb1ELb0EPxS7_N6thrust23THRUST_200600_302600_NS5minusIxEEEE10hipError_tPvRmT2_T3_mT4_P12ihipStream_tbEUlT_E_NS1_11comp_targetILNS1_3genE4ELNS1_11target_archE910ELNS1_3gpuE8ELNS1_3repE0EEENS1_30default_config_static_selectorELNS0_4arch9wavefront6targetE1EEEvT1_.kd
    .uniform_work_group_size: 1
    .uses_dynamic_stack: false
    .vgpr_count:     0
    .vgpr_spill_count: 0
    .wavefront_size: 64
  - .args:
      - .offset:         0
        .size:           56
        .value_kind:     by_value
    .group_segment_fixed_size: 0
    .kernarg_segment_align: 8
    .kernarg_segment_size: 56
    .language:       OpenCL C
    .language_version:
      - 2
      - 0
    .max_flat_workgroup_size: 512
    .name:           _ZN7rocprim17ROCPRIM_400000_NS6detail17trampoline_kernelINS0_14default_configENS1_35adjacent_difference_config_selectorILb1ExEEZNS1_24adjacent_difference_implIS3_Lb1ELb0EPxS7_N6thrust23THRUST_200600_302600_NS5minusIxEEEE10hipError_tPvRmT2_T3_mT4_P12ihipStream_tbEUlT_E_NS1_11comp_targetILNS1_3genE3ELNS1_11target_archE908ELNS1_3gpuE7ELNS1_3repE0EEENS1_30default_config_static_selectorELNS0_4arch9wavefront6targetE1EEEvT1_
    .private_segment_fixed_size: 0
    .sgpr_count:     4
    .sgpr_spill_count: 0
    .symbol:         _ZN7rocprim17ROCPRIM_400000_NS6detail17trampoline_kernelINS0_14default_configENS1_35adjacent_difference_config_selectorILb1ExEEZNS1_24adjacent_difference_implIS3_Lb1ELb0EPxS7_N6thrust23THRUST_200600_302600_NS5minusIxEEEE10hipError_tPvRmT2_T3_mT4_P12ihipStream_tbEUlT_E_NS1_11comp_targetILNS1_3genE3ELNS1_11target_archE908ELNS1_3gpuE7ELNS1_3repE0EEENS1_30default_config_static_selectorELNS0_4arch9wavefront6targetE1EEEvT1_.kd
    .uniform_work_group_size: 1
    .uses_dynamic_stack: false
    .vgpr_count:     0
    .vgpr_spill_count: 0
    .wavefront_size: 64
  - .args:
      - .offset:         0
        .size:           56
        .value_kind:     by_value
    .group_segment_fixed_size: 11264
    .kernarg_segment_align: 8
    .kernarg_segment_size: 56
    .language:       OpenCL C
    .language_version:
      - 2
      - 0
    .max_flat_workgroup_size: 128
    .name:           _ZN7rocprim17ROCPRIM_400000_NS6detail17trampoline_kernelINS0_14default_configENS1_35adjacent_difference_config_selectorILb1ExEEZNS1_24adjacent_difference_implIS3_Lb1ELb0EPxS7_N6thrust23THRUST_200600_302600_NS5minusIxEEEE10hipError_tPvRmT2_T3_mT4_P12ihipStream_tbEUlT_E_NS1_11comp_targetILNS1_3genE2ELNS1_11target_archE906ELNS1_3gpuE6ELNS1_3repE0EEENS1_30default_config_static_selectorELNS0_4arch9wavefront6targetE1EEEvT1_
    .private_segment_fixed_size: 0
    .sgpr_count:     33
    .sgpr_spill_count: 0
    .symbol:         _ZN7rocprim17ROCPRIM_400000_NS6detail17trampoline_kernelINS0_14default_configENS1_35adjacent_difference_config_selectorILb1ExEEZNS1_24adjacent_difference_implIS3_Lb1ELb0EPxS7_N6thrust23THRUST_200600_302600_NS5minusIxEEEE10hipError_tPvRmT2_T3_mT4_P12ihipStream_tbEUlT_E_NS1_11comp_targetILNS1_3genE2ELNS1_11target_archE906ELNS1_3gpuE6ELNS1_3repE0EEENS1_30default_config_static_selectorELNS0_4arch9wavefront6targetE1EEEvT1_.kd
    .uniform_work_group_size: 1
    .uses_dynamic_stack: false
    .vgpr_count:     48
    .vgpr_spill_count: 0
    .wavefront_size: 64
  - .args:
      - .offset:         0
        .size:           56
        .value_kind:     by_value
    .group_segment_fixed_size: 0
    .kernarg_segment_align: 8
    .kernarg_segment_size: 56
    .language:       OpenCL C
    .language_version:
      - 2
      - 0
    .max_flat_workgroup_size: 128
    .name:           _ZN7rocprim17ROCPRIM_400000_NS6detail17trampoline_kernelINS0_14default_configENS1_35adjacent_difference_config_selectorILb1ExEEZNS1_24adjacent_difference_implIS3_Lb1ELb0EPxS7_N6thrust23THRUST_200600_302600_NS5minusIxEEEE10hipError_tPvRmT2_T3_mT4_P12ihipStream_tbEUlT_E_NS1_11comp_targetILNS1_3genE9ELNS1_11target_archE1100ELNS1_3gpuE3ELNS1_3repE0EEENS1_30default_config_static_selectorELNS0_4arch9wavefront6targetE1EEEvT1_
    .private_segment_fixed_size: 0
    .sgpr_count:     4
    .sgpr_spill_count: 0
    .symbol:         _ZN7rocprim17ROCPRIM_400000_NS6detail17trampoline_kernelINS0_14default_configENS1_35adjacent_difference_config_selectorILb1ExEEZNS1_24adjacent_difference_implIS3_Lb1ELb0EPxS7_N6thrust23THRUST_200600_302600_NS5minusIxEEEE10hipError_tPvRmT2_T3_mT4_P12ihipStream_tbEUlT_E_NS1_11comp_targetILNS1_3genE9ELNS1_11target_archE1100ELNS1_3gpuE3ELNS1_3repE0EEENS1_30default_config_static_selectorELNS0_4arch9wavefront6targetE1EEEvT1_.kd
    .uniform_work_group_size: 1
    .uses_dynamic_stack: false
    .vgpr_count:     0
    .vgpr_spill_count: 0
    .wavefront_size: 64
  - .args:
      - .offset:         0
        .size:           56
        .value_kind:     by_value
    .group_segment_fixed_size: 0
    .kernarg_segment_align: 8
    .kernarg_segment_size: 56
    .language:       OpenCL C
    .language_version:
      - 2
      - 0
    .max_flat_workgroup_size: 32
    .name:           _ZN7rocprim17ROCPRIM_400000_NS6detail17trampoline_kernelINS0_14default_configENS1_35adjacent_difference_config_selectorILb1ExEEZNS1_24adjacent_difference_implIS3_Lb1ELb0EPxS7_N6thrust23THRUST_200600_302600_NS5minusIxEEEE10hipError_tPvRmT2_T3_mT4_P12ihipStream_tbEUlT_E_NS1_11comp_targetILNS1_3genE8ELNS1_11target_archE1030ELNS1_3gpuE2ELNS1_3repE0EEENS1_30default_config_static_selectorELNS0_4arch9wavefront6targetE1EEEvT1_
    .private_segment_fixed_size: 0
    .sgpr_count:     4
    .sgpr_spill_count: 0
    .symbol:         _ZN7rocprim17ROCPRIM_400000_NS6detail17trampoline_kernelINS0_14default_configENS1_35adjacent_difference_config_selectorILb1ExEEZNS1_24adjacent_difference_implIS3_Lb1ELb0EPxS7_N6thrust23THRUST_200600_302600_NS5minusIxEEEE10hipError_tPvRmT2_T3_mT4_P12ihipStream_tbEUlT_E_NS1_11comp_targetILNS1_3genE8ELNS1_11target_archE1030ELNS1_3gpuE2ELNS1_3repE0EEENS1_30default_config_static_selectorELNS0_4arch9wavefront6targetE1EEEvT1_.kd
    .uniform_work_group_size: 1
    .uses_dynamic_stack: false
    .vgpr_count:     0
    .vgpr_spill_count: 0
    .wavefront_size: 64
  - .args:
      - .offset:         0
        .size:           56
        .value_kind:     by_value
    .group_segment_fixed_size: 0
    .kernarg_segment_align: 8
    .kernarg_segment_size: 56
    .language:       OpenCL C
    .language_version:
      - 2
      - 0
    .max_flat_workgroup_size: 128
    .name:           _ZN7rocprim17ROCPRIM_400000_NS6detail17trampoline_kernelINS0_14default_configENS1_35adjacent_difference_config_selectorILb0ExEEZNS1_24adjacent_difference_implIS3_Lb0ELb0EPxS7_N6thrust23THRUST_200600_302600_NS4plusIxEEEE10hipError_tPvRmT2_T3_mT4_P12ihipStream_tbEUlT_E_NS1_11comp_targetILNS1_3genE0ELNS1_11target_archE4294967295ELNS1_3gpuE0ELNS1_3repE0EEENS1_30default_config_static_selectorELNS0_4arch9wavefront6targetE1EEEvT1_
    .private_segment_fixed_size: 0
    .sgpr_count:     4
    .sgpr_spill_count: 0
    .symbol:         _ZN7rocprim17ROCPRIM_400000_NS6detail17trampoline_kernelINS0_14default_configENS1_35adjacent_difference_config_selectorILb0ExEEZNS1_24adjacent_difference_implIS3_Lb0ELb0EPxS7_N6thrust23THRUST_200600_302600_NS4plusIxEEEE10hipError_tPvRmT2_T3_mT4_P12ihipStream_tbEUlT_E_NS1_11comp_targetILNS1_3genE0ELNS1_11target_archE4294967295ELNS1_3gpuE0ELNS1_3repE0EEENS1_30default_config_static_selectorELNS0_4arch9wavefront6targetE1EEEvT1_.kd
    .uniform_work_group_size: 1
    .uses_dynamic_stack: false
    .vgpr_count:     0
    .vgpr_spill_count: 0
    .wavefront_size: 64
  - .args:
      - .offset:         0
        .size:           56
        .value_kind:     by_value
    .group_segment_fixed_size: 0
    .kernarg_segment_align: 8
    .kernarg_segment_size: 56
    .language:       OpenCL C
    .language_version:
      - 2
      - 0
    .max_flat_workgroup_size: 128
    .name:           _ZN7rocprim17ROCPRIM_400000_NS6detail17trampoline_kernelINS0_14default_configENS1_35adjacent_difference_config_selectorILb0ExEEZNS1_24adjacent_difference_implIS3_Lb0ELb0EPxS7_N6thrust23THRUST_200600_302600_NS4plusIxEEEE10hipError_tPvRmT2_T3_mT4_P12ihipStream_tbEUlT_E_NS1_11comp_targetILNS1_3genE10ELNS1_11target_archE1201ELNS1_3gpuE5ELNS1_3repE0EEENS1_30default_config_static_selectorELNS0_4arch9wavefront6targetE1EEEvT1_
    .private_segment_fixed_size: 0
    .sgpr_count:     4
    .sgpr_spill_count: 0
    .symbol:         _ZN7rocprim17ROCPRIM_400000_NS6detail17trampoline_kernelINS0_14default_configENS1_35adjacent_difference_config_selectorILb0ExEEZNS1_24adjacent_difference_implIS3_Lb0ELb0EPxS7_N6thrust23THRUST_200600_302600_NS4plusIxEEEE10hipError_tPvRmT2_T3_mT4_P12ihipStream_tbEUlT_E_NS1_11comp_targetILNS1_3genE10ELNS1_11target_archE1201ELNS1_3gpuE5ELNS1_3repE0EEENS1_30default_config_static_selectorELNS0_4arch9wavefront6targetE1EEEvT1_.kd
    .uniform_work_group_size: 1
    .uses_dynamic_stack: false
    .vgpr_count:     0
    .vgpr_spill_count: 0
    .wavefront_size: 64
  - .args:
      - .offset:         0
        .size:           56
        .value_kind:     by_value
    .group_segment_fixed_size: 0
    .kernarg_segment_align: 8
    .kernarg_segment_size: 56
    .language:       OpenCL C
    .language_version:
      - 2
      - 0
    .max_flat_workgroup_size: 64
    .name:           _ZN7rocprim17ROCPRIM_400000_NS6detail17trampoline_kernelINS0_14default_configENS1_35adjacent_difference_config_selectorILb0ExEEZNS1_24adjacent_difference_implIS3_Lb0ELb0EPxS7_N6thrust23THRUST_200600_302600_NS4plusIxEEEE10hipError_tPvRmT2_T3_mT4_P12ihipStream_tbEUlT_E_NS1_11comp_targetILNS1_3genE5ELNS1_11target_archE942ELNS1_3gpuE9ELNS1_3repE0EEENS1_30default_config_static_selectorELNS0_4arch9wavefront6targetE1EEEvT1_
    .private_segment_fixed_size: 0
    .sgpr_count:     4
    .sgpr_spill_count: 0
    .symbol:         _ZN7rocprim17ROCPRIM_400000_NS6detail17trampoline_kernelINS0_14default_configENS1_35adjacent_difference_config_selectorILb0ExEEZNS1_24adjacent_difference_implIS3_Lb0ELb0EPxS7_N6thrust23THRUST_200600_302600_NS4plusIxEEEE10hipError_tPvRmT2_T3_mT4_P12ihipStream_tbEUlT_E_NS1_11comp_targetILNS1_3genE5ELNS1_11target_archE942ELNS1_3gpuE9ELNS1_3repE0EEENS1_30default_config_static_selectorELNS0_4arch9wavefront6targetE1EEEvT1_.kd
    .uniform_work_group_size: 1
    .uses_dynamic_stack: false
    .vgpr_count:     0
    .vgpr_spill_count: 0
    .wavefront_size: 64
  - .args:
      - .offset:         0
        .size:           56
        .value_kind:     by_value
    .group_segment_fixed_size: 0
    .kernarg_segment_align: 8
    .kernarg_segment_size: 56
    .language:       OpenCL C
    .language_version:
      - 2
      - 0
    .max_flat_workgroup_size: 256
    .name:           _ZN7rocprim17ROCPRIM_400000_NS6detail17trampoline_kernelINS0_14default_configENS1_35adjacent_difference_config_selectorILb0ExEEZNS1_24adjacent_difference_implIS3_Lb0ELb0EPxS7_N6thrust23THRUST_200600_302600_NS4plusIxEEEE10hipError_tPvRmT2_T3_mT4_P12ihipStream_tbEUlT_E_NS1_11comp_targetILNS1_3genE4ELNS1_11target_archE910ELNS1_3gpuE8ELNS1_3repE0EEENS1_30default_config_static_selectorELNS0_4arch9wavefront6targetE1EEEvT1_
    .private_segment_fixed_size: 0
    .sgpr_count:     4
    .sgpr_spill_count: 0
    .symbol:         _ZN7rocprim17ROCPRIM_400000_NS6detail17trampoline_kernelINS0_14default_configENS1_35adjacent_difference_config_selectorILb0ExEEZNS1_24adjacent_difference_implIS3_Lb0ELb0EPxS7_N6thrust23THRUST_200600_302600_NS4plusIxEEEE10hipError_tPvRmT2_T3_mT4_P12ihipStream_tbEUlT_E_NS1_11comp_targetILNS1_3genE4ELNS1_11target_archE910ELNS1_3gpuE8ELNS1_3repE0EEENS1_30default_config_static_selectorELNS0_4arch9wavefront6targetE1EEEvT1_.kd
    .uniform_work_group_size: 1
    .uses_dynamic_stack: false
    .vgpr_count:     0
    .vgpr_spill_count: 0
    .wavefront_size: 64
  - .args:
      - .offset:         0
        .size:           56
        .value_kind:     by_value
    .group_segment_fixed_size: 0
    .kernarg_segment_align: 8
    .kernarg_segment_size: 56
    .language:       OpenCL C
    .language_version:
      - 2
      - 0
    .max_flat_workgroup_size: 128
    .name:           _ZN7rocprim17ROCPRIM_400000_NS6detail17trampoline_kernelINS0_14default_configENS1_35adjacent_difference_config_selectorILb0ExEEZNS1_24adjacent_difference_implIS3_Lb0ELb0EPxS7_N6thrust23THRUST_200600_302600_NS4plusIxEEEE10hipError_tPvRmT2_T3_mT4_P12ihipStream_tbEUlT_E_NS1_11comp_targetILNS1_3genE3ELNS1_11target_archE908ELNS1_3gpuE7ELNS1_3repE0EEENS1_30default_config_static_selectorELNS0_4arch9wavefront6targetE1EEEvT1_
    .private_segment_fixed_size: 0
    .sgpr_count:     4
    .sgpr_spill_count: 0
    .symbol:         _ZN7rocprim17ROCPRIM_400000_NS6detail17trampoline_kernelINS0_14default_configENS1_35adjacent_difference_config_selectorILb0ExEEZNS1_24adjacent_difference_implIS3_Lb0ELb0EPxS7_N6thrust23THRUST_200600_302600_NS4plusIxEEEE10hipError_tPvRmT2_T3_mT4_P12ihipStream_tbEUlT_E_NS1_11comp_targetILNS1_3genE3ELNS1_11target_archE908ELNS1_3gpuE7ELNS1_3repE0EEENS1_30default_config_static_selectorELNS0_4arch9wavefront6targetE1EEEvT1_.kd
    .uniform_work_group_size: 1
    .uses_dynamic_stack: false
    .vgpr_count:     0
    .vgpr_spill_count: 0
    .wavefront_size: 64
  - .args:
      - .offset:         0
        .size:           56
        .value_kind:     by_value
    .group_segment_fixed_size: 2112
    .kernarg_segment_align: 8
    .kernarg_segment_size: 56
    .language:       OpenCL C
    .language_version:
      - 2
      - 0
    .max_flat_workgroup_size: 128
    .name:           _ZN7rocprim17ROCPRIM_400000_NS6detail17trampoline_kernelINS0_14default_configENS1_35adjacent_difference_config_selectorILb0ExEEZNS1_24adjacent_difference_implIS3_Lb0ELb0EPxS7_N6thrust23THRUST_200600_302600_NS4plusIxEEEE10hipError_tPvRmT2_T3_mT4_P12ihipStream_tbEUlT_E_NS1_11comp_targetILNS1_3genE2ELNS1_11target_archE906ELNS1_3gpuE6ELNS1_3repE0EEENS1_30default_config_static_selectorELNS0_4arch9wavefront6targetE1EEEvT1_
    .private_segment_fixed_size: 0
    .sgpr_count:     26
    .sgpr_spill_count: 0
    .symbol:         _ZN7rocprim17ROCPRIM_400000_NS6detail17trampoline_kernelINS0_14default_configENS1_35adjacent_difference_config_selectorILb0ExEEZNS1_24adjacent_difference_implIS3_Lb0ELb0EPxS7_N6thrust23THRUST_200600_302600_NS4plusIxEEEE10hipError_tPvRmT2_T3_mT4_P12ihipStream_tbEUlT_E_NS1_11comp_targetILNS1_3genE2ELNS1_11target_archE906ELNS1_3gpuE6ELNS1_3repE0EEENS1_30default_config_static_selectorELNS0_4arch9wavefront6targetE1EEEvT1_.kd
    .uniform_work_group_size: 1
    .uses_dynamic_stack: false
    .vgpr_count:     15
    .vgpr_spill_count: 0
    .wavefront_size: 64
  - .args:
      - .offset:         0
        .size:           56
        .value_kind:     by_value
    .group_segment_fixed_size: 0
    .kernarg_segment_align: 8
    .kernarg_segment_size: 56
    .language:       OpenCL C
    .language_version:
      - 2
      - 0
    .max_flat_workgroup_size: 512
    .name:           _ZN7rocprim17ROCPRIM_400000_NS6detail17trampoline_kernelINS0_14default_configENS1_35adjacent_difference_config_selectorILb0ExEEZNS1_24adjacent_difference_implIS3_Lb0ELb0EPxS7_N6thrust23THRUST_200600_302600_NS4plusIxEEEE10hipError_tPvRmT2_T3_mT4_P12ihipStream_tbEUlT_E_NS1_11comp_targetILNS1_3genE9ELNS1_11target_archE1100ELNS1_3gpuE3ELNS1_3repE0EEENS1_30default_config_static_selectorELNS0_4arch9wavefront6targetE1EEEvT1_
    .private_segment_fixed_size: 0
    .sgpr_count:     4
    .sgpr_spill_count: 0
    .symbol:         _ZN7rocprim17ROCPRIM_400000_NS6detail17trampoline_kernelINS0_14default_configENS1_35adjacent_difference_config_selectorILb0ExEEZNS1_24adjacent_difference_implIS3_Lb0ELb0EPxS7_N6thrust23THRUST_200600_302600_NS4plusIxEEEE10hipError_tPvRmT2_T3_mT4_P12ihipStream_tbEUlT_E_NS1_11comp_targetILNS1_3genE9ELNS1_11target_archE1100ELNS1_3gpuE3ELNS1_3repE0EEENS1_30default_config_static_selectorELNS0_4arch9wavefront6targetE1EEEvT1_.kd
    .uniform_work_group_size: 1
    .uses_dynamic_stack: false
    .vgpr_count:     0
    .vgpr_spill_count: 0
    .wavefront_size: 64
  - .args:
      - .offset:         0
        .size:           56
        .value_kind:     by_value
    .group_segment_fixed_size: 0
    .kernarg_segment_align: 8
    .kernarg_segment_size: 56
    .language:       OpenCL C
    .language_version:
      - 2
      - 0
    .max_flat_workgroup_size: 1024
    .name:           _ZN7rocprim17ROCPRIM_400000_NS6detail17trampoline_kernelINS0_14default_configENS1_35adjacent_difference_config_selectorILb0ExEEZNS1_24adjacent_difference_implIS3_Lb0ELb0EPxS7_N6thrust23THRUST_200600_302600_NS4plusIxEEEE10hipError_tPvRmT2_T3_mT4_P12ihipStream_tbEUlT_E_NS1_11comp_targetILNS1_3genE8ELNS1_11target_archE1030ELNS1_3gpuE2ELNS1_3repE0EEENS1_30default_config_static_selectorELNS0_4arch9wavefront6targetE1EEEvT1_
    .private_segment_fixed_size: 0
    .sgpr_count:     4
    .sgpr_spill_count: 0
    .symbol:         _ZN7rocprim17ROCPRIM_400000_NS6detail17trampoline_kernelINS0_14default_configENS1_35adjacent_difference_config_selectorILb0ExEEZNS1_24adjacent_difference_implIS3_Lb0ELb0EPxS7_N6thrust23THRUST_200600_302600_NS4plusIxEEEE10hipError_tPvRmT2_T3_mT4_P12ihipStream_tbEUlT_E_NS1_11comp_targetILNS1_3genE8ELNS1_11target_archE1030ELNS1_3gpuE2ELNS1_3repE0EEENS1_30default_config_static_selectorELNS0_4arch9wavefront6targetE1EEEvT1_.kd
    .uniform_work_group_size: 1
    .uses_dynamic_stack: false
    .vgpr_count:     0
    .vgpr_spill_count: 0
    .wavefront_size: 64
  - .args:
      - .offset:         0
        .size:           56
        .value_kind:     by_value
    .group_segment_fixed_size: 0
    .kernarg_segment_align: 8
    .kernarg_segment_size: 56
    .language:       OpenCL C
    .language_version:
      - 2
      - 0
    .max_flat_workgroup_size: 128
    .name:           _ZN7rocprim17ROCPRIM_400000_NS6detail17trampoline_kernelINS0_14default_configENS1_25transform_config_selectorIxLb0EEEZNS1_14transform_implILb0ES3_S5_NS0_18transform_iteratorINS0_17counting_iteratorImlEEZNS1_24adjacent_difference_implIS3_Lb1ELb0EPxSB_N6thrust23THRUST_200600_302600_NS4plusIxEEEE10hipError_tPvRmT2_T3_mT4_P12ihipStream_tbEUlmE_xEESB_NS0_8identityIvEEEESG_SJ_SK_mSL_SN_bEUlT_E_NS1_11comp_targetILNS1_3genE0ELNS1_11target_archE4294967295ELNS1_3gpuE0ELNS1_3repE0EEENS1_30default_config_static_selectorELNS0_4arch9wavefront6targetE1EEEvT1_
    .private_segment_fixed_size: 0
    .sgpr_count:     4
    .sgpr_spill_count: 0
    .symbol:         _ZN7rocprim17ROCPRIM_400000_NS6detail17trampoline_kernelINS0_14default_configENS1_25transform_config_selectorIxLb0EEEZNS1_14transform_implILb0ES3_S5_NS0_18transform_iteratorINS0_17counting_iteratorImlEEZNS1_24adjacent_difference_implIS3_Lb1ELb0EPxSB_N6thrust23THRUST_200600_302600_NS4plusIxEEEE10hipError_tPvRmT2_T3_mT4_P12ihipStream_tbEUlmE_xEESB_NS0_8identityIvEEEESG_SJ_SK_mSL_SN_bEUlT_E_NS1_11comp_targetILNS1_3genE0ELNS1_11target_archE4294967295ELNS1_3gpuE0ELNS1_3repE0EEENS1_30default_config_static_selectorELNS0_4arch9wavefront6targetE1EEEvT1_.kd
    .uniform_work_group_size: 1
    .uses_dynamic_stack: false
    .vgpr_count:     0
    .vgpr_spill_count: 0
    .wavefront_size: 64
  - .args:
      - .offset:         0
        .size:           56
        .value_kind:     by_value
    .group_segment_fixed_size: 0
    .kernarg_segment_align: 8
    .kernarg_segment_size: 56
    .language:       OpenCL C
    .language_version:
      - 2
      - 0
    .max_flat_workgroup_size: 512
    .name:           _ZN7rocprim17ROCPRIM_400000_NS6detail17trampoline_kernelINS0_14default_configENS1_25transform_config_selectorIxLb0EEEZNS1_14transform_implILb0ES3_S5_NS0_18transform_iteratorINS0_17counting_iteratorImlEEZNS1_24adjacent_difference_implIS3_Lb1ELb0EPxSB_N6thrust23THRUST_200600_302600_NS4plusIxEEEE10hipError_tPvRmT2_T3_mT4_P12ihipStream_tbEUlmE_xEESB_NS0_8identityIvEEEESG_SJ_SK_mSL_SN_bEUlT_E_NS1_11comp_targetILNS1_3genE5ELNS1_11target_archE942ELNS1_3gpuE9ELNS1_3repE0EEENS1_30default_config_static_selectorELNS0_4arch9wavefront6targetE1EEEvT1_
    .private_segment_fixed_size: 0
    .sgpr_count:     4
    .sgpr_spill_count: 0
    .symbol:         _ZN7rocprim17ROCPRIM_400000_NS6detail17trampoline_kernelINS0_14default_configENS1_25transform_config_selectorIxLb0EEEZNS1_14transform_implILb0ES3_S5_NS0_18transform_iteratorINS0_17counting_iteratorImlEEZNS1_24adjacent_difference_implIS3_Lb1ELb0EPxSB_N6thrust23THRUST_200600_302600_NS4plusIxEEEE10hipError_tPvRmT2_T3_mT4_P12ihipStream_tbEUlmE_xEESB_NS0_8identityIvEEEESG_SJ_SK_mSL_SN_bEUlT_E_NS1_11comp_targetILNS1_3genE5ELNS1_11target_archE942ELNS1_3gpuE9ELNS1_3repE0EEENS1_30default_config_static_selectorELNS0_4arch9wavefront6targetE1EEEvT1_.kd
    .uniform_work_group_size: 1
    .uses_dynamic_stack: false
    .vgpr_count:     0
    .vgpr_spill_count: 0
    .wavefront_size: 64
  - .args:
      - .offset:         0
        .size:           56
        .value_kind:     by_value
    .group_segment_fixed_size: 0
    .kernarg_segment_align: 8
    .kernarg_segment_size: 56
    .language:       OpenCL C
    .language_version:
      - 2
      - 0
    .max_flat_workgroup_size: 256
    .name:           _ZN7rocprim17ROCPRIM_400000_NS6detail17trampoline_kernelINS0_14default_configENS1_25transform_config_selectorIxLb0EEEZNS1_14transform_implILb0ES3_S5_NS0_18transform_iteratorINS0_17counting_iteratorImlEEZNS1_24adjacent_difference_implIS3_Lb1ELb0EPxSB_N6thrust23THRUST_200600_302600_NS4plusIxEEEE10hipError_tPvRmT2_T3_mT4_P12ihipStream_tbEUlmE_xEESB_NS0_8identityIvEEEESG_SJ_SK_mSL_SN_bEUlT_E_NS1_11comp_targetILNS1_3genE4ELNS1_11target_archE910ELNS1_3gpuE8ELNS1_3repE0EEENS1_30default_config_static_selectorELNS0_4arch9wavefront6targetE1EEEvT1_
    .private_segment_fixed_size: 0
    .sgpr_count:     4
    .sgpr_spill_count: 0
    .symbol:         _ZN7rocprim17ROCPRIM_400000_NS6detail17trampoline_kernelINS0_14default_configENS1_25transform_config_selectorIxLb0EEEZNS1_14transform_implILb0ES3_S5_NS0_18transform_iteratorINS0_17counting_iteratorImlEEZNS1_24adjacent_difference_implIS3_Lb1ELb0EPxSB_N6thrust23THRUST_200600_302600_NS4plusIxEEEE10hipError_tPvRmT2_T3_mT4_P12ihipStream_tbEUlmE_xEESB_NS0_8identityIvEEEESG_SJ_SK_mSL_SN_bEUlT_E_NS1_11comp_targetILNS1_3genE4ELNS1_11target_archE910ELNS1_3gpuE8ELNS1_3repE0EEENS1_30default_config_static_selectorELNS0_4arch9wavefront6targetE1EEEvT1_.kd
    .uniform_work_group_size: 1
    .uses_dynamic_stack: false
    .vgpr_count:     0
    .vgpr_spill_count: 0
    .wavefront_size: 64
  - .args:
      - .offset:         0
        .size:           56
        .value_kind:     by_value
    .group_segment_fixed_size: 0
    .kernarg_segment_align: 8
    .kernarg_segment_size: 56
    .language:       OpenCL C
    .language_version:
      - 2
      - 0
    .max_flat_workgroup_size: 128
    .name:           _ZN7rocprim17ROCPRIM_400000_NS6detail17trampoline_kernelINS0_14default_configENS1_25transform_config_selectorIxLb0EEEZNS1_14transform_implILb0ES3_S5_NS0_18transform_iteratorINS0_17counting_iteratorImlEEZNS1_24adjacent_difference_implIS3_Lb1ELb0EPxSB_N6thrust23THRUST_200600_302600_NS4plusIxEEEE10hipError_tPvRmT2_T3_mT4_P12ihipStream_tbEUlmE_xEESB_NS0_8identityIvEEEESG_SJ_SK_mSL_SN_bEUlT_E_NS1_11comp_targetILNS1_3genE3ELNS1_11target_archE908ELNS1_3gpuE7ELNS1_3repE0EEENS1_30default_config_static_selectorELNS0_4arch9wavefront6targetE1EEEvT1_
    .private_segment_fixed_size: 0
    .sgpr_count:     4
    .sgpr_spill_count: 0
    .symbol:         _ZN7rocprim17ROCPRIM_400000_NS6detail17trampoline_kernelINS0_14default_configENS1_25transform_config_selectorIxLb0EEEZNS1_14transform_implILb0ES3_S5_NS0_18transform_iteratorINS0_17counting_iteratorImlEEZNS1_24adjacent_difference_implIS3_Lb1ELb0EPxSB_N6thrust23THRUST_200600_302600_NS4plusIxEEEE10hipError_tPvRmT2_T3_mT4_P12ihipStream_tbEUlmE_xEESB_NS0_8identityIvEEEESG_SJ_SK_mSL_SN_bEUlT_E_NS1_11comp_targetILNS1_3genE3ELNS1_11target_archE908ELNS1_3gpuE7ELNS1_3repE0EEENS1_30default_config_static_selectorELNS0_4arch9wavefront6targetE1EEEvT1_.kd
    .uniform_work_group_size: 1
    .uses_dynamic_stack: false
    .vgpr_count:     0
    .vgpr_spill_count: 0
    .wavefront_size: 64
  - .args:
      - .offset:         0
        .size:           56
        .value_kind:     by_value
      - .offset:         56
        .size:           4
        .value_kind:     hidden_block_count_x
      - .offset:         60
        .size:           4
        .value_kind:     hidden_block_count_y
      - .offset:         64
        .size:           4
        .value_kind:     hidden_block_count_z
      - .offset:         68
        .size:           2
        .value_kind:     hidden_group_size_x
      - .offset:         70
        .size:           2
        .value_kind:     hidden_group_size_y
      - .offset:         72
        .size:           2
        .value_kind:     hidden_group_size_z
      - .offset:         74
        .size:           2
        .value_kind:     hidden_remainder_x
      - .offset:         76
        .size:           2
        .value_kind:     hidden_remainder_y
      - .offset:         78
        .size:           2
        .value_kind:     hidden_remainder_z
      - .offset:         96
        .size:           8
        .value_kind:     hidden_global_offset_x
      - .offset:         104
        .size:           8
        .value_kind:     hidden_global_offset_y
      - .offset:         112
        .size:           8
        .value_kind:     hidden_global_offset_z
      - .offset:         120
        .size:           2
        .value_kind:     hidden_grid_dims
    .group_segment_fixed_size: 0
    .kernarg_segment_align: 8
    .kernarg_segment_size: 312
    .language:       OpenCL C
    .language_version:
      - 2
      - 0
    .max_flat_workgroup_size: 512
    .name:           _ZN7rocprim17ROCPRIM_400000_NS6detail17trampoline_kernelINS0_14default_configENS1_25transform_config_selectorIxLb0EEEZNS1_14transform_implILb0ES3_S5_NS0_18transform_iteratorINS0_17counting_iteratorImlEEZNS1_24adjacent_difference_implIS3_Lb1ELb0EPxSB_N6thrust23THRUST_200600_302600_NS4plusIxEEEE10hipError_tPvRmT2_T3_mT4_P12ihipStream_tbEUlmE_xEESB_NS0_8identityIvEEEESG_SJ_SK_mSL_SN_bEUlT_E_NS1_11comp_targetILNS1_3genE2ELNS1_11target_archE906ELNS1_3gpuE6ELNS1_3repE0EEENS1_30default_config_static_selectorELNS0_4arch9wavefront6targetE1EEEvT1_
    .private_segment_fixed_size: 0
    .sgpr_count:     16
    .sgpr_spill_count: 0
    .symbol:         _ZN7rocprim17ROCPRIM_400000_NS6detail17trampoline_kernelINS0_14default_configENS1_25transform_config_selectorIxLb0EEEZNS1_14transform_implILb0ES3_S5_NS0_18transform_iteratorINS0_17counting_iteratorImlEEZNS1_24adjacent_difference_implIS3_Lb1ELb0EPxSB_N6thrust23THRUST_200600_302600_NS4plusIxEEEE10hipError_tPvRmT2_T3_mT4_P12ihipStream_tbEUlmE_xEESB_NS0_8identityIvEEEESG_SJ_SK_mSL_SN_bEUlT_E_NS1_11comp_targetILNS1_3genE2ELNS1_11target_archE906ELNS1_3gpuE6ELNS1_3repE0EEENS1_30default_config_static_selectorELNS0_4arch9wavefront6targetE1EEEvT1_.kd
    .uniform_work_group_size: 1
    .uses_dynamic_stack: false
    .vgpr_count:     5
    .vgpr_spill_count: 0
    .wavefront_size: 64
  - .args:
      - .offset:         0
        .size:           56
        .value_kind:     by_value
    .group_segment_fixed_size: 0
    .kernarg_segment_align: 8
    .kernarg_segment_size: 56
    .language:       OpenCL C
    .language_version:
      - 2
      - 0
    .max_flat_workgroup_size: 1024
    .name:           _ZN7rocprim17ROCPRIM_400000_NS6detail17trampoline_kernelINS0_14default_configENS1_25transform_config_selectorIxLb0EEEZNS1_14transform_implILb0ES3_S5_NS0_18transform_iteratorINS0_17counting_iteratorImlEEZNS1_24adjacent_difference_implIS3_Lb1ELb0EPxSB_N6thrust23THRUST_200600_302600_NS4plusIxEEEE10hipError_tPvRmT2_T3_mT4_P12ihipStream_tbEUlmE_xEESB_NS0_8identityIvEEEESG_SJ_SK_mSL_SN_bEUlT_E_NS1_11comp_targetILNS1_3genE10ELNS1_11target_archE1201ELNS1_3gpuE5ELNS1_3repE0EEENS1_30default_config_static_selectorELNS0_4arch9wavefront6targetE1EEEvT1_
    .private_segment_fixed_size: 0
    .sgpr_count:     4
    .sgpr_spill_count: 0
    .symbol:         _ZN7rocprim17ROCPRIM_400000_NS6detail17trampoline_kernelINS0_14default_configENS1_25transform_config_selectorIxLb0EEEZNS1_14transform_implILb0ES3_S5_NS0_18transform_iteratorINS0_17counting_iteratorImlEEZNS1_24adjacent_difference_implIS3_Lb1ELb0EPxSB_N6thrust23THRUST_200600_302600_NS4plusIxEEEE10hipError_tPvRmT2_T3_mT4_P12ihipStream_tbEUlmE_xEESB_NS0_8identityIvEEEESG_SJ_SK_mSL_SN_bEUlT_E_NS1_11comp_targetILNS1_3genE10ELNS1_11target_archE1201ELNS1_3gpuE5ELNS1_3repE0EEENS1_30default_config_static_selectorELNS0_4arch9wavefront6targetE1EEEvT1_.kd
    .uniform_work_group_size: 1
    .uses_dynamic_stack: false
    .vgpr_count:     0
    .vgpr_spill_count: 0
    .wavefront_size: 64
  - .args:
      - .offset:         0
        .size:           56
        .value_kind:     by_value
    .group_segment_fixed_size: 0
    .kernarg_segment_align: 8
    .kernarg_segment_size: 56
    .language:       OpenCL C
    .language_version:
      - 2
      - 0
    .max_flat_workgroup_size: 512
    .name:           _ZN7rocprim17ROCPRIM_400000_NS6detail17trampoline_kernelINS0_14default_configENS1_25transform_config_selectorIxLb0EEEZNS1_14transform_implILb0ES3_S5_NS0_18transform_iteratorINS0_17counting_iteratorImlEEZNS1_24adjacent_difference_implIS3_Lb1ELb0EPxSB_N6thrust23THRUST_200600_302600_NS4plusIxEEEE10hipError_tPvRmT2_T3_mT4_P12ihipStream_tbEUlmE_xEESB_NS0_8identityIvEEEESG_SJ_SK_mSL_SN_bEUlT_E_NS1_11comp_targetILNS1_3genE10ELNS1_11target_archE1200ELNS1_3gpuE4ELNS1_3repE0EEENS1_30default_config_static_selectorELNS0_4arch9wavefront6targetE1EEEvT1_
    .private_segment_fixed_size: 0
    .sgpr_count:     4
    .sgpr_spill_count: 0
    .symbol:         _ZN7rocprim17ROCPRIM_400000_NS6detail17trampoline_kernelINS0_14default_configENS1_25transform_config_selectorIxLb0EEEZNS1_14transform_implILb0ES3_S5_NS0_18transform_iteratorINS0_17counting_iteratorImlEEZNS1_24adjacent_difference_implIS3_Lb1ELb0EPxSB_N6thrust23THRUST_200600_302600_NS4plusIxEEEE10hipError_tPvRmT2_T3_mT4_P12ihipStream_tbEUlmE_xEESB_NS0_8identityIvEEEESG_SJ_SK_mSL_SN_bEUlT_E_NS1_11comp_targetILNS1_3genE10ELNS1_11target_archE1200ELNS1_3gpuE4ELNS1_3repE0EEENS1_30default_config_static_selectorELNS0_4arch9wavefront6targetE1EEEvT1_.kd
    .uniform_work_group_size: 1
    .uses_dynamic_stack: false
    .vgpr_count:     0
    .vgpr_spill_count: 0
    .wavefront_size: 64
  - .args:
      - .offset:         0
        .size:           56
        .value_kind:     by_value
    .group_segment_fixed_size: 0
    .kernarg_segment_align: 8
    .kernarg_segment_size: 56
    .language:       OpenCL C
    .language_version:
      - 2
      - 0
    .max_flat_workgroup_size: 512
    .name:           _ZN7rocprim17ROCPRIM_400000_NS6detail17trampoline_kernelINS0_14default_configENS1_25transform_config_selectorIxLb0EEEZNS1_14transform_implILb0ES3_S5_NS0_18transform_iteratorINS0_17counting_iteratorImlEEZNS1_24adjacent_difference_implIS3_Lb1ELb0EPxSB_N6thrust23THRUST_200600_302600_NS4plusIxEEEE10hipError_tPvRmT2_T3_mT4_P12ihipStream_tbEUlmE_xEESB_NS0_8identityIvEEEESG_SJ_SK_mSL_SN_bEUlT_E_NS1_11comp_targetILNS1_3genE9ELNS1_11target_archE1100ELNS1_3gpuE3ELNS1_3repE0EEENS1_30default_config_static_selectorELNS0_4arch9wavefront6targetE1EEEvT1_
    .private_segment_fixed_size: 0
    .sgpr_count:     4
    .sgpr_spill_count: 0
    .symbol:         _ZN7rocprim17ROCPRIM_400000_NS6detail17trampoline_kernelINS0_14default_configENS1_25transform_config_selectorIxLb0EEEZNS1_14transform_implILb0ES3_S5_NS0_18transform_iteratorINS0_17counting_iteratorImlEEZNS1_24adjacent_difference_implIS3_Lb1ELb0EPxSB_N6thrust23THRUST_200600_302600_NS4plusIxEEEE10hipError_tPvRmT2_T3_mT4_P12ihipStream_tbEUlmE_xEESB_NS0_8identityIvEEEESG_SJ_SK_mSL_SN_bEUlT_E_NS1_11comp_targetILNS1_3genE9ELNS1_11target_archE1100ELNS1_3gpuE3ELNS1_3repE0EEENS1_30default_config_static_selectorELNS0_4arch9wavefront6targetE1EEEvT1_.kd
    .uniform_work_group_size: 1
    .uses_dynamic_stack: false
    .vgpr_count:     0
    .vgpr_spill_count: 0
    .wavefront_size: 64
  - .args:
      - .offset:         0
        .size:           56
        .value_kind:     by_value
    .group_segment_fixed_size: 0
    .kernarg_segment_align: 8
    .kernarg_segment_size: 56
    .language:       OpenCL C
    .language_version:
      - 2
      - 0
    .max_flat_workgroup_size: 512
    .name:           _ZN7rocprim17ROCPRIM_400000_NS6detail17trampoline_kernelINS0_14default_configENS1_25transform_config_selectorIxLb0EEEZNS1_14transform_implILb0ES3_S5_NS0_18transform_iteratorINS0_17counting_iteratorImlEEZNS1_24adjacent_difference_implIS3_Lb1ELb0EPxSB_N6thrust23THRUST_200600_302600_NS4plusIxEEEE10hipError_tPvRmT2_T3_mT4_P12ihipStream_tbEUlmE_xEESB_NS0_8identityIvEEEESG_SJ_SK_mSL_SN_bEUlT_E_NS1_11comp_targetILNS1_3genE8ELNS1_11target_archE1030ELNS1_3gpuE2ELNS1_3repE0EEENS1_30default_config_static_selectorELNS0_4arch9wavefront6targetE1EEEvT1_
    .private_segment_fixed_size: 0
    .sgpr_count:     4
    .sgpr_spill_count: 0
    .symbol:         _ZN7rocprim17ROCPRIM_400000_NS6detail17trampoline_kernelINS0_14default_configENS1_25transform_config_selectorIxLb0EEEZNS1_14transform_implILb0ES3_S5_NS0_18transform_iteratorINS0_17counting_iteratorImlEEZNS1_24adjacent_difference_implIS3_Lb1ELb0EPxSB_N6thrust23THRUST_200600_302600_NS4plusIxEEEE10hipError_tPvRmT2_T3_mT4_P12ihipStream_tbEUlmE_xEESB_NS0_8identityIvEEEESG_SJ_SK_mSL_SN_bEUlT_E_NS1_11comp_targetILNS1_3genE8ELNS1_11target_archE1030ELNS1_3gpuE2ELNS1_3repE0EEENS1_30default_config_static_selectorELNS0_4arch9wavefront6targetE1EEEvT1_.kd
    .uniform_work_group_size: 1
    .uses_dynamic_stack: false
    .vgpr_count:     0
    .vgpr_spill_count: 0
    .wavefront_size: 64
  - .args:
      - .offset:         0
        .size:           56
        .value_kind:     by_value
    .group_segment_fixed_size: 0
    .kernarg_segment_align: 8
    .kernarg_segment_size: 56
    .language:       OpenCL C
    .language_version:
      - 2
      - 0
    .max_flat_workgroup_size: 512
    .name:           _ZN7rocprim17ROCPRIM_400000_NS6detail17trampoline_kernelINS0_14default_configENS1_35adjacent_difference_config_selectorILb1ExEEZNS1_24adjacent_difference_implIS3_Lb1ELb0EPxS7_N6thrust23THRUST_200600_302600_NS4plusIxEEEE10hipError_tPvRmT2_T3_mT4_P12ihipStream_tbEUlT_E_NS1_11comp_targetILNS1_3genE0ELNS1_11target_archE4294967295ELNS1_3gpuE0ELNS1_3repE0EEENS1_30default_config_static_selectorELNS0_4arch9wavefront6targetE1EEEvT1_
    .private_segment_fixed_size: 0
    .sgpr_count:     4
    .sgpr_spill_count: 0
    .symbol:         _ZN7rocprim17ROCPRIM_400000_NS6detail17trampoline_kernelINS0_14default_configENS1_35adjacent_difference_config_selectorILb1ExEEZNS1_24adjacent_difference_implIS3_Lb1ELb0EPxS7_N6thrust23THRUST_200600_302600_NS4plusIxEEEE10hipError_tPvRmT2_T3_mT4_P12ihipStream_tbEUlT_E_NS1_11comp_targetILNS1_3genE0ELNS1_11target_archE4294967295ELNS1_3gpuE0ELNS1_3repE0EEENS1_30default_config_static_selectorELNS0_4arch9wavefront6targetE1EEEvT1_.kd
    .uniform_work_group_size: 1
    .uses_dynamic_stack: false
    .vgpr_count:     0
    .vgpr_spill_count: 0
    .wavefront_size: 64
  - .args:
      - .offset:         0
        .size:           56
        .value_kind:     by_value
    .group_segment_fixed_size: 0
    .kernarg_segment_align: 8
    .kernarg_segment_size: 56
    .language:       OpenCL C
    .language_version:
      - 2
      - 0
    .max_flat_workgroup_size: 32
    .name:           _ZN7rocprim17ROCPRIM_400000_NS6detail17trampoline_kernelINS0_14default_configENS1_35adjacent_difference_config_selectorILb1ExEEZNS1_24adjacent_difference_implIS3_Lb1ELb0EPxS7_N6thrust23THRUST_200600_302600_NS4plusIxEEEE10hipError_tPvRmT2_T3_mT4_P12ihipStream_tbEUlT_E_NS1_11comp_targetILNS1_3genE10ELNS1_11target_archE1201ELNS1_3gpuE5ELNS1_3repE0EEENS1_30default_config_static_selectorELNS0_4arch9wavefront6targetE1EEEvT1_
    .private_segment_fixed_size: 0
    .sgpr_count:     4
    .sgpr_spill_count: 0
    .symbol:         _ZN7rocprim17ROCPRIM_400000_NS6detail17trampoline_kernelINS0_14default_configENS1_35adjacent_difference_config_selectorILb1ExEEZNS1_24adjacent_difference_implIS3_Lb1ELb0EPxS7_N6thrust23THRUST_200600_302600_NS4plusIxEEEE10hipError_tPvRmT2_T3_mT4_P12ihipStream_tbEUlT_E_NS1_11comp_targetILNS1_3genE10ELNS1_11target_archE1201ELNS1_3gpuE5ELNS1_3repE0EEENS1_30default_config_static_selectorELNS0_4arch9wavefront6targetE1EEEvT1_.kd
    .uniform_work_group_size: 1
    .uses_dynamic_stack: false
    .vgpr_count:     0
    .vgpr_spill_count: 0
    .wavefront_size: 64
  - .args:
      - .offset:         0
        .size:           56
        .value_kind:     by_value
    .group_segment_fixed_size: 0
    .kernarg_segment_align: 8
    .kernarg_segment_size: 56
    .language:       OpenCL C
    .language_version:
      - 2
      - 0
    .max_flat_workgroup_size: 256
    .name:           _ZN7rocprim17ROCPRIM_400000_NS6detail17trampoline_kernelINS0_14default_configENS1_35adjacent_difference_config_selectorILb1ExEEZNS1_24adjacent_difference_implIS3_Lb1ELb0EPxS7_N6thrust23THRUST_200600_302600_NS4plusIxEEEE10hipError_tPvRmT2_T3_mT4_P12ihipStream_tbEUlT_E_NS1_11comp_targetILNS1_3genE5ELNS1_11target_archE942ELNS1_3gpuE9ELNS1_3repE0EEENS1_30default_config_static_selectorELNS0_4arch9wavefront6targetE1EEEvT1_
    .private_segment_fixed_size: 0
    .sgpr_count:     4
    .sgpr_spill_count: 0
    .symbol:         _ZN7rocprim17ROCPRIM_400000_NS6detail17trampoline_kernelINS0_14default_configENS1_35adjacent_difference_config_selectorILb1ExEEZNS1_24adjacent_difference_implIS3_Lb1ELb0EPxS7_N6thrust23THRUST_200600_302600_NS4plusIxEEEE10hipError_tPvRmT2_T3_mT4_P12ihipStream_tbEUlT_E_NS1_11comp_targetILNS1_3genE5ELNS1_11target_archE942ELNS1_3gpuE9ELNS1_3repE0EEENS1_30default_config_static_selectorELNS0_4arch9wavefront6targetE1EEEvT1_.kd
    .uniform_work_group_size: 1
    .uses_dynamic_stack: false
    .vgpr_count:     0
    .vgpr_spill_count: 0
    .wavefront_size: 64
  - .args:
      - .offset:         0
        .size:           56
        .value_kind:     by_value
    .group_segment_fixed_size: 0
    .kernarg_segment_align: 8
    .kernarg_segment_size: 56
    .language:       OpenCL C
    .language_version:
      - 2
      - 0
    .max_flat_workgroup_size: 512
    .name:           _ZN7rocprim17ROCPRIM_400000_NS6detail17trampoline_kernelINS0_14default_configENS1_35adjacent_difference_config_selectorILb1ExEEZNS1_24adjacent_difference_implIS3_Lb1ELb0EPxS7_N6thrust23THRUST_200600_302600_NS4plusIxEEEE10hipError_tPvRmT2_T3_mT4_P12ihipStream_tbEUlT_E_NS1_11comp_targetILNS1_3genE4ELNS1_11target_archE910ELNS1_3gpuE8ELNS1_3repE0EEENS1_30default_config_static_selectorELNS0_4arch9wavefront6targetE1EEEvT1_
    .private_segment_fixed_size: 0
    .sgpr_count:     4
    .sgpr_spill_count: 0
    .symbol:         _ZN7rocprim17ROCPRIM_400000_NS6detail17trampoline_kernelINS0_14default_configENS1_35adjacent_difference_config_selectorILb1ExEEZNS1_24adjacent_difference_implIS3_Lb1ELb0EPxS7_N6thrust23THRUST_200600_302600_NS4plusIxEEEE10hipError_tPvRmT2_T3_mT4_P12ihipStream_tbEUlT_E_NS1_11comp_targetILNS1_3genE4ELNS1_11target_archE910ELNS1_3gpuE8ELNS1_3repE0EEENS1_30default_config_static_selectorELNS0_4arch9wavefront6targetE1EEEvT1_.kd
    .uniform_work_group_size: 1
    .uses_dynamic_stack: false
    .vgpr_count:     0
    .vgpr_spill_count: 0
    .wavefront_size: 64
  - .args:
      - .offset:         0
        .size:           56
        .value_kind:     by_value
    .group_segment_fixed_size: 0
    .kernarg_segment_align: 8
    .kernarg_segment_size: 56
    .language:       OpenCL C
    .language_version:
      - 2
      - 0
    .max_flat_workgroup_size: 512
    .name:           _ZN7rocprim17ROCPRIM_400000_NS6detail17trampoline_kernelINS0_14default_configENS1_35adjacent_difference_config_selectorILb1ExEEZNS1_24adjacent_difference_implIS3_Lb1ELb0EPxS7_N6thrust23THRUST_200600_302600_NS4plusIxEEEE10hipError_tPvRmT2_T3_mT4_P12ihipStream_tbEUlT_E_NS1_11comp_targetILNS1_3genE3ELNS1_11target_archE908ELNS1_3gpuE7ELNS1_3repE0EEENS1_30default_config_static_selectorELNS0_4arch9wavefront6targetE1EEEvT1_
    .private_segment_fixed_size: 0
    .sgpr_count:     4
    .sgpr_spill_count: 0
    .symbol:         _ZN7rocprim17ROCPRIM_400000_NS6detail17trampoline_kernelINS0_14default_configENS1_35adjacent_difference_config_selectorILb1ExEEZNS1_24adjacent_difference_implIS3_Lb1ELb0EPxS7_N6thrust23THRUST_200600_302600_NS4plusIxEEEE10hipError_tPvRmT2_T3_mT4_P12ihipStream_tbEUlT_E_NS1_11comp_targetILNS1_3genE3ELNS1_11target_archE908ELNS1_3gpuE7ELNS1_3repE0EEENS1_30default_config_static_selectorELNS0_4arch9wavefront6targetE1EEEvT1_.kd
    .uniform_work_group_size: 1
    .uses_dynamic_stack: false
    .vgpr_count:     0
    .vgpr_spill_count: 0
    .wavefront_size: 64
  - .args:
      - .offset:         0
        .size:           56
        .value_kind:     by_value
    .group_segment_fixed_size: 11264
    .kernarg_segment_align: 8
    .kernarg_segment_size: 56
    .language:       OpenCL C
    .language_version:
      - 2
      - 0
    .max_flat_workgroup_size: 128
    .name:           _ZN7rocprim17ROCPRIM_400000_NS6detail17trampoline_kernelINS0_14default_configENS1_35adjacent_difference_config_selectorILb1ExEEZNS1_24adjacent_difference_implIS3_Lb1ELb0EPxS7_N6thrust23THRUST_200600_302600_NS4plusIxEEEE10hipError_tPvRmT2_T3_mT4_P12ihipStream_tbEUlT_E_NS1_11comp_targetILNS1_3genE2ELNS1_11target_archE906ELNS1_3gpuE6ELNS1_3repE0EEENS1_30default_config_static_selectorELNS0_4arch9wavefront6targetE1EEEvT1_
    .private_segment_fixed_size: 0
    .sgpr_count:     33
    .sgpr_spill_count: 0
    .symbol:         _ZN7rocprim17ROCPRIM_400000_NS6detail17trampoline_kernelINS0_14default_configENS1_35adjacent_difference_config_selectorILb1ExEEZNS1_24adjacent_difference_implIS3_Lb1ELb0EPxS7_N6thrust23THRUST_200600_302600_NS4plusIxEEEE10hipError_tPvRmT2_T3_mT4_P12ihipStream_tbEUlT_E_NS1_11comp_targetILNS1_3genE2ELNS1_11target_archE906ELNS1_3gpuE6ELNS1_3repE0EEENS1_30default_config_static_selectorELNS0_4arch9wavefront6targetE1EEEvT1_.kd
    .uniform_work_group_size: 1
    .uses_dynamic_stack: false
    .vgpr_count:     48
    .vgpr_spill_count: 0
    .wavefront_size: 64
  - .args:
      - .offset:         0
        .size:           56
        .value_kind:     by_value
    .group_segment_fixed_size: 0
    .kernarg_segment_align: 8
    .kernarg_segment_size: 56
    .language:       OpenCL C
    .language_version:
      - 2
      - 0
    .max_flat_workgroup_size: 128
    .name:           _ZN7rocprim17ROCPRIM_400000_NS6detail17trampoline_kernelINS0_14default_configENS1_35adjacent_difference_config_selectorILb1ExEEZNS1_24adjacent_difference_implIS3_Lb1ELb0EPxS7_N6thrust23THRUST_200600_302600_NS4plusIxEEEE10hipError_tPvRmT2_T3_mT4_P12ihipStream_tbEUlT_E_NS1_11comp_targetILNS1_3genE9ELNS1_11target_archE1100ELNS1_3gpuE3ELNS1_3repE0EEENS1_30default_config_static_selectorELNS0_4arch9wavefront6targetE1EEEvT1_
    .private_segment_fixed_size: 0
    .sgpr_count:     4
    .sgpr_spill_count: 0
    .symbol:         _ZN7rocprim17ROCPRIM_400000_NS6detail17trampoline_kernelINS0_14default_configENS1_35adjacent_difference_config_selectorILb1ExEEZNS1_24adjacent_difference_implIS3_Lb1ELb0EPxS7_N6thrust23THRUST_200600_302600_NS4plusIxEEEE10hipError_tPvRmT2_T3_mT4_P12ihipStream_tbEUlT_E_NS1_11comp_targetILNS1_3genE9ELNS1_11target_archE1100ELNS1_3gpuE3ELNS1_3repE0EEENS1_30default_config_static_selectorELNS0_4arch9wavefront6targetE1EEEvT1_.kd
    .uniform_work_group_size: 1
    .uses_dynamic_stack: false
    .vgpr_count:     0
    .vgpr_spill_count: 0
    .wavefront_size: 64
  - .args:
      - .offset:         0
        .size:           56
        .value_kind:     by_value
    .group_segment_fixed_size: 0
    .kernarg_segment_align: 8
    .kernarg_segment_size: 56
    .language:       OpenCL C
    .language_version:
      - 2
      - 0
    .max_flat_workgroup_size: 32
    .name:           _ZN7rocprim17ROCPRIM_400000_NS6detail17trampoline_kernelINS0_14default_configENS1_35adjacent_difference_config_selectorILb1ExEEZNS1_24adjacent_difference_implIS3_Lb1ELb0EPxS7_N6thrust23THRUST_200600_302600_NS4plusIxEEEE10hipError_tPvRmT2_T3_mT4_P12ihipStream_tbEUlT_E_NS1_11comp_targetILNS1_3genE8ELNS1_11target_archE1030ELNS1_3gpuE2ELNS1_3repE0EEENS1_30default_config_static_selectorELNS0_4arch9wavefront6targetE1EEEvT1_
    .private_segment_fixed_size: 0
    .sgpr_count:     4
    .sgpr_spill_count: 0
    .symbol:         _ZN7rocprim17ROCPRIM_400000_NS6detail17trampoline_kernelINS0_14default_configENS1_35adjacent_difference_config_selectorILb1ExEEZNS1_24adjacent_difference_implIS3_Lb1ELb0EPxS7_N6thrust23THRUST_200600_302600_NS4plusIxEEEE10hipError_tPvRmT2_T3_mT4_P12ihipStream_tbEUlT_E_NS1_11comp_targetILNS1_3genE8ELNS1_11target_archE1030ELNS1_3gpuE2ELNS1_3repE0EEENS1_30default_config_static_selectorELNS0_4arch9wavefront6targetE1EEEvT1_.kd
    .uniform_work_group_size: 1
    .uses_dynamic_stack: false
    .vgpr_count:     0
    .vgpr_spill_count: 0
    .wavefront_size: 64
  - .args:
      - .offset:         0
        .size:           56
        .value_kind:     by_value
    .group_segment_fixed_size: 0
    .kernarg_segment_align: 8
    .kernarg_segment_size: 56
    .language:       OpenCL C
    .language_version:
      - 2
      - 0
    .max_flat_workgroup_size: 128
    .name:           _ZN7rocprim17ROCPRIM_400000_NS6detail17trampoline_kernelINS0_14default_configENS1_35adjacent_difference_config_selectorILb0EiEEZNS1_24adjacent_difference_implIS3_Lb0ELb0EPiS7_N6thrust23THRUST_200600_302600_NS5minusIiEEEE10hipError_tPvRmT2_T3_mT4_P12ihipStream_tbEUlT_E_NS1_11comp_targetILNS1_3genE0ELNS1_11target_archE4294967295ELNS1_3gpuE0ELNS1_3repE0EEENS1_30default_config_static_selectorELNS0_4arch9wavefront6targetE1EEEvT1_
    .private_segment_fixed_size: 0
    .sgpr_count:     4
    .sgpr_spill_count: 0
    .symbol:         _ZN7rocprim17ROCPRIM_400000_NS6detail17trampoline_kernelINS0_14default_configENS1_35adjacent_difference_config_selectorILb0EiEEZNS1_24adjacent_difference_implIS3_Lb0ELb0EPiS7_N6thrust23THRUST_200600_302600_NS5minusIiEEEE10hipError_tPvRmT2_T3_mT4_P12ihipStream_tbEUlT_E_NS1_11comp_targetILNS1_3genE0ELNS1_11target_archE4294967295ELNS1_3gpuE0ELNS1_3repE0EEENS1_30default_config_static_selectorELNS0_4arch9wavefront6targetE1EEEvT1_.kd
    .uniform_work_group_size: 1
    .uses_dynamic_stack: false
    .vgpr_count:     0
    .vgpr_spill_count: 0
    .wavefront_size: 64
  - .args:
      - .offset:         0
        .size:           56
        .value_kind:     by_value
    .group_segment_fixed_size: 0
    .kernarg_segment_align: 8
    .kernarg_segment_size: 56
    .language:       OpenCL C
    .language_version:
      - 2
      - 0
    .max_flat_workgroup_size: 128
    .name:           _ZN7rocprim17ROCPRIM_400000_NS6detail17trampoline_kernelINS0_14default_configENS1_35adjacent_difference_config_selectorILb0EiEEZNS1_24adjacent_difference_implIS3_Lb0ELb0EPiS7_N6thrust23THRUST_200600_302600_NS5minusIiEEEE10hipError_tPvRmT2_T3_mT4_P12ihipStream_tbEUlT_E_NS1_11comp_targetILNS1_3genE10ELNS1_11target_archE1201ELNS1_3gpuE5ELNS1_3repE0EEENS1_30default_config_static_selectorELNS0_4arch9wavefront6targetE1EEEvT1_
    .private_segment_fixed_size: 0
    .sgpr_count:     4
    .sgpr_spill_count: 0
    .symbol:         _ZN7rocprim17ROCPRIM_400000_NS6detail17trampoline_kernelINS0_14default_configENS1_35adjacent_difference_config_selectorILb0EiEEZNS1_24adjacent_difference_implIS3_Lb0ELb0EPiS7_N6thrust23THRUST_200600_302600_NS5minusIiEEEE10hipError_tPvRmT2_T3_mT4_P12ihipStream_tbEUlT_E_NS1_11comp_targetILNS1_3genE10ELNS1_11target_archE1201ELNS1_3gpuE5ELNS1_3repE0EEENS1_30default_config_static_selectorELNS0_4arch9wavefront6targetE1EEEvT1_.kd
    .uniform_work_group_size: 1
    .uses_dynamic_stack: false
    .vgpr_count:     0
    .vgpr_spill_count: 0
    .wavefront_size: 64
  - .args:
      - .offset:         0
        .size:           56
        .value_kind:     by_value
    .group_segment_fixed_size: 0
    .kernarg_segment_align: 8
    .kernarg_segment_size: 56
    .language:       OpenCL C
    .language_version:
      - 2
      - 0
    .max_flat_workgroup_size: 64
    .name:           _ZN7rocprim17ROCPRIM_400000_NS6detail17trampoline_kernelINS0_14default_configENS1_35adjacent_difference_config_selectorILb0EiEEZNS1_24adjacent_difference_implIS3_Lb0ELb0EPiS7_N6thrust23THRUST_200600_302600_NS5minusIiEEEE10hipError_tPvRmT2_T3_mT4_P12ihipStream_tbEUlT_E_NS1_11comp_targetILNS1_3genE5ELNS1_11target_archE942ELNS1_3gpuE9ELNS1_3repE0EEENS1_30default_config_static_selectorELNS0_4arch9wavefront6targetE1EEEvT1_
    .private_segment_fixed_size: 0
    .sgpr_count:     4
    .sgpr_spill_count: 0
    .symbol:         _ZN7rocprim17ROCPRIM_400000_NS6detail17trampoline_kernelINS0_14default_configENS1_35adjacent_difference_config_selectorILb0EiEEZNS1_24adjacent_difference_implIS3_Lb0ELb0EPiS7_N6thrust23THRUST_200600_302600_NS5minusIiEEEE10hipError_tPvRmT2_T3_mT4_P12ihipStream_tbEUlT_E_NS1_11comp_targetILNS1_3genE5ELNS1_11target_archE942ELNS1_3gpuE9ELNS1_3repE0EEENS1_30default_config_static_selectorELNS0_4arch9wavefront6targetE1EEEvT1_.kd
    .uniform_work_group_size: 1
    .uses_dynamic_stack: false
    .vgpr_count:     0
    .vgpr_spill_count: 0
    .wavefront_size: 64
  - .args:
      - .offset:         0
        .size:           56
        .value_kind:     by_value
    .group_segment_fixed_size: 0
    .kernarg_segment_align: 8
    .kernarg_segment_size: 56
    .language:       OpenCL C
    .language_version:
      - 2
      - 0
    .max_flat_workgroup_size: 512
    .name:           _ZN7rocprim17ROCPRIM_400000_NS6detail17trampoline_kernelINS0_14default_configENS1_35adjacent_difference_config_selectorILb0EiEEZNS1_24adjacent_difference_implIS3_Lb0ELb0EPiS7_N6thrust23THRUST_200600_302600_NS5minusIiEEEE10hipError_tPvRmT2_T3_mT4_P12ihipStream_tbEUlT_E_NS1_11comp_targetILNS1_3genE4ELNS1_11target_archE910ELNS1_3gpuE8ELNS1_3repE0EEENS1_30default_config_static_selectorELNS0_4arch9wavefront6targetE1EEEvT1_
    .private_segment_fixed_size: 0
    .sgpr_count:     4
    .sgpr_spill_count: 0
    .symbol:         _ZN7rocprim17ROCPRIM_400000_NS6detail17trampoline_kernelINS0_14default_configENS1_35adjacent_difference_config_selectorILb0EiEEZNS1_24adjacent_difference_implIS3_Lb0ELb0EPiS7_N6thrust23THRUST_200600_302600_NS5minusIiEEEE10hipError_tPvRmT2_T3_mT4_P12ihipStream_tbEUlT_E_NS1_11comp_targetILNS1_3genE4ELNS1_11target_archE910ELNS1_3gpuE8ELNS1_3repE0EEENS1_30default_config_static_selectorELNS0_4arch9wavefront6targetE1EEEvT1_.kd
    .uniform_work_group_size: 1
    .uses_dynamic_stack: false
    .vgpr_count:     0
    .vgpr_spill_count: 0
    .wavefront_size: 64
  - .args:
      - .offset:         0
        .size:           56
        .value_kind:     by_value
    .group_segment_fixed_size: 0
    .kernarg_segment_align: 8
    .kernarg_segment_size: 56
    .language:       OpenCL C
    .language_version:
      - 2
      - 0
    .max_flat_workgroup_size: 128
    .name:           _ZN7rocprim17ROCPRIM_400000_NS6detail17trampoline_kernelINS0_14default_configENS1_35adjacent_difference_config_selectorILb0EiEEZNS1_24adjacent_difference_implIS3_Lb0ELb0EPiS7_N6thrust23THRUST_200600_302600_NS5minusIiEEEE10hipError_tPvRmT2_T3_mT4_P12ihipStream_tbEUlT_E_NS1_11comp_targetILNS1_3genE3ELNS1_11target_archE908ELNS1_3gpuE7ELNS1_3repE0EEENS1_30default_config_static_selectorELNS0_4arch9wavefront6targetE1EEEvT1_
    .private_segment_fixed_size: 0
    .sgpr_count:     4
    .sgpr_spill_count: 0
    .symbol:         _ZN7rocprim17ROCPRIM_400000_NS6detail17trampoline_kernelINS0_14default_configENS1_35adjacent_difference_config_selectorILb0EiEEZNS1_24adjacent_difference_implIS3_Lb0ELb0EPiS7_N6thrust23THRUST_200600_302600_NS5minusIiEEEE10hipError_tPvRmT2_T3_mT4_P12ihipStream_tbEUlT_E_NS1_11comp_targetILNS1_3genE3ELNS1_11target_archE908ELNS1_3gpuE7ELNS1_3repE0EEENS1_30default_config_static_selectorELNS0_4arch9wavefront6targetE1EEEvT1_.kd
    .uniform_work_group_size: 1
    .uses_dynamic_stack: false
    .vgpr_count:     0
    .vgpr_spill_count: 0
    .wavefront_size: 64
  - .args:
      - .offset:         0
        .size:           56
        .value_kind:     by_value
    .group_segment_fixed_size: 20480
    .kernarg_segment_align: 8
    .kernarg_segment_size: 56
    .language:       OpenCL C
    .language_version:
      - 2
      - 0
    .max_flat_workgroup_size: 1024
    .name:           _ZN7rocprim17ROCPRIM_400000_NS6detail17trampoline_kernelINS0_14default_configENS1_35adjacent_difference_config_selectorILb0EiEEZNS1_24adjacent_difference_implIS3_Lb0ELb0EPiS7_N6thrust23THRUST_200600_302600_NS5minusIiEEEE10hipError_tPvRmT2_T3_mT4_P12ihipStream_tbEUlT_E_NS1_11comp_targetILNS1_3genE2ELNS1_11target_archE906ELNS1_3gpuE6ELNS1_3repE0EEENS1_30default_config_static_selectorELNS0_4arch9wavefront6targetE1EEEvT1_
    .private_segment_fixed_size: 0
    .sgpr_count:     27
    .sgpr_spill_count: 0
    .symbol:         _ZN7rocprim17ROCPRIM_400000_NS6detail17trampoline_kernelINS0_14default_configENS1_35adjacent_difference_config_selectorILb0EiEEZNS1_24adjacent_difference_implIS3_Lb0ELb0EPiS7_N6thrust23THRUST_200600_302600_NS5minusIiEEEE10hipError_tPvRmT2_T3_mT4_P12ihipStream_tbEUlT_E_NS1_11comp_targetILNS1_3genE2ELNS1_11target_archE906ELNS1_3gpuE6ELNS1_3repE0EEENS1_30default_config_static_selectorELNS0_4arch9wavefront6targetE1EEEvT1_.kd
    .uniform_work_group_size: 1
    .uses_dynamic_stack: false
    .vgpr_count:     17
    .vgpr_spill_count: 0
    .wavefront_size: 64
  - .args:
      - .offset:         0
        .size:           56
        .value_kind:     by_value
    .group_segment_fixed_size: 0
    .kernarg_segment_align: 8
    .kernarg_segment_size: 56
    .language:       OpenCL C
    .language_version:
      - 2
      - 0
    .max_flat_workgroup_size: 1024
    .name:           _ZN7rocprim17ROCPRIM_400000_NS6detail17trampoline_kernelINS0_14default_configENS1_35adjacent_difference_config_selectorILb0EiEEZNS1_24adjacent_difference_implIS3_Lb0ELb0EPiS7_N6thrust23THRUST_200600_302600_NS5minusIiEEEE10hipError_tPvRmT2_T3_mT4_P12ihipStream_tbEUlT_E_NS1_11comp_targetILNS1_3genE9ELNS1_11target_archE1100ELNS1_3gpuE3ELNS1_3repE0EEENS1_30default_config_static_selectorELNS0_4arch9wavefront6targetE1EEEvT1_
    .private_segment_fixed_size: 0
    .sgpr_count:     4
    .sgpr_spill_count: 0
    .symbol:         _ZN7rocprim17ROCPRIM_400000_NS6detail17trampoline_kernelINS0_14default_configENS1_35adjacent_difference_config_selectorILb0EiEEZNS1_24adjacent_difference_implIS3_Lb0ELb0EPiS7_N6thrust23THRUST_200600_302600_NS5minusIiEEEE10hipError_tPvRmT2_T3_mT4_P12ihipStream_tbEUlT_E_NS1_11comp_targetILNS1_3genE9ELNS1_11target_archE1100ELNS1_3gpuE3ELNS1_3repE0EEENS1_30default_config_static_selectorELNS0_4arch9wavefront6targetE1EEEvT1_.kd
    .uniform_work_group_size: 1
    .uses_dynamic_stack: false
    .vgpr_count:     0
    .vgpr_spill_count: 0
    .wavefront_size: 64
  - .args:
      - .offset:         0
        .size:           56
        .value_kind:     by_value
    .group_segment_fixed_size: 0
    .kernarg_segment_align: 8
    .kernarg_segment_size: 56
    .language:       OpenCL C
    .language_version:
      - 2
      - 0
    .max_flat_workgroup_size: 1024
    .name:           _ZN7rocprim17ROCPRIM_400000_NS6detail17trampoline_kernelINS0_14default_configENS1_35adjacent_difference_config_selectorILb0EiEEZNS1_24adjacent_difference_implIS3_Lb0ELb0EPiS7_N6thrust23THRUST_200600_302600_NS5minusIiEEEE10hipError_tPvRmT2_T3_mT4_P12ihipStream_tbEUlT_E_NS1_11comp_targetILNS1_3genE8ELNS1_11target_archE1030ELNS1_3gpuE2ELNS1_3repE0EEENS1_30default_config_static_selectorELNS0_4arch9wavefront6targetE1EEEvT1_
    .private_segment_fixed_size: 0
    .sgpr_count:     4
    .sgpr_spill_count: 0
    .symbol:         _ZN7rocprim17ROCPRIM_400000_NS6detail17trampoline_kernelINS0_14default_configENS1_35adjacent_difference_config_selectorILb0EiEEZNS1_24adjacent_difference_implIS3_Lb0ELb0EPiS7_N6thrust23THRUST_200600_302600_NS5minusIiEEEE10hipError_tPvRmT2_T3_mT4_P12ihipStream_tbEUlT_E_NS1_11comp_targetILNS1_3genE8ELNS1_11target_archE1030ELNS1_3gpuE2ELNS1_3repE0EEENS1_30default_config_static_selectorELNS0_4arch9wavefront6targetE1EEEvT1_.kd
    .uniform_work_group_size: 1
    .uses_dynamic_stack: false
    .vgpr_count:     0
    .vgpr_spill_count: 0
    .wavefront_size: 64
  - .args:
      - .offset:         0
        .size:           56
        .value_kind:     by_value
    .group_segment_fixed_size: 0
    .kernarg_segment_align: 8
    .kernarg_segment_size: 56
    .language:       OpenCL C
    .language_version:
      - 2
      - 0
    .max_flat_workgroup_size: 128
    .name:           _ZN7rocprim17ROCPRIM_400000_NS6detail17trampoline_kernelINS0_14default_configENS1_25transform_config_selectorIiLb0EEEZNS1_14transform_implILb0ES3_S5_NS0_18transform_iteratorINS0_17counting_iteratorImlEEZNS1_24adjacent_difference_implIS3_Lb1ELb0EPiSB_N6thrust23THRUST_200600_302600_NS5minusIiEEEE10hipError_tPvRmT2_T3_mT4_P12ihipStream_tbEUlmE_iEESB_NS0_8identityIvEEEESG_SJ_SK_mSL_SN_bEUlT_E_NS1_11comp_targetILNS1_3genE0ELNS1_11target_archE4294967295ELNS1_3gpuE0ELNS1_3repE0EEENS1_30default_config_static_selectorELNS0_4arch9wavefront6targetE1EEEvT1_
    .private_segment_fixed_size: 0
    .sgpr_count:     4
    .sgpr_spill_count: 0
    .symbol:         _ZN7rocprim17ROCPRIM_400000_NS6detail17trampoline_kernelINS0_14default_configENS1_25transform_config_selectorIiLb0EEEZNS1_14transform_implILb0ES3_S5_NS0_18transform_iteratorINS0_17counting_iteratorImlEEZNS1_24adjacent_difference_implIS3_Lb1ELb0EPiSB_N6thrust23THRUST_200600_302600_NS5minusIiEEEE10hipError_tPvRmT2_T3_mT4_P12ihipStream_tbEUlmE_iEESB_NS0_8identityIvEEEESG_SJ_SK_mSL_SN_bEUlT_E_NS1_11comp_targetILNS1_3genE0ELNS1_11target_archE4294967295ELNS1_3gpuE0ELNS1_3repE0EEENS1_30default_config_static_selectorELNS0_4arch9wavefront6targetE1EEEvT1_.kd
    .uniform_work_group_size: 1
    .uses_dynamic_stack: false
    .vgpr_count:     0
    .vgpr_spill_count: 0
    .wavefront_size: 64
  - .args:
      - .offset:         0
        .size:           56
        .value_kind:     by_value
    .group_segment_fixed_size: 0
    .kernarg_segment_align: 8
    .kernarg_segment_size: 56
    .language:       OpenCL C
    .language_version:
      - 2
      - 0
    .max_flat_workgroup_size: 512
    .name:           _ZN7rocprim17ROCPRIM_400000_NS6detail17trampoline_kernelINS0_14default_configENS1_25transform_config_selectorIiLb0EEEZNS1_14transform_implILb0ES3_S5_NS0_18transform_iteratorINS0_17counting_iteratorImlEEZNS1_24adjacent_difference_implIS3_Lb1ELb0EPiSB_N6thrust23THRUST_200600_302600_NS5minusIiEEEE10hipError_tPvRmT2_T3_mT4_P12ihipStream_tbEUlmE_iEESB_NS0_8identityIvEEEESG_SJ_SK_mSL_SN_bEUlT_E_NS1_11comp_targetILNS1_3genE5ELNS1_11target_archE942ELNS1_3gpuE9ELNS1_3repE0EEENS1_30default_config_static_selectorELNS0_4arch9wavefront6targetE1EEEvT1_
    .private_segment_fixed_size: 0
    .sgpr_count:     4
    .sgpr_spill_count: 0
    .symbol:         _ZN7rocprim17ROCPRIM_400000_NS6detail17trampoline_kernelINS0_14default_configENS1_25transform_config_selectorIiLb0EEEZNS1_14transform_implILb0ES3_S5_NS0_18transform_iteratorINS0_17counting_iteratorImlEEZNS1_24adjacent_difference_implIS3_Lb1ELb0EPiSB_N6thrust23THRUST_200600_302600_NS5minusIiEEEE10hipError_tPvRmT2_T3_mT4_P12ihipStream_tbEUlmE_iEESB_NS0_8identityIvEEEESG_SJ_SK_mSL_SN_bEUlT_E_NS1_11comp_targetILNS1_3genE5ELNS1_11target_archE942ELNS1_3gpuE9ELNS1_3repE0EEENS1_30default_config_static_selectorELNS0_4arch9wavefront6targetE1EEEvT1_.kd
    .uniform_work_group_size: 1
    .uses_dynamic_stack: false
    .vgpr_count:     0
    .vgpr_spill_count: 0
    .wavefront_size: 64
  - .args:
      - .offset:         0
        .size:           56
        .value_kind:     by_value
    .group_segment_fixed_size: 0
    .kernarg_segment_align: 8
    .kernarg_segment_size: 56
    .language:       OpenCL C
    .language_version:
      - 2
      - 0
    .max_flat_workgroup_size: 1024
    .name:           _ZN7rocprim17ROCPRIM_400000_NS6detail17trampoline_kernelINS0_14default_configENS1_25transform_config_selectorIiLb0EEEZNS1_14transform_implILb0ES3_S5_NS0_18transform_iteratorINS0_17counting_iteratorImlEEZNS1_24adjacent_difference_implIS3_Lb1ELb0EPiSB_N6thrust23THRUST_200600_302600_NS5minusIiEEEE10hipError_tPvRmT2_T3_mT4_P12ihipStream_tbEUlmE_iEESB_NS0_8identityIvEEEESG_SJ_SK_mSL_SN_bEUlT_E_NS1_11comp_targetILNS1_3genE4ELNS1_11target_archE910ELNS1_3gpuE8ELNS1_3repE0EEENS1_30default_config_static_selectorELNS0_4arch9wavefront6targetE1EEEvT1_
    .private_segment_fixed_size: 0
    .sgpr_count:     4
    .sgpr_spill_count: 0
    .symbol:         _ZN7rocprim17ROCPRIM_400000_NS6detail17trampoline_kernelINS0_14default_configENS1_25transform_config_selectorIiLb0EEEZNS1_14transform_implILb0ES3_S5_NS0_18transform_iteratorINS0_17counting_iteratorImlEEZNS1_24adjacent_difference_implIS3_Lb1ELb0EPiSB_N6thrust23THRUST_200600_302600_NS5minusIiEEEE10hipError_tPvRmT2_T3_mT4_P12ihipStream_tbEUlmE_iEESB_NS0_8identityIvEEEESG_SJ_SK_mSL_SN_bEUlT_E_NS1_11comp_targetILNS1_3genE4ELNS1_11target_archE910ELNS1_3gpuE8ELNS1_3repE0EEENS1_30default_config_static_selectorELNS0_4arch9wavefront6targetE1EEEvT1_.kd
    .uniform_work_group_size: 1
    .uses_dynamic_stack: false
    .vgpr_count:     0
    .vgpr_spill_count: 0
    .wavefront_size: 64
  - .args:
      - .offset:         0
        .size:           56
        .value_kind:     by_value
    .group_segment_fixed_size: 0
    .kernarg_segment_align: 8
    .kernarg_segment_size: 56
    .language:       OpenCL C
    .language_version:
      - 2
      - 0
    .max_flat_workgroup_size: 128
    .name:           _ZN7rocprim17ROCPRIM_400000_NS6detail17trampoline_kernelINS0_14default_configENS1_25transform_config_selectorIiLb0EEEZNS1_14transform_implILb0ES3_S5_NS0_18transform_iteratorINS0_17counting_iteratorImlEEZNS1_24adjacent_difference_implIS3_Lb1ELb0EPiSB_N6thrust23THRUST_200600_302600_NS5minusIiEEEE10hipError_tPvRmT2_T3_mT4_P12ihipStream_tbEUlmE_iEESB_NS0_8identityIvEEEESG_SJ_SK_mSL_SN_bEUlT_E_NS1_11comp_targetILNS1_3genE3ELNS1_11target_archE908ELNS1_3gpuE7ELNS1_3repE0EEENS1_30default_config_static_selectorELNS0_4arch9wavefront6targetE1EEEvT1_
    .private_segment_fixed_size: 0
    .sgpr_count:     4
    .sgpr_spill_count: 0
    .symbol:         _ZN7rocprim17ROCPRIM_400000_NS6detail17trampoline_kernelINS0_14default_configENS1_25transform_config_selectorIiLb0EEEZNS1_14transform_implILb0ES3_S5_NS0_18transform_iteratorINS0_17counting_iteratorImlEEZNS1_24adjacent_difference_implIS3_Lb1ELb0EPiSB_N6thrust23THRUST_200600_302600_NS5minusIiEEEE10hipError_tPvRmT2_T3_mT4_P12ihipStream_tbEUlmE_iEESB_NS0_8identityIvEEEESG_SJ_SK_mSL_SN_bEUlT_E_NS1_11comp_targetILNS1_3genE3ELNS1_11target_archE908ELNS1_3gpuE7ELNS1_3repE0EEENS1_30default_config_static_selectorELNS0_4arch9wavefront6targetE1EEEvT1_.kd
    .uniform_work_group_size: 1
    .uses_dynamic_stack: false
    .vgpr_count:     0
    .vgpr_spill_count: 0
    .wavefront_size: 64
  - .args:
      - .offset:         0
        .size:           56
        .value_kind:     by_value
      - .offset:         56
        .size:           4
        .value_kind:     hidden_block_count_x
      - .offset:         60
        .size:           4
        .value_kind:     hidden_block_count_y
      - .offset:         64
        .size:           4
        .value_kind:     hidden_block_count_z
      - .offset:         68
        .size:           2
        .value_kind:     hidden_group_size_x
      - .offset:         70
        .size:           2
        .value_kind:     hidden_group_size_y
      - .offset:         72
        .size:           2
        .value_kind:     hidden_group_size_z
      - .offset:         74
        .size:           2
        .value_kind:     hidden_remainder_x
      - .offset:         76
        .size:           2
        .value_kind:     hidden_remainder_y
      - .offset:         78
        .size:           2
        .value_kind:     hidden_remainder_z
      - .offset:         96
        .size:           8
        .value_kind:     hidden_global_offset_x
      - .offset:         104
        .size:           8
        .value_kind:     hidden_global_offset_y
      - .offset:         112
        .size:           8
        .value_kind:     hidden_global_offset_z
      - .offset:         120
        .size:           2
        .value_kind:     hidden_grid_dims
    .group_segment_fixed_size: 0
    .kernarg_segment_align: 8
    .kernarg_segment_size: 312
    .language:       OpenCL C
    .language_version:
      - 2
      - 0
    .max_flat_workgroup_size: 1024
    .name:           _ZN7rocprim17ROCPRIM_400000_NS6detail17trampoline_kernelINS0_14default_configENS1_25transform_config_selectorIiLb0EEEZNS1_14transform_implILb0ES3_S5_NS0_18transform_iteratorINS0_17counting_iteratorImlEEZNS1_24adjacent_difference_implIS3_Lb1ELb0EPiSB_N6thrust23THRUST_200600_302600_NS5minusIiEEEE10hipError_tPvRmT2_T3_mT4_P12ihipStream_tbEUlmE_iEESB_NS0_8identityIvEEEESG_SJ_SK_mSL_SN_bEUlT_E_NS1_11comp_targetILNS1_3genE2ELNS1_11target_archE906ELNS1_3gpuE6ELNS1_3repE0EEENS1_30default_config_static_selectorELNS0_4arch9wavefront6targetE1EEEvT1_
    .private_segment_fixed_size: 0
    .sgpr_count:     22
    .sgpr_spill_count: 0
    .symbol:         _ZN7rocprim17ROCPRIM_400000_NS6detail17trampoline_kernelINS0_14default_configENS1_25transform_config_selectorIiLb0EEEZNS1_14transform_implILb0ES3_S5_NS0_18transform_iteratorINS0_17counting_iteratorImlEEZNS1_24adjacent_difference_implIS3_Lb1ELb0EPiSB_N6thrust23THRUST_200600_302600_NS5minusIiEEEE10hipError_tPvRmT2_T3_mT4_P12ihipStream_tbEUlmE_iEESB_NS0_8identityIvEEEESG_SJ_SK_mSL_SN_bEUlT_E_NS1_11comp_targetILNS1_3genE2ELNS1_11target_archE906ELNS1_3gpuE6ELNS1_3repE0EEENS1_30default_config_static_selectorELNS0_4arch9wavefront6targetE1EEEvT1_.kd
    .uniform_work_group_size: 1
    .uses_dynamic_stack: false
    .vgpr_count:     7
    .vgpr_spill_count: 0
    .wavefront_size: 64
  - .args:
      - .offset:         0
        .size:           56
        .value_kind:     by_value
    .group_segment_fixed_size: 0
    .kernarg_segment_align: 8
    .kernarg_segment_size: 56
    .language:       OpenCL C
    .language_version:
      - 2
      - 0
    .max_flat_workgroup_size: 1024
    .name:           _ZN7rocprim17ROCPRIM_400000_NS6detail17trampoline_kernelINS0_14default_configENS1_25transform_config_selectorIiLb0EEEZNS1_14transform_implILb0ES3_S5_NS0_18transform_iteratorINS0_17counting_iteratorImlEEZNS1_24adjacent_difference_implIS3_Lb1ELb0EPiSB_N6thrust23THRUST_200600_302600_NS5minusIiEEEE10hipError_tPvRmT2_T3_mT4_P12ihipStream_tbEUlmE_iEESB_NS0_8identityIvEEEESG_SJ_SK_mSL_SN_bEUlT_E_NS1_11comp_targetILNS1_3genE10ELNS1_11target_archE1201ELNS1_3gpuE5ELNS1_3repE0EEENS1_30default_config_static_selectorELNS0_4arch9wavefront6targetE1EEEvT1_
    .private_segment_fixed_size: 0
    .sgpr_count:     4
    .sgpr_spill_count: 0
    .symbol:         _ZN7rocprim17ROCPRIM_400000_NS6detail17trampoline_kernelINS0_14default_configENS1_25transform_config_selectorIiLb0EEEZNS1_14transform_implILb0ES3_S5_NS0_18transform_iteratorINS0_17counting_iteratorImlEEZNS1_24adjacent_difference_implIS3_Lb1ELb0EPiSB_N6thrust23THRUST_200600_302600_NS5minusIiEEEE10hipError_tPvRmT2_T3_mT4_P12ihipStream_tbEUlmE_iEESB_NS0_8identityIvEEEESG_SJ_SK_mSL_SN_bEUlT_E_NS1_11comp_targetILNS1_3genE10ELNS1_11target_archE1201ELNS1_3gpuE5ELNS1_3repE0EEENS1_30default_config_static_selectorELNS0_4arch9wavefront6targetE1EEEvT1_.kd
    .uniform_work_group_size: 1
    .uses_dynamic_stack: false
    .vgpr_count:     0
    .vgpr_spill_count: 0
    .wavefront_size: 64
  - .args:
      - .offset:         0
        .size:           56
        .value_kind:     by_value
    .group_segment_fixed_size: 0
    .kernarg_segment_align: 8
    .kernarg_segment_size: 56
    .language:       OpenCL C
    .language_version:
      - 2
      - 0
    .max_flat_workgroup_size: 512
    .name:           _ZN7rocprim17ROCPRIM_400000_NS6detail17trampoline_kernelINS0_14default_configENS1_25transform_config_selectorIiLb0EEEZNS1_14transform_implILb0ES3_S5_NS0_18transform_iteratorINS0_17counting_iteratorImlEEZNS1_24adjacent_difference_implIS3_Lb1ELb0EPiSB_N6thrust23THRUST_200600_302600_NS5minusIiEEEE10hipError_tPvRmT2_T3_mT4_P12ihipStream_tbEUlmE_iEESB_NS0_8identityIvEEEESG_SJ_SK_mSL_SN_bEUlT_E_NS1_11comp_targetILNS1_3genE10ELNS1_11target_archE1200ELNS1_3gpuE4ELNS1_3repE0EEENS1_30default_config_static_selectorELNS0_4arch9wavefront6targetE1EEEvT1_
    .private_segment_fixed_size: 0
    .sgpr_count:     4
    .sgpr_spill_count: 0
    .symbol:         _ZN7rocprim17ROCPRIM_400000_NS6detail17trampoline_kernelINS0_14default_configENS1_25transform_config_selectorIiLb0EEEZNS1_14transform_implILb0ES3_S5_NS0_18transform_iteratorINS0_17counting_iteratorImlEEZNS1_24adjacent_difference_implIS3_Lb1ELb0EPiSB_N6thrust23THRUST_200600_302600_NS5minusIiEEEE10hipError_tPvRmT2_T3_mT4_P12ihipStream_tbEUlmE_iEESB_NS0_8identityIvEEEESG_SJ_SK_mSL_SN_bEUlT_E_NS1_11comp_targetILNS1_3genE10ELNS1_11target_archE1200ELNS1_3gpuE4ELNS1_3repE0EEENS1_30default_config_static_selectorELNS0_4arch9wavefront6targetE1EEEvT1_.kd
    .uniform_work_group_size: 1
    .uses_dynamic_stack: false
    .vgpr_count:     0
    .vgpr_spill_count: 0
    .wavefront_size: 64
  - .args:
      - .offset:         0
        .size:           56
        .value_kind:     by_value
    .group_segment_fixed_size: 0
    .kernarg_segment_align: 8
    .kernarg_segment_size: 56
    .language:       OpenCL C
    .language_version:
      - 2
      - 0
    .max_flat_workgroup_size: 64
    .name:           _ZN7rocprim17ROCPRIM_400000_NS6detail17trampoline_kernelINS0_14default_configENS1_25transform_config_selectorIiLb0EEEZNS1_14transform_implILb0ES3_S5_NS0_18transform_iteratorINS0_17counting_iteratorImlEEZNS1_24adjacent_difference_implIS3_Lb1ELb0EPiSB_N6thrust23THRUST_200600_302600_NS5minusIiEEEE10hipError_tPvRmT2_T3_mT4_P12ihipStream_tbEUlmE_iEESB_NS0_8identityIvEEEESG_SJ_SK_mSL_SN_bEUlT_E_NS1_11comp_targetILNS1_3genE9ELNS1_11target_archE1100ELNS1_3gpuE3ELNS1_3repE0EEENS1_30default_config_static_selectorELNS0_4arch9wavefront6targetE1EEEvT1_
    .private_segment_fixed_size: 0
    .sgpr_count:     4
    .sgpr_spill_count: 0
    .symbol:         _ZN7rocprim17ROCPRIM_400000_NS6detail17trampoline_kernelINS0_14default_configENS1_25transform_config_selectorIiLb0EEEZNS1_14transform_implILb0ES3_S5_NS0_18transform_iteratorINS0_17counting_iteratorImlEEZNS1_24adjacent_difference_implIS3_Lb1ELb0EPiSB_N6thrust23THRUST_200600_302600_NS5minusIiEEEE10hipError_tPvRmT2_T3_mT4_P12ihipStream_tbEUlmE_iEESB_NS0_8identityIvEEEESG_SJ_SK_mSL_SN_bEUlT_E_NS1_11comp_targetILNS1_3genE9ELNS1_11target_archE1100ELNS1_3gpuE3ELNS1_3repE0EEENS1_30default_config_static_selectorELNS0_4arch9wavefront6targetE1EEEvT1_.kd
    .uniform_work_group_size: 1
    .uses_dynamic_stack: false
    .vgpr_count:     0
    .vgpr_spill_count: 0
    .wavefront_size: 64
  - .args:
      - .offset:         0
        .size:           56
        .value_kind:     by_value
    .group_segment_fixed_size: 0
    .kernarg_segment_align: 8
    .kernarg_segment_size: 56
    .language:       OpenCL C
    .language_version:
      - 2
      - 0
    .max_flat_workgroup_size: 256
    .name:           _ZN7rocprim17ROCPRIM_400000_NS6detail17trampoline_kernelINS0_14default_configENS1_25transform_config_selectorIiLb0EEEZNS1_14transform_implILb0ES3_S5_NS0_18transform_iteratorINS0_17counting_iteratorImlEEZNS1_24adjacent_difference_implIS3_Lb1ELb0EPiSB_N6thrust23THRUST_200600_302600_NS5minusIiEEEE10hipError_tPvRmT2_T3_mT4_P12ihipStream_tbEUlmE_iEESB_NS0_8identityIvEEEESG_SJ_SK_mSL_SN_bEUlT_E_NS1_11comp_targetILNS1_3genE8ELNS1_11target_archE1030ELNS1_3gpuE2ELNS1_3repE0EEENS1_30default_config_static_selectorELNS0_4arch9wavefront6targetE1EEEvT1_
    .private_segment_fixed_size: 0
    .sgpr_count:     4
    .sgpr_spill_count: 0
    .symbol:         _ZN7rocprim17ROCPRIM_400000_NS6detail17trampoline_kernelINS0_14default_configENS1_25transform_config_selectorIiLb0EEEZNS1_14transform_implILb0ES3_S5_NS0_18transform_iteratorINS0_17counting_iteratorImlEEZNS1_24adjacent_difference_implIS3_Lb1ELb0EPiSB_N6thrust23THRUST_200600_302600_NS5minusIiEEEE10hipError_tPvRmT2_T3_mT4_P12ihipStream_tbEUlmE_iEESB_NS0_8identityIvEEEESG_SJ_SK_mSL_SN_bEUlT_E_NS1_11comp_targetILNS1_3genE8ELNS1_11target_archE1030ELNS1_3gpuE2ELNS1_3repE0EEENS1_30default_config_static_selectorELNS0_4arch9wavefront6targetE1EEEvT1_.kd
    .uniform_work_group_size: 1
    .uses_dynamic_stack: false
    .vgpr_count:     0
    .vgpr_spill_count: 0
    .wavefront_size: 64
  - .args:
      - .offset:         0
        .size:           56
        .value_kind:     by_value
    .group_segment_fixed_size: 0
    .kernarg_segment_align: 8
    .kernarg_segment_size: 56
    .language:       OpenCL C
    .language_version:
      - 2
      - 0
    .max_flat_workgroup_size: 1024
    .name:           _ZN7rocprim17ROCPRIM_400000_NS6detail17trampoline_kernelINS0_14default_configENS1_35adjacent_difference_config_selectorILb1EiEEZNS1_24adjacent_difference_implIS3_Lb1ELb0EPiS7_N6thrust23THRUST_200600_302600_NS5minusIiEEEE10hipError_tPvRmT2_T3_mT4_P12ihipStream_tbEUlT_E_NS1_11comp_targetILNS1_3genE0ELNS1_11target_archE4294967295ELNS1_3gpuE0ELNS1_3repE0EEENS1_30default_config_static_selectorELNS0_4arch9wavefront6targetE1EEEvT1_
    .private_segment_fixed_size: 0
    .sgpr_count:     4
    .sgpr_spill_count: 0
    .symbol:         _ZN7rocprim17ROCPRIM_400000_NS6detail17trampoline_kernelINS0_14default_configENS1_35adjacent_difference_config_selectorILb1EiEEZNS1_24adjacent_difference_implIS3_Lb1ELb0EPiS7_N6thrust23THRUST_200600_302600_NS5minusIiEEEE10hipError_tPvRmT2_T3_mT4_P12ihipStream_tbEUlT_E_NS1_11comp_targetILNS1_3genE0ELNS1_11target_archE4294967295ELNS1_3gpuE0ELNS1_3repE0EEENS1_30default_config_static_selectorELNS0_4arch9wavefront6targetE1EEEvT1_.kd
    .uniform_work_group_size: 1
    .uses_dynamic_stack: false
    .vgpr_count:     0
    .vgpr_spill_count: 0
    .wavefront_size: 64
  - .args:
      - .offset:         0
        .size:           56
        .value_kind:     by_value
    .group_segment_fixed_size: 0
    .kernarg_segment_align: 8
    .kernarg_segment_size: 56
    .language:       OpenCL C
    .language_version:
      - 2
      - 0
    .max_flat_workgroup_size: 32
    .name:           _ZN7rocprim17ROCPRIM_400000_NS6detail17trampoline_kernelINS0_14default_configENS1_35adjacent_difference_config_selectorILb1EiEEZNS1_24adjacent_difference_implIS3_Lb1ELb0EPiS7_N6thrust23THRUST_200600_302600_NS5minusIiEEEE10hipError_tPvRmT2_T3_mT4_P12ihipStream_tbEUlT_E_NS1_11comp_targetILNS1_3genE10ELNS1_11target_archE1201ELNS1_3gpuE5ELNS1_3repE0EEENS1_30default_config_static_selectorELNS0_4arch9wavefront6targetE1EEEvT1_
    .private_segment_fixed_size: 0
    .sgpr_count:     4
    .sgpr_spill_count: 0
    .symbol:         _ZN7rocprim17ROCPRIM_400000_NS6detail17trampoline_kernelINS0_14default_configENS1_35adjacent_difference_config_selectorILb1EiEEZNS1_24adjacent_difference_implIS3_Lb1ELb0EPiS7_N6thrust23THRUST_200600_302600_NS5minusIiEEEE10hipError_tPvRmT2_T3_mT4_P12ihipStream_tbEUlT_E_NS1_11comp_targetILNS1_3genE10ELNS1_11target_archE1201ELNS1_3gpuE5ELNS1_3repE0EEENS1_30default_config_static_selectorELNS0_4arch9wavefront6targetE1EEEvT1_.kd
    .uniform_work_group_size: 1
    .uses_dynamic_stack: false
    .vgpr_count:     0
    .vgpr_spill_count: 0
    .wavefront_size: 64
  - .args:
      - .offset:         0
        .size:           56
        .value_kind:     by_value
    .group_segment_fixed_size: 0
    .kernarg_segment_align: 8
    .kernarg_segment_size: 56
    .language:       OpenCL C
    .language_version:
      - 2
      - 0
    .max_flat_workgroup_size: 512
    .name:           _ZN7rocprim17ROCPRIM_400000_NS6detail17trampoline_kernelINS0_14default_configENS1_35adjacent_difference_config_selectorILb1EiEEZNS1_24adjacent_difference_implIS3_Lb1ELb0EPiS7_N6thrust23THRUST_200600_302600_NS5minusIiEEEE10hipError_tPvRmT2_T3_mT4_P12ihipStream_tbEUlT_E_NS1_11comp_targetILNS1_3genE5ELNS1_11target_archE942ELNS1_3gpuE9ELNS1_3repE0EEENS1_30default_config_static_selectorELNS0_4arch9wavefront6targetE1EEEvT1_
    .private_segment_fixed_size: 0
    .sgpr_count:     4
    .sgpr_spill_count: 0
    .symbol:         _ZN7rocprim17ROCPRIM_400000_NS6detail17trampoline_kernelINS0_14default_configENS1_35adjacent_difference_config_selectorILb1EiEEZNS1_24adjacent_difference_implIS3_Lb1ELb0EPiS7_N6thrust23THRUST_200600_302600_NS5minusIiEEEE10hipError_tPvRmT2_T3_mT4_P12ihipStream_tbEUlT_E_NS1_11comp_targetILNS1_3genE5ELNS1_11target_archE942ELNS1_3gpuE9ELNS1_3repE0EEENS1_30default_config_static_selectorELNS0_4arch9wavefront6targetE1EEEvT1_.kd
    .uniform_work_group_size: 1
    .uses_dynamic_stack: false
    .vgpr_count:     0
    .vgpr_spill_count: 0
    .wavefront_size: 64
  - .args:
      - .offset:         0
        .size:           56
        .value_kind:     by_value
    .group_segment_fixed_size: 0
    .kernarg_segment_align: 8
    .kernarg_segment_size: 56
    .language:       OpenCL C
    .language_version:
      - 2
      - 0
    .max_flat_workgroup_size: 512
    .name:           _ZN7rocprim17ROCPRIM_400000_NS6detail17trampoline_kernelINS0_14default_configENS1_35adjacent_difference_config_selectorILb1EiEEZNS1_24adjacent_difference_implIS3_Lb1ELb0EPiS7_N6thrust23THRUST_200600_302600_NS5minusIiEEEE10hipError_tPvRmT2_T3_mT4_P12ihipStream_tbEUlT_E_NS1_11comp_targetILNS1_3genE4ELNS1_11target_archE910ELNS1_3gpuE8ELNS1_3repE0EEENS1_30default_config_static_selectorELNS0_4arch9wavefront6targetE1EEEvT1_
    .private_segment_fixed_size: 0
    .sgpr_count:     4
    .sgpr_spill_count: 0
    .symbol:         _ZN7rocprim17ROCPRIM_400000_NS6detail17trampoline_kernelINS0_14default_configENS1_35adjacent_difference_config_selectorILb1EiEEZNS1_24adjacent_difference_implIS3_Lb1ELb0EPiS7_N6thrust23THRUST_200600_302600_NS5minusIiEEEE10hipError_tPvRmT2_T3_mT4_P12ihipStream_tbEUlT_E_NS1_11comp_targetILNS1_3genE4ELNS1_11target_archE910ELNS1_3gpuE8ELNS1_3repE0EEENS1_30default_config_static_selectorELNS0_4arch9wavefront6targetE1EEEvT1_.kd
    .uniform_work_group_size: 1
    .uses_dynamic_stack: false
    .vgpr_count:     0
    .vgpr_spill_count: 0
    .wavefront_size: 64
  - .args:
      - .offset:         0
        .size:           56
        .value_kind:     by_value
    .group_segment_fixed_size: 0
    .kernarg_segment_align: 8
    .kernarg_segment_size: 56
    .language:       OpenCL C
    .language_version:
      - 2
      - 0
    .max_flat_workgroup_size: 1024
    .name:           _ZN7rocprim17ROCPRIM_400000_NS6detail17trampoline_kernelINS0_14default_configENS1_35adjacent_difference_config_selectorILb1EiEEZNS1_24adjacent_difference_implIS3_Lb1ELb0EPiS7_N6thrust23THRUST_200600_302600_NS5minusIiEEEE10hipError_tPvRmT2_T3_mT4_P12ihipStream_tbEUlT_E_NS1_11comp_targetILNS1_3genE3ELNS1_11target_archE908ELNS1_3gpuE7ELNS1_3repE0EEENS1_30default_config_static_selectorELNS0_4arch9wavefront6targetE1EEEvT1_
    .private_segment_fixed_size: 0
    .sgpr_count:     4
    .sgpr_spill_count: 0
    .symbol:         _ZN7rocprim17ROCPRIM_400000_NS6detail17trampoline_kernelINS0_14default_configENS1_35adjacent_difference_config_selectorILb1EiEEZNS1_24adjacent_difference_implIS3_Lb1ELb0EPiS7_N6thrust23THRUST_200600_302600_NS5minusIiEEEE10hipError_tPvRmT2_T3_mT4_P12ihipStream_tbEUlT_E_NS1_11comp_targetILNS1_3genE3ELNS1_11target_archE908ELNS1_3gpuE7ELNS1_3repE0EEENS1_30default_config_static_selectorELNS0_4arch9wavefront6targetE1EEEvT1_.kd
    .uniform_work_group_size: 1
    .uses_dynamic_stack: false
    .vgpr_count:     0
    .vgpr_spill_count: 0
    .wavefront_size: 64
  - .args:
      - .offset:         0
        .size:           56
        .value_kind:     by_value
    .group_segment_fixed_size: 11264
    .kernarg_segment_align: 8
    .kernarg_segment_size: 56
    .language:       OpenCL C
    .language_version:
      - 2
      - 0
    .max_flat_workgroup_size: 256
    .name:           _ZN7rocprim17ROCPRIM_400000_NS6detail17trampoline_kernelINS0_14default_configENS1_35adjacent_difference_config_selectorILb1EiEEZNS1_24adjacent_difference_implIS3_Lb1ELb0EPiS7_N6thrust23THRUST_200600_302600_NS5minusIiEEEE10hipError_tPvRmT2_T3_mT4_P12ihipStream_tbEUlT_E_NS1_11comp_targetILNS1_3genE2ELNS1_11target_archE906ELNS1_3gpuE6ELNS1_3repE0EEENS1_30default_config_static_selectorELNS0_4arch9wavefront6targetE1EEEvT1_
    .private_segment_fixed_size: 0
    .sgpr_count:     36
    .sgpr_spill_count: 0
    .symbol:         _ZN7rocprim17ROCPRIM_400000_NS6detail17trampoline_kernelINS0_14default_configENS1_35adjacent_difference_config_selectorILb1EiEEZNS1_24adjacent_difference_implIS3_Lb1ELb0EPiS7_N6thrust23THRUST_200600_302600_NS5minusIiEEEE10hipError_tPvRmT2_T3_mT4_P12ihipStream_tbEUlT_E_NS1_11comp_targetILNS1_3genE2ELNS1_11target_archE906ELNS1_3gpuE6ELNS1_3repE0EEENS1_30default_config_static_selectorELNS0_4arch9wavefront6targetE1EEEvT1_.kd
    .uniform_work_group_size: 1
    .uses_dynamic_stack: false
    .vgpr_count:     27
    .vgpr_spill_count: 0
    .wavefront_size: 64
  - .args:
      - .offset:         0
        .size:           56
        .value_kind:     by_value
    .group_segment_fixed_size: 0
    .kernarg_segment_align: 8
    .kernarg_segment_size: 56
    .language:       OpenCL C
    .language_version:
      - 2
      - 0
    .max_flat_workgroup_size: 128
    .name:           _ZN7rocprim17ROCPRIM_400000_NS6detail17trampoline_kernelINS0_14default_configENS1_35adjacent_difference_config_selectorILb1EiEEZNS1_24adjacent_difference_implIS3_Lb1ELb0EPiS7_N6thrust23THRUST_200600_302600_NS5minusIiEEEE10hipError_tPvRmT2_T3_mT4_P12ihipStream_tbEUlT_E_NS1_11comp_targetILNS1_3genE9ELNS1_11target_archE1100ELNS1_3gpuE3ELNS1_3repE0EEENS1_30default_config_static_selectorELNS0_4arch9wavefront6targetE1EEEvT1_
    .private_segment_fixed_size: 0
    .sgpr_count:     4
    .sgpr_spill_count: 0
    .symbol:         _ZN7rocprim17ROCPRIM_400000_NS6detail17trampoline_kernelINS0_14default_configENS1_35adjacent_difference_config_selectorILb1EiEEZNS1_24adjacent_difference_implIS3_Lb1ELb0EPiS7_N6thrust23THRUST_200600_302600_NS5minusIiEEEE10hipError_tPvRmT2_T3_mT4_P12ihipStream_tbEUlT_E_NS1_11comp_targetILNS1_3genE9ELNS1_11target_archE1100ELNS1_3gpuE3ELNS1_3repE0EEENS1_30default_config_static_selectorELNS0_4arch9wavefront6targetE1EEEvT1_.kd
    .uniform_work_group_size: 1
    .uses_dynamic_stack: false
    .vgpr_count:     0
    .vgpr_spill_count: 0
    .wavefront_size: 64
  - .args:
      - .offset:         0
        .size:           56
        .value_kind:     by_value
    .group_segment_fixed_size: 0
    .kernarg_segment_align: 8
    .kernarg_segment_size: 56
    .language:       OpenCL C
    .language_version:
      - 2
      - 0
    .max_flat_workgroup_size: 32
    .name:           _ZN7rocprim17ROCPRIM_400000_NS6detail17trampoline_kernelINS0_14default_configENS1_35adjacent_difference_config_selectorILb1EiEEZNS1_24adjacent_difference_implIS3_Lb1ELb0EPiS7_N6thrust23THRUST_200600_302600_NS5minusIiEEEE10hipError_tPvRmT2_T3_mT4_P12ihipStream_tbEUlT_E_NS1_11comp_targetILNS1_3genE8ELNS1_11target_archE1030ELNS1_3gpuE2ELNS1_3repE0EEENS1_30default_config_static_selectorELNS0_4arch9wavefront6targetE1EEEvT1_
    .private_segment_fixed_size: 0
    .sgpr_count:     4
    .sgpr_spill_count: 0
    .symbol:         _ZN7rocprim17ROCPRIM_400000_NS6detail17trampoline_kernelINS0_14default_configENS1_35adjacent_difference_config_selectorILb1EiEEZNS1_24adjacent_difference_implIS3_Lb1ELb0EPiS7_N6thrust23THRUST_200600_302600_NS5minusIiEEEE10hipError_tPvRmT2_T3_mT4_P12ihipStream_tbEUlT_E_NS1_11comp_targetILNS1_3genE8ELNS1_11target_archE1030ELNS1_3gpuE2ELNS1_3repE0EEENS1_30default_config_static_selectorELNS0_4arch9wavefront6targetE1EEEvT1_.kd
    .uniform_work_group_size: 1
    .uses_dynamic_stack: false
    .vgpr_count:     0
    .vgpr_spill_count: 0
    .wavefront_size: 64
  - .args:
      - .offset:         0
        .size:           56
        .value_kind:     by_value
    .group_segment_fixed_size: 0
    .kernarg_segment_align: 8
    .kernarg_segment_size: 56
    .language:       OpenCL C
    .language_version:
      - 2
      - 0
    .max_flat_workgroup_size: 128
    .name:           _ZN7rocprim17ROCPRIM_400000_NS6detail17trampoline_kernelINS0_14default_configENS1_35adjacent_difference_config_selectorILb0EiEEZNS1_24adjacent_difference_implIS3_Lb0ELb0EPiS7_N6thrust23THRUST_200600_302600_NS4plusIiEEEE10hipError_tPvRmT2_T3_mT4_P12ihipStream_tbEUlT_E_NS1_11comp_targetILNS1_3genE0ELNS1_11target_archE4294967295ELNS1_3gpuE0ELNS1_3repE0EEENS1_30default_config_static_selectorELNS0_4arch9wavefront6targetE1EEEvT1_
    .private_segment_fixed_size: 0
    .sgpr_count:     4
    .sgpr_spill_count: 0
    .symbol:         _ZN7rocprim17ROCPRIM_400000_NS6detail17trampoline_kernelINS0_14default_configENS1_35adjacent_difference_config_selectorILb0EiEEZNS1_24adjacent_difference_implIS3_Lb0ELb0EPiS7_N6thrust23THRUST_200600_302600_NS4plusIiEEEE10hipError_tPvRmT2_T3_mT4_P12ihipStream_tbEUlT_E_NS1_11comp_targetILNS1_3genE0ELNS1_11target_archE4294967295ELNS1_3gpuE0ELNS1_3repE0EEENS1_30default_config_static_selectorELNS0_4arch9wavefront6targetE1EEEvT1_.kd
    .uniform_work_group_size: 1
    .uses_dynamic_stack: false
    .vgpr_count:     0
    .vgpr_spill_count: 0
    .wavefront_size: 64
  - .args:
      - .offset:         0
        .size:           56
        .value_kind:     by_value
    .group_segment_fixed_size: 0
    .kernarg_segment_align: 8
    .kernarg_segment_size: 56
    .language:       OpenCL C
    .language_version:
      - 2
      - 0
    .max_flat_workgroup_size: 128
    .name:           _ZN7rocprim17ROCPRIM_400000_NS6detail17trampoline_kernelINS0_14default_configENS1_35adjacent_difference_config_selectorILb0EiEEZNS1_24adjacent_difference_implIS3_Lb0ELb0EPiS7_N6thrust23THRUST_200600_302600_NS4plusIiEEEE10hipError_tPvRmT2_T3_mT4_P12ihipStream_tbEUlT_E_NS1_11comp_targetILNS1_3genE10ELNS1_11target_archE1201ELNS1_3gpuE5ELNS1_3repE0EEENS1_30default_config_static_selectorELNS0_4arch9wavefront6targetE1EEEvT1_
    .private_segment_fixed_size: 0
    .sgpr_count:     4
    .sgpr_spill_count: 0
    .symbol:         _ZN7rocprim17ROCPRIM_400000_NS6detail17trampoline_kernelINS0_14default_configENS1_35adjacent_difference_config_selectorILb0EiEEZNS1_24adjacent_difference_implIS3_Lb0ELb0EPiS7_N6thrust23THRUST_200600_302600_NS4plusIiEEEE10hipError_tPvRmT2_T3_mT4_P12ihipStream_tbEUlT_E_NS1_11comp_targetILNS1_3genE10ELNS1_11target_archE1201ELNS1_3gpuE5ELNS1_3repE0EEENS1_30default_config_static_selectorELNS0_4arch9wavefront6targetE1EEEvT1_.kd
    .uniform_work_group_size: 1
    .uses_dynamic_stack: false
    .vgpr_count:     0
    .vgpr_spill_count: 0
    .wavefront_size: 64
  - .args:
      - .offset:         0
        .size:           56
        .value_kind:     by_value
    .group_segment_fixed_size: 0
    .kernarg_segment_align: 8
    .kernarg_segment_size: 56
    .language:       OpenCL C
    .language_version:
      - 2
      - 0
    .max_flat_workgroup_size: 64
    .name:           _ZN7rocprim17ROCPRIM_400000_NS6detail17trampoline_kernelINS0_14default_configENS1_35adjacent_difference_config_selectorILb0EiEEZNS1_24adjacent_difference_implIS3_Lb0ELb0EPiS7_N6thrust23THRUST_200600_302600_NS4plusIiEEEE10hipError_tPvRmT2_T3_mT4_P12ihipStream_tbEUlT_E_NS1_11comp_targetILNS1_3genE5ELNS1_11target_archE942ELNS1_3gpuE9ELNS1_3repE0EEENS1_30default_config_static_selectorELNS0_4arch9wavefront6targetE1EEEvT1_
    .private_segment_fixed_size: 0
    .sgpr_count:     4
    .sgpr_spill_count: 0
    .symbol:         _ZN7rocprim17ROCPRIM_400000_NS6detail17trampoline_kernelINS0_14default_configENS1_35adjacent_difference_config_selectorILb0EiEEZNS1_24adjacent_difference_implIS3_Lb0ELb0EPiS7_N6thrust23THRUST_200600_302600_NS4plusIiEEEE10hipError_tPvRmT2_T3_mT4_P12ihipStream_tbEUlT_E_NS1_11comp_targetILNS1_3genE5ELNS1_11target_archE942ELNS1_3gpuE9ELNS1_3repE0EEENS1_30default_config_static_selectorELNS0_4arch9wavefront6targetE1EEEvT1_.kd
    .uniform_work_group_size: 1
    .uses_dynamic_stack: false
    .vgpr_count:     0
    .vgpr_spill_count: 0
    .wavefront_size: 64
  - .args:
      - .offset:         0
        .size:           56
        .value_kind:     by_value
    .group_segment_fixed_size: 0
    .kernarg_segment_align: 8
    .kernarg_segment_size: 56
    .language:       OpenCL C
    .language_version:
      - 2
      - 0
    .max_flat_workgroup_size: 512
    .name:           _ZN7rocprim17ROCPRIM_400000_NS6detail17trampoline_kernelINS0_14default_configENS1_35adjacent_difference_config_selectorILb0EiEEZNS1_24adjacent_difference_implIS3_Lb0ELb0EPiS7_N6thrust23THRUST_200600_302600_NS4plusIiEEEE10hipError_tPvRmT2_T3_mT4_P12ihipStream_tbEUlT_E_NS1_11comp_targetILNS1_3genE4ELNS1_11target_archE910ELNS1_3gpuE8ELNS1_3repE0EEENS1_30default_config_static_selectorELNS0_4arch9wavefront6targetE1EEEvT1_
    .private_segment_fixed_size: 0
    .sgpr_count:     4
    .sgpr_spill_count: 0
    .symbol:         _ZN7rocprim17ROCPRIM_400000_NS6detail17trampoline_kernelINS0_14default_configENS1_35adjacent_difference_config_selectorILb0EiEEZNS1_24adjacent_difference_implIS3_Lb0ELb0EPiS7_N6thrust23THRUST_200600_302600_NS4plusIiEEEE10hipError_tPvRmT2_T3_mT4_P12ihipStream_tbEUlT_E_NS1_11comp_targetILNS1_3genE4ELNS1_11target_archE910ELNS1_3gpuE8ELNS1_3repE0EEENS1_30default_config_static_selectorELNS0_4arch9wavefront6targetE1EEEvT1_.kd
    .uniform_work_group_size: 1
    .uses_dynamic_stack: false
    .vgpr_count:     0
    .vgpr_spill_count: 0
    .wavefront_size: 64
  - .args:
      - .offset:         0
        .size:           56
        .value_kind:     by_value
    .group_segment_fixed_size: 0
    .kernarg_segment_align: 8
    .kernarg_segment_size: 56
    .language:       OpenCL C
    .language_version:
      - 2
      - 0
    .max_flat_workgroup_size: 128
    .name:           _ZN7rocprim17ROCPRIM_400000_NS6detail17trampoline_kernelINS0_14default_configENS1_35adjacent_difference_config_selectorILb0EiEEZNS1_24adjacent_difference_implIS3_Lb0ELb0EPiS7_N6thrust23THRUST_200600_302600_NS4plusIiEEEE10hipError_tPvRmT2_T3_mT4_P12ihipStream_tbEUlT_E_NS1_11comp_targetILNS1_3genE3ELNS1_11target_archE908ELNS1_3gpuE7ELNS1_3repE0EEENS1_30default_config_static_selectorELNS0_4arch9wavefront6targetE1EEEvT1_
    .private_segment_fixed_size: 0
    .sgpr_count:     4
    .sgpr_spill_count: 0
    .symbol:         _ZN7rocprim17ROCPRIM_400000_NS6detail17trampoline_kernelINS0_14default_configENS1_35adjacent_difference_config_selectorILb0EiEEZNS1_24adjacent_difference_implIS3_Lb0ELb0EPiS7_N6thrust23THRUST_200600_302600_NS4plusIiEEEE10hipError_tPvRmT2_T3_mT4_P12ihipStream_tbEUlT_E_NS1_11comp_targetILNS1_3genE3ELNS1_11target_archE908ELNS1_3gpuE7ELNS1_3repE0EEENS1_30default_config_static_selectorELNS0_4arch9wavefront6targetE1EEEvT1_.kd
    .uniform_work_group_size: 1
    .uses_dynamic_stack: false
    .vgpr_count:     0
    .vgpr_spill_count: 0
    .wavefront_size: 64
  - .args:
      - .offset:         0
        .size:           56
        .value_kind:     by_value
    .group_segment_fixed_size: 20480
    .kernarg_segment_align: 8
    .kernarg_segment_size: 56
    .language:       OpenCL C
    .language_version:
      - 2
      - 0
    .max_flat_workgroup_size: 1024
    .name:           _ZN7rocprim17ROCPRIM_400000_NS6detail17trampoline_kernelINS0_14default_configENS1_35adjacent_difference_config_selectorILb0EiEEZNS1_24adjacent_difference_implIS3_Lb0ELb0EPiS7_N6thrust23THRUST_200600_302600_NS4plusIiEEEE10hipError_tPvRmT2_T3_mT4_P12ihipStream_tbEUlT_E_NS1_11comp_targetILNS1_3genE2ELNS1_11target_archE906ELNS1_3gpuE6ELNS1_3repE0EEENS1_30default_config_static_selectorELNS0_4arch9wavefront6targetE1EEEvT1_
    .private_segment_fixed_size: 0
    .sgpr_count:     27
    .sgpr_spill_count: 0
    .symbol:         _ZN7rocprim17ROCPRIM_400000_NS6detail17trampoline_kernelINS0_14default_configENS1_35adjacent_difference_config_selectorILb0EiEEZNS1_24adjacent_difference_implIS3_Lb0ELb0EPiS7_N6thrust23THRUST_200600_302600_NS4plusIiEEEE10hipError_tPvRmT2_T3_mT4_P12ihipStream_tbEUlT_E_NS1_11comp_targetILNS1_3genE2ELNS1_11target_archE906ELNS1_3gpuE6ELNS1_3repE0EEENS1_30default_config_static_selectorELNS0_4arch9wavefront6targetE1EEEvT1_.kd
    .uniform_work_group_size: 1
    .uses_dynamic_stack: false
    .vgpr_count:     17
    .vgpr_spill_count: 0
    .wavefront_size: 64
  - .args:
      - .offset:         0
        .size:           56
        .value_kind:     by_value
    .group_segment_fixed_size: 0
    .kernarg_segment_align: 8
    .kernarg_segment_size: 56
    .language:       OpenCL C
    .language_version:
      - 2
      - 0
    .max_flat_workgroup_size: 1024
    .name:           _ZN7rocprim17ROCPRIM_400000_NS6detail17trampoline_kernelINS0_14default_configENS1_35adjacent_difference_config_selectorILb0EiEEZNS1_24adjacent_difference_implIS3_Lb0ELb0EPiS7_N6thrust23THRUST_200600_302600_NS4plusIiEEEE10hipError_tPvRmT2_T3_mT4_P12ihipStream_tbEUlT_E_NS1_11comp_targetILNS1_3genE9ELNS1_11target_archE1100ELNS1_3gpuE3ELNS1_3repE0EEENS1_30default_config_static_selectorELNS0_4arch9wavefront6targetE1EEEvT1_
    .private_segment_fixed_size: 0
    .sgpr_count:     4
    .sgpr_spill_count: 0
    .symbol:         _ZN7rocprim17ROCPRIM_400000_NS6detail17trampoline_kernelINS0_14default_configENS1_35adjacent_difference_config_selectorILb0EiEEZNS1_24adjacent_difference_implIS3_Lb0ELb0EPiS7_N6thrust23THRUST_200600_302600_NS4plusIiEEEE10hipError_tPvRmT2_T3_mT4_P12ihipStream_tbEUlT_E_NS1_11comp_targetILNS1_3genE9ELNS1_11target_archE1100ELNS1_3gpuE3ELNS1_3repE0EEENS1_30default_config_static_selectorELNS0_4arch9wavefront6targetE1EEEvT1_.kd
    .uniform_work_group_size: 1
    .uses_dynamic_stack: false
    .vgpr_count:     0
    .vgpr_spill_count: 0
    .wavefront_size: 64
  - .args:
      - .offset:         0
        .size:           56
        .value_kind:     by_value
    .group_segment_fixed_size: 0
    .kernarg_segment_align: 8
    .kernarg_segment_size: 56
    .language:       OpenCL C
    .language_version:
      - 2
      - 0
    .max_flat_workgroup_size: 1024
    .name:           _ZN7rocprim17ROCPRIM_400000_NS6detail17trampoline_kernelINS0_14default_configENS1_35adjacent_difference_config_selectorILb0EiEEZNS1_24adjacent_difference_implIS3_Lb0ELb0EPiS7_N6thrust23THRUST_200600_302600_NS4plusIiEEEE10hipError_tPvRmT2_T3_mT4_P12ihipStream_tbEUlT_E_NS1_11comp_targetILNS1_3genE8ELNS1_11target_archE1030ELNS1_3gpuE2ELNS1_3repE0EEENS1_30default_config_static_selectorELNS0_4arch9wavefront6targetE1EEEvT1_
    .private_segment_fixed_size: 0
    .sgpr_count:     4
    .sgpr_spill_count: 0
    .symbol:         _ZN7rocprim17ROCPRIM_400000_NS6detail17trampoline_kernelINS0_14default_configENS1_35adjacent_difference_config_selectorILb0EiEEZNS1_24adjacent_difference_implIS3_Lb0ELb0EPiS7_N6thrust23THRUST_200600_302600_NS4plusIiEEEE10hipError_tPvRmT2_T3_mT4_P12ihipStream_tbEUlT_E_NS1_11comp_targetILNS1_3genE8ELNS1_11target_archE1030ELNS1_3gpuE2ELNS1_3repE0EEENS1_30default_config_static_selectorELNS0_4arch9wavefront6targetE1EEEvT1_.kd
    .uniform_work_group_size: 1
    .uses_dynamic_stack: false
    .vgpr_count:     0
    .vgpr_spill_count: 0
    .wavefront_size: 64
  - .args:
      - .offset:         0
        .size:           56
        .value_kind:     by_value
    .group_segment_fixed_size: 0
    .kernarg_segment_align: 8
    .kernarg_segment_size: 56
    .language:       OpenCL C
    .language_version:
      - 2
      - 0
    .max_flat_workgroup_size: 128
    .name:           _ZN7rocprim17ROCPRIM_400000_NS6detail17trampoline_kernelINS0_14default_configENS1_25transform_config_selectorIiLb0EEEZNS1_14transform_implILb0ES3_S5_NS0_18transform_iteratorINS0_17counting_iteratorImlEEZNS1_24adjacent_difference_implIS3_Lb1ELb0EPiSB_N6thrust23THRUST_200600_302600_NS4plusIiEEEE10hipError_tPvRmT2_T3_mT4_P12ihipStream_tbEUlmE_iEESB_NS0_8identityIvEEEESG_SJ_SK_mSL_SN_bEUlT_E_NS1_11comp_targetILNS1_3genE0ELNS1_11target_archE4294967295ELNS1_3gpuE0ELNS1_3repE0EEENS1_30default_config_static_selectorELNS0_4arch9wavefront6targetE1EEEvT1_
    .private_segment_fixed_size: 0
    .sgpr_count:     4
    .sgpr_spill_count: 0
    .symbol:         _ZN7rocprim17ROCPRIM_400000_NS6detail17trampoline_kernelINS0_14default_configENS1_25transform_config_selectorIiLb0EEEZNS1_14transform_implILb0ES3_S5_NS0_18transform_iteratorINS0_17counting_iteratorImlEEZNS1_24adjacent_difference_implIS3_Lb1ELb0EPiSB_N6thrust23THRUST_200600_302600_NS4plusIiEEEE10hipError_tPvRmT2_T3_mT4_P12ihipStream_tbEUlmE_iEESB_NS0_8identityIvEEEESG_SJ_SK_mSL_SN_bEUlT_E_NS1_11comp_targetILNS1_3genE0ELNS1_11target_archE4294967295ELNS1_3gpuE0ELNS1_3repE0EEENS1_30default_config_static_selectorELNS0_4arch9wavefront6targetE1EEEvT1_.kd
    .uniform_work_group_size: 1
    .uses_dynamic_stack: false
    .vgpr_count:     0
    .vgpr_spill_count: 0
    .wavefront_size: 64
  - .args:
      - .offset:         0
        .size:           56
        .value_kind:     by_value
    .group_segment_fixed_size: 0
    .kernarg_segment_align: 8
    .kernarg_segment_size: 56
    .language:       OpenCL C
    .language_version:
      - 2
      - 0
    .max_flat_workgroup_size: 512
    .name:           _ZN7rocprim17ROCPRIM_400000_NS6detail17trampoline_kernelINS0_14default_configENS1_25transform_config_selectorIiLb0EEEZNS1_14transform_implILb0ES3_S5_NS0_18transform_iteratorINS0_17counting_iteratorImlEEZNS1_24adjacent_difference_implIS3_Lb1ELb0EPiSB_N6thrust23THRUST_200600_302600_NS4plusIiEEEE10hipError_tPvRmT2_T3_mT4_P12ihipStream_tbEUlmE_iEESB_NS0_8identityIvEEEESG_SJ_SK_mSL_SN_bEUlT_E_NS1_11comp_targetILNS1_3genE5ELNS1_11target_archE942ELNS1_3gpuE9ELNS1_3repE0EEENS1_30default_config_static_selectorELNS0_4arch9wavefront6targetE1EEEvT1_
    .private_segment_fixed_size: 0
    .sgpr_count:     4
    .sgpr_spill_count: 0
    .symbol:         _ZN7rocprim17ROCPRIM_400000_NS6detail17trampoline_kernelINS0_14default_configENS1_25transform_config_selectorIiLb0EEEZNS1_14transform_implILb0ES3_S5_NS0_18transform_iteratorINS0_17counting_iteratorImlEEZNS1_24adjacent_difference_implIS3_Lb1ELb0EPiSB_N6thrust23THRUST_200600_302600_NS4plusIiEEEE10hipError_tPvRmT2_T3_mT4_P12ihipStream_tbEUlmE_iEESB_NS0_8identityIvEEEESG_SJ_SK_mSL_SN_bEUlT_E_NS1_11comp_targetILNS1_3genE5ELNS1_11target_archE942ELNS1_3gpuE9ELNS1_3repE0EEENS1_30default_config_static_selectorELNS0_4arch9wavefront6targetE1EEEvT1_.kd
    .uniform_work_group_size: 1
    .uses_dynamic_stack: false
    .vgpr_count:     0
    .vgpr_spill_count: 0
    .wavefront_size: 64
  - .args:
      - .offset:         0
        .size:           56
        .value_kind:     by_value
    .group_segment_fixed_size: 0
    .kernarg_segment_align: 8
    .kernarg_segment_size: 56
    .language:       OpenCL C
    .language_version:
      - 2
      - 0
    .max_flat_workgroup_size: 1024
    .name:           _ZN7rocprim17ROCPRIM_400000_NS6detail17trampoline_kernelINS0_14default_configENS1_25transform_config_selectorIiLb0EEEZNS1_14transform_implILb0ES3_S5_NS0_18transform_iteratorINS0_17counting_iteratorImlEEZNS1_24adjacent_difference_implIS3_Lb1ELb0EPiSB_N6thrust23THRUST_200600_302600_NS4plusIiEEEE10hipError_tPvRmT2_T3_mT4_P12ihipStream_tbEUlmE_iEESB_NS0_8identityIvEEEESG_SJ_SK_mSL_SN_bEUlT_E_NS1_11comp_targetILNS1_3genE4ELNS1_11target_archE910ELNS1_3gpuE8ELNS1_3repE0EEENS1_30default_config_static_selectorELNS0_4arch9wavefront6targetE1EEEvT1_
    .private_segment_fixed_size: 0
    .sgpr_count:     4
    .sgpr_spill_count: 0
    .symbol:         _ZN7rocprim17ROCPRIM_400000_NS6detail17trampoline_kernelINS0_14default_configENS1_25transform_config_selectorIiLb0EEEZNS1_14transform_implILb0ES3_S5_NS0_18transform_iteratorINS0_17counting_iteratorImlEEZNS1_24adjacent_difference_implIS3_Lb1ELb0EPiSB_N6thrust23THRUST_200600_302600_NS4plusIiEEEE10hipError_tPvRmT2_T3_mT4_P12ihipStream_tbEUlmE_iEESB_NS0_8identityIvEEEESG_SJ_SK_mSL_SN_bEUlT_E_NS1_11comp_targetILNS1_3genE4ELNS1_11target_archE910ELNS1_3gpuE8ELNS1_3repE0EEENS1_30default_config_static_selectorELNS0_4arch9wavefront6targetE1EEEvT1_.kd
    .uniform_work_group_size: 1
    .uses_dynamic_stack: false
    .vgpr_count:     0
    .vgpr_spill_count: 0
    .wavefront_size: 64
  - .args:
      - .offset:         0
        .size:           56
        .value_kind:     by_value
    .group_segment_fixed_size: 0
    .kernarg_segment_align: 8
    .kernarg_segment_size: 56
    .language:       OpenCL C
    .language_version:
      - 2
      - 0
    .max_flat_workgroup_size: 128
    .name:           _ZN7rocprim17ROCPRIM_400000_NS6detail17trampoline_kernelINS0_14default_configENS1_25transform_config_selectorIiLb0EEEZNS1_14transform_implILb0ES3_S5_NS0_18transform_iteratorINS0_17counting_iteratorImlEEZNS1_24adjacent_difference_implIS3_Lb1ELb0EPiSB_N6thrust23THRUST_200600_302600_NS4plusIiEEEE10hipError_tPvRmT2_T3_mT4_P12ihipStream_tbEUlmE_iEESB_NS0_8identityIvEEEESG_SJ_SK_mSL_SN_bEUlT_E_NS1_11comp_targetILNS1_3genE3ELNS1_11target_archE908ELNS1_3gpuE7ELNS1_3repE0EEENS1_30default_config_static_selectorELNS0_4arch9wavefront6targetE1EEEvT1_
    .private_segment_fixed_size: 0
    .sgpr_count:     4
    .sgpr_spill_count: 0
    .symbol:         _ZN7rocprim17ROCPRIM_400000_NS6detail17trampoline_kernelINS0_14default_configENS1_25transform_config_selectorIiLb0EEEZNS1_14transform_implILb0ES3_S5_NS0_18transform_iteratorINS0_17counting_iteratorImlEEZNS1_24adjacent_difference_implIS3_Lb1ELb0EPiSB_N6thrust23THRUST_200600_302600_NS4plusIiEEEE10hipError_tPvRmT2_T3_mT4_P12ihipStream_tbEUlmE_iEESB_NS0_8identityIvEEEESG_SJ_SK_mSL_SN_bEUlT_E_NS1_11comp_targetILNS1_3genE3ELNS1_11target_archE908ELNS1_3gpuE7ELNS1_3repE0EEENS1_30default_config_static_selectorELNS0_4arch9wavefront6targetE1EEEvT1_.kd
    .uniform_work_group_size: 1
    .uses_dynamic_stack: false
    .vgpr_count:     0
    .vgpr_spill_count: 0
    .wavefront_size: 64
  - .args:
      - .offset:         0
        .size:           56
        .value_kind:     by_value
      - .offset:         56
        .size:           4
        .value_kind:     hidden_block_count_x
      - .offset:         60
        .size:           4
        .value_kind:     hidden_block_count_y
      - .offset:         64
        .size:           4
        .value_kind:     hidden_block_count_z
      - .offset:         68
        .size:           2
        .value_kind:     hidden_group_size_x
      - .offset:         70
        .size:           2
        .value_kind:     hidden_group_size_y
      - .offset:         72
        .size:           2
        .value_kind:     hidden_group_size_z
      - .offset:         74
        .size:           2
        .value_kind:     hidden_remainder_x
      - .offset:         76
        .size:           2
        .value_kind:     hidden_remainder_y
      - .offset:         78
        .size:           2
        .value_kind:     hidden_remainder_z
      - .offset:         96
        .size:           8
        .value_kind:     hidden_global_offset_x
      - .offset:         104
        .size:           8
        .value_kind:     hidden_global_offset_y
      - .offset:         112
        .size:           8
        .value_kind:     hidden_global_offset_z
      - .offset:         120
        .size:           2
        .value_kind:     hidden_grid_dims
    .group_segment_fixed_size: 0
    .kernarg_segment_align: 8
    .kernarg_segment_size: 312
    .language:       OpenCL C
    .language_version:
      - 2
      - 0
    .max_flat_workgroup_size: 1024
    .name:           _ZN7rocprim17ROCPRIM_400000_NS6detail17trampoline_kernelINS0_14default_configENS1_25transform_config_selectorIiLb0EEEZNS1_14transform_implILb0ES3_S5_NS0_18transform_iteratorINS0_17counting_iteratorImlEEZNS1_24adjacent_difference_implIS3_Lb1ELb0EPiSB_N6thrust23THRUST_200600_302600_NS4plusIiEEEE10hipError_tPvRmT2_T3_mT4_P12ihipStream_tbEUlmE_iEESB_NS0_8identityIvEEEESG_SJ_SK_mSL_SN_bEUlT_E_NS1_11comp_targetILNS1_3genE2ELNS1_11target_archE906ELNS1_3gpuE6ELNS1_3repE0EEENS1_30default_config_static_selectorELNS0_4arch9wavefront6targetE1EEEvT1_
    .private_segment_fixed_size: 0
    .sgpr_count:     22
    .sgpr_spill_count: 0
    .symbol:         _ZN7rocprim17ROCPRIM_400000_NS6detail17trampoline_kernelINS0_14default_configENS1_25transform_config_selectorIiLb0EEEZNS1_14transform_implILb0ES3_S5_NS0_18transform_iteratorINS0_17counting_iteratorImlEEZNS1_24adjacent_difference_implIS3_Lb1ELb0EPiSB_N6thrust23THRUST_200600_302600_NS4plusIiEEEE10hipError_tPvRmT2_T3_mT4_P12ihipStream_tbEUlmE_iEESB_NS0_8identityIvEEEESG_SJ_SK_mSL_SN_bEUlT_E_NS1_11comp_targetILNS1_3genE2ELNS1_11target_archE906ELNS1_3gpuE6ELNS1_3repE0EEENS1_30default_config_static_selectorELNS0_4arch9wavefront6targetE1EEEvT1_.kd
    .uniform_work_group_size: 1
    .uses_dynamic_stack: false
    .vgpr_count:     7
    .vgpr_spill_count: 0
    .wavefront_size: 64
  - .args:
      - .offset:         0
        .size:           56
        .value_kind:     by_value
    .group_segment_fixed_size: 0
    .kernarg_segment_align: 8
    .kernarg_segment_size: 56
    .language:       OpenCL C
    .language_version:
      - 2
      - 0
    .max_flat_workgroup_size: 1024
    .name:           _ZN7rocprim17ROCPRIM_400000_NS6detail17trampoline_kernelINS0_14default_configENS1_25transform_config_selectorIiLb0EEEZNS1_14transform_implILb0ES3_S5_NS0_18transform_iteratorINS0_17counting_iteratorImlEEZNS1_24adjacent_difference_implIS3_Lb1ELb0EPiSB_N6thrust23THRUST_200600_302600_NS4plusIiEEEE10hipError_tPvRmT2_T3_mT4_P12ihipStream_tbEUlmE_iEESB_NS0_8identityIvEEEESG_SJ_SK_mSL_SN_bEUlT_E_NS1_11comp_targetILNS1_3genE10ELNS1_11target_archE1201ELNS1_3gpuE5ELNS1_3repE0EEENS1_30default_config_static_selectorELNS0_4arch9wavefront6targetE1EEEvT1_
    .private_segment_fixed_size: 0
    .sgpr_count:     4
    .sgpr_spill_count: 0
    .symbol:         _ZN7rocprim17ROCPRIM_400000_NS6detail17trampoline_kernelINS0_14default_configENS1_25transform_config_selectorIiLb0EEEZNS1_14transform_implILb0ES3_S5_NS0_18transform_iteratorINS0_17counting_iteratorImlEEZNS1_24adjacent_difference_implIS3_Lb1ELb0EPiSB_N6thrust23THRUST_200600_302600_NS4plusIiEEEE10hipError_tPvRmT2_T3_mT4_P12ihipStream_tbEUlmE_iEESB_NS0_8identityIvEEEESG_SJ_SK_mSL_SN_bEUlT_E_NS1_11comp_targetILNS1_3genE10ELNS1_11target_archE1201ELNS1_3gpuE5ELNS1_3repE0EEENS1_30default_config_static_selectorELNS0_4arch9wavefront6targetE1EEEvT1_.kd
    .uniform_work_group_size: 1
    .uses_dynamic_stack: false
    .vgpr_count:     0
    .vgpr_spill_count: 0
    .wavefront_size: 64
  - .args:
      - .offset:         0
        .size:           56
        .value_kind:     by_value
    .group_segment_fixed_size: 0
    .kernarg_segment_align: 8
    .kernarg_segment_size: 56
    .language:       OpenCL C
    .language_version:
      - 2
      - 0
    .max_flat_workgroup_size: 512
    .name:           _ZN7rocprim17ROCPRIM_400000_NS6detail17trampoline_kernelINS0_14default_configENS1_25transform_config_selectorIiLb0EEEZNS1_14transform_implILb0ES3_S5_NS0_18transform_iteratorINS0_17counting_iteratorImlEEZNS1_24adjacent_difference_implIS3_Lb1ELb0EPiSB_N6thrust23THRUST_200600_302600_NS4plusIiEEEE10hipError_tPvRmT2_T3_mT4_P12ihipStream_tbEUlmE_iEESB_NS0_8identityIvEEEESG_SJ_SK_mSL_SN_bEUlT_E_NS1_11comp_targetILNS1_3genE10ELNS1_11target_archE1200ELNS1_3gpuE4ELNS1_3repE0EEENS1_30default_config_static_selectorELNS0_4arch9wavefront6targetE1EEEvT1_
    .private_segment_fixed_size: 0
    .sgpr_count:     4
    .sgpr_spill_count: 0
    .symbol:         _ZN7rocprim17ROCPRIM_400000_NS6detail17trampoline_kernelINS0_14default_configENS1_25transform_config_selectorIiLb0EEEZNS1_14transform_implILb0ES3_S5_NS0_18transform_iteratorINS0_17counting_iteratorImlEEZNS1_24adjacent_difference_implIS3_Lb1ELb0EPiSB_N6thrust23THRUST_200600_302600_NS4plusIiEEEE10hipError_tPvRmT2_T3_mT4_P12ihipStream_tbEUlmE_iEESB_NS0_8identityIvEEEESG_SJ_SK_mSL_SN_bEUlT_E_NS1_11comp_targetILNS1_3genE10ELNS1_11target_archE1200ELNS1_3gpuE4ELNS1_3repE0EEENS1_30default_config_static_selectorELNS0_4arch9wavefront6targetE1EEEvT1_.kd
    .uniform_work_group_size: 1
    .uses_dynamic_stack: false
    .vgpr_count:     0
    .vgpr_spill_count: 0
    .wavefront_size: 64
  - .args:
      - .offset:         0
        .size:           56
        .value_kind:     by_value
    .group_segment_fixed_size: 0
    .kernarg_segment_align: 8
    .kernarg_segment_size: 56
    .language:       OpenCL C
    .language_version:
      - 2
      - 0
    .max_flat_workgroup_size: 64
    .name:           _ZN7rocprim17ROCPRIM_400000_NS6detail17trampoline_kernelINS0_14default_configENS1_25transform_config_selectorIiLb0EEEZNS1_14transform_implILb0ES3_S5_NS0_18transform_iteratorINS0_17counting_iteratorImlEEZNS1_24adjacent_difference_implIS3_Lb1ELb0EPiSB_N6thrust23THRUST_200600_302600_NS4plusIiEEEE10hipError_tPvRmT2_T3_mT4_P12ihipStream_tbEUlmE_iEESB_NS0_8identityIvEEEESG_SJ_SK_mSL_SN_bEUlT_E_NS1_11comp_targetILNS1_3genE9ELNS1_11target_archE1100ELNS1_3gpuE3ELNS1_3repE0EEENS1_30default_config_static_selectorELNS0_4arch9wavefront6targetE1EEEvT1_
    .private_segment_fixed_size: 0
    .sgpr_count:     4
    .sgpr_spill_count: 0
    .symbol:         _ZN7rocprim17ROCPRIM_400000_NS6detail17trampoline_kernelINS0_14default_configENS1_25transform_config_selectorIiLb0EEEZNS1_14transform_implILb0ES3_S5_NS0_18transform_iteratorINS0_17counting_iteratorImlEEZNS1_24adjacent_difference_implIS3_Lb1ELb0EPiSB_N6thrust23THRUST_200600_302600_NS4plusIiEEEE10hipError_tPvRmT2_T3_mT4_P12ihipStream_tbEUlmE_iEESB_NS0_8identityIvEEEESG_SJ_SK_mSL_SN_bEUlT_E_NS1_11comp_targetILNS1_3genE9ELNS1_11target_archE1100ELNS1_3gpuE3ELNS1_3repE0EEENS1_30default_config_static_selectorELNS0_4arch9wavefront6targetE1EEEvT1_.kd
    .uniform_work_group_size: 1
    .uses_dynamic_stack: false
    .vgpr_count:     0
    .vgpr_spill_count: 0
    .wavefront_size: 64
  - .args:
      - .offset:         0
        .size:           56
        .value_kind:     by_value
    .group_segment_fixed_size: 0
    .kernarg_segment_align: 8
    .kernarg_segment_size: 56
    .language:       OpenCL C
    .language_version:
      - 2
      - 0
    .max_flat_workgroup_size: 256
    .name:           _ZN7rocprim17ROCPRIM_400000_NS6detail17trampoline_kernelINS0_14default_configENS1_25transform_config_selectorIiLb0EEEZNS1_14transform_implILb0ES3_S5_NS0_18transform_iteratorINS0_17counting_iteratorImlEEZNS1_24adjacent_difference_implIS3_Lb1ELb0EPiSB_N6thrust23THRUST_200600_302600_NS4plusIiEEEE10hipError_tPvRmT2_T3_mT4_P12ihipStream_tbEUlmE_iEESB_NS0_8identityIvEEEESG_SJ_SK_mSL_SN_bEUlT_E_NS1_11comp_targetILNS1_3genE8ELNS1_11target_archE1030ELNS1_3gpuE2ELNS1_3repE0EEENS1_30default_config_static_selectorELNS0_4arch9wavefront6targetE1EEEvT1_
    .private_segment_fixed_size: 0
    .sgpr_count:     4
    .sgpr_spill_count: 0
    .symbol:         _ZN7rocprim17ROCPRIM_400000_NS6detail17trampoline_kernelINS0_14default_configENS1_25transform_config_selectorIiLb0EEEZNS1_14transform_implILb0ES3_S5_NS0_18transform_iteratorINS0_17counting_iteratorImlEEZNS1_24adjacent_difference_implIS3_Lb1ELb0EPiSB_N6thrust23THRUST_200600_302600_NS4plusIiEEEE10hipError_tPvRmT2_T3_mT4_P12ihipStream_tbEUlmE_iEESB_NS0_8identityIvEEEESG_SJ_SK_mSL_SN_bEUlT_E_NS1_11comp_targetILNS1_3genE8ELNS1_11target_archE1030ELNS1_3gpuE2ELNS1_3repE0EEENS1_30default_config_static_selectorELNS0_4arch9wavefront6targetE1EEEvT1_.kd
    .uniform_work_group_size: 1
    .uses_dynamic_stack: false
    .vgpr_count:     0
    .vgpr_spill_count: 0
    .wavefront_size: 64
  - .args:
      - .offset:         0
        .size:           56
        .value_kind:     by_value
    .group_segment_fixed_size: 0
    .kernarg_segment_align: 8
    .kernarg_segment_size: 56
    .language:       OpenCL C
    .language_version:
      - 2
      - 0
    .max_flat_workgroup_size: 1024
    .name:           _ZN7rocprim17ROCPRIM_400000_NS6detail17trampoline_kernelINS0_14default_configENS1_35adjacent_difference_config_selectorILb1EiEEZNS1_24adjacent_difference_implIS3_Lb1ELb0EPiS7_N6thrust23THRUST_200600_302600_NS4plusIiEEEE10hipError_tPvRmT2_T3_mT4_P12ihipStream_tbEUlT_E_NS1_11comp_targetILNS1_3genE0ELNS1_11target_archE4294967295ELNS1_3gpuE0ELNS1_3repE0EEENS1_30default_config_static_selectorELNS0_4arch9wavefront6targetE1EEEvT1_
    .private_segment_fixed_size: 0
    .sgpr_count:     4
    .sgpr_spill_count: 0
    .symbol:         _ZN7rocprim17ROCPRIM_400000_NS6detail17trampoline_kernelINS0_14default_configENS1_35adjacent_difference_config_selectorILb1EiEEZNS1_24adjacent_difference_implIS3_Lb1ELb0EPiS7_N6thrust23THRUST_200600_302600_NS4plusIiEEEE10hipError_tPvRmT2_T3_mT4_P12ihipStream_tbEUlT_E_NS1_11comp_targetILNS1_3genE0ELNS1_11target_archE4294967295ELNS1_3gpuE0ELNS1_3repE0EEENS1_30default_config_static_selectorELNS0_4arch9wavefront6targetE1EEEvT1_.kd
    .uniform_work_group_size: 1
    .uses_dynamic_stack: false
    .vgpr_count:     0
    .vgpr_spill_count: 0
    .wavefront_size: 64
  - .args:
      - .offset:         0
        .size:           56
        .value_kind:     by_value
    .group_segment_fixed_size: 0
    .kernarg_segment_align: 8
    .kernarg_segment_size: 56
    .language:       OpenCL C
    .language_version:
      - 2
      - 0
    .max_flat_workgroup_size: 32
    .name:           _ZN7rocprim17ROCPRIM_400000_NS6detail17trampoline_kernelINS0_14default_configENS1_35adjacent_difference_config_selectorILb1EiEEZNS1_24adjacent_difference_implIS3_Lb1ELb0EPiS7_N6thrust23THRUST_200600_302600_NS4plusIiEEEE10hipError_tPvRmT2_T3_mT4_P12ihipStream_tbEUlT_E_NS1_11comp_targetILNS1_3genE10ELNS1_11target_archE1201ELNS1_3gpuE5ELNS1_3repE0EEENS1_30default_config_static_selectorELNS0_4arch9wavefront6targetE1EEEvT1_
    .private_segment_fixed_size: 0
    .sgpr_count:     4
    .sgpr_spill_count: 0
    .symbol:         _ZN7rocprim17ROCPRIM_400000_NS6detail17trampoline_kernelINS0_14default_configENS1_35adjacent_difference_config_selectorILb1EiEEZNS1_24adjacent_difference_implIS3_Lb1ELb0EPiS7_N6thrust23THRUST_200600_302600_NS4plusIiEEEE10hipError_tPvRmT2_T3_mT4_P12ihipStream_tbEUlT_E_NS1_11comp_targetILNS1_3genE10ELNS1_11target_archE1201ELNS1_3gpuE5ELNS1_3repE0EEENS1_30default_config_static_selectorELNS0_4arch9wavefront6targetE1EEEvT1_.kd
    .uniform_work_group_size: 1
    .uses_dynamic_stack: false
    .vgpr_count:     0
    .vgpr_spill_count: 0
    .wavefront_size: 64
  - .args:
      - .offset:         0
        .size:           56
        .value_kind:     by_value
    .group_segment_fixed_size: 0
    .kernarg_segment_align: 8
    .kernarg_segment_size: 56
    .language:       OpenCL C
    .language_version:
      - 2
      - 0
    .max_flat_workgroup_size: 512
    .name:           _ZN7rocprim17ROCPRIM_400000_NS6detail17trampoline_kernelINS0_14default_configENS1_35adjacent_difference_config_selectorILb1EiEEZNS1_24adjacent_difference_implIS3_Lb1ELb0EPiS7_N6thrust23THRUST_200600_302600_NS4plusIiEEEE10hipError_tPvRmT2_T3_mT4_P12ihipStream_tbEUlT_E_NS1_11comp_targetILNS1_3genE5ELNS1_11target_archE942ELNS1_3gpuE9ELNS1_3repE0EEENS1_30default_config_static_selectorELNS0_4arch9wavefront6targetE1EEEvT1_
    .private_segment_fixed_size: 0
    .sgpr_count:     4
    .sgpr_spill_count: 0
    .symbol:         _ZN7rocprim17ROCPRIM_400000_NS6detail17trampoline_kernelINS0_14default_configENS1_35adjacent_difference_config_selectorILb1EiEEZNS1_24adjacent_difference_implIS3_Lb1ELb0EPiS7_N6thrust23THRUST_200600_302600_NS4plusIiEEEE10hipError_tPvRmT2_T3_mT4_P12ihipStream_tbEUlT_E_NS1_11comp_targetILNS1_3genE5ELNS1_11target_archE942ELNS1_3gpuE9ELNS1_3repE0EEENS1_30default_config_static_selectorELNS0_4arch9wavefront6targetE1EEEvT1_.kd
    .uniform_work_group_size: 1
    .uses_dynamic_stack: false
    .vgpr_count:     0
    .vgpr_spill_count: 0
    .wavefront_size: 64
  - .args:
      - .offset:         0
        .size:           56
        .value_kind:     by_value
    .group_segment_fixed_size: 0
    .kernarg_segment_align: 8
    .kernarg_segment_size: 56
    .language:       OpenCL C
    .language_version:
      - 2
      - 0
    .max_flat_workgroup_size: 512
    .name:           _ZN7rocprim17ROCPRIM_400000_NS6detail17trampoline_kernelINS0_14default_configENS1_35adjacent_difference_config_selectorILb1EiEEZNS1_24adjacent_difference_implIS3_Lb1ELb0EPiS7_N6thrust23THRUST_200600_302600_NS4plusIiEEEE10hipError_tPvRmT2_T3_mT4_P12ihipStream_tbEUlT_E_NS1_11comp_targetILNS1_3genE4ELNS1_11target_archE910ELNS1_3gpuE8ELNS1_3repE0EEENS1_30default_config_static_selectorELNS0_4arch9wavefront6targetE1EEEvT1_
    .private_segment_fixed_size: 0
    .sgpr_count:     4
    .sgpr_spill_count: 0
    .symbol:         _ZN7rocprim17ROCPRIM_400000_NS6detail17trampoline_kernelINS0_14default_configENS1_35adjacent_difference_config_selectorILb1EiEEZNS1_24adjacent_difference_implIS3_Lb1ELb0EPiS7_N6thrust23THRUST_200600_302600_NS4plusIiEEEE10hipError_tPvRmT2_T3_mT4_P12ihipStream_tbEUlT_E_NS1_11comp_targetILNS1_3genE4ELNS1_11target_archE910ELNS1_3gpuE8ELNS1_3repE0EEENS1_30default_config_static_selectorELNS0_4arch9wavefront6targetE1EEEvT1_.kd
    .uniform_work_group_size: 1
    .uses_dynamic_stack: false
    .vgpr_count:     0
    .vgpr_spill_count: 0
    .wavefront_size: 64
  - .args:
      - .offset:         0
        .size:           56
        .value_kind:     by_value
    .group_segment_fixed_size: 0
    .kernarg_segment_align: 8
    .kernarg_segment_size: 56
    .language:       OpenCL C
    .language_version:
      - 2
      - 0
    .max_flat_workgroup_size: 1024
    .name:           _ZN7rocprim17ROCPRIM_400000_NS6detail17trampoline_kernelINS0_14default_configENS1_35adjacent_difference_config_selectorILb1EiEEZNS1_24adjacent_difference_implIS3_Lb1ELb0EPiS7_N6thrust23THRUST_200600_302600_NS4plusIiEEEE10hipError_tPvRmT2_T3_mT4_P12ihipStream_tbEUlT_E_NS1_11comp_targetILNS1_3genE3ELNS1_11target_archE908ELNS1_3gpuE7ELNS1_3repE0EEENS1_30default_config_static_selectorELNS0_4arch9wavefront6targetE1EEEvT1_
    .private_segment_fixed_size: 0
    .sgpr_count:     4
    .sgpr_spill_count: 0
    .symbol:         _ZN7rocprim17ROCPRIM_400000_NS6detail17trampoline_kernelINS0_14default_configENS1_35adjacent_difference_config_selectorILb1EiEEZNS1_24adjacent_difference_implIS3_Lb1ELb0EPiS7_N6thrust23THRUST_200600_302600_NS4plusIiEEEE10hipError_tPvRmT2_T3_mT4_P12ihipStream_tbEUlT_E_NS1_11comp_targetILNS1_3genE3ELNS1_11target_archE908ELNS1_3gpuE7ELNS1_3repE0EEENS1_30default_config_static_selectorELNS0_4arch9wavefront6targetE1EEEvT1_.kd
    .uniform_work_group_size: 1
    .uses_dynamic_stack: false
    .vgpr_count:     0
    .vgpr_spill_count: 0
    .wavefront_size: 64
  - .args:
      - .offset:         0
        .size:           56
        .value_kind:     by_value
    .group_segment_fixed_size: 11264
    .kernarg_segment_align: 8
    .kernarg_segment_size: 56
    .language:       OpenCL C
    .language_version:
      - 2
      - 0
    .max_flat_workgroup_size: 256
    .name:           _ZN7rocprim17ROCPRIM_400000_NS6detail17trampoline_kernelINS0_14default_configENS1_35adjacent_difference_config_selectorILb1EiEEZNS1_24adjacent_difference_implIS3_Lb1ELb0EPiS7_N6thrust23THRUST_200600_302600_NS4plusIiEEEE10hipError_tPvRmT2_T3_mT4_P12ihipStream_tbEUlT_E_NS1_11comp_targetILNS1_3genE2ELNS1_11target_archE906ELNS1_3gpuE6ELNS1_3repE0EEENS1_30default_config_static_selectorELNS0_4arch9wavefront6targetE1EEEvT1_
    .private_segment_fixed_size: 0
    .sgpr_count:     33
    .sgpr_spill_count: 0
    .symbol:         _ZN7rocprim17ROCPRIM_400000_NS6detail17trampoline_kernelINS0_14default_configENS1_35adjacent_difference_config_selectorILb1EiEEZNS1_24adjacent_difference_implIS3_Lb1ELb0EPiS7_N6thrust23THRUST_200600_302600_NS4plusIiEEEE10hipError_tPvRmT2_T3_mT4_P12ihipStream_tbEUlT_E_NS1_11comp_targetILNS1_3genE2ELNS1_11target_archE906ELNS1_3gpuE6ELNS1_3repE0EEENS1_30default_config_static_selectorELNS0_4arch9wavefront6targetE1EEEvT1_.kd
    .uniform_work_group_size: 1
    .uses_dynamic_stack: false
    .vgpr_count:     27
    .vgpr_spill_count: 0
    .wavefront_size: 64
  - .args:
      - .offset:         0
        .size:           56
        .value_kind:     by_value
    .group_segment_fixed_size: 0
    .kernarg_segment_align: 8
    .kernarg_segment_size: 56
    .language:       OpenCL C
    .language_version:
      - 2
      - 0
    .max_flat_workgroup_size: 128
    .name:           _ZN7rocprim17ROCPRIM_400000_NS6detail17trampoline_kernelINS0_14default_configENS1_35adjacent_difference_config_selectorILb1EiEEZNS1_24adjacent_difference_implIS3_Lb1ELb0EPiS7_N6thrust23THRUST_200600_302600_NS4plusIiEEEE10hipError_tPvRmT2_T3_mT4_P12ihipStream_tbEUlT_E_NS1_11comp_targetILNS1_3genE9ELNS1_11target_archE1100ELNS1_3gpuE3ELNS1_3repE0EEENS1_30default_config_static_selectorELNS0_4arch9wavefront6targetE1EEEvT1_
    .private_segment_fixed_size: 0
    .sgpr_count:     4
    .sgpr_spill_count: 0
    .symbol:         _ZN7rocprim17ROCPRIM_400000_NS6detail17trampoline_kernelINS0_14default_configENS1_35adjacent_difference_config_selectorILb1EiEEZNS1_24adjacent_difference_implIS3_Lb1ELb0EPiS7_N6thrust23THRUST_200600_302600_NS4plusIiEEEE10hipError_tPvRmT2_T3_mT4_P12ihipStream_tbEUlT_E_NS1_11comp_targetILNS1_3genE9ELNS1_11target_archE1100ELNS1_3gpuE3ELNS1_3repE0EEENS1_30default_config_static_selectorELNS0_4arch9wavefront6targetE1EEEvT1_.kd
    .uniform_work_group_size: 1
    .uses_dynamic_stack: false
    .vgpr_count:     0
    .vgpr_spill_count: 0
    .wavefront_size: 64
  - .args:
      - .offset:         0
        .size:           56
        .value_kind:     by_value
    .group_segment_fixed_size: 0
    .kernarg_segment_align: 8
    .kernarg_segment_size: 56
    .language:       OpenCL C
    .language_version:
      - 2
      - 0
    .max_flat_workgroup_size: 32
    .name:           _ZN7rocprim17ROCPRIM_400000_NS6detail17trampoline_kernelINS0_14default_configENS1_35adjacent_difference_config_selectorILb1EiEEZNS1_24adjacent_difference_implIS3_Lb1ELb0EPiS7_N6thrust23THRUST_200600_302600_NS4plusIiEEEE10hipError_tPvRmT2_T3_mT4_P12ihipStream_tbEUlT_E_NS1_11comp_targetILNS1_3genE8ELNS1_11target_archE1030ELNS1_3gpuE2ELNS1_3repE0EEENS1_30default_config_static_selectorELNS0_4arch9wavefront6targetE1EEEvT1_
    .private_segment_fixed_size: 0
    .sgpr_count:     4
    .sgpr_spill_count: 0
    .symbol:         _ZN7rocprim17ROCPRIM_400000_NS6detail17trampoline_kernelINS0_14default_configENS1_35adjacent_difference_config_selectorILb1EiEEZNS1_24adjacent_difference_implIS3_Lb1ELb0EPiS7_N6thrust23THRUST_200600_302600_NS4plusIiEEEE10hipError_tPvRmT2_T3_mT4_P12ihipStream_tbEUlT_E_NS1_11comp_targetILNS1_3genE8ELNS1_11target_archE1030ELNS1_3gpuE2ELNS1_3repE0EEENS1_30default_config_static_selectorELNS0_4arch9wavefront6targetE1EEEvT1_.kd
    .uniform_work_group_size: 1
    .uses_dynamic_stack: false
    .vgpr_count:     0
    .vgpr_spill_count: 0
    .wavefront_size: 64
  - .args:
      - .offset:         0
        .size:           16
        .value_kind:     by_value
      - .offset:         16
        .size:           8
        .value_kind:     by_value
      - .offset:         24
        .size:           8
        .value_kind:     by_value
    .group_segment_fixed_size: 0
    .kernarg_segment_align: 8
    .kernarg_segment_size: 32
    .language:       OpenCL C
    .language_version:
      - 2
      - 0
    .max_flat_workgroup_size: 256
    .name:           _ZN6thrust23THRUST_200600_302600_NS11hip_rocprim14__parallel_for6kernelILj256ENS1_20__uninitialized_fill7functorINS0_10device_ptrIsEEsEEmLj1EEEvT0_T1_SA_
    .private_segment_fixed_size: 0
    .sgpr_count:     20
    .sgpr_spill_count: 0
    .symbol:         _ZN6thrust23THRUST_200600_302600_NS11hip_rocprim14__parallel_for6kernelILj256ENS1_20__uninitialized_fill7functorINS0_10device_ptrIsEEsEEmLj1EEEvT0_T1_SA_.kd
    .uniform_work_group_size: 1
    .uses_dynamic_stack: false
    .vgpr_count:     4
    .vgpr_spill_count: 0
    .wavefront_size: 64
  - .args:
      - .offset:         0
        .size:           56
        .value_kind:     by_value
    .group_segment_fixed_size: 0
    .kernarg_segment_align: 8
    .kernarg_segment_size: 56
    .language:       OpenCL C
    .language_version:
      - 2
      - 0
    .max_flat_workgroup_size: 64
    .name:           _ZN7rocprim17ROCPRIM_400000_NS6detail17trampoline_kernelINS0_14default_configENS1_35adjacent_difference_config_selectorILb0EsEEZNS1_24adjacent_difference_implIS3_Lb0ELb0EPsS7_N6thrust23THRUST_200600_302600_NS5minusIsEEEE10hipError_tPvRmT2_T3_mT4_P12ihipStream_tbEUlT_E_NS1_11comp_targetILNS1_3genE0ELNS1_11target_archE4294967295ELNS1_3gpuE0ELNS1_3repE0EEENS1_30default_config_static_selectorELNS0_4arch9wavefront6targetE1EEEvT1_
    .private_segment_fixed_size: 0
    .sgpr_count:     4
    .sgpr_spill_count: 0
    .symbol:         _ZN7rocprim17ROCPRIM_400000_NS6detail17trampoline_kernelINS0_14default_configENS1_35adjacent_difference_config_selectorILb0EsEEZNS1_24adjacent_difference_implIS3_Lb0ELb0EPsS7_N6thrust23THRUST_200600_302600_NS5minusIsEEEE10hipError_tPvRmT2_T3_mT4_P12ihipStream_tbEUlT_E_NS1_11comp_targetILNS1_3genE0ELNS1_11target_archE4294967295ELNS1_3gpuE0ELNS1_3repE0EEENS1_30default_config_static_selectorELNS0_4arch9wavefront6targetE1EEEvT1_.kd
    .uniform_work_group_size: 1
    .uses_dynamic_stack: false
    .vgpr_count:     0
    .vgpr_spill_count: 0
    .wavefront_size: 64
  - .args:
      - .offset:         0
        .size:           56
        .value_kind:     by_value
    .group_segment_fixed_size: 0
    .kernarg_segment_align: 8
    .kernarg_segment_size: 56
    .language:       OpenCL C
    .language_version:
      - 2
      - 0
    .max_flat_workgroup_size: 128
    .name:           _ZN7rocprim17ROCPRIM_400000_NS6detail17trampoline_kernelINS0_14default_configENS1_35adjacent_difference_config_selectorILb0EsEEZNS1_24adjacent_difference_implIS3_Lb0ELb0EPsS7_N6thrust23THRUST_200600_302600_NS5minusIsEEEE10hipError_tPvRmT2_T3_mT4_P12ihipStream_tbEUlT_E_NS1_11comp_targetILNS1_3genE10ELNS1_11target_archE1201ELNS1_3gpuE5ELNS1_3repE0EEENS1_30default_config_static_selectorELNS0_4arch9wavefront6targetE1EEEvT1_
    .private_segment_fixed_size: 0
    .sgpr_count:     4
    .sgpr_spill_count: 0
    .symbol:         _ZN7rocprim17ROCPRIM_400000_NS6detail17trampoline_kernelINS0_14default_configENS1_35adjacent_difference_config_selectorILb0EsEEZNS1_24adjacent_difference_implIS3_Lb0ELb0EPsS7_N6thrust23THRUST_200600_302600_NS5minusIsEEEE10hipError_tPvRmT2_T3_mT4_P12ihipStream_tbEUlT_E_NS1_11comp_targetILNS1_3genE10ELNS1_11target_archE1201ELNS1_3gpuE5ELNS1_3repE0EEENS1_30default_config_static_selectorELNS0_4arch9wavefront6targetE1EEEvT1_.kd
    .uniform_work_group_size: 1
    .uses_dynamic_stack: false
    .vgpr_count:     0
    .vgpr_spill_count: 0
    .wavefront_size: 64
  - .args:
      - .offset:         0
        .size:           56
        .value_kind:     by_value
    .group_segment_fixed_size: 0
    .kernarg_segment_align: 8
    .kernarg_segment_size: 56
    .language:       OpenCL C
    .language_version:
      - 2
      - 0
    .max_flat_workgroup_size: 256
    .name:           _ZN7rocprim17ROCPRIM_400000_NS6detail17trampoline_kernelINS0_14default_configENS1_35adjacent_difference_config_selectorILb0EsEEZNS1_24adjacent_difference_implIS3_Lb0ELb0EPsS7_N6thrust23THRUST_200600_302600_NS5minusIsEEEE10hipError_tPvRmT2_T3_mT4_P12ihipStream_tbEUlT_E_NS1_11comp_targetILNS1_3genE5ELNS1_11target_archE942ELNS1_3gpuE9ELNS1_3repE0EEENS1_30default_config_static_selectorELNS0_4arch9wavefront6targetE1EEEvT1_
    .private_segment_fixed_size: 0
    .sgpr_count:     4
    .sgpr_spill_count: 0
    .symbol:         _ZN7rocprim17ROCPRIM_400000_NS6detail17trampoline_kernelINS0_14default_configENS1_35adjacent_difference_config_selectorILb0EsEEZNS1_24adjacent_difference_implIS3_Lb0ELb0EPsS7_N6thrust23THRUST_200600_302600_NS5minusIsEEEE10hipError_tPvRmT2_T3_mT4_P12ihipStream_tbEUlT_E_NS1_11comp_targetILNS1_3genE5ELNS1_11target_archE942ELNS1_3gpuE9ELNS1_3repE0EEENS1_30default_config_static_selectorELNS0_4arch9wavefront6targetE1EEEvT1_.kd
    .uniform_work_group_size: 1
    .uses_dynamic_stack: false
    .vgpr_count:     0
    .vgpr_spill_count: 0
    .wavefront_size: 64
  - .args:
      - .offset:         0
        .size:           56
        .value_kind:     by_value
    .group_segment_fixed_size: 0
    .kernarg_segment_align: 8
    .kernarg_segment_size: 56
    .language:       OpenCL C
    .language_version:
      - 2
      - 0
    .max_flat_workgroup_size: 64
    .name:           _ZN7rocprim17ROCPRIM_400000_NS6detail17trampoline_kernelINS0_14default_configENS1_35adjacent_difference_config_selectorILb0EsEEZNS1_24adjacent_difference_implIS3_Lb0ELb0EPsS7_N6thrust23THRUST_200600_302600_NS5minusIsEEEE10hipError_tPvRmT2_T3_mT4_P12ihipStream_tbEUlT_E_NS1_11comp_targetILNS1_3genE4ELNS1_11target_archE910ELNS1_3gpuE8ELNS1_3repE0EEENS1_30default_config_static_selectorELNS0_4arch9wavefront6targetE1EEEvT1_
    .private_segment_fixed_size: 0
    .sgpr_count:     4
    .sgpr_spill_count: 0
    .symbol:         _ZN7rocprim17ROCPRIM_400000_NS6detail17trampoline_kernelINS0_14default_configENS1_35adjacent_difference_config_selectorILb0EsEEZNS1_24adjacent_difference_implIS3_Lb0ELb0EPsS7_N6thrust23THRUST_200600_302600_NS5minusIsEEEE10hipError_tPvRmT2_T3_mT4_P12ihipStream_tbEUlT_E_NS1_11comp_targetILNS1_3genE4ELNS1_11target_archE910ELNS1_3gpuE8ELNS1_3repE0EEENS1_30default_config_static_selectorELNS0_4arch9wavefront6targetE1EEEvT1_.kd
    .uniform_work_group_size: 1
    .uses_dynamic_stack: false
    .vgpr_count:     0
    .vgpr_spill_count: 0
    .wavefront_size: 64
  - .args:
      - .offset:         0
        .size:           56
        .value_kind:     by_value
    .group_segment_fixed_size: 0
    .kernarg_segment_align: 8
    .kernarg_segment_size: 56
    .language:       OpenCL C
    .language_version:
      - 2
      - 0
    .max_flat_workgroup_size: 64
    .name:           _ZN7rocprim17ROCPRIM_400000_NS6detail17trampoline_kernelINS0_14default_configENS1_35adjacent_difference_config_selectorILb0EsEEZNS1_24adjacent_difference_implIS3_Lb0ELb0EPsS7_N6thrust23THRUST_200600_302600_NS5minusIsEEEE10hipError_tPvRmT2_T3_mT4_P12ihipStream_tbEUlT_E_NS1_11comp_targetILNS1_3genE3ELNS1_11target_archE908ELNS1_3gpuE7ELNS1_3repE0EEENS1_30default_config_static_selectorELNS0_4arch9wavefront6targetE1EEEvT1_
    .private_segment_fixed_size: 0
    .sgpr_count:     4
    .sgpr_spill_count: 0
    .symbol:         _ZN7rocprim17ROCPRIM_400000_NS6detail17trampoline_kernelINS0_14default_configENS1_35adjacent_difference_config_selectorILb0EsEEZNS1_24adjacent_difference_implIS3_Lb0ELb0EPsS7_N6thrust23THRUST_200600_302600_NS5minusIsEEEE10hipError_tPvRmT2_T3_mT4_P12ihipStream_tbEUlT_E_NS1_11comp_targetILNS1_3genE3ELNS1_11target_archE908ELNS1_3gpuE7ELNS1_3repE0EEENS1_30default_config_static_selectorELNS0_4arch9wavefront6targetE1EEEvT1_.kd
    .uniform_work_group_size: 1
    .uses_dynamic_stack: false
    .vgpr_count:     0
    .vgpr_spill_count: 0
    .wavefront_size: 64
  - .args:
      - .offset:         0
        .size:           56
        .value_kind:     by_value
    .group_segment_fixed_size: 896
    .kernarg_segment_align: 8
    .kernarg_segment_size: 56
    .language:       OpenCL C
    .language_version:
      - 2
      - 0
    .max_flat_workgroup_size: 64
    .name:           _ZN7rocprim17ROCPRIM_400000_NS6detail17trampoline_kernelINS0_14default_configENS1_35adjacent_difference_config_selectorILb0EsEEZNS1_24adjacent_difference_implIS3_Lb0ELb0EPsS7_N6thrust23THRUST_200600_302600_NS5minusIsEEEE10hipError_tPvRmT2_T3_mT4_P12ihipStream_tbEUlT_E_NS1_11comp_targetILNS1_3genE2ELNS1_11target_archE906ELNS1_3gpuE6ELNS1_3repE0EEENS1_30default_config_static_selectorELNS0_4arch9wavefront6targetE1EEEvT1_
    .private_segment_fixed_size: 0
    .sgpr_count:     27
    .sgpr_spill_count: 0
    .symbol:         _ZN7rocprim17ROCPRIM_400000_NS6detail17trampoline_kernelINS0_14default_configENS1_35adjacent_difference_config_selectorILb0EsEEZNS1_24adjacent_difference_implIS3_Lb0ELb0EPsS7_N6thrust23THRUST_200600_302600_NS5minusIsEEEE10hipError_tPvRmT2_T3_mT4_P12ihipStream_tbEUlT_E_NS1_11comp_targetILNS1_3genE2ELNS1_11target_archE906ELNS1_3gpuE6ELNS1_3repE0EEENS1_30default_config_static_selectorELNS0_4arch9wavefront6targetE1EEEvT1_.kd
    .uniform_work_group_size: 1
    .uses_dynamic_stack: false
    .vgpr_count:     18
    .vgpr_spill_count: 0
    .wavefront_size: 64
  - .args:
      - .offset:         0
        .size:           56
        .value_kind:     by_value
    .group_segment_fixed_size: 0
    .kernarg_segment_align: 8
    .kernarg_segment_size: 56
    .language:       OpenCL C
    .language_version:
      - 2
      - 0
    .max_flat_workgroup_size: 64
    .name:           _ZN7rocprim17ROCPRIM_400000_NS6detail17trampoline_kernelINS0_14default_configENS1_35adjacent_difference_config_selectorILb0EsEEZNS1_24adjacent_difference_implIS3_Lb0ELb0EPsS7_N6thrust23THRUST_200600_302600_NS5minusIsEEEE10hipError_tPvRmT2_T3_mT4_P12ihipStream_tbEUlT_E_NS1_11comp_targetILNS1_3genE9ELNS1_11target_archE1100ELNS1_3gpuE3ELNS1_3repE0EEENS1_30default_config_static_selectorELNS0_4arch9wavefront6targetE1EEEvT1_
    .private_segment_fixed_size: 0
    .sgpr_count:     4
    .sgpr_spill_count: 0
    .symbol:         _ZN7rocprim17ROCPRIM_400000_NS6detail17trampoline_kernelINS0_14default_configENS1_35adjacent_difference_config_selectorILb0EsEEZNS1_24adjacent_difference_implIS3_Lb0ELb0EPsS7_N6thrust23THRUST_200600_302600_NS5minusIsEEEE10hipError_tPvRmT2_T3_mT4_P12ihipStream_tbEUlT_E_NS1_11comp_targetILNS1_3genE9ELNS1_11target_archE1100ELNS1_3gpuE3ELNS1_3repE0EEENS1_30default_config_static_selectorELNS0_4arch9wavefront6targetE1EEEvT1_.kd
    .uniform_work_group_size: 1
    .uses_dynamic_stack: false
    .vgpr_count:     0
    .vgpr_spill_count: 0
    .wavefront_size: 64
  - .args:
      - .offset:         0
        .size:           56
        .value_kind:     by_value
    .group_segment_fixed_size: 0
    .kernarg_segment_align: 8
    .kernarg_segment_size: 56
    .language:       OpenCL C
    .language_version:
      - 2
      - 0
    .max_flat_workgroup_size: 1024
    .name:           _ZN7rocprim17ROCPRIM_400000_NS6detail17trampoline_kernelINS0_14default_configENS1_35adjacent_difference_config_selectorILb0EsEEZNS1_24adjacent_difference_implIS3_Lb0ELb0EPsS7_N6thrust23THRUST_200600_302600_NS5minusIsEEEE10hipError_tPvRmT2_T3_mT4_P12ihipStream_tbEUlT_E_NS1_11comp_targetILNS1_3genE8ELNS1_11target_archE1030ELNS1_3gpuE2ELNS1_3repE0EEENS1_30default_config_static_selectorELNS0_4arch9wavefront6targetE1EEEvT1_
    .private_segment_fixed_size: 0
    .sgpr_count:     4
    .sgpr_spill_count: 0
    .symbol:         _ZN7rocprim17ROCPRIM_400000_NS6detail17trampoline_kernelINS0_14default_configENS1_35adjacent_difference_config_selectorILb0EsEEZNS1_24adjacent_difference_implIS3_Lb0ELb0EPsS7_N6thrust23THRUST_200600_302600_NS5minusIsEEEE10hipError_tPvRmT2_T3_mT4_P12ihipStream_tbEUlT_E_NS1_11comp_targetILNS1_3genE8ELNS1_11target_archE1030ELNS1_3gpuE2ELNS1_3repE0EEENS1_30default_config_static_selectorELNS0_4arch9wavefront6targetE1EEEvT1_.kd
    .uniform_work_group_size: 1
    .uses_dynamic_stack: false
    .vgpr_count:     0
    .vgpr_spill_count: 0
    .wavefront_size: 64
  - .args:
      - .offset:         0
        .size:           56
        .value_kind:     by_value
    .group_segment_fixed_size: 0
    .kernarg_segment_align: 8
    .kernarg_segment_size: 56
    .language:       OpenCL C
    .language_version:
      - 2
      - 0
    .max_flat_workgroup_size: 128
    .name:           _ZN7rocprim17ROCPRIM_400000_NS6detail17trampoline_kernelINS0_14default_configENS1_25transform_config_selectorIsLb0EEEZNS1_14transform_implILb0ES3_S5_NS0_18transform_iteratorINS0_17counting_iteratorImlEEZNS1_24adjacent_difference_implIS3_Lb1ELb0EPsSB_N6thrust23THRUST_200600_302600_NS5minusIsEEEE10hipError_tPvRmT2_T3_mT4_P12ihipStream_tbEUlmE_sEESB_NS0_8identityIvEEEESG_SJ_SK_mSL_SN_bEUlT_E_NS1_11comp_targetILNS1_3genE0ELNS1_11target_archE4294967295ELNS1_3gpuE0ELNS1_3repE0EEENS1_30default_config_static_selectorELNS0_4arch9wavefront6targetE1EEEvT1_
    .private_segment_fixed_size: 0
    .sgpr_count:     4
    .sgpr_spill_count: 0
    .symbol:         _ZN7rocprim17ROCPRIM_400000_NS6detail17trampoline_kernelINS0_14default_configENS1_25transform_config_selectorIsLb0EEEZNS1_14transform_implILb0ES3_S5_NS0_18transform_iteratorINS0_17counting_iteratorImlEEZNS1_24adjacent_difference_implIS3_Lb1ELb0EPsSB_N6thrust23THRUST_200600_302600_NS5minusIsEEEE10hipError_tPvRmT2_T3_mT4_P12ihipStream_tbEUlmE_sEESB_NS0_8identityIvEEEESG_SJ_SK_mSL_SN_bEUlT_E_NS1_11comp_targetILNS1_3genE0ELNS1_11target_archE4294967295ELNS1_3gpuE0ELNS1_3repE0EEENS1_30default_config_static_selectorELNS0_4arch9wavefront6targetE1EEEvT1_.kd
    .uniform_work_group_size: 1
    .uses_dynamic_stack: false
    .vgpr_count:     0
    .vgpr_spill_count: 0
    .wavefront_size: 64
  - .args:
      - .offset:         0
        .size:           56
        .value_kind:     by_value
    .group_segment_fixed_size: 0
    .kernarg_segment_align: 8
    .kernarg_segment_size: 56
    .language:       OpenCL C
    .language_version:
      - 2
      - 0
    .max_flat_workgroup_size: 256
    .name:           _ZN7rocprim17ROCPRIM_400000_NS6detail17trampoline_kernelINS0_14default_configENS1_25transform_config_selectorIsLb0EEEZNS1_14transform_implILb0ES3_S5_NS0_18transform_iteratorINS0_17counting_iteratorImlEEZNS1_24adjacent_difference_implIS3_Lb1ELb0EPsSB_N6thrust23THRUST_200600_302600_NS5minusIsEEEE10hipError_tPvRmT2_T3_mT4_P12ihipStream_tbEUlmE_sEESB_NS0_8identityIvEEEESG_SJ_SK_mSL_SN_bEUlT_E_NS1_11comp_targetILNS1_3genE5ELNS1_11target_archE942ELNS1_3gpuE9ELNS1_3repE0EEENS1_30default_config_static_selectorELNS0_4arch9wavefront6targetE1EEEvT1_
    .private_segment_fixed_size: 0
    .sgpr_count:     4
    .sgpr_spill_count: 0
    .symbol:         _ZN7rocprim17ROCPRIM_400000_NS6detail17trampoline_kernelINS0_14default_configENS1_25transform_config_selectorIsLb0EEEZNS1_14transform_implILb0ES3_S5_NS0_18transform_iteratorINS0_17counting_iteratorImlEEZNS1_24adjacent_difference_implIS3_Lb1ELb0EPsSB_N6thrust23THRUST_200600_302600_NS5minusIsEEEE10hipError_tPvRmT2_T3_mT4_P12ihipStream_tbEUlmE_sEESB_NS0_8identityIvEEEESG_SJ_SK_mSL_SN_bEUlT_E_NS1_11comp_targetILNS1_3genE5ELNS1_11target_archE942ELNS1_3gpuE9ELNS1_3repE0EEENS1_30default_config_static_selectorELNS0_4arch9wavefront6targetE1EEEvT1_.kd
    .uniform_work_group_size: 1
    .uses_dynamic_stack: false
    .vgpr_count:     0
    .vgpr_spill_count: 0
    .wavefront_size: 64
  - .args:
      - .offset:         0
        .size:           56
        .value_kind:     by_value
    .group_segment_fixed_size: 0
    .kernarg_segment_align: 8
    .kernarg_segment_size: 56
    .language:       OpenCL C
    .language_version:
      - 2
      - 0
    .max_flat_workgroup_size: 64
    .name:           _ZN7rocprim17ROCPRIM_400000_NS6detail17trampoline_kernelINS0_14default_configENS1_25transform_config_selectorIsLb0EEEZNS1_14transform_implILb0ES3_S5_NS0_18transform_iteratorINS0_17counting_iteratorImlEEZNS1_24adjacent_difference_implIS3_Lb1ELb0EPsSB_N6thrust23THRUST_200600_302600_NS5minusIsEEEE10hipError_tPvRmT2_T3_mT4_P12ihipStream_tbEUlmE_sEESB_NS0_8identityIvEEEESG_SJ_SK_mSL_SN_bEUlT_E_NS1_11comp_targetILNS1_3genE4ELNS1_11target_archE910ELNS1_3gpuE8ELNS1_3repE0EEENS1_30default_config_static_selectorELNS0_4arch9wavefront6targetE1EEEvT1_
    .private_segment_fixed_size: 0
    .sgpr_count:     4
    .sgpr_spill_count: 0
    .symbol:         _ZN7rocprim17ROCPRIM_400000_NS6detail17trampoline_kernelINS0_14default_configENS1_25transform_config_selectorIsLb0EEEZNS1_14transform_implILb0ES3_S5_NS0_18transform_iteratorINS0_17counting_iteratorImlEEZNS1_24adjacent_difference_implIS3_Lb1ELb0EPsSB_N6thrust23THRUST_200600_302600_NS5minusIsEEEE10hipError_tPvRmT2_T3_mT4_P12ihipStream_tbEUlmE_sEESB_NS0_8identityIvEEEESG_SJ_SK_mSL_SN_bEUlT_E_NS1_11comp_targetILNS1_3genE4ELNS1_11target_archE910ELNS1_3gpuE8ELNS1_3repE0EEENS1_30default_config_static_selectorELNS0_4arch9wavefront6targetE1EEEvT1_.kd
    .uniform_work_group_size: 1
    .uses_dynamic_stack: false
    .vgpr_count:     0
    .vgpr_spill_count: 0
    .wavefront_size: 64
  - .args:
      - .offset:         0
        .size:           56
        .value_kind:     by_value
    .group_segment_fixed_size: 0
    .kernarg_segment_align: 8
    .kernarg_segment_size: 56
    .language:       OpenCL C
    .language_version:
      - 2
      - 0
    .max_flat_workgroup_size: 128
    .name:           _ZN7rocprim17ROCPRIM_400000_NS6detail17trampoline_kernelINS0_14default_configENS1_25transform_config_selectorIsLb0EEEZNS1_14transform_implILb0ES3_S5_NS0_18transform_iteratorINS0_17counting_iteratorImlEEZNS1_24adjacent_difference_implIS3_Lb1ELb0EPsSB_N6thrust23THRUST_200600_302600_NS5minusIsEEEE10hipError_tPvRmT2_T3_mT4_P12ihipStream_tbEUlmE_sEESB_NS0_8identityIvEEEESG_SJ_SK_mSL_SN_bEUlT_E_NS1_11comp_targetILNS1_3genE3ELNS1_11target_archE908ELNS1_3gpuE7ELNS1_3repE0EEENS1_30default_config_static_selectorELNS0_4arch9wavefront6targetE1EEEvT1_
    .private_segment_fixed_size: 0
    .sgpr_count:     4
    .sgpr_spill_count: 0
    .symbol:         _ZN7rocprim17ROCPRIM_400000_NS6detail17trampoline_kernelINS0_14default_configENS1_25transform_config_selectorIsLb0EEEZNS1_14transform_implILb0ES3_S5_NS0_18transform_iteratorINS0_17counting_iteratorImlEEZNS1_24adjacent_difference_implIS3_Lb1ELb0EPsSB_N6thrust23THRUST_200600_302600_NS5minusIsEEEE10hipError_tPvRmT2_T3_mT4_P12ihipStream_tbEUlmE_sEESB_NS0_8identityIvEEEESG_SJ_SK_mSL_SN_bEUlT_E_NS1_11comp_targetILNS1_3genE3ELNS1_11target_archE908ELNS1_3gpuE7ELNS1_3repE0EEENS1_30default_config_static_selectorELNS0_4arch9wavefront6targetE1EEEvT1_.kd
    .uniform_work_group_size: 1
    .uses_dynamic_stack: false
    .vgpr_count:     0
    .vgpr_spill_count: 0
    .wavefront_size: 64
  - .args:
      - .offset:         0
        .size:           56
        .value_kind:     by_value
      - .offset:         56
        .size:           4
        .value_kind:     hidden_block_count_x
      - .offset:         60
        .size:           4
        .value_kind:     hidden_block_count_y
      - .offset:         64
        .size:           4
        .value_kind:     hidden_block_count_z
      - .offset:         68
        .size:           2
        .value_kind:     hidden_group_size_x
      - .offset:         70
        .size:           2
        .value_kind:     hidden_group_size_y
      - .offset:         72
        .size:           2
        .value_kind:     hidden_group_size_z
      - .offset:         74
        .size:           2
        .value_kind:     hidden_remainder_x
      - .offset:         76
        .size:           2
        .value_kind:     hidden_remainder_y
      - .offset:         78
        .size:           2
        .value_kind:     hidden_remainder_z
      - .offset:         96
        .size:           8
        .value_kind:     hidden_global_offset_x
      - .offset:         104
        .size:           8
        .value_kind:     hidden_global_offset_y
      - .offset:         112
        .size:           8
        .value_kind:     hidden_global_offset_z
      - .offset:         120
        .size:           2
        .value_kind:     hidden_grid_dims
    .group_segment_fixed_size: 0
    .kernarg_segment_align: 8
    .kernarg_segment_size: 312
    .language:       OpenCL C
    .language_version:
      - 2
      - 0
    .max_flat_workgroup_size: 512
    .name:           _ZN7rocprim17ROCPRIM_400000_NS6detail17trampoline_kernelINS0_14default_configENS1_25transform_config_selectorIsLb0EEEZNS1_14transform_implILb0ES3_S5_NS0_18transform_iteratorINS0_17counting_iteratorImlEEZNS1_24adjacent_difference_implIS3_Lb1ELb0EPsSB_N6thrust23THRUST_200600_302600_NS5minusIsEEEE10hipError_tPvRmT2_T3_mT4_P12ihipStream_tbEUlmE_sEESB_NS0_8identityIvEEEESG_SJ_SK_mSL_SN_bEUlT_E_NS1_11comp_targetILNS1_3genE2ELNS1_11target_archE906ELNS1_3gpuE6ELNS1_3repE0EEENS1_30default_config_static_selectorELNS0_4arch9wavefront6targetE1EEEvT1_
    .private_segment_fixed_size: 0
    .sgpr_count:     26
    .sgpr_spill_count: 0
    .symbol:         _ZN7rocprim17ROCPRIM_400000_NS6detail17trampoline_kernelINS0_14default_configENS1_25transform_config_selectorIsLb0EEEZNS1_14transform_implILb0ES3_S5_NS0_18transform_iteratorINS0_17counting_iteratorImlEEZNS1_24adjacent_difference_implIS3_Lb1ELb0EPsSB_N6thrust23THRUST_200600_302600_NS5minusIsEEEE10hipError_tPvRmT2_T3_mT4_P12ihipStream_tbEUlmE_sEESB_NS0_8identityIvEEEESG_SJ_SK_mSL_SN_bEUlT_E_NS1_11comp_targetILNS1_3genE2ELNS1_11target_archE906ELNS1_3gpuE6ELNS1_3repE0EEENS1_30default_config_static_selectorELNS0_4arch9wavefront6targetE1EEEvT1_.kd
    .uniform_work_group_size: 1
    .uses_dynamic_stack: false
    .vgpr_count:     12
    .vgpr_spill_count: 0
    .wavefront_size: 64
  - .args:
      - .offset:         0
        .size:           56
        .value_kind:     by_value
    .group_segment_fixed_size: 0
    .kernarg_segment_align: 8
    .kernarg_segment_size: 56
    .language:       OpenCL C
    .language_version:
      - 2
      - 0
    .max_flat_workgroup_size: 1024
    .name:           _ZN7rocprim17ROCPRIM_400000_NS6detail17trampoline_kernelINS0_14default_configENS1_25transform_config_selectorIsLb0EEEZNS1_14transform_implILb0ES3_S5_NS0_18transform_iteratorINS0_17counting_iteratorImlEEZNS1_24adjacent_difference_implIS3_Lb1ELb0EPsSB_N6thrust23THRUST_200600_302600_NS5minusIsEEEE10hipError_tPvRmT2_T3_mT4_P12ihipStream_tbEUlmE_sEESB_NS0_8identityIvEEEESG_SJ_SK_mSL_SN_bEUlT_E_NS1_11comp_targetILNS1_3genE10ELNS1_11target_archE1201ELNS1_3gpuE5ELNS1_3repE0EEENS1_30default_config_static_selectorELNS0_4arch9wavefront6targetE1EEEvT1_
    .private_segment_fixed_size: 0
    .sgpr_count:     4
    .sgpr_spill_count: 0
    .symbol:         _ZN7rocprim17ROCPRIM_400000_NS6detail17trampoline_kernelINS0_14default_configENS1_25transform_config_selectorIsLb0EEEZNS1_14transform_implILb0ES3_S5_NS0_18transform_iteratorINS0_17counting_iteratorImlEEZNS1_24adjacent_difference_implIS3_Lb1ELb0EPsSB_N6thrust23THRUST_200600_302600_NS5minusIsEEEE10hipError_tPvRmT2_T3_mT4_P12ihipStream_tbEUlmE_sEESB_NS0_8identityIvEEEESG_SJ_SK_mSL_SN_bEUlT_E_NS1_11comp_targetILNS1_3genE10ELNS1_11target_archE1201ELNS1_3gpuE5ELNS1_3repE0EEENS1_30default_config_static_selectorELNS0_4arch9wavefront6targetE1EEEvT1_.kd
    .uniform_work_group_size: 1
    .uses_dynamic_stack: false
    .vgpr_count:     0
    .vgpr_spill_count: 0
    .wavefront_size: 64
  - .args:
      - .offset:         0
        .size:           56
        .value_kind:     by_value
    .group_segment_fixed_size: 0
    .kernarg_segment_align: 8
    .kernarg_segment_size: 56
    .language:       OpenCL C
    .language_version:
      - 2
      - 0
    .max_flat_workgroup_size: 512
    .name:           _ZN7rocprim17ROCPRIM_400000_NS6detail17trampoline_kernelINS0_14default_configENS1_25transform_config_selectorIsLb0EEEZNS1_14transform_implILb0ES3_S5_NS0_18transform_iteratorINS0_17counting_iteratorImlEEZNS1_24adjacent_difference_implIS3_Lb1ELb0EPsSB_N6thrust23THRUST_200600_302600_NS5minusIsEEEE10hipError_tPvRmT2_T3_mT4_P12ihipStream_tbEUlmE_sEESB_NS0_8identityIvEEEESG_SJ_SK_mSL_SN_bEUlT_E_NS1_11comp_targetILNS1_3genE10ELNS1_11target_archE1200ELNS1_3gpuE4ELNS1_3repE0EEENS1_30default_config_static_selectorELNS0_4arch9wavefront6targetE1EEEvT1_
    .private_segment_fixed_size: 0
    .sgpr_count:     4
    .sgpr_spill_count: 0
    .symbol:         _ZN7rocprim17ROCPRIM_400000_NS6detail17trampoline_kernelINS0_14default_configENS1_25transform_config_selectorIsLb0EEEZNS1_14transform_implILb0ES3_S5_NS0_18transform_iteratorINS0_17counting_iteratorImlEEZNS1_24adjacent_difference_implIS3_Lb1ELb0EPsSB_N6thrust23THRUST_200600_302600_NS5minusIsEEEE10hipError_tPvRmT2_T3_mT4_P12ihipStream_tbEUlmE_sEESB_NS0_8identityIvEEEESG_SJ_SK_mSL_SN_bEUlT_E_NS1_11comp_targetILNS1_3genE10ELNS1_11target_archE1200ELNS1_3gpuE4ELNS1_3repE0EEENS1_30default_config_static_selectorELNS0_4arch9wavefront6targetE1EEEvT1_.kd
    .uniform_work_group_size: 1
    .uses_dynamic_stack: false
    .vgpr_count:     0
    .vgpr_spill_count: 0
    .wavefront_size: 64
  - .args:
      - .offset:         0
        .size:           56
        .value_kind:     by_value
    .group_segment_fixed_size: 0
    .kernarg_segment_align: 8
    .kernarg_segment_size: 56
    .language:       OpenCL C
    .language_version:
      - 2
      - 0
    .max_flat_workgroup_size: 1024
    .name:           _ZN7rocprim17ROCPRIM_400000_NS6detail17trampoline_kernelINS0_14default_configENS1_25transform_config_selectorIsLb0EEEZNS1_14transform_implILb0ES3_S5_NS0_18transform_iteratorINS0_17counting_iteratorImlEEZNS1_24adjacent_difference_implIS3_Lb1ELb0EPsSB_N6thrust23THRUST_200600_302600_NS5minusIsEEEE10hipError_tPvRmT2_T3_mT4_P12ihipStream_tbEUlmE_sEESB_NS0_8identityIvEEEESG_SJ_SK_mSL_SN_bEUlT_E_NS1_11comp_targetILNS1_3genE9ELNS1_11target_archE1100ELNS1_3gpuE3ELNS1_3repE0EEENS1_30default_config_static_selectorELNS0_4arch9wavefront6targetE1EEEvT1_
    .private_segment_fixed_size: 0
    .sgpr_count:     4
    .sgpr_spill_count: 0
    .symbol:         _ZN7rocprim17ROCPRIM_400000_NS6detail17trampoline_kernelINS0_14default_configENS1_25transform_config_selectorIsLb0EEEZNS1_14transform_implILb0ES3_S5_NS0_18transform_iteratorINS0_17counting_iteratorImlEEZNS1_24adjacent_difference_implIS3_Lb1ELb0EPsSB_N6thrust23THRUST_200600_302600_NS5minusIsEEEE10hipError_tPvRmT2_T3_mT4_P12ihipStream_tbEUlmE_sEESB_NS0_8identityIvEEEESG_SJ_SK_mSL_SN_bEUlT_E_NS1_11comp_targetILNS1_3genE9ELNS1_11target_archE1100ELNS1_3gpuE3ELNS1_3repE0EEENS1_30default_config_static_selectorELNS0_4arch9wavefront6targetE1EEEvT1_.kd
    .uniform_work_group_size: 1
    .uses_dynamic_stack: false
    .vgpr_count:     0
    .vgpr_spill_count: 0
    .wavefront_size: 64
  - .args:
      - .offset:         0
        .size:           56
        .value_kind:     by_value
    .group_segment_fixed_size: 0
    .kernarg_segment_align: 8
    .kernarg_segment_size: 56
    .language:       OpenCL C
    .language_version:
      - 2
      - 0
    .max_flat_workgroup_size: 1024
    .name:           _ZN7rocprim17ROCPRIM_400000_NS6detail17trampoline_kernelINS0_14default_configENS1_25transform_config_selectorIsLb0EEEZNS1_14transform_implILb0ES3_S5_NS0_18transform_iteratorINS0_17counting_iteratorImlEEZNS1_24adjacent_difference_implIS3_Lb1ELb0EPsSB_N6thrust23THRUST_200600_302600_NS5minusIsEEEE10hipError_tPvRmT2_T3_mT4_P12ihipStream_tbEUlmE_sEESB_NS0_8identityIvEEEESG_SJ_SK_mSL_SN_bEUlT_E_NS1_11comp_targetILNS1_3genE8ELNS1_11target_archE1030ELNS1_3gpuE2ELNS1_3repE0EEENS1_30default_config_static_selectorELNS0_4arch9wavefront6targetE1EEEvT1_
    .private_segment_fixed_size: 0
    .sgpr_count:     4
    .sgpr_spill_count: 0
    .symbol:         _ZN7rocprim17ROCPRIM_400000_NS6detail17trampoline_kernelINS0_14default_configENS1_25transform_config_selectorIsLb0EEEZNS1_14transform_implILb0ES3_S5_NS0_18transform_iteratorINS0_17counting_iteratorImlEEZNS1_24adjacent_difference_implIS3_Lb1ELb0EPsSB_N6thrust23THRUST_200600_302600_NS5minusIsEEEE10hipError_tPvRmT2_T3_mT4_P12ihipStream_tbEUlmE_sEESB_NS0_8identityIvEEEESG_SJ_SK_mSL_SN_bEUlT_E_NS1_11comp_targetILNS1_3genE8ELNS1_11target_archE1030ELNS1_3gpuE2ELNS1_3repE0EEENS1_30default_config_static_selectorELNS0_4arch9wavefront6targetE1EEEvT1_.kd
    .uniform_work_group_size: 1
    .uses_dynamic_stack: false
    .vgpr_count:     0
    .vgpr_spill_count: 0
    .wavefront_size: 64
  - .args:
      - .offset:         0
        .size:           56
        .value_kind:     by_value
    .group_segment_fixed_size: 0
    .kernarg_segment_align: 8
    .kernarg_segment_size: 56
    .language:       OpenCL C
    .language_version:
      - 2
      - 0
    .max_flat_workgroup_size: 32
    .name:           _ZN7rocprim17ROCPRIM_400000_NS6detail17trampoline_kernelINS0_14default_configENS1_35adjacent_difference_config_selectorILb1EsEEZNS1_24adjacent_difference_implIS3_Lb1ELb0EPsS7_N6thrust23THRUST_200600_302600_NS5minusIsEEEE10hipError_tPvRmT2_T3_mT4_P12ihipStream_tbEUlT_E_NS1_11comp_targetILNS1_3genE0ELNS1_11target_archE4294967295ELNS1_3gpuE0ELNS1_3repE0EEENS1_30default_config_static_selectorELNS0_4arch9wavefront6targetE1EEEvT1_
    .private_segment_fixed_size: 0
    .sgpr_count:     4
    .sgpr_spill_count: 0
    .symbol:         _ZN7rocprim17ROCPRIM_400000_NS6detail17trampoline_kernelINS0_14default_configENS1_35adjacent_difference_config_selectorILb1EsEEZNS1_24adjacent_difference_implIS3_Lb1ELb0EPsS7_N6thrust23THRUST_200600_302600_NS5minusIsEEEE10hipError_tPvRmT2_T3_mT4_P12ihipStream_tbEUlT_E_NS1_11comp_targetILNS1_3genE0ELNS1_11target_archE4294967295ELNS1_3gpuE0ELNS1_3repE0EEENS1_30default_config_static_selectorELNS0_4arch9wavefront6targetE1EEEvT1_.kd
    .uniform_work_group_size: 1
    .uses_dynamic_stack: false
    .vgpr_count:     0
    .vgpr_spill_count: 0
    .wavefront_size: 64
  - .args:
      - .offset:         0
        .size:           56
        .value_kind:     by_value
    .group_segment_fixed_size: 0
    .kernarg_segment_align: 8
    .kernarg_segment_size: 56
    .language:       OpenCL C
    .language_version:
      - 2
      - 0
    .max_flat_workgroup_size: 512
    .name:           _ZN7rocprim17ROCPRIM_400000_NS6detail17trampoline_kernelINS0_14default_configENS1_35adjacent_difference_config_selectorILb1EsEEZNS1_24adjacent_difference_implIS3_Lb1ELb0EPsS7_N6thrust23THRUST_200600_302600_NS5minusIsEEEE10hipError_tPvRmT2_T3_mT4_P12ihipStream_tbEUlT_E_NS1_11comp_targetILNS1_3genE10ELNS1_11target_archE1201ELNS1_3gpuE5ELNS1_3repE0EEENS1_30default_config_static_selectorELNS0_4arch9wavefront6targetE1EEEvT1_
    .private_segment_fixed_size: 0
    .sgpr_count:     4
    .sgpr_spill_count: 0
    .symbol:         _ZN7rocprim17ROCPRIM_400000_NS6detail17trampoline_kernelINS0_14default_configENS1_35adjacent_difference_config_selectorILb1EsEEZNS1_24adjacent_difference_implIS3_Lb1ELb0EPsS7_N6thrust23THRUST_200600_302600_NS5minusIsEEEE10hipError_tPvRmT2_T3_mT4_P12ihipStream_tbEUlT_E_NS1_11comp_targetILNS1_3genE10ELNS1_11target_archE1201ELNS1_3gpuE5ELNS1_3repE0EEENS1_30default_config_static_selectorELNS0_4arch9wavefront6targetE1EEEvT1_.kd
    .uniform_work_group_size: 1
    .uses_dynamic_stack: false
    .vgpr_count:     0
    .vgpr_spill_count: 0
    .wavefront_size: 64
  - .args:
      - .offset:         0
        .size:           56
        .value_kind:     by_value
    .group_segment_fixed_size: 0
    .kernarg_segment_align: 8
    .kernarg_segment_size: 56
    .language:       OpenCL C
    .language_version:
      - 2
      - 0
    .max_flat_workgroup_size: 64
    .name:           _ZN7rocprim17ROCPRIM_400000_NS6detail17trampoline_kernelINS0_14default_configENS1_35adjacent_difference_config_selectorILb1EsEEZNS1_24adjacent_difference_implIS3_Lb1ELb0EPsS7_N6thrust23THRUST_200600_302600_NS5minusIsEEEE10hipError_tPvRmT2_T3_mT4_P12ihipStream_tbEUlT_E_NS1_11comp_targetILNS1_3genE5ELNS1_11target_archE942ELNS1_3gpuE9ELNS1_3repE0EEENS1_30default_config_static_selectorELNS0_4arch9wavefront6targetE1EEEvT1_
    .private_segment_fixed_size: 0
    .sgpr_count:     4
    .sgpr_spill_count: 0
    .symbol:         _ZN7rocprim17ROCPRIM_400000_NS6detail17trampoline_kernelINS0_14default_configENS1_35adjacent_difference_config_selectorILb1EsEEZNS1_24adjacent_difference_implIS3_Lb1ELb0EPsS7_N6thrust23THRUST_200600_302600_NS5minusIsEEEE10hipError_tPvRmT2_T3_mT4_P12ihipStream_tbEUlT_E_NS1_11comp_targetILNS1_3genE5ELNS1_11target_archE942ELNS1_3gpuE9ELNS1_3repE0EEENS1_30default_config_static_selectorELNS0_4arch9wavefront6targetE1EEEvT1_.kd
    .uniform_work_group_size: 1
    .uses_dynamic_stack: false
    .vgpr_count:     0
    .vgpr_spill_count: 0
    .wavefront_size: 64
  - .args:
      - .offset:         0
        .size:           56
        .value_kind:     by_value
    .group_segment_fixed_size: 0
    .kernarg_segment_align: 8
    .kernarg_segment_size: 56
    .language:       OpenCL C
    .language_version:
      - 2
      - 0
    .max_flat_workgroup_size: 64
    .name:           _ZN7rocprim17ROCPRIM_400000_NS6detail17trampoline_kernelINS0_14default_configENS1_35adjacent_difference_config_selectorILb1EsEEZNS1_24adjacent_difference_implIS3_Lb1ELb0EPsS7_N6thrust23THRUST_200600_302600_NS5minusIsEEEE10hipError_tPvRmT2_T3_mT4_P12ihipStream_tbEUlT_E_NS1_11comp_targetILNS1_3genE4ELNS1_11target_archE910ELNS1_3gpuE8ELNS1_3repE0EEENS1_30default_config_static_selectorELNS0_4arch9wavefront6targetE1EEEvT1_
    .private_segment_fixed_size: 0
    .sgpr_count:     4
    .sgpr_spill_count: 0
    .symbol:         _ZN7rocprim17ROCPRIM_400000_NS6detail17trampoline_kernelINS0_14default_configENS1_35adjacent_difference_config_selectorILb1EsEEZNS1_24adjacent_difference_implIS3_Lb1ELb0EPsS7_N6thrust23THRUST_200600_302600_NS5minusIsEEEE10hipError_tPvRmT2_T3_mT4_P12ihipStream_tbEUlT_E_NS1_11comp_targetILNS1_3genE4ELNS1_11target_archE910ELNS1_3gpuE8ELNS1_3repE0EEENS1_30default_config_static_selectorELNS0_4arch9wavefront6targetE1EEEvT1_.kd
    .uniform_work_group_size: 1
    .uses_dynamic_stack: false
    .vgpr_count:     0
    .vgpr_spill_count: 0
    .wavefront_size: 64
  - .args:
      - .offset:         0
        .size:           56
        .value_kind:     by_value
    .group_segment_fixed_size: 0
    .kernarg_segment_align: 8
    .kernarg_segment_size: 56
    .language:       OpenCL C
    .language_version:
      - 2
      - 0
    .max_flat_workgroup_size: 32
    .name:           _ZN7rocprim17ROCPRIM_400000_NS6detail17trampoline_kernelINS0_14default_configENS1_35adjacent_difference_config_selectorILb1EsEEZNS1_24adjacent_difference_implIS3_Lb1ELb0EPsS7_N6thrust23THRUST_200600_302600_NS5minusIsEEEE10hipError_tPvRmT2_T3_mT4_P12ihipStream_tbEUlT_E_NS1_11comp_targetILNS1_3genE3ELNS1_11target_archE908ELNS1_3gpuE7ELNS1_3repE0EEENS1_30default_config_static_selectorELNS0_4arch9wavefront6targetE1EEEvT1_
    .private_segment_fixed_size: 0
    .sgpr_count:     4
    .sgpr_spill_count: 0
    .symbol:         _ZN7rocprim17ROCPRIM_400000_NS6detail17trampoline_kernelINS0_14default_configENS1_35adjacent_difference_config_selectorILb1EsEEZNS1_24adjacent_difference_implIS3_Lb1ELb0EPsS7_N6thrust23THRUST_200600_302600_NS5minusIsEEEE10hipError_tPvRmT2_T3_mT4_P12ihipStream_tbEUlT_E_NS1_11comp_targetILNS1_3genE3ELNS1_11target_archE908ELNS1_3gpuE7ELNS1_3repE0EEENS1_30default_config_static_selectorELNS0_4arch9wavefront6targetE1EEEvT1_.kd
    .uniform_work_group_size: 1
    .uses_dynamic_stack: false
    .vgpr_count:     0
    .vgpr_spill_count: 0
    .wavefront_size: 64
  - .args:
      - .offset:         0
        .size:           56
        .value_kind:     by_value
    .group_segment_fixed_size: 2176
    .kernarg_segment_align: 8
    .kernarg_segment_size: 56
    .language:       OpenCL C
    .language_version:
      - 2
      - 0
    .max_flat_workgroup_size: 64
    .name:           _ZN7rocprim17ROCPRIM_400000_NS6detail17trampoline_kernelINS0_14default_configENS1_35adjacent_difference_config_selectorILb1EsEEZNS1_24adjacent_difference_implIS3_Lb1ELb0EPsS7_N6thrust23THRUST_200600_302600_NS5minusIsEEEE10hipError_tPvRmT2_T3_mT4_P12ihipStream_tbEUlT_E_NS1_11comp_targetILNS1_3genE2ELNS1_11target_archE906ELNS1_3gpuE6ELNS1_3repE0EEENS1_30default_config_static_selectorELNS0_4arch9wavefront6targetE1EEEvT1_
    .private_segment_fixed_size: 0
    .sgpr_count:     50
    .sgpr_spill_count: 0
    .symbol:         _ZN7rocprim17ROCPRIM_400000_NS6detail17trampoline_kernelINS0_14default_configENS1_35adjacent_difference_config_selectorILb1EsEEZNS1_24adjacent_difference_implIS3_Lb1ELb0EPsS7_N6thrust23THRUST_200600_302600_NS5minusIsEEEE10hipError_tPvRmT2_T3_mT4_P12ihipStream_tbEUlT_E_NS1_11comp_targetILNS1_3genE2ELNS1_11target_archE906ELNS1_3gpuE6ELNS1_3repE0EEENS1_30default_config_static_selectorELNS0_4arch9wavefront6targetE1EEEvT1_.kd
    .uniform_work_group_size: 1
    .uses_dynamic_stack: false
    .vgpr_count:     40
    .vgpr_spill_count: 0
    .wavefront_size: 64
  - .args:
      - .offset:         0
        .size:           56
        .value_kind:     by_value
    .group_segment_fixed_size: 0
    .kernarg_segment_align: 8
    .kernarg_segment_size: 56
    .language:       OpenCL C
    .language_version:
      - 2
      - 0
    .max_flat_workgroup_size: 128
    .name:           _ZN7rocprim17ROCPRIM_400000_NS6detail17trampoline_kernelINS0_14default_configENS1_35adjacent_difference_config_selectorILb1EsEEZNS1_24adjacent_difference_implIS3_Lb1ELb0EPsS7_N6thrust23THRUST_200600_302600_NS5minusIsEEEE10hipError_tPvRmT2_T3_mT4_P12ihipStream_tbEUlT_E_NS1_11comp_targetILNS1_3genE9ELNS1_11target_archE1100ELNS1_3gpuE3ELNS1_3repE0EEENS1_30default_config_static_selectorELNS0_4arch9wavefront6targetE1EEEvT1_
    .private_segment_fixed_size: 0
    .sgpr_count:     4
    .sgpr_spill_count: 0
    .symbol:         _ZN7rocprim17ROCPRIM_400000_NS6detail17trampoline_kernelINS0_14default_configENS1_35adjacent_difference_config_selectorILb1EsEEZNS1_24adjacent_difference_implIS3_Lb1ELb0EPsS7_N6thrust23THRUST_200600_302600_NS5minusIsEEEE10hipError_tPvRmT2_T3_mT4_P12ihipStream_tbEUlT_E_NS1_11comp_targetILNS1_3genE9ELNS1_11target_archE1100ELNS1_3gpuE3ELNS1_3repE0EEENS1_30default_config_static_selectorELNS0_4arch9wavefront6targetE1EEEvT1_.kd
    .uniform_work_group_size: 1
    .uses_dynamic_stack: false
    .vgpr_count:     0
    .vgpr_spill_count: 0
    .wavefront_size: 64
  - .args:
      - .offset:         0
        .size:           56
        .value_kind:     by_value
    .group_segment_fixed_size: 0
    .kernarg_segment_align: 8
    .kernarg_segment_size: 56
    .language:       OpenCL C
    .language_version:
      - 2
      - 0
    .max_flat_workgroup_size: 512
    .name:           _ZN7rocprim17ROCPRIM_400000_NS6detail17trampoline_kernelINS0_14default_configENS1_35adjacent_difference_config_selectorILb1EsEEZNS1_24adjacent_difference_implIS3_Lb1ELb0EPsS7_N6thrust23THRUST_200600_302600_NS5minusIsEEEE10hipError_tPvRmT2_T3_mT4_P12ihipStream_tbEUlT_E_NS1_11comp_targetILNS1_3genE8ELNS1_11target_archE1030ELNS1_3gpuE2ELNS1_3repE0EEENS1_30default_config_static_selectorELNS0_4arch9wavefront6targetE1EEEvT1_
    .private_segment_fixed_size: 0
    .sgpr_count:     4
    .sgpr_spill_count: 0
    .symbol:         _ZN7rocprim17ROCPRIM_400000_NS6detail17trampoline_kernelINS0_14default_configENS1_35adjacent_difference_config_selectorILb1EsEEZNS1_24adjacent_difference_implIS3_Lb1ELb0EPsS7_N6thrust23THRUST_200600_302600_NS5minusIsEEEE10hipError_tPvRmT2_T3_mT4_P12ihipStream_tbEUlT_E_NS1_11comp_targetILNS1_3genE8ELNS1_11target_archE1030ELNS1_3gpuE2ELNS1_3repE0EEENS1_30default_config_static_selectorELNS0_4arch9wavefront6targetE1EEEvT1_.kd
    .uniform_work_group_size: 1
    .uses_dynamic_stack: false
    .vgpr_count:     0
    .vgpr_spill_count: 0
    .wavefront_size: 64
  - .args:
      - .offset:         0
        .size:           56
        .value_kind:     by_value
    .group_segment_fixed_size: 0
    .kernarg_segment_align: 8
    .kernarg_segment_size: 56
    .language:       OpenCL C
    .language_version:
      - 2
      - 0
    .max_flat_workgroup_size: 64
    .name:           _ZN7rocprim17ROCPRIM_400000_NS6detail17trampoline_kernelINS0_14default_configENS1_35adjacent_difference_config_selectorILb0EsEEZNS1_24adjacent_difference_implIS3_Lb0ELb0EPsS7_N6thrust23THRUST_200600_302600_NS4plusIsEEEE10hipError_tPvRmT2_T3_mT4_P12ihipStream_tbEUlT_E_NS1_11comp_targetILNS1_3genE0ELNS1_11target_archE4294967295ELNS1_3gpuE0ELNS1_3repE0EEENS1_30default_config_static_selectorELNS0_4arch9wavefront6targetE1EEEvT1_
    .private_segment_fixed_size: 0
    .sgpr_count:     4
    .sgpr_spill_count: 0
    .symbol:         _ZN7rocprim17ROCPRIM_400000_NS6detail17trampoline_kernelINS0_14default_configENS1_35adjacent_difference_config_selectorILb0EsEEZNS1_24adjacent_difference_implIS3_Lb0ELb0EPsS7_N6thrust23THRUST_200600_302600_NS4plusIsEEEE10hipError_tPvRmT2_T3_mT4_P12ihipStream_tbEUlT_E_NS1_11comp_targetILNS1_3genE0ELNS1_11target_archE4294967295ELNS1_3gpuE0ELNS1_3repE0EEENS1_30default_config_static_selectorELNS0_4arch9wavefront6targetE1EEEvT1_.kd
    .uniform_work_group_size: 1
    .uses_dynamic_stack: false
    .vgpr_count:     0
    .vgpr_spill_count: 0
    .wavefront_size: 64
  - .args:
      - .offset:         0
        .size:           56
        .value_kind:     by_value
    .group_segment_fixed_size: 0
    .kernarg_segment_align: 8
    .kernarg_segment_size: 56
    .language:       OpenCL C
    .language_version:
      - 2
      - 0
    .max_flat_workgroup_size: 128
    .name:           _ZN7rocprim17ROCPRIM_400000_NS6detail17trampoline_kernelINS0_14default_configENS1_35adjacent_difference_config_selectorILb0EsEEZNS1_24adjacent_difference_implIS3_Lb0ELb0EPsS7_N6thrust23THRUST_200600_302600_NS4plusIsEEEE10hipError_tPvRmT2_T3_mT4_P12ihipStream_tbEUlT_E_NS1_11comp_targetILNS1_3genE10ELNS1_11target_archE1201ELNS1_3gpuE5ELNS1_3repE0EEENS1_30default_config_static_selectorELNS0_4arch9wavefront6targetE1EEEvT1_
    .private_segment_fixed_size: 0
    .sgpr_count:     4
    .sgpr_spill_count: 0
    .symbol:         _ZN7rocprim17ROCPRIM_400000_NS6detail17trampoline_kernelINS0_14default_configENS1_35adjacent_difference_config_selectorILb0EsEEZNS1_24adjacent_difference_implIS3_Lb0ELb0EPsS7_N6thrust23THRUST_200600_302600_NS4plusIsEEEE10hipError_tPvRmT2_T3_mT4_P12ihipStream_tbEUlT_E_NS1_11comp_targetILNS1_3genE10ELNS1_11target_archE1201ELNS1_3gpuE5ELNS1_3repE0EEENS1_30default_config_static_selectorELNS0_4arch9wavefront6targetE1EEEvT1_.kd
    .uniform_work_group_size: 1
    .uses_dynamic_stack: false
    .vgpr_count:     0
    .vgpr_spill_count: 0
    .wavefront_size: 64
  - .args:
      - .offset:         0
        .size:           56
        .value_kind:     by_value
    .group_segment_fixed_size: 0
    .kernarg_segment_align: 8
    .kernarg_segment_size: 56
    .language:       OpenCL C
    .language_version:
      - 2
      - 0
    .max_flat_workgroup_size: 256
    .name:           _ZN7rocprim17ROCPRIM_400000_NS6detail17trampoline_kernelINS0_14default_configENS1_35adjacent_difference_config_selectorILb0EsEEZNS1_24adjacent_difference_implIS3_Lb0ELb0EPsS7_N6thrust23THRUST_200600_302600_NS4plusIsEEEE10hipError_tPvRmT2_T3_mT4_P12ihipStream_tbEUlT_E_NS1_11comp_targetILNS1_3genE5ELNS1_11target_archE942ELNS1_3gpuE9ELNS1_3repE0EEENS1_30default_config_static_selectorELNS0_4arch9wavefront6targetE1EEEvT1_
    .private_segment_fixed_size: 0
    .sgpr_count:     4
    .sgpr_spill_count: 0
    .symbol:         _ZN7rocprim17ROCPRIM_400000_NS6detail17trampoline_kernelINS0_14default_configENS1_35adjacent_difference_config_selectorILb0EsEEZNS1_24adjacent_difference_implIS3_Lb0ELb0EPsS7_N6thrust23THRUST_200600_302600_NS4plusIsEEEE10hipError_tPvRmT2_T3_mT4_P12ihipStream_tbEUlT_E_NS1_11comp_targetILNS1_3genE5ELNS1_11target_archE942ELNS1_3gpuE9ELNS1_3repE0EEENS1_30default_config_static_selectorELNS0_4arch9wavefront6targetE1EEEvT1_.kd
    .uniform_work_group_size: 1
    .uses_dynamic_stack: false
    .vgpr_count:     0
    .vgpr_spill_count: 0
    .wavefront_size: 64
  - .args:
      - .offset:         0
        .size:           56
        .value_kind:     by_value
    .group_segment_fixed_size: 0
    .kernarg_segment_align: 8
    .kernarg_segment_size: 56
    .language:       OpenCL C
    .language_version:
      - 2
      - 0
    .max_flat_workgroup_size: 64
    .name:           _ZN7rocprim17ROCPRIM_400000_NS6detail17trampoline_kernelINS0_14default_configENS1_35adjacent_difference_config_selectorILb0EsEEZNS1_24adjacent_difference_implIS3_Lb0ELb0EPsS7_N6thrust23THRUST_200600_302600_NS4plusIsEEEE10hipError_tPvRmT2_T3_mT4_P12ihipStream_tbEUlT_E_NS1_11comp_targetILNS1_3genE4ELNS1_11target_archE910ELNS1_3gpuE8ELNS1_3repE0EEENS1_30default_config_static_selectorELNS0_4arch9wavefront6targetE1EEEvT1_
    .private_segment_fixed_size: 0
    .sgpr_count:     4
    .sgpr_spill_count: 0
    .symbol:         _ZN7rocprim17ROCPRIM_400000_NS6detail17trampoline_kernelINS0_14default_configENS1_35adjacent_difference_config_selectorILb0EsEEZNS1_24adjacent_difference_implIS3_Lb0ELb0EPsS7_N6thrust23THRUST_200600_302600_NS4plusIsEEEE10hipError_tPvRmT2_T3_mT4_P12ihipStream_tbEUlT_E_NS1_11comp_targetILNS1_3genE4ELNS1_11target_archE910ELNS1_3gpuE8ELNS1_3repE0EEENS1_30default_config_static_selectorELNS0_4arch9wavefront6targetE1EEEvT1_.kd
    .uniform_work_group_size: 1
    .uses_dynamic_stack: false
    .vgpr_count:     0
    .vgpr_spill_count: 0
    .wavefront_size: 64
  - .args:
      - .offset:         0
        .size:           56
        .value_kind:     by_value
    .group_segment_fixed_size: 0
    .kernarg_segment_align: 8
    .kernarg_segment_size: 56
    .language:       OpenCL C
    .language_version:
      - 2
      - 0
    .max_flat_workgroup_size: 64
    .name:           _ZN7rocprim17ROCPRIM_400000_NS6detail17trampoline_kernelINS0_14default_configENS1_35adjacent_difference_config_selectorILb0EsEEZNS1_24adjacent_difference_implIS3_Lb0ELb0EPsS7_N6thrust23THRUST_200600_302600_NS4plusIsEEEE10hipError_tPvRmT2_T3_mT4_P12ihipStream_tbEUlT_E_NS1_11comp_targetILNS1_3genE3ELNS1_11target_archE908ELNS1_3gpuE7ELNS1_3repE0EEENS1_30default_config_static_selectorELNS0_4arch9wavefront6targetE1EEEvT1_
    .private_segment_fixed_size: 0
    .sgpr_count:     4
    .sgpr_spill_count: 0
    .symbol:         _ZN7rocprim17ROCPRIM_400000_NS6detail17trampoline_kernelINS0_14default_configENS1_35adjacent_difference_config_selectorILb0EsEEZNS1_24adjacent_difference_implIS3_Lb0ELb0EPsS7_N6thrust23THRUST_200600_302600_NS4plusIsEEEE10hipError_tPvRmT2_T3_mT4_P12ihipStream_tbEUlT_E_NS1_11comp_targetILNS1_3genE3ELNS1_11target_archE908ELNS1_3gpuE7ELNS1_3repE0EEENS1_30default_config_static_selectorELNS0_4arch9wavefront6targetE1EEEvT1_.kd
    .uniform_work_group_size: 1
    .uses_dynamic_stack: false
    .vgpr_count:     0
    .vgpr_spill_count: 0
    .wavefront_size: 64
  - .args:
      - .offset:         0
        .size:           56
        .value_kind:     by_value
    .group_segment_fixed_size: 896
    .kernarg_segment_align: 8
    .kernarg_segment_size: 56
    .language:       OpenCL C
    .language_version:
      - 2
      - 0
    .max_flat_workgroup_size: 64
    .name:           _ZN7rocprim17ROCPRIM_400000_NS6detail17trampoline_kernelINS0_14default_configENS1_35adjacent_difference_config_selectorILb0EsEEZNS1_24adjacent_difference_implIS3_Lb0ELb0EPsS7_N6thrust23THRUST_200600_302600_NS4plusIsEEEE10hipError_tPvRmT2_T3_mT4_P12ihipStream_tbEUlT_E_NS1_11comp_targetILNS1_3genE2ELNS1_11target_archE906ELNS1_3gpuE6ELNS1_3repE0EEENS1_30default_config_static_selectorELNS0_4arch9wavefront6targetE1EEEvT1_
    .private_segment_fixed_size: 0
    .sgpr_count:     27
    .sgpr_spill_count: 0
    .symbol:         _ZN7rocprim17ROCPRIM_400000_NS6detail17trampoline_kernelINS0_14default_configENS1_35adjacent_difference_config_selectorILb0EsEEZNS1_24adjacent_difference_implIS3_Lb0ELb0EPsS7_N6thrust23THRUST_200600_302600_NS4plusIsEEEE10hipError_tPvRmT2_T3_mT4_P12ihipStream_tbEUlT_E_NS1_11comp_targetILNS1_3genE2ELNS1_11target_archE906ELNS1_3gpuE6ELNS1_3repE0EEENS1_30default_config_static_selectorELNS0_4arch9wavefront6targetE1EEEvT1_.kd
    .uniform_work_group_size: 1
    .uses_dynamic_stack: false
    .vgpr_count:     18
    .vgpr_spill_count: 0
    .wavefront_size: 64
  - .args:
      - .offset:         0
        .size:           56
        .value_kind:     by_value
    .group_segment_fixed_size: 0
    .kernarg_segment_align: 8
    .kernarg_segment_size: 56
    .language:       OpenCL C
    .language_version:
      - 2
      - 0
    .max_flat_workgroup_size: 64
    .name:           _ZN7rocprim17ROCPRIM_400000_NS6detail17trampoline_kernelINS0_14default_configENS1_35adjacent_difference_config_selectorILb0EsEEZNS1_24adjacent_difference_implIS3_Lb0ELb0EPsS7_N6thrust23THRUST_200600_302600_NS4plusIsEEEE10hipError_tPvRmT2_T3_mT4_P12ihipStream_tbEUlT_E_NS1_11comp_targetILNS1_3genE9ELNS1_11target_archE1100ELNS1_3gpuE3ELNS1_3repE0EEENS1_30default_config_static_selectorELNS0_4arch9wavefront6targetE1EEEvT1_
    .private_segment_fixed_size: 0
    .sgpr_count:     4
    .sgpr_spill_count: 0
    .symbol:         _ZN7rocprim17ROCPRIM_400000_NS6detail17trampoline_kernelINS0_14default_configENS1_35adjacent_difference_config_selectorILb0EsEEZNS1_24adjacent_difference_implIS3_Lb0ELb0EPsS7_N6thrust23THRUST_200600_302600_NS4plusIsEEEE10hipError_tPvRmT2_T3_mT4_P12ihipStream_tbEUlT_E_NS1_11comp_targetILNS1_3genE9ELNS1_11target_archE1100ELNS1_3gpuE3ELNS1_3repE0EEENS1_30default_config_static_selectorELNS0_4arch9wavefront6targetE1EEEvT1_.kd
    .uniform_work_group_size: 1
    .uses_dynamic_stack: false
    .vgpr_count:     0
    .vgpr_spill_count: 0
    .wavefront_size: 64
  - .args:
      - .offset:         0
        .size:           56
        .value_kind:     by_value
    .group_segment_fixed_size: 0
    .kernarg_segment_align: 8
    .kernarg_segment_size: 56
    .language:       OpenCL C
    .language_version:
      - 2
      - 0
    .max_flat_workgroup_size: 1024
    .name:           _ZN7rocprim17ROCPRIM_400000_NS6detail17trampoline_kernelINS0_14default_configENS1_35adjacent_difference_config_selectorILb0EsEEZNS1_24adjacent_difference_implIS3_Lb0ELb0EPsS7_N6thrust23THRUST_200600_302600_NS4plusIsEEEE10hipError_tPvRmT2_T3_mT4_P12ihipStream_tbEUlT_E_NS1_11comp_targetILNS1_3genE8ELNS1_11target_archE1030ELNS1_3gpuE2ELNS1_3repE0EEENS1_30default_config_static_selectorELNS0_4arch9wavefront6targetE1EEEvT1_
    .private_segment_fixed_size: 0
    .sgpr_count:     4
    .sgpr_spill_count: 0
    .symbol:         _ZN7rocprim17ROCPRIM_400000_NS6detail17trampoline_kernelINS0_14default_configENS1_35adjacent_difference_config_selectorILb0EsEEZNS1_24adjacent_difference_implIS3_Lb0ELb0EPsS7_N6thrust23THRUST_200600_302600_NS4plusIsEEEE10hipError_tPvRmT2_T3_mT4_P12ihipStream_tbEUlT_E_NS1_11comp_targetILNS1_3genE8ELNS1_11target_archE1030ELNS1_3gpuE2ELNS1_3repE0EEENS1_30default_config_static_selectorELNS0_4arch9wavefront6targetE1EEEvT1_.kd
    .uniform_work_group_size: 1
    .uses_dynamic_stack: false
    .vgpr_count:     0
    .vgpr_spill_count: 0
    .wavefront_size: 64
  - .args:
      - .offset:         0
        .size:           56
        .value_kind:     by_value
    .group_segment_fixed_size: 0
    .kernarg_segment_align: 8
    .kernarg_segment_size: 56
    .language:       OpenCL C
    .language_version:
      - 2
      - 0
    .max_flat_workgroup_size: 128
    .name:           _ZN7rocprim17ROCPRIM_400000_NS6detail17trampoline_kernelINS0_14default_configENS1_25transform_config_selectorIsLb0EEEZNS1_14transform_implILb0ES3_S5_NS0_18transform_iteratorINS0_17counting_iteratorImlEEZNS1_24adjacent_difference_implIS3_Lb1ELb0EPsSB_N6thrust23THRUST_200600_302600_NS4plusIsEEEE10hipError_tPvRmT2_T3_mT4_P12ihipStream_tbEUlmE_sEESB_NS0_8identityIvEEEESG_SJ_SK_mSL_SN_bEUlT_E_NS1_11comp_targetILNS1_3genE0ELNS1_11target_archE4294967295ELNS1_3gpuE0ELNS1_3repE0EEENS1_30default_config_static_selectorELNS0_4arch9wavefront6targetE1EEEvT1_
    .private_segment_fixed_size: 0
    .sgpr_count:     4
    .sgpr_spill_count: 0
    .symbol:         _ZN7rocprim17ROCPRIM_400000_NS6detail17trampoline_kernelINS0_14default_configENS1_25transform_config_selectorIsLb0EEEZNS1_14transform_implILb0ES3_S5_NS0_18transform_iteratorINS0_17counting_iteratorImlEEZNS1_24adjacent_difference_implIS3_Lb1ELb0EPsSB_N6thrust23THRUST_200600_302600_NS4plusIsEEEE10hipError_tPvRmT2_T3_mT4_P12ihipStream_tbEUlmE_sEESB_NS0_8identityIvEEEESG_SJ_SK_mSL_SN_bEUlT_E_NS1_11comp_targetILNS1_3genE0ELNS1_11target_archE4294967295ELNS1_3gpuE0ELNS1_3repE0EEENS1_30default_config_static_selectorELNS0_4arch9wavefront6targetE1EEEvT1_.kd
    .uniform_work_group_size: 1
    .uses_dynamic_stack: false
    .vgpr_count:     0
    .vgpr_spill_count: 0
    .wavefront_size: 64
  - .args:
      - .offset:         0
        .size:           56
        .value_kind:     by_value
    .group_segment_fixed_size: 0
    .kernarg_segment_align: 8
    .kernarg_segment_size: 56
    .language:       OpenCL C
    .language_version:
      - 2
      - 0
    .max_flat_workgroup_size: 256
    .name:           _ZN7rocprim17ROCPRIM_400000_NS6detail17trampoline_kernelINS0_14default_configENS1_25transform_config_selectorIsLb0EEEZNS1_14transform_implILb0ES3_S5_NS0_18transform_iteratorINS0_17counting_iteratorImlEEZNS1_24adjacent_difference_implIS3_Lb1ELb0EPsSB_N6thrust23THRUST_200600_302600_NS4plusIsEEEE10hipError_tPvRmT2_T3_mT4_P12ihipStream_tbEUlmE_sEESB_NS0_8identityIvEEEESG_SJ_SK_mSL_SN_bEUlT_E_NS1_11comp_targetILNS1_3genE5ELNS1_11target_archE942ELNS1_3gpuE9ELNS1_3repE0EEENS1_30default_config_static_selectorELNS0_4arch9wavefront6targetE1EEEvT1_
    .private_segment_fixed_size: 0
    .sgpr_count:     4
    .sgpr_spill_count: 0
    .symbol:         _ZN7rocprim17ROCPRIM_400000_NS6detail17trampoline_kernelINS0_14default_configENS1_25transform_config_selectorIsLb0EEEZNS1_14transform_implILb0ES3_S5_NS0_18transform_iteratorINS0_17counting_iteratorImlEEZNS1_24adjacent_difference_implIS3_Lb1ELb0EPsSB_N6thrust23THRUST_200600_302600_NS4plusIsEEEE10hipError_tPvRmT2_T3_mT4_P12ihipStream_tbEUlmE_sEESB_NS0_8identityIvEEEESG_SJ_SK_mSL_SN_bEUlT_E_NS1_11comp_targetILNS1_3genE5ELNS1_11target_archE942ELNS1_3gpuE9ELNS1_3repE0EEENS1_30default_config_static_selectorELNS0_4arch9wavefront6targetE1EEEvT1_.kd
    .uniform_work_group_size: 1
    .uses_dynamic_stack: false
    .vgpr_count:     0
    .vgpr_spill_count: 0
    .wavefront_size: 64
  - .args:
      - .offset:         0
        .size:           56
        .value_kind:     by_value
    .group_segment_fixed_size: 0
    .kernarg_segment_align: 8
    .kernarg_segment_size: 56
    .language:       OpenCL C
    .language_version:
      - 2
      - 0
    .max_flat_workgroup_size: 64
    .name:           _ZN7rocprim17ROCPRIM_400000_NS6detail17trampoline_kernelINS0_14default_configENS1_25transform_config_selectorIsLb0EEEZNS1_14transform_implILb0ES3_S5_NS0_18transform_iteratorINS0_17counting_iteratorImlEEZNS1_24adjacent_difference_implIS3_Lb1ELb0EPsSB_N6thrust23THRUST_200600_302600_NS4plusIsEEEE10hipError_tPvRmT2_T3_mT4_P12ihipStream_tbEUlmE_sEESB_NS0_8identityIvEEEESG_SJ_SK_mSL_SN_bEUlT_E_NS1_11comp_targetILNS1_3genE4ELNS1_11target_archE910ELNS1_3gpuE8ELNS1_3repE0EEENS1_30default_config_static_selectorELNS0_4arch9wavefront6targetE1EEEvT1_
    .private_segment_fixed_size: 0
    .sgpr_count:     4
    .sgpr_spill_count: 0
    .symbol:         _ZN7rocprim17ROCPRIM_400000_NS6detail17trampoline_kernelINS0_14default_configENS1_25transform_config_selectorIsLb0EEEZNS1_14transform_implILb0ES3_S5_NS0_18transform_iteratorINS0_17counting_iteratorImlEEZNS1_24adjacent_difference_implIS3_Lb1ELb0EPsSB_N6thrust23THRUST_200600_302600_NS4plusIsEEEE10hipError_tPvRmT2_T3_mT4_P12ihipStream_tbEUlmE_sEESB_NS0_8identityIvEEEESG_SJ_SK_mSL_SN_bEUlT_E_NS1_11comp_targetILNS1_3genE4ELNS1_11target_archE910ELNS1_3gpuE8ELNS1_3repE0EEENS1_30default_config_static_selectorELNS0_4arch9wavefront6targetE1EEEvT1_.kd
    .uniform_work_group_size: 1
    .uses_dynamic_stack: false
    .vgpr_count:     0
    .vgpr_spill_count: 0
    .wavefront_size: 64
  - .args:
      - .offset:         0
        .size:           56
        .value_kind:     by_value
    .group_segment_fixed_size: 0
    .kernarg_segment_align: 8
    .kernarg_segment_size: 56
    .language:       OpenCL C
    .language_version:
      - 2
      - 0
    .max_flat_workgroup_size: 128
    .name:           _ZN7rocprim17ROCPRIM_400000_NS6detail17trampoline_kernelINS0_14default_configENS1_25transform_config_selectorIsLb0EEEZNS1_14transform_implILb0ES3_S5_NS0_18transform_iteratorINS0_17counting_iteratorImlEEZNS1_24adjacent_difference_implIS3_Lb1ELb0EPsSB_N6thrust23THRUST_200600_302600_NS4plusIsEEEE10hipError_tPvRmT2_T3_mT4_P12ihipStream_tbEUlmE_sEESB_NS0_8identityIvEEEESG_SJ_SK_mSL_SN_bEUlT_E_NS1_11comp_targetILNS1_3genE3ELNS1_11target_archE908ELNS1_3gpuE7ELNS1_3repE0EEENS1_30default_config_static_selectorELNS0_4arch9wavefront6targetE1EEEvT1_
    .private_segment_fixed_size: 0
    .sgpr_count:     4
    .sgpr_spill_count: 0
    .symbol:         _ZN7rocprim17ROCPRIM_400000_NS6detail17trampoline_kernelINS0_14default_configENS1_25transform_config_selectorIsLb0EEEZNS1_14transform_implILb0ES3_S5_NS0_18transform_iteratorINS0_17counting_iteratorImlEEZNS1_24adjacent_difference_implIS3_Lb1ELb0EPsSB_N6thrust23THRUST_200600_302600_NS4plusIsEEEE10hipError_tPvRmT2_T3_mT4_P12ihipStream_tbEUlmE_sEESB_NS0_8identityIvEEEESG_SJ_SK_mSL_SN_bEUlT_E_NS1_11comp_targetILNS1_3genE3ELNS1_11target_archE908ELNS1_3gpuE7ELNS1_3repE0EEENS1_30default_config_static_selectorELNS0_4arch9wavefront6targetE1EEEvT1_.kd
    .uniform_work_group_size: 1
    .uses_dynamic_stack: false
    .vgpr_count:     0
    .vgpr_spill_count: 0
    .wavefront_size: 64
  - .args:
      - .offset:         0
        .size:           56
        .value_kind:     by_value
      - .offset:         56
        .size:           4
        .value_kind:     hidden_block_count_x
      - .offset:         60
        .size:           4
        .value_kind:     hidden_block_count_y
      - .offset:         64
        .size:           4
        .value_kind:     hidden_block_count_z
      - .offset:         68
        .size:           2
        .value_kind:     hidden_group_size_x
      - .offset:         70
        .size:           2
        .value_kind:     hidden_group_size_y
      - .offset:         72
        .size:           2
        .value_kind:     hidden_group_size_z
      - .offset:         74
        .size:           2
        .value_kind:     hidden_remainder_x
      - .offset:         76
        .size:           2
        .value_kind:     hidden_remainder_y
      - .offset:         78
        .size:           2
        .value_kind:     hidden_remainder_z
      - .offset:         96
        .size:           8
        .value_kind:     hidden_global_offset_x
      - .offset:         104
        .size:           8
        .value_kind:     hidden_global_offset_y
      - .offset:         112
        .size:           8
        .value_kind:     hidden_global_offset_z
      - .offset:         120
        .size:           2
        .value_kind:     hidden_grid_dims
    .group_segment_fixed_size: 0
    .kernarg_segment_align: 8
    .kernarg_segment_size: 312
    .language:       OpenCL C
    .language_version:
      - 2
      - 0
    .max_flat_workgroup_size: 512
    .name:           _ZN7rocprim17ROCPRIM_400000_NS6detail17trampoline_kernelINS0_14default_configENS1_25transform_config_selectorIsLb0EEEZNS1_14transform_implILb0ES3_S5_NS0_18transform_iteratorINS0_17counting_iteratorImlEEZNS1_24adjacent_difference_implIS3_Lb1ELb0EPsSB_N6thrust23THRUST_200600_302600_NS4plusIsEEEE10hipError_tPvRmT2_T3_mT4_P12ihipStream_tbEUlmE_sEESB_NS0_8identityIvEEEESG_SJ_SK_mSL_SN_bEUlT_E_NS1_11comp_targetILNS1_3genE2ELNS1_11target_archE906ELNS1_3gpuE6ELNS1_3repE0EEENS1_30default_config_static_selectorELNS0_4arch9wavefront6targetE1EEEvT1_
    .private_segment_fixed_size: 0
    .sgpr_count:     26
    .sgpr_spill_count: 0
    .symbol:         _ZN7rocprim17ROCPRIM_400000_NS6detail17trampoline_kernelINS0_14default_configENS1_25transform_config_selectorIsLb0EEEZNS1_14transform_implILb0ES3_S5_NS0_18transform_iteratorINS0_17counting_iteratorImlEEZNS1_24adjacent_difference_implIS3_Lb1ELb0EPsSB_N6thrust23THRUST_200600_302600_NS4plusIsEEEE10hipError_tPvRmT2_T3_mT4_P12ihipStream_tbEUlmE_sEESB_NS0_8identityIvEEEESG_SJ_SK_mSL_SN_bEUlT_E_NS1_11comp_targetILNS1_3genE2ELNS1_11target_archE906ELNS1_3gpuE6ELNS1_3repE0EEENS1_30default_config_static_selectorELNS0_4arch9wavefront6targetE1EEEvT1_.kd
    .uniform_work_group_size: 1
    .uses_dynamic_stack: false
    .vgpr_count:     12
    .vgpr_spill_count: 0
    .wavefront_size: 64
  - .args:
      - .offset:         0
        .size:           56
        .value_kind:     by_value
    .group_segment_fixed_size: 0
    .kernarg_segment_align: 8
    .kernarg_segment_size: 56
    .language:       OpenCL C
    .language_version:
      - 2
      - 0
    .max_flat_workgroup_size: 1024
    .name:           _ZN7rocprim17ROCPRIM_400000_NS6detail17trampoline_kernelINS0_14default_configENS1_25transform_config_selectorIsLb0EEEZNS1_14transform_implILb0ES3_S5_NS0_18transform_iteratorINS0_17counting_iteratorImlEEZNS1_24adjacent_difference_implIS3_Lb1ELb0EPsSB_N6thrust23THRUST_200600_302600_NS4plusIsEEEE10hipError_tPvRmT2_T3_mT4_P12ihipStream_tbEUlmE_sEESB_NS0_8identityIvEEEESG_SJ_SK_mSL_SN_bEUlT_E_NS1_11comp_targetILNS1_3genE10ELNS1_11target_archE1201ELNS1_3gpuE5ELNS1_3repE0EEENS1_30default_config_static_selectorELNS0_4arch9wavefront6targetE1EEEvT1_
    .private_segment_fixed_size: 0
    .sgpr_count:     4
    .sgpr_spill_count: 0
    .symbol:         _ZN7rocprim17ROCPRIM_400000_NS6detail17trampoline_kernelINS0_14default_configENS1_25transform_config_selectorIsLb0EEEZNS1_14transform_implILb0ES3_S5_NS0_18transform_iteratorINS0_17counting_iteratorImlEEZNS1_24adjacent_difference_implIS3_Lb1ELb0EPsSB_N6thrust23THRUST_200600_302600_NS4plusIsEEEE10hipError_tPvRmT2_T3_mT4_P12ihipStream_tbEUlmE_sEESB_NS0_8identityIvEEEESG_SJ_SK_mSL_SN_bEUlT_E_NS1_11comp_targetILNS1_3genE10ELNS1_11target_archE1201ELNS1_3gpuE5ELNS1_3repE0EEENS1_30default_config_static_selectorELNS0_4arch9wavefront6targetE1EEEvT1_.kd
    .uniform_work_group_size: 1
    .uses_dynamic_stack: false
    .vgpr_count:     0
    .vgpr_spill_count: 0
    .wavefront_size: 64
  - .args:
      - .offset:         0
        .size:           56
        .value_kind:     by_value
    .group_segment_fixed_size: 0
    .kernarg_segment_align: 8
    .kernarg_segment_size: 56
    .language:       OpenCL C
    .language_version:
      - 2
      - 0
    .max_flat_workgroup_size: 512
    .name:           _ZN7rocprim17ROCPRIM_400000_NS6detail17trampoline_kernelINS0_14default_configENS1_25transform_config_selectorIsLb0EEEZNS1_14transform_implILb0ES3_S5_NS0_18transform_iteratorINS0_17counting_iteratorImlEEZNS1_24adjacent_difference_implIS3_Lb1ELb0EPsSB_N6thrust23THRUST_200600_302600_NS4plusIsEEEE10hipError_tPvRmT2_T3_mT4_P12ihipStream_tbEUlmE_sEESB_NS0_8identityIvEEEESG_SJ_SK_mSL_SN_bEUlT_E_NS1_11comp_targetILNS1_3genE10ELNS1_11target_archE1200ELNS1_3gpuE4ELNS1_3repE0EEENS1_30default_config_static_selectorELNS0_4arch9wavefront6targetE1EEEvT1_
    .private_segment_fixed_size: 0
    .sgpr_count:     4
    .sgpr_spill_count: 0
    .symbol:         _ZN7rocprim17ROCPRIM_400000_NS6detail17trampoline_kernelINS0_14default_configENS1_25transform_config_selectorIsLb0EEEZNS1_14transform_implILb0ES3_S5_NS0_18transform_iteratorINS0_17counting_iteratorImlEEZNS1_24adjacent_difference_implIS3_Lb1ELb0EPsSB_N6thrust23THRUST_200600_302600_NS4plusIsEEEE10hipError_tPvRmT2_T3_mT4_P12ihipStream_tbEUlmE_sEESB_NS0_8identityIvEEEESG_SJ_SK_mSL_SN_bEUlT_E_NS1_11comp_targetILNS1_3genE10ELNS1_11target_archE1200ELNS1_3gpuE4ELNS1_3repE0EEENS1_30default_config_static_selectorELNS0_4arch9wavefront6targetE1EEEvT1_.kd
    .uniform_work_group_size: 1
    .uses_dynamic_stack: false
    .vgpr_count:     0
    .vgpr_spill_count: 0
    .wavefront_size: 64
  - .args:
      - .offset:         0
        .size:           56
        .value_kind:     by_value
    .group_segment_fixed_size: 0
    .kernarg_segment_align: 8
    .kernarg_segment_size: 56
    .language:       OpenCL C
    .language_version:
      - 2
      - 0
    .max_flat_workgroup_size: 1024
    .name:           _ZN7rocprim17ROCPRIM_400000_NS6detail17trampoline_kernelINS0_14default_configENS1_25transform_config_selectorIsLb0EEEZNS1_14transform_implILb0ES3_S5_NS0_18transform_iteratorINS0_17counting_iteratorImlEEZNS1_24adjacent_difference_implIS3_Lb1ELb0EPsSB_N6thrust23THRUST_200600_302600_NS4plusIsEEEE10hipError_tPvRmT2_T3_mT4_P12ihipStream_tbEUlmE_sEESB_NS0_8identityIvEEEESG_SJ_SK_mSL_SN_bEUlT_E_NS1_11comp_targetILNS1_3genE9ELNS1_11target_archE1100ELNS1_3gpuE3ELNS1_3repE0EEENS1_30default_config_static_selectorELNS0_4arch9wavefront6targetE1EEEvT1_
    .private_segment_fixed_size: 0
    .sgpr_count:     4
    .sgpr_spill_count: 0
    .symbol:         _ZN7rocprim17ROCPRIM_400000_NS6detail17trampoline_kernelINS0_14default_configENS1_25transform_config_selectorIsLb0EEEZNS1_14transform_implILb0ES3_S5_NS0_18transform_iteratorINS0_17counting_iteratorImlEEZNS1_24adjacent_difference_implIS3_Lb1ELb0EPsSB_N6thrust23THRUST_200600_302600_NS4plusIsEEEE10hipError_tPvRmT2_T3_mT4_P12ihipStream_tbEUlmE_sEESB_NS0_8identityIvEEEESG_SJ_SK_mSL_SN_bEUlT_E_NS1_11comp_targetILNS1_3genE9ELNS1_11target_archE1100ELNS1_3gpuE3ELNS1_3repE0EEENS1_30default_config_static_selectorELNS0_4arch9wavefront6targetE1EEEvT1_.kd
    .uniform_work_group_size: 1
    .uses_dynamic_stack: false
    .vgpr_count:     0
    .vgpr_spill_count: 0
    .wavefront_size: 64
  - .args:
      - .offset:         0
        .size:           56
        .value_kind:     by_value
    .group_segment_fixed_size: 0
    .kernarg_segment_align: 8
    .kernarg_segment_size: 56
    .language:       OpenCL C
    .language_version:
      - 2
      - 0
    .max_flat_workgroup_size: 1024
    .name:           _ZN7rocprim17ROCPRIM_400000_NS6detail17trampoline_kernelINS0_14default_configENS1_25transform_config_selectorIsLb0EEEZNS1_14transform_implILb0ES3_S5_NS0_18transform_iteratorINS0_17counting_iteratorImlEEZNS1_24adjacent_difference_implIS3_Lb1ELb0EPsSB_N6thrust23THRUST_200600_302600_NS4plusIsEEEE10hipError_tPvRmT2_T3_mT4_P12ihipStream_tbEUlmE_sEESB_NS0_8identityIvEEEESG_SJ_SK_mSL_SN_bEUlT_E_NS1_11comp_targetILNS1_3genE8ELNS1_11target_archE1030ELNS1_3gpuE2ELNS1_3repE0EEENS1_30default_config_static_selectorELNS0_4arch9wavefront6targetE1EEEvT1_
    .private_segment_fixed_size: 0
    .sgpr_count:     4
    .sgpr_spill_count: 0
    .symbol:         _ZN7rocprim17ROCPRIM_400000_NS6detail17trampoline_kernelINS0_14default_configENS1_25transform_config_selectorIsLb0EEEZNS1_14transform_implILb0ES3_S5_NS0_18transform_iteratorINS0_17counting_iteratorImlEEZNS1_24adjacent_difference_implIS3_Lb1ELb0EPsSB_N6thrust23THRUST_200600_302600_NS4plusIsEEEE10hipError_tPvRmT2_T3_mT4_P12ihipStream_tbEUlmE_sEESB_NS0_8identityIvEEEESG_SJ_SK_mSL_SN_bEUlT_E_NS1_11comp_targetILNS1_3genE8ELNS1_11target_archE1030ELNS1_3gpuE2ELNS1_3repE0EEENS1_30default_config_static_selectorELNS0_4arch9wavefront6targetE1EEEvT1_.kd
    .uniform_work_group_size: 1
    .uses_dynamic_stack: false
    .vgpr_count:     0
    .vgpr_spill_count: 0
    .wavefront_size: 64
  - .args:
      - .offset:         0
        .size:           56
        .value_kind:     by_value
    .group_segment_fixed_size: 0
    .kernarg_segment_align: 8
    .kernarg_segment_size: 56
    .language:       OpenCL C
    .language_version:
      - 2
      - 0
    .max_flat_workgroup_size: 32
    .name:           _ZN7rocprim17ROCPRIM_400000_NS6detail17trampoline_kernelINS0_14default_configENS1_35adjacent_difference_config_selectorILb1EsEEZNS1_24adjacent_difference_implIS3_Lb1ELb0EPsS7_N6thrust23THRUST_200600_302600_NS4plusIsEEEE10hipError_tPvRmT2_T3_mT4_P12ihipStream_tbEUlT_E_NS1_11comp_targetILNS1_3genE0ELNS1_11target_archE4294967295ELNS1_3gpuE0ELNS1_3repE0EEENS1_30default_config_static_selectorELNS0_4arch9wavefront6targetE1EEEvT1_
    .private_segment_fixed_size: 0
    .sgpr_count:     4
    .sgpr_spill_count: 0
    .symbol:         _ZN7rocprim17ROCPRIM_400000_NS6detail17trampoline_kernelINS0_14default_configENS1_35adjacent_difference_config_selectorILb1EsEEZNS1_24adjacent_difference_implIS3_Lb1ELb0EPsS7_N6thrust23THRUST_200600_302600_NS4plusIsEEEE10hipError_tPvRmT2_T3_mT4_P12ihipStream_tbEUlT_E_NS1_11comp_targetILNS1_3genE0ELNS1_11target_archE4294967295ELNS1_3gpuE0ELNS1_3repE0EEENS1_30default_config_static_selectorELNS0_4arch9wavefront6targetE1EEEvT1_.kd
    .uniform_work_group_size: 1
    .uses_dynamic_stack: false
    .vgpr_count:     0
    .vgpr_spill_count: 0
    .wavefront_size: 64
  - .args:
      - .offset:         0
        .size:           56
        .value_kind:     by_value
    .group_segment_fixed_size: 0
    .kernarg_segment_align: 8
    .kernarg_segment_size: 56
    .language:       OpenCL C
    .language_version:
      - 2
      - 0
    .max_flat_workgroup_size: 512
    .name:           _ZN7rocprim17ROCPRIM_400000_NS6detail17trampoline_kernelINS0_14default_configENS1_35adjacent_difference_config_selectorILb1EsEEZNS1_24adjacent_difference_implIS3_Lb1ELb0EPsS7_N6thrust23THRUST_200600_302600_NS4plusIsEEEE10hipError_tPvRmT2_T3_mT4_P12ihipStream_tbEUlT_E_NS1_11comp_targetILNS1_3genE10ELNS1_11target_archE1201ELNS1_3gpuE5ELNS1_3repE0EEENS1_30default_config_static_selectorELNS0_4arch9wavefront6targetE1EEEvT1_
    .private_segment_fixed_size: 0
    .sgpr_count:     4
    .sgpr_spill_count: 0
    .symbol:         _ZN7rocprim17ROCPRIM_400000_NS6detail17trampoline_kernelINS0_14default_configENS1_35adjacent_difference_config_selectorILb1EsEEZNS1_24adjacent_difference_implIS3_Lb1ELb0EPsS7_N6thrust23THRUST_200600_302600_NS4plusIsEEEE10hipError_tPvRmT2_T3_mT4_P12ihipStream_tbEUlT_E_NS1_11comp_targetILNS1_3genE10ELNS1_11target_archE1201ELNS1_3gpuE5ELNS1_3repE0EEENS1_30default_config_static_selectorELNS0_4arch9wavefront6targetE1EEEvT1_.kd
    .uniform_work_group_size: 1
    .uses_dynamic_stack: false
    .vgpr_count:     0
    .vgpr_spill_count: 0
    .wavefront_size: 64
  - .args:
      - .offset:         0
        .size:           56
        .value_kind:     by_value
    .group_segment_fixed_size: 0
    .kernarg_segment_align: 8
    .kernarg_segment_size: 56
    .language:       OpenCL C
    .language_version:
      - 2
      - 0
    .max_flat_workgroup_size: 64
    .name:           _ZN7rocprim17ROCPRIM_400000_NS6detail17trampoline_kernelINS0_14default_configENS1_35adjacent_difference_config_selectorILb1EsEEZNS1_24adjacent_difference_implIS3_Lb1ELb0EPsS7_N6thrust23THRUST_200600_302600_NS4plusIsEEEE10hipError_tPvRmT2_T3_mT4_P12ihipStream_tbEUlT_E_NS1_11comp_targetILNS1_3genE5ELNS1_11target_archE942ELNS1_3gpuE9ELNS1_3repE0EEENS1_30default_config_static_selectorELNS0_4arch9wavefront6targetE1EEEvT1_
    .private_segment_fixed_size: 0
    .sgpr_count:     4
    .sgpr_spill_count: 0
    .symbol:         _ZN7rocprim17ROCPRIM_400000_NS6detail17trampoline_kernelINS0_14default_configENS1_35adjacent_difference_config_selectorILb1EsEEZNS1_24adjacent_difference_implIS3_Lb1ELb0EPsS7_N6thrust23THRUST_200600_302600_NS4plusIsEEEE10hipError_tPvRmT2_T3_mT4_P12ihipStream_tbEUlT_E_NS1_11comp_targetILNS1_3genE5ELNS1_11target_archE942ELNS1_3gpuE9ELNS1_3repE0EEENS1_30default_config_static_selectorELNS0_4arch9wavefront6targetE1EEEvT1_.kd
    .uniform_work_group_size: 1
    .uses_dynamic_stack: false
    .vgpr_count:     0
    .vgpr_spill_count: 0
    .wavefront_size: 64
  - .args:
      - .offset:         0
        .size:           56
        .value_kind:     by_value
    .group_segment_fixed_size: 0
    .kernarg_segment_align: 8
    .kernarg_segment_size: 56
    .language:       OpenCL C
    .language_version:
      - 2
      - 0
    .max_flat_workgroup_size: 64
    .name:           _ZN7rocprim17ROCPRIM_400000_NS6detail17trampoline_kernelINS0_14default_configENS1_35adjacent_difference_config_selectorILb1EsEEZNS1_24adjacent_difference_implIS3_Lb1ELb0EPsS7_N6thrust23THRUST_200600_302600_NS4plusIsEEEE10hipError_tPvRmT2_T3_mT4_P12ihipStream_tbEUlT_E_NS1_11comp_targetILNS1_3genE4ELNS1_11target_archE910ELNS1_3gpuE8ELNS1_3repE0EEENS1_30default_config_static_selectorELNS0_4arch9wavefront6targetE1EEEvT1_
    .private_segment_fixed_size: 0
    .sgpr_count:     4
    .sgpr_spill_count: 0
    .symbol:         _ZN7rocprim17ROCPRIM_400000_NS6detail17trampoline_kernelINS0_14default_configENS1_35adjacent_difference_config_selectorILb1EsEEZNS1_24adjacent_difference_implIS3_Lb1ELb0EPsS7_N6thrust23THRUST_200600_302600_NS4plusIsEEEE10hipError_tPvRmT2_T3_mT4_P12ihipStream_tbEUlT_E_NS1_11comp_targetILNS1_3genE4ELNS1_11target_archE910ELNS1_3gpuE8ELNS1_3repE0EEENS1_30default_config_static_selectorELNS0_4arch9wavefront6targetE1EEEvT1_.kd
    .uniform_work_group_size: 1
    .uses_dynamic_stack: false
    .vgpr_count:     0
    .vgpr_spill_count: 0
    .wavefront_size: 64
  - .args:
      - .offset:         0
        .size:           56
        .value_kind:     by_value
    .group_segment_fixed_size: 0
    .kernarg_segment_align: 8
    .kernarg_segment_size: 56
    .language:       OpenCL C
    .language_version:
      - 2
      - 0
    .max_flat_workgroup_size: 32
    .name:           _ZN7rocprim17ROCPRIM_400000_NS6detail17trampoline_kernelINS0_14default_configENS1_35adjacent_difference_config_selectorILb1EsEEZNS1_24adjacent_difference_implIS3_Lb1ELb0EPsS7_N6thrust23THRUST_200600_302600_NS4plusIsEEEE10hipError_tPvRmT2_T3_mT4_P12ihipStream_tbEUlT_E_NS1_11comp_targetILNS1_3genE3ELNS1_11target_archE908ELNS1_3gpuE7ELNS1_3repE0EEENS1_30default_config_static_selectorELNS0_4arch9wavefront6targetE1EEEvT1_
    .private_segment_fixed_size: 0
    .sgpr_count:     4
    .sgpr_spill_count: 0
    .symbol:         _ZN7rocprim17ROCPRIM_400000_NS6detail17trampoline_kernelINS0_14default_configENS1_35adjacent_difference_config_selectorILb1EsEEZNS1_24adjacent_difference_implIS3_Lb1ELb0EPsS7_N6thrust23THRUST_200600_302600_NS4plusIsEEEE10hipError_tPvRmT2_T3_mT4_P12ihipStream_tbEUlT_E_NS1_11comp_targetILNS1_3genE3ELNS1_11target_archE908ELNS1_3gpuE7ELNS1_3repE0EEENS1_30default_config_static_selectorELNS0_4arch9wavefront6targetE1EEEvT1_.kd
    .uniform_work_group_size: 1
    .uses_dynamic_stack: false
    .vgpr_count:     0
    .vgpr_spill_count: 0
    .wavefront_size: 64
  - .args:
      - .offset:         0
        .size:           56
        .value_kind:     by_value
    .group_segment_fixed_size: 2176
    .kernarg_segment_align: 8
    .kernarg_segment_size: 56
    .language:       OpenCL C
    .language_version:
      - 2
      - 0
    .max_flat_workgroup_size: 64
    .name:           _ZN7rocprim17ROCPRIM_400000_NS6detail17trampoline_kernelINS0_14default_configENS1_35adjacent_difference_config_selectorILb1EsEEZNS1_24adjacent_difference_implIS3_Lb1ELb0EPsS7_N6thrust23THRUST_200600_302600_NS4plusIsEEEE10hipError_tPvRmT2_T3_mT4_P12ihipStream_tbEUlT_E_NS1_11comp_targetILNS1_3genE2ELNS1_11target_archE906ELNS1_3gpuE6ELNS1_3repE0EEENS1_30default_config_static_selectorELNS0_4arch9wavefront6targetE1EEEvT1_
    .private_segment_fixed_size: 0
    .sgpr_count:     33
    .sgpr_spill_count: 0
    .symbol:         _ZN7rocprim17ROCPRIM_400000_NS6detail17trampoline_kernelINS0_14default_configENS1_35adjacent_difference_config_selectorILb1EsEEZNS1_24adjacent_difference_implIS3_Lb1ELb0EPsS7_N6thrust23THRUST_200600_302600_NS4plusIsEEEE10hipError_tPvRmT2_T3_mT4_P12ihipStream_tbEUlT_E_NS1_11comp_targetILNS1_3genE2ELNS1_11target_archE906ELNS1_3gpuE6ELNS1_3repE0EEENS1_30default_config_static_selectorELNS0_4arch9wavefront6targetE1EEEvT1_.kd
    .uniform_work_group_size: 1
    .uses_dynamic_stack: false
    .vgpr_count:     33
    .vgpr_spill_count: 0
    .wavefront_size: 64
  - .args:
      - .offset:         0
        .size:           56
        .value_kind:     by_value
    .group_segment_fixed_size: 0
    .kernarg_segment_align: 8
    .kernarg_segment_size: 56
    .language:       OpenCL C
    .language_version:
      - 2
      - 0
    .max_flat_workgroup_size: 128
    .name:           _ZN7rocprim17ROCPRIM_400000_NS6detail17trampoline_kernelINS0_14default_configENS1_35adjacent_difference_config_selectorILb1EsEEZNS1_24adjacent_difference_implIS3_Lb1ELb0EPsS7_N6thrust23THRUST_200600_302600_NS4plusIsEEEE10hipError_tPvRmT2_T3_mT4_P12ihipStream_tbEUlT_E_NS1_11comp_targetILNS1_3genE9ELNS1_11target_archE1100ELNS1_3gpuE3ELNS1_3repE0EEENS1_30default_config_static_selectorELNS0_4arch9wavefront6targetE1EEEvT1_
    .private_segment_fixed_size: 0
    .sgpr_count:     4
    .sgpr_spill_count: 0
    .symbol:         _ZN7rocprim17ROCPRIM_400000_NS6detail17trampoline_kernelINS0_14default_configENS1_35adjacent_difference_config_selectorILb1EsEEZNS1_24adjacent_difference_implIS3_Lb1ELb0EPsS7_N6thrust23THRUST_200600_302600_NS4plusIsEEEE10hipError_tPvRmT2_T3_mT4_P12ihipStream_tbEUlT_E_NS1_11comp_targetILNS1_3genE9ELNS1_11target_archE1100ELNS1_3gpuE3ELNS1_3repE0EEENS1_30default_config_static_selectorELNS0_4arch9wavefront6targetE1EEEvT1_.kd
    .uniform_work_group_size: 1
    .uses_dynamic_stack: false
    .vgpr_count:     0
    .vgpr_spill_count: 0
    .wavefront_size: 64
  - .args:
      - .offset:         0
        .size:           56
        .value_kind:     by_value
    .group_segment_fixed_size: 0
    .kernarg_segment_align: 8
    .kernarg_segment_size: 56
    .language:       OpenCL C
    .language_version:
      - 2
      - 0
    .max_flat_workgroup_size: 512
    .name:           _ZN7rocprim17ROCPRIM_400000_NS6detail17trampoline_kernelINS0_14default_configENS1_35adjacent_difference_config_selectorILb1EsEEZNS1_24adjacent_difference_implIS3_Lb1ELb0EPsS7_N6thrust23THRUST_200600_302600_NS4plusIsEEEE10hipError_tPvRmT2_T3_mT4_P12ihipStream_tbEUlT_E_NS1_11comp_targetILNS1_3genE8ELNS1_11target_archE1030ELNS1_3gpuE2ELNS1_3repE0EEENS1_30default_config_static_selectorELNS0_4arch9wavefront6targetE1EEEvT1_
    .private_segment_fixed_size: 0
    .sgpr_count:     4
    .sgpr_spill_count: 0
    .symbol:         _ZN7rocprim17ROCPRIM_400000_NS6detail17trampoline_kernelINS0_14default_configENS1_35adjacent_difference_config_selectorILb1EsEEZNS1_24adjacent_difference_implIS3_Lb1ELb0EPsS7_N6thrust23THRUST_200600_302600_NS4plusIsEEEE10hipError_tPvRmT2_T3_mT4_P12ihipStream_tbEUlT_E_NS1_11comp_targetILNS1_3genE8ELNS1_11target_archE1030ELNS1_3gpuE2ELNS1_3repE0EEENS1_30default_config_static_selectorELNS0_4arch9wavefront6targetE1EEEvT1_.kd
    .uniform_work_group_size: 1
    .uses_dynamic_stack: false
    .vgpr_count:     0
    .vgpr_spill_count: 0
    .wavefront_size: 64
  - .args:
      - .offset:         0
        .size:           72
        .value_kind:     by_value
    .group_segment_fixed_size: 0
    .kernarg_segment_align: 8
    .kernarg_segment_size: 72
    .language:       OpenCL C
    .language_version:
      - 2
      - 0
    .max_flat_workgroup_size: 128
    .name:           _ZN7rocprim17ROCPRIM_400000_NS6detail17trampoline_kernelINS0_14default_configENS1_22reduce_config_selectorIN6thrust23THRUST_200600_302600_NS5tupleIblNS6_9null_typeES8_S8_S8_S8_S8_S8_S8_EEEEZNS1_11reduce_implILb1ES3_PS9_SC_S9_NS6_11hip_rocprim9__find_if7functorIS9_EEEE10hipError_tPvRmT1_T2_T3_mT4_P12ihipStream_tbEUlT_E0_NS1_11comp_targetILNS1_3genE0ELNS1_11target_archE4294967295ELNS1_3gpuE0ELNS1_3repE0EEENS1_30default_config_static_selectorELNS0_4arch9wavefront6targetE1EEEvSK_
    .private_segment_fixed_size: 0
    .sgpr_count:     4
    .sgpr_spill_count: 0
    .symbol:         _ZN7rocprim17ROCPRIM_400000_NS6detail17trampoline_kernelINS0_14default_configENS1_22reduce_config_selectorIN6thrust23THRUST_200600_302600_NS5tupleIblNS6_9null_typeES8_S8_S8_S8_S8_S8_S8_EEEEZNS1_11reduce_implILb1ES3_PS9_SC_S9_NS6_11hip_rocprim9__find_if7functorIS9_EEEE10hipError_tPvRmT1_T2_T3_mT4_P12ihipStream_tbEUlT_E0_NS1_11comp_targetILNS1_3genE0ELNS1_11target_archE4294967295ELNS1_3gpuE0ELNS1_3repE0EEENS1_30default_config_static_selectorELNS0_4arch9wavefront6targetE1EEEvSK_.kd
    .uniform_work_group_size: 1
    .uses_dynamic_stack: false
    .vgpr_count:     0
    .vgpr_spill_count: 0
    .wavefront_size: 64
  - .args:
      - .offset:         0
        .size:           72
        .value_kind:     by_value
    .group_segment_fixed_size: 0
    .kernarg_segment_align: 8
    .kernarg_segment_size: 72
    .language:       OpenCL C
    .language_version:
      - 2
      - 0
    .max_flat_workgroup_size: 256
    .name:           _ZN7rocprim17ROCPRIM_400000_NS6detail17trampoline_kernelINS0_14default_configENS1_22reduce_config_selectorIN6thrust23THRUST_200600_302600_NS5tupleIblNS6_9null_typeES8_S8_S8_S8_S8_S8_S8_EEEEZNS1_11reduce_implILb1ES3_PS9_SC_S9_NS6_11hip_rocprim9__find_if7functorIS9_EEEE10hipError_tPvRmT1_T2_T3_mT4_P12ihipStream_tbEUlT_E0_NS1_11comp_targetILNS1_3genE5ELNS1_11target_archE942ELNS1_3gpuE9ELNS1_3repE0EEENS1_30default_config_static_selectorELNS0_4arch9wavefront6targetE1EEEvSK_
    .private_segment_fixed_size: 0
    .sgpr_count:     4
    .sgpr_spill_count: 0
    .symbol:         _ZN7rocprim17ROCPRIM_400000_NS6detail17trampoline_kernelINS0_14default_configENS1_22reduce_config_selectorIN6thrust23THRUST_200600_302600_NS5tupleIblNS6_9null_typeES8_S8_S8_S8_S8_S8_S8_EEEEZNS1_11reduce_implILb1ES3_PS9_SC_S9_NS6_11hip_rocprim9__find_if7functorIS9_EEEE10hipError_tPvRmT1_T2_T3_mT4_P12ihipStream_tbEUlT_E0_NS1_11comp_targetILNS1_3genE5ELNS1_11target_archE942ELNS1_3gpuE9ELNS1_3repE0EEENS1_30default_config_static_selectorELNS0_4arch9wavefront6targetE1EEEvSK_.kd
    .uniform_work_group_size: 1
    .uses_dynamic_stack: false
    .vgpr_count:     0
    .vgpr_spill_count: 0
    .wavefront_size: 64
  - .args:
      - .offset:         0
        .size:           72
        .value_kind:     by_value
    .group_segment_fixed_size: 0
    .kernarg_segment_align: 8
    .kernarg_segment_size: 72
    .language:       OpenCL C
    .language_version:
      - 2
      - 0
    .max_flat_workgroup_size: 256
    .name:           _ZN7rocprim17ROCPRIM_400000_NS6detail17trampoline_kernelINS0_14default_configENS1_22reduce_config_selectorIN6thrust23THRUST_200600_302600_NS5tupleIblNS6_9null_typeES8_S8_S8_S8_S8_S8_S8_EEEEZNS1_11reduce_implILb1ES3_PS9_SC_S9_NS6_11hip_rocprim9__find_if7functorIS9_EEEE10hipError_tPvRmT1_T2_T3_mT4_P12ihipStream_tbEUlT_E0_NS1_11comp_targetILNS1_3genE4ELNS1_11target_archE910ELNS1_3gpuE8ELNS1_3repE0EEENS1_30default_config_static_selectorELNS0_4arch9wavefront6targetE1EEEvSK_
    .private_segment_fixed_size: 0
    .sgpr_count:     4
    .sgpr_spill_count: 0
    .symbol:         _ZN7rocprim17ROCPRIM_400000_NS6detail17trampoline_kernelINS0_14default_configENS1_22reduce_config_selectorIN6thrust23THRUST_200600_302600_NS5tupleIblNS6_9null_typeES8_S8_S8_S8_S8_S8_S8_EEEEZNS1_11reduce_implILb1ES3_PS9_SC_S9_NS6_11hip_rocprim9__find_if7functorIS9_EEEE10hipError_tPvRmT1_T2_T3_mT4_P12ihipStream_tbEUlT_E0_NS1_11comp_targetILNS1_3genE4ELNS1_11target_archE910ELNS1_3gpuE8ELNS1_3repE0EEENS1_30default_config_static_selectorELNS0_4arch9wavefront6targetE1EEEvSK_.kd
    .uniform_work_group_size: 1
    .uses_dynamic_stack: false
    .vgpr_count:     0
    .vgpr_spill_count: 0
    .wavefront_size: 64
  - .args:
      - .offset:         0
        .size:           72
        .value_kind:     by_value
    .group_segment_fixed_size: 0
    .kernarg_segment_align: 8
    .kernarg_segment_size: 72
    .language:       OpenCL C
    .language_version:
      - 2
      - 0
    .max_flat_workgroup_size: 128
    .name:           _ZN7rocprim17ROCPRIM_400000_NS6detail17trampoline_kernelINS0_14default_configENS1_22reduce_config_selectorIN6thrust23THRUST_200600_302600_NS5tupleIblNS6_9null_typeES8_S8_S8_S8_S8_S8_S8_EEEEZNS1_11reduce_implILb1ES3_PS9_SC_S9_NS6_11hip_rocprim9__find_if7functorIS9_EEEE10hipError_tPvRmT1_T2_T3_mT4_P12ihipStream_tbEUlT_E0_NS1_11comp_targetILNS1_3genE3ELNS1_11target_archE908ELNS1_3gpuE7ELNS1_3repE0EEENS1_30default_config_static_selectorELNS0_4arch9wavefront6targetE1EEEvSK_
    .private_segment_fixed_size: 0
    .sgpr_count:     4
    .sgpr_spill_count: 0
    .symbol:         _ZN7rocprim17ROCPRIM_400000_NS6detail17trampoline_kernelINS0_14default_configENS1_22reduce_config_selectorIN6thrust23THRUST_200600_302600_NS5tupleIblNS6_9null_typeES8_S8_S8_S8_S8_S8_S8_EEEEZNS1_11reduce_implILb1ES3_PS9_SC_S9_NS6_11hip_rocprim9__find_if7functorIS9_EEEE10hipError_tPvRmT1_T2_T3_mT4_P12ihipStream_tbEUlT_E0_NS1_11comp_targetILNS1_3genE3ELNS1_11target_archE908ELNS1_3gpuE7ELNS1_3repE0EEENS1_30default_config_static_selectorELNS0_4arch9wavefront6targetE1EEEvSK_.kd
    .uniform_work_group_size: 1
    .uses_dynamic_stack: false
    .vgpr_count:     0
    .vgpr_spill_count: 0
    .wavefront_size: 64
  - .args:
      - .offset:         0
        .size:           72
        .value_kind:     by_value
    .group_segment_fixed_size: 64
    .kernarg_segment_align: 8
    .kernarg_segment_size: 72
    .language:       OpenCL C
    .language_version:
      - 2
      - 0
    .max_flat_workgroup_size: 128
    .name:           _ZN7rocprim17ROCPRIM_400000_NS6detail17trampoline_kernelINS0_14default_configENS1_22reduce_config_selectorIN6thrust23THRUST_200600_302600_NS5tupleIblNS6_9null_typeES8_S8_S8_S8_S8_S8_S8_EEEEZNS1_11reduce_implILb1ES3_PS9_SC_S9_NS6_11hip_rocprim9__find_if7functorIS9_EEEE10hipError_tPvRmT1_T2_T3_mT4_P12ihipStream_tbEUlT_E0_NS1_11comp_targetILNS1_3genE2ELNS1_11target_archE906ELNS1_3gpuE6ELNS1_3repE0EEENS1_30default_config_static_selectorELNS0_4arch9wavefront6targetE1EEEvSK_
    .private_segment_fixed_size: 0
    .sgpr_count:     30
    .sgpr_spill_count: 0
    .symbol:         _ZN7rocprim17ROCPRIM_400000_NS6detail17trampoline_kernelINS0_14default_configENS1_22reduce_config_selectorIN6thrust23THRUST_200600_302600_NS5tupleIblNS6_9null_typeES8_S8_S8_S8_S8_S8_S8_EEEEZNS1_11reduce_implILb1ES3_PS9_SC_S9_NS6_11hip_rocprim9__find_if7functorIS9_EEEE10hipError_tPvRmT1_T2_T3_mT4_P12ihipStream_tbEUlT_E0_NS1_11comp_targetILNS1_3genE2ELNS1_11target_archE906ELNS1_3gpuE6ELNS1_3repE0EEENS1_30default_config_static_selectorELNS0_4arch9wavefront6targetE1EEEvSK_.kd
    .uniform_work_group_size: 1
    .uses_dynamic_stack: false
    .vgpr_count:     13
    .vgpr_spill_count: 0
    .wavefront_size: 64
  - .args:
      - .offset:         0
        .size:           72
        .value_kind:     by_value
    .group_segment_fixed_size: 0
    .kernarg_segment_align: 8
    .kernarg_segment_size: 72
    .language:       OpenCL C
    .language_version:
      - 2
      - 0
    .max_flat_workgroup_size: 256
    .name:           _ZN7rocprim17ROCPRIM_400000_NS6detail17trampoline_kernelINS0_14default_configENS1_22reduce_config_selectorIN6thrust23THRUST_200600_302600_NS5tupleIblNS6_9null_typeES8_S8_S8_S8_S8_S8_S8_EEEEZNS1_11reduce_implILb1ES3_PS9_SC_S9_NS6_11hip_rocprim9__find_if7functorIS9_EEEE10hipError_tPvRmT1_T2_T3_mT4_P12ihipStream_tbEUlT_E0_NS1_11comp_targetILNS1_3genE10ELNS1_11target_archE1201ELNS1_3gpuE5ELNS1_3repE0EEENS1_30default_config_static_selectorELNS0_4arch9wavefront6targetE1EEEvSK_
    .private_segment_fixed_size: 0
    .sgpr_count:     4
    .sgpr_spill_count: 0
    .symbol:         _ZN7rocprim17ROCPRIM_400000_NS6detail17trampoline_kernelINS0_14default_configENS1_22reduce_config_selectorIN6thrust23THRUST_200600_302600_NS5tupleIblNS6_9null_typeES8_S8_S8_S8_S8_S8_S8_EEEEZNS1_11reduce_implILb1ES3_PS9_SC_S9_NS6_11hip_rocprim9__find_if7functorIS9_EEEE10hipError_tPvRmT1_T2_T3_mT4_P12ihipStream_tbEUlT_E0_NS1_11comp_targetILNS1_3genE10ELNS1_11target_archE1201ELNS1_3gpuE5ELNS1_3repE0EEENS1_30default_config_static_selectorELNS0_4arch9wavefront6targetE1EEEvSK_.kd
    .uniform_work_group_size: 1
    .uses_dynamic_stack: false
    .vgpr_count:     0
    .vgpr_spill_count: 0
    .wavefront_size: 64
  - .args:
      - .offset:         0
        .size:           72
        .value_kind:     by_value
    .group_segment_fixed_size: 0
    .kernarg_segment_align: 8
    .kernarg_segment_size: 72
    .language:       OpenCL C
    .language_version:
      - 2
      - 0
    .max_flat_workgroup_size: 256
    .name:           _ZN7rocprim17ROCPRIM_400000_NS6detail17trampoline_kernelINS0_14default_configENS1_22reduce_config_selectorIN6thrust23THRUST_200600_302600_NS5tupleIblNS6_9null_typeES8_S8_S8_S8_S8_S8_S8_EEEEZNS1_11reduce_implILb1ES3_PS9_SC_S9_NS6_11hip_rocprim9__find_if7functorIS9_EEEE10hipError_tPvRmT1_T2_T3_mT4_P12ihipStream_tbEUlT_E0_NS1_11comp_targetILNS1_3genE10ELNS1_11target_archE1200ELNS1_3gpuE4ELNS1_3repE0EEENS1_30default_config_static_selectorELNS0_4arch9wavefront6targetE1EEEvSK_
    .private_segment_fixed_size: 0
    .sgpr_count:     4
    .sgpr_spill_count: 0
    .symbol:         _ZN7rocprim17ROCPRIM_400000_NS6detail17trampoline_kernelINS0_14default_configENS1_22reduce_config_selectorIN6thrust23THRUST_200600_302600_NS5tupleIblNS6_9null_typeES8_S8_S8_S8_S8_S8_S8_EEEEZNS1_11reduce_implILb1ES3_PS9_SC_S9_NS6_11hip_rocprim9__find_if7functorIS9_EEEE10hipError_tPvRmT1_T2_T3_mT4_P12ihipStream_tbEUlT_E0_NS1_11comp_targetILNS1_3genE10ELNS1_11target_archE1200ELNS1_3gpuE4ELNS1_3repE0EEENS1_30default_config_static_selectorELNS0_4arch9wavefront6targetE1EEEvSK_.kd
    .uniform_work_group_size: 1
    .uses_dynamic_stack: false
    .vgpr_count:     0
    .vgpr_spill_count: 0
    .wavefront_size: 64
  - .args:
      - .offset:         0
        .size:           72
        .value_kind:     by_value
    .group_segment_fixed_size: 0
    .kernarg_segment_align: 8
    .kernarg_segment_size: 72
    .language:       OpenCL C
    .language_version:
      - 2
      - 0
    .max_flat_workgroup_size: 256
    .name:           _ZN7rocprim17ROCPRIM_400000_NS6detail17trampoline_kernelINS0_14default_configENS1_22reduce_config_selectorIN6thrust23THRUST_200600_302600_NS5tupleIblNS6_9null_typeES8_S8_S8_S8_S8_S8_S8_EEEEZNS1_11reduce_implILb1ES3_PS9_SC_S9_NS6_11hip_rocprim9__find_if7functorIS9_EEEE10hipError_tPvRmT1_T2_T3_mT4_P12ihipStream_tbEUlT_E0_NS1_11comp_targetILNS1_3genE9ELNS1_11target_archE1100ELNS1_3gpuE3ELNS1_3repE0EEENS1_30default_config_static_selectorELNS0_4arch9wavefront6targetE1EEEvSK_
    .private_segment_fixed_size: 0
    .sgpr_count:     4
    .sgpr_spill_count: 0
    .symbol:         _ZN7rocprim17ROCPRIM_400000_NS6detail17trampoline_kernelINS0_14default_configENS1_22reduce_config_selectorIN6thrust23THRUST_200600_302600_NS5tupleIblNS6_9null_typeES8_S8_S8_S8_S8_S8_S8_EEEEZNS1_11reduce_implILb1ES3_PS9_SC_S9_NS6_11hip_rocprim9__find_if7functorIS9_EEEE10hipError_tPvRmT1_T2_T3_mT4_P12ihipStream_tbEUlT_E0_NS1_11comp_targetILNS1_3genE9ELNS1_11target_archE1100ELNS1_3gpuE3ELNS1_3repE0EEENS1_30default_config_static_selectorELNS0_4arch9wavefront6targetE1EEEvSK_.kd
    .uniform_work_group_size: 1
    .uses_dynamic_stack: false
    .vgpr_count:     0
    .vgpr_spill_count: 0
    .wavefront_size: 64
  - .args:
      - .offset:         0
        .size:           72
        .value_kind:     by_value
    .group_segment_fixed_size: 0
    .kernarg_segment_align: 8
    .kernarg_segment_size: 72
    .language:       OpenCL C
    .language_version:
      - 2
      - 0
    .max_flat_workgroup_size: 256
    .name:           _ZN7rocprim17ROCPRIM_400000_NS6detail17trampoline_kernelINS0_14default_configENS1_22reduce_config_selectorIN6thrust23THRUST_200600_302600_NS5tupleIblNS6_9null_typeES8_S8_S8_S8_S8_S8_S8_EEEEZNS1_11reduce_implILb1ES3_PS9_SC_S9_NS6_11hip_rocprim9__find_if7functorIS9_EEEE10hipError_tPvRmT1_T2_T3_mT4_P12ihipStream_tbEUlT_E0_NS1_11comp_targetILNS1_3genE8ELNS1_11target_archE1030ELNS1_3gpuE2ELNS1_3repE0EEENS1_30default_config_static_selectorELNS0_4arch9wavefront6targetE1EEEvSK_
    .private_segment_fixed_size: 0
    .sgpr_count:     4
    .sgpr_spill_count: 0
    .symbol:         _ZN7rocprim17ROCPRIM_400000_NS6detail17trampoline_kernelINS0_14default_configENS1_22reduce_config_selectorIN6thrust23THRUST_200600_302600_NS5tupleIblNS6_9null_typeES8_S8_S8_S8_S8_S8_S8_EEEEZNS1_11reduce_implILb1ES3_PS9_SC_S9_NS6_11hip_rocprim9__find_if7functorIS9_EEEE10hipError_tPvRmT1_T2_T3_mT4_P12ihipStream_tbEUlT_E0_NS1_11comp_targetILNS1_3genE8ELNS1_11target_archE1030ELNS1_3gpuE2ELNS1_3repE0EEENS1_30default_config_static_selectorELNS0_4arch9wavefront6targetE1EEEvSK_.kd
    .uniform_work_group_size: 1
    .uses_dynamic_stack: false
    .vgpr_count:     0
    .vgpr_spill_count: 0
    .wavefront_size: 64
  - .args:
      - .offset:         0
        .size:           56
        .value_kind:     by_value
    .group_segment_fixed_size: 0
    .kernarg_segment_align: 8
    .kernarg_segment_size: 56
    .language:       OpenCL C
    .language_version:
      - 2
      - 0
    .max_flat_workgroup_size: 128
    .name:           _ZN7rocprim17ROCPRIM_400000_NS6detail17trampoline_kernelINS0_14default_configENS1_22reduce_config_selectorIN6thrust23THRUST_200600_302600_NS5tupleIblNS6_9null_typeES8_S8_S8_S8_S8_S8_S8_EEEEZNS1_11reduce_implILb1ES3_PS9_SC_S9_NS6_11hip_rocprim9__find_if7functorIS9_EEEE10hipError_tPvRmT1_T2_T3_mT4_P12ihipStream_tbEUlT_E1_NS1_11comp_targetILNS1_3genE0ELNS1_11target_archE4294967295ELNS1_3gpuE0ELNS1_3repE0EEENS1_30default_config_static_selectorELNS0_4arch9wavefront6targetE1EEEvSK_
    .private_segment_fixed_size: 0
    .sgpr_count:     4
    .sgpr_spill_count: 0
    .symbol:         _ZN7rocprim17ROCPRIM_400000_NS6detail17trampoline_kernelINS0_14default_configENS1_22reduce_config_selectorIN6thrust23THRUST_200600_302600_NS5tupleIblNS6_9null_typeES8_S8_S8_S8_S8_S8_S8_EEEEZNS1_11reduce_implILb1ES3_PS9_SC_S9_NS6_11hip_rocprim9__find_if7functorIS9_EEEE10hipError_tPvRmT1_T2_T3_mT4_P12ihipStream_tbEUlT_E1_NS1_11comp_targetILNS1_3genE0ELNS1_11target_archE4294967295ELNS1_3gpuE0ELNS1_3repE0EEENS1_30default_config_static_selectorELNS0_4arch9wavefront6targetE1EEEvSK_.kd
    .uniform_work_group_size: 1
    .uses_dynamic_stack: false
    .vgpr_count:     0
    .vgpr_spill_count: 0
    .wavefront_size: 64
  - .args:
      - .offset:         0
        .size:           56
        .value_kind:     by_value
    .group_segment_fixed_size: 0
    .kernarg_segment_align: 8
    .kernarg_segment_size: 56
    .language:       OpenCL C
    .language_version:
      - 2
      - 0
    .max_flat_workgroup_size: 256
    .name:           _ZN7rocprim17ROCPRIM_400000_NS6detail17trampoline_kernelINS0_14default_configENS1_22reduce_config_selectorIN6thrust23THRUST_200600_302600_NS5tupleIblNS6_9null_typeES8_S8_S8_S8_S8_S8_S8_EEEEZNS1_11reduce_implILb1ES3_PS9_SC_S9_NS6_11hip_rocprim9__find_if7functorIS9_EEEE10hipError_tPvRmT1_T2_T3_mT4_P12ihipStream_tbEUlT_E1_NS1_11comp_targetILNS1_3genE5ELNS1_11target_archE942ELNS1_3gpuE9ELNS1_3repE0EEENS1_30default_config_static_selectorELNS0_4arch9wavefront6targetE1EEEvSK_
    .private_segment_fixed_size: 0
    .sgpr_count:     4
    .sgpr_spill_count: 0
    .symbol:         _ZN7rocprim17ROCPRIM_400000_NS6detail17trampoline_kernelINS0_14default_configENS1_22reduce_config_selectorIN6thrust23THRUST_200600_302600_NS5tupleIblNS6_9null_typeES8_S8_S8_S8_S8_S8_S8_EEEEZNS1_11reduce_implILb1ES3_PS9_SC_S9_NS6_11hip_rocprim9__find_if7functorIS9_EEEE10hipError_tPvRmT1_T2_T3_mT4_P12ihipStream_tbEUlT_E1_NS1_11comp_targetILNS1_3genE5ELNS1_11target_archE942ELNS1_3gpuE9ELNS1_3repE0EEENS1_30default_config_static_selectorELNS0_4arch9wavefront6targetE1EEEvSK_.kd
    .uniform_work_group_size: 1
    .uses_dynamic_stack: false
    .vgpr_count:     0
    .vgpr_spill_count: 0
    .wavefront_size: 64
  - .args:
      - .offset:         0
        .size:           56
        .value_kind:     by_value
    .group_segment_fixed_size: 0
    .kernarg_segment_align: 8
    .kernarg_segment_size: 56
    .language:       OpenCL C
    .language_version:
      - 2
      - 0
    .max_flat_workgroup_size: 256
    .name:           _ZN7rocprim17ROCPRIM_400000_NS6detail17trampoline_kernelINS0_14default_configENS1_22reduce_config_selectorIN6thrust23THRUST_200600_302600_NS5tupleIblNS6_9null_typeES8_S8_S8_S8_S8_S8_S8_EEEEZNS1_11reduce_implILb1ES3_PS9_SC_S9_NS6_11hip_rocprim9__find_if7functorIS9_EEEE10hipError_tPvRmT1_T2_T3_mT4_P12ihipStream_tbEUlT_E1_NS1_11comp_targetILNS1_3genE4ELNS1_11target_archE910ELNS1_3gpuE8ELNS1_3repE0EEENS1_30default_config_static_selectorELNS0_4arch9wavefront6targetE1EEEvSK_
    .private_segment_fixed_size: 0
    .sgpr_count:     4
    .sgpr_spill_count: 0
    .symbol:         _ZN7rocprim17ROCPRIM_400000_NS6detail17trampoline_kernelINS0_14default_configENS1_22reduce_config_selectorIN6thrust23THRUST_200600_302600_NS5tupleIblNS6_9null_typeES8_S8_S8_S8_S8_S8_S8_EEEEZNS1_11reduce_implILb1ES3_PS9_SC_S9_NS6_11hip_rocprim9__find_if7functorIS9_EEEE10hipError_tPvRmT1_T2_T3_mT4_P12ihipStream_tbEUlT_E1_NS1_11comp_targetILNS1_3genE4ELNS1_11target_archE910ELNS1_3gpuE8ELNS1_3repE0EEENS1_30default_config_static_selectorELNS0_4arch9wavefront6targetE1EEEvSK_.kd
    .uniform_work_group_size: 1
    .uses_dynamic_stack: false
    .vgpr_count:     0
    .vgpr_spill_count: 0
    .wavefront_size: 64
  - .args:
      - .offset:         0
        .size:           56
        .value_kind:     by_value
    .group_segment_fixed_size: 0
    .kernarg_segment_align: 8
    .kernarg_segment_size: 56
    .language:       OpenCL C
    .language_version:
      - 2
      - 0
    .max_flat_workgroup_size: 128
    .name:           _ZN7rocprim17ROCPRIM_400000_NS6detail17trampoline_kernelINS0_14default_configENS1_22reduce_config_selectorIN6thrust23THRUST_200600_302600_NS5tupleIblNS6_9null_typeES8_S8_S8_S8_S8_S8_S8_EEEEZNS1_11reduce_implILb1ES3_PS9_SC_S9_NS6_11hip_rocprim9__find_if7functorIS9_EEEE10hipError_tPvRmT1_T2_T3_mT4_P12ihipStream_tbEUlT_E1_NS1_11comp_targetILNS1_3genE3ELNS1_11target_archE908ELNS1_3gpuE7ELNS1_3repE0EEENS1_30default_config_static_selectorELNS0_4arch9wavefront6targetE1EEEvSK_
    .private_segment_fixed_size: 0
    .sgpr_count:     4
    .sgpr_spill_count: 0
    .symbol:         _ZN7rocprim17ROCPRIM_400000_NS6detail17trampoline_kernelINS0_14default_configENS1_22reduce_config_selectorIN6thrust23THRUST_200600_302600_NS5tupleIblNS6_9null_typeES8_S8_S8_S8_S8_S8_S8_EEEEZNS1_11reduce_implILb1ES3_PS9_SC_S9_NS6_11hip_rocprim9__find_if7functorIS9_EEEE10hipError_tPvRmT1_T2_T3_mT4_P12ihipStream_tbEUlT_E1_NS1_11comp_targetILNS1_3genE3ELNS1_11target_archE908ELNS1_3gpuE7ELNS1_3repE0EEENS1_30default_config_static_selectorELNS0_4arch9wavefront6targetE1EEEvSK_.kd
    .uniform_work_group_size: 1
    .uses_dynamic_stack: false
    .vgpr_count:     0
    .vgpr_spill_count: 0
    .wavefront_size: 64
  - .args:
      - .offset:         0
        .size:           56
        .value_kind:     by_value
    .group_segment_fixed_size: 160
    .kernarg_segment_align: 8
    .kernarg_segment_size: 56
    .language:       OpenCL C
    .language_version:
      - 2
      - 0
    .max_flat_workgroup_size: 128
    .name:           _ZN7rocprim17ROCPRIM_400000_NS6detail17trampoline_kernelINS0_14default_configENS1_22reduce_config_selectorIN6thrust23THRUST_200600_302600_NS5tupleIblNS6_9null_typeES8_S8_S8_S8_S8_S8_S8_EEEEZNS1_11reduce_implILb1ES3_PS9_SC_S9_NS6_11hip_rocprim9__find_if7functorIS9_EEEE10hipError_tPvRmT1_T2_T3_mT4_P12ihipStream_tbEUlT_E1_NS1_11comp_targetILNS1_3genE2ELNS1_11target_archE906ELNS1_3gpuE6ELNS1_3repE0EEENS1_30default_config_static_selectorELNS0_4arch9wavefront6targetE1EEEvSK_
    .private_segment_fixed_size: 0
    .sgpr_count:     40
    .sgpr_spill_count: 0
    .symbol:         _ZN7rocprim17ROCPRIM_400000_NS6detail17trampoline_kernelINS0_14default_configENS1_22reduce_config_selectorIN6thrust23THRUST_200600_302600_NS5tupleIblNS6_9null_typeES8_S8_S8_S8_S8_S8_S8_EEEEZNS1_11reduce_implILb1ES3_PS9_SC_S9_NS6_11hip_rocprim9__find_if7functorIS9_EEEE10hipError_tPvRmT1_T2_T3_mT4_P12ihipStream_tbEUlT_E1_NS1_11comp_targetILNS1_3genE2ELNS1_11target_archE906ELNS1_3gpuE6ELNS1_3repE0EEENS1_30default_config_static_selectorELNS0_4arch9wavefront6targetE1EEEvSK_.kd
    .uniform_work_group_size: 1
    .uses_dynamic_stack: false
    .vgpr_count:     27
    .vgpr_spill_count: 0
    .wavefront_size: 64
  - .args:
      - .offset:         0
        .size:           56
        .value_kind:     by_value
    .group_segment_fixed_size: 0
    .kernarg_segment_align: 8
    .kernarg_segment_size: 56
    .language:       OpenCL C
    .language_version:
      - 2
      - 0
    .max_flat_workgroup_size: 256
    .name:           _ZN7rocprim17ROCPRIM_400000_NS6detail17trampoline_kernelINS0_14default_configENS1_22reduce_config_selectorIN6thrust23THRUST_200600_302600_NS5tupleIblNS6_9null_typeES8_S8_S8_S8_S8_S8_S8_EEEEZNS1_11reduce_implILb1ES3_PS9_SC_S9_NS6_11hip_rocprim9__find_if7functorIS9_EEEE10hipError_tPvRmT1_T2_T3_mT4_P12ihipStream_tbEUlT_E1_NS1_11comp_targetILNS1_3genE10ELNS1_11target_archE1201ELNS1_3gpuE5ELNS1_3repE0EEENS1_30default_config_static_selectorELNS0_4arch9wavefront6targetE1EEEvSK_
    .private_segment_fixed_size: 0
    .sgpr_count:     4
    .sgpr_spill_count: 0
    .symbol:         _ZN7rocprim17ROCPRIM_400000_NS6detail17trampoline_kernelINS0_14default_configENS1_22reduce_config_selectorIN6thrust23THRUST_200600_302600_NS5tupleIblNS6_9null_typeES8_S8_S8_S8_S8_S8_S8_EEEEZNS1_11reduce_implILb1ES3_PS9_SC_S9_NS6_11hip_rocprim9__find_if7functorIS9_EEEE10hipError_tPvRmT1_T2_T3_mT4_P12ihipStream_tbEUlT_E1_NS1_11comp_targetILNS1_3genE10ELNS1_11target_archE1201ELNS1_3gpuE5ELNS1_3repE0EEENS1_30default_config_static_selectorELNS0_4arch9wavefront6targetE1EEEvSK_.kd
    .uniform_work_group_size: 1
    .uses_dynamic_stack: false
    .vgpr_count:     0
    .vgpr_spill_count: 0
    .wavefront_size: 64
  - .args:
      - .offset:         0
        .size:           56
        .value_kind:     by_value
    .group_segment_fixed_size: 0
    .kernarg_segment_align: 8
    .kernarg_segment_size: 56
    .language:       OpenCL C
    .language_version:
      - 2
      - 0
    .max_flat_workgroup_size: 256
    .name:           _ZN7rocprim17ROCPRIM_400000_NS6detail17trampoline_kernelINS0_14default_configENS1_22reduce_config_selectorIN6thrust23THRUST_200600_302600_NS5tupleIblNS6_9null_typeES8_S8_S8_S8_S8_S8_S8_EEEEZNS1_11reduce_implILb1ES3_PS9_SC_S9_NS6_11hip_rocprim9__find_if7functorIS9_EEEE10hipError_tPvRmT1_T2_T3_mT4_P12ihipStream_tbEUlT_E1_NS1_11comp_targetILNS1_3genE10ELNS1_11target_archE1200ELNS1_3gpuE4ELNS1_3repE0EEENS1_30default_config_static_selectorELNS0_4arch9wavefront6targetE1EEEvSK_
    .private_segment_fixed_size: 0
    .sgpr_count:     4
    .sgpr_spill_count: 0
    .symbol:         _ZN7rocprim17ROCPRIM_400000_NS6detail17trampoline_kernelINS0_14default_configENS1_22reduce_config_selectorIN6thrust23THRUST_200600_302600_NS5tupleIblNS6_9null_typeES8_S8_S8_S8_S8_S8_S8_EEEEZNS1_11reduce_implILb1ES3_PS9_SC_S9_NS6_11hip_rocprim9__find_if7functorIS9_EEEE10hipError_tPvRmT1_T2_T3_mT4_P12ihipStream_tbEUlT_E1_NS1_11comp_targetILNS1_3genE10ELNS1_11target_archE1200ELNS1_3gpuE4ELNS1_3repE0EEENS1_30default_config_static_selectorELNS0_4arch9wavefront6targetE1EEEvSK_.kd
    .uniform_work_group_size: 1
    .uses_dynamic_stack: false
    .vgpr_count:     0
    .vgpr_spill_count: 0
    .wavefront_size: 64
  - .args:
      - .offset:         0
        .size:           56
        .value_kind:     by_value
    .group_segment_fixed_size: 0
    .kernarg_segment_align: 8
    .kernarg_segment_size: 56
    .language:       OpenCL C
    .language_version:
      - 2
      - 0
    .max_flat_workgroup_size: 256
    .name:           _ZN7rocprim17ROCPRIM_400000_NS6detail17trampoline_kernelINS0_14default_configENS1_22reduce_config_selectorIN6thrust23THRUST_200600_302600_NS5tupleIblNS6_9null_typeES8_S8_S8_S8_S8_S8_S8_EEEEZNS1_11reduce_implILb1ES3_PS9_SC_S9_NS6_11hip_rocprim9__find_if7functorIS9_EEEE10hipError_tPvRmT1_T2_T3_mT4_P12ihipStream_tbEUlT_E1_NS1_11comp_targetILNS1_3genE9ELNS1_11target_archE1100ELNS1_3gpuE3ELNS1_3repE0EEENS1_30default_config_static_selectorELNS0_4arch9wavefront6targetE1EEEvSK_
    .private_segment_fixed_size: 0
    .sgpr_count:     4
    .sgpr_spill_count: 0
    .symbol:         _ZN7rocprim17ROCPRIM_400000_NS6detail17trampoline_kernelINS0_14default_configENS1_22reduce_config_selectorIN6thrust23THRUST_200600_302600_NS5tupleIblNS6_9null_typeES8_S8_S8_S8_S8_S8_S8_EEEEZNS1_11reduce_implILb1ES3_PS9_SC_S9_NS6_11hip_rocprim9__find_if7functorIS9_EEEE10hipError_tPvRmT1_T2_T3_mT4_P12ihipStream_tbEUlT_E1_NS1_11comp_targetILNS1_3genE9ELNS1_11target_archE1100ELNS1_3gpuE3ELNS1_3repE0EEENS1_30default_config_static_selectorELNS0_4arch9wavefront6targetE1EEEvSK_.kd
    .uniform_work_group_size: 1
    .uses_dynamic_stack: false
    .vgpr_count:     0
    .vgpr_spill_count: 0
    .wavefront_size: 64
  - .args:
      - .offset:         0
        .size:           56
        .value_kind:     by_value
    .group_segment_fixed_size: 0
    .kernarg_segment_align: 8
    .kernarg_segment_size: 56
    .language:       OpenCL C
    .language_version:
      - 2
      - 0
    .max_flat_workgroup_size: 256
    .name:           _ZN7rocprim17ROCPRIM_400000_NS6detail17trampoline_kernelINS0_14default_configENS1_22reduce_config_selectorIN6thrust23THRUST_200600_302600_NS5tupleIblNS6_9null_typeES8_S8_S8_S8_S8_S8_S8_EEEEZNS1_11reduce_implILb1ES3_PS9_SC_S9_NS6_11hip_rocprim9__find_if7functorIS9_EEEE10hipError_tPvRmT1_T2_T3_mT4_P12ihipStream_tbEUlT_E1_NS1_11comp_targetILNS1_3genE8ELNS1_11target_archE1030ELNS1_3gpuE2ELNS1_3repE0EEENS1_30default_config_static_selectorELNS0_4arch9wavefront6targetE1EEEvSK_
    .private_segment_fixed_size: 0
    .sgpr_count:     4
    .sgpr_spill_count: 0
    .symbol:         _ZN7rocprim17ROCPRIM_400000_NS6detail17trampoline_kernelINS0_14default_configENS1_22reduce_config_selectorIN6thrust23THRUST_200600_302600_NS5tupleIblNS6_9null_typeES8_S8_S8_S8_S8_S8_S8_EEEEZNS1_11reduce_implILb1ES3_PS9_SC_S9_NS6_11hip_rocprim9__find_if7functorIS9_EEEE10hipError_tPvRmT1_T2_T3_mT4_P12ihipStream_tbEUlT_E1_NS1_11comp_targetILNS1_3genE8ELNS1_11target_archE1030ELNS1_3gpuE2ELNS1_3repE0EEENS1_30default_config_static_selectorELNS0_4arch9wavefront6targetE1EEEvSK_.kd
    .uniform_work_group_size: 1
    .uses_dynamic_stack: false
    .vgpr_count:     0
    .vgpr_spill_count: 0
    .wavefront_size: 64
  - .args:
      - .offset:         0
        .size:           104
        .value_kind:     by_value
    .group_segment_fixed_size: 0
    .kernarg_segment_align: 8
    .kernarg_segment_size: 104
    .language:       OpenCL C
    .language_version:
      - 2
      - 0
    .max_flat_workgroup_size: 128
    .name:           _ZN7rocprim17ROCPRIM_400000_NS6detail17trampoline_kernelINS0_14default_configENS1_22reduce_config_selectorIN6thrust23THRUST_200600_302600_NS5tupleIblNS6_9null_typeES8_S8_S8_S8_S8_S8_S8_EEEEZNS1_11reduce_implILb1ES3_NS6_12zip_iteratorINS7_INS6_11hip_rocprim26transform_input_iterator_tIbNSD_35transform_pair_of_input_iterators_tIbNS6_6detail15normal_iteratorINS6_10device_ptrIKdEEEESL_NS6_8equal_toIdEEEENSG_9not_fun_tINSD_8identityEEEEENSD_19counting_iterator_tIlEES8_S8_S8_S8_S8_S8_S8_S8_EEEEPS9_S9_NSD_9__find_if7functorIS9_EEEE10hipError_tPvRmT1_T2_T3_mT4_P12ihipStream_tbEUlT_E0_NS1_11comp_targetILNS1_3genE0ELNS1_11target_archE4294967295ELNS1_3gpuE0ELNS1_3repE0EEENS1_30default_config_static_selectorELNS0_4arch9wavefront6targetE1EEEvS14_
    .private_segment_fixed_size: 0
    .sgpr_count:     4
    .sgpr_spill_count: 0
    .symbol:         _ZN7rocprim17ROCPRIM_400000_NS6detail17trampoline_kernelINS0_14default_configENS1_22reduce_config_selectorIN6thrust23THRUST_200600_302600_NS5tupleIblNS6_9null_typeES8_S8_S8_S8_S8_S8_S8_EEEEZNS1_11reduce_implILb1ES3_NS6_12zip_iteratorINS7_INS6_11hip_rocprim26transform_input_iterator_tIbNSD_35transform_pair_of_input_iterators_tIbNS6_6detail15normal_iteratorINS6_10device_ptrIKdEEEESL_NS6_8equal_toIdEEEENSG_9not_fun_tINSD_8identityEEEEENSD_19counting_iterator_tIlEES8_S8_S8_S8_S8_S8_S8_S8_EEEEPS9_S9_NSD_9__find_if7functorIS9_EEEE10hipError_tPvRmT1_T2_T3_mT4_P12ihipStream_tbEUlT_E0_NS1_11comp_targetILNS1_3genE0ELNS1_11target_archE4294967295ELNS1_3gpuE0ELNS1_3repE0EEENS1_30default_config_static_selectorELNS0_4arch9wavefront6targetE1EEEvS14_.kd
    .uniform_work_group_size: 1
    .uses_dynamic_stack: false
    .vgpr_count:     0
    .vgpr_spill_count: 0
    .wavefront_size: 64
  - .args:
      - .offset:         0
        .size:           104
        .value_kind:     by_value
    .group_segment_fixed_size: 0
    .kernarg_segment_align: 8
    .kernarg_segment_size: 104
    .language:       OpenCL C
    .language_version:
      - 2
      - 0
    .max_flat_workgroup_size: 256
    .name:           _ZN7rocprim17ROCPRIM_400000_NS6detail17trampoline_kernelINS0_14default_configENS1_22reduce_config_selectorIN6thrust23THRUST_200600_302600_NS5tupleIblNS6_9null_typeES8_S8_S8_S8_S8_S8_S8_EEEEZNS1_11reduce_implILb1ES3_NS6_12zip_iteratorINS7_INS6_11hip_rocprim26transform_input_iterator_tIbNSD_35transform_pair_of_input_iterators_tIbNS6_6detail15normal_iteratorINS6_10device_ptrIKdEEEESL_NS6_8equal_toIdEEEENSG_9not_fun_tINSD_8identityEEEEENSD_19counting_iterator_tIlEES8_S8_S8_S8_S8_S8_S8_S8_EEEEPS9_S9_NSD_9__find_if7functorIS9_EEEE10hipError_tPvRmT1_T2_T3_mT4_P12ihipStream_tbEUlT_E0_NS1_11comp_targetILNS1_3genE5ELNS1_11target_archE942ELNS1_3gpuE9ELNS1_3repE0EEENS1_30default_config_static_selectorELNS0_4arch9wavefront6targetE1EEEvS14_
    .private_segment_fixed_size: 0
    .sgpr_count:     4
    .sgpr_spill_count: 0
    .symbol:         _ZN7rocprim17ROCPRIM_400000_NS6detail17trampoline_kernelINS0_14default_configENS1_22reduce_config_selectorIN6thrust23THRUST_200600_302600_NS5tupleIblNS6_9null_typeES8_S8_S8_S8_S8_S8_S8_EEEEZNS1_11reduce_implILb1ES3_NS6_12zip_iteratorINS7_INS6_11hip_rocprim26transform_input_iterator_tIbNSD_35transform_pair_of_input_iterators_tIbNS6_6detail15normal_iteratorINS6_10device_ptrIKdEEEESL_NS6_8equal_toIdEEEENSG_9not_fun_tINSD_8identityEEEEENSD_19counting_iterator_tIlEES8_S8_S8_S8_S8_S8_S8_S8_EEEEPS9_S9_NSD_9__find_if7functorIS9_EEEE10hipError_tPvRmT1_T2_T3_mT4_P12ihipStream_tbEUlT_E0_NS1_11comp_targetILNS1_3genE5ELNS1_11target_archE942ELNS1_3gpuE9ELNS1_3repE0EEENS1_30default_config_static_selectorELNS0_4arch9wavefront6targetE1EEEvS14_.kd
    .uniform_work_group_size: 1
    .uses_dynamic_stack: false
    .vgpr_count:     0
    .vgpr_spill_count: 0
    .wavefront_size: 64
  - .args:
      - .offset:         0
        .size:           104
        .value_kind:     by_value
    .group_segment_fixed_size: 0
    .kernarg_segment_align: 8
    .kernarg_segment_size: 104
    .language:       OpenCL C
    .language_version:
      - 2
      - 0
    .max_flat_workgroup_size: 256
    .name:           _ZN7rocprim17ROCPRIM_400000_NS6detail17trampoline_kernelINS0_14default_configENS1_22reduce_config_selectorIN6thrust23THRUST_200600_302600_NS5tupleIblNS6_9null_typeES8_S8_S8_S8_S8_S8_S8_EEEEZNS1_11reduce_implILb1ES3_NS6_12zip_iteratorINS7_INS6_11hip_rocprim26transform_input_iterator_tIbNSD_35transform_pair_of_input_iterators_tIbNS6_6detail15normal_iteratorINS6_10device_ptrIKdEEEESL_NS6_8equal_toIdEEEENSG_9not_fun_tINSD_8identityEEEEENSD_19counting_iterator_tIlEES8_S8_S8_S8_S8_S8_S8_S8_EEEEPS9_S9_NSD_9__find_if7functorIS9_EEEE10hipError_tPvRmT1_T2_T3_mT4_P12ihipStream_tbEUlT_E0_NS1_11comp_targetILNS1_3genE4ELNS1_11target_archE910ELNS1_3gpuE8ELNS1_3repE0EEENS1_30default_config_static_selectorELNS0_4arch9wavefront6targetE1EEEvS14_
    .private_segment_fixed_size: 0
    .sgpr_count:     4
    .sgpr_spill_count: 0
    .symbol:         _ZN7rocprim17ROCPRIM_400000_NS6detail17trampoline_kernelINS0_14default_configENS1_22reduce_config_selectorIN6thrust23THRUST_200600_302600_NS5tupleIblNS6_9null_typeES8_S8_S8_S8_S8_S8_S8_EEEEZNS1_11reduce_implILb1ES3_NS6_12zip_iteratorINS7_INS6_11hip_rocprim26transform_input_iterator_tIbNSD_35transform_pair_of_input_iterators_tIbNS6_6detail15normal_iteratorINS6_10device_ptrIKdEEEESL_NS6_8equal_toIdEEEENSG_9not_fun_tINSD_8identityEEEEENSD_19counting_iterator_tIlEES8_S8_S8_S8_S8_S8_S8_S8_EEEEPS9_S9_NSD_9__find_if7functorIS9_EEEE10hipError_tPvRmT1_T2_T3_mT4_P12ihipStream_tbEUlT_E0_NS1_11comp_targetILNS1_3genE4ELNS1_11target_archE910ELNS1_3gpuE8ELNS1_3repE0EEENS1_30default_config_static_selectorELNS0_4arch9wavefront6targetE1EEEvS14_.kd
    .uniform_work_group_size: 1
    .uses_dynamic_stack: false
    .vgpr_count:     0
    .vgpr_spill_count: 0
    .wavefront_size: 64
  - .args:
      - .offset:         0
        .size:           104
        .value_kind:     by_value
    .group_segment_fixed_size: 0
    .kernarg_segment_align: 8
    .kernarg_segment_size: 104
    .language:       OpenCL C
    .language_version:
      - 2
      - 0
    .max_flat_workgroup_size: 128
    .name:           _ZN7rocprim17ROCPRIM_400000_NS6detail17trampoline_kernelINS0_14default_configENS1_22reduce_config_selectorIN6thrust23THRUST_200600_302600_NS5tupleIblNS6_9null_typeES8_S8_S8_S8_S8_S8_S8_EEEEZNS1_11reduce_implILb1ES3_NS6_12zip_iteratorINS7_INS6_11hip_rocprim26transform_input_iterator_tIbNSD_35transform_pair_of_input_iterators_tIbNS6_6detail15normal_iteratorINS6_10device_ptrIKdEEEESL_NS6_8equal_toIdEEEENSG_9not_fun_tINSD_8identityEEEEENSD_19counting_iterator_tIlEES8_S8_S8_S8_S8_S8_S8_S8_EEEEPS9_S9_NSD_9__find_if7functorIS9_EEEE10hipError_tPvRmT1_T2_T3_mT4_P12ihipStream_tbEUlT_E0_NS1_11comp_targetILNS1_3genE3ELNS1_11target_archE908ELNS1_3gpuE7ELNS1_3repE0EEENS1_30default_config_static_selectorELNS0_4arch9wavefront6targetE1EEEvS14_
    .private_segment_fixed_size: 0
    .sgpr_count:     4
    .sgpr_spill_count: 0
    .symbol:         _ZN7rocprim17ROCPRIM_400000_NS6detail17trampoline_kernelINS0_14default_configENS1_22reduce_config_selectorIN6thrust23THRUST_200600_302600_NS5tupleIblNS6_9null_typeES8_S8_S8_S8_S8_S8_S8_EEEEZNS1_11reduce_implILb1ES3_NS6_12zip_iteratorINS7_INS6_11hip_rocprim26transform_input_iterator_tIbNSD_35transform_pair_of_input_iterators_tIbNS6_6detail15normal_iteratorINS6_10device_ptrIKdEEEESL_NS6_8equal_toIdEEEENSG_9not_fun_tINSD_8identityEEEEENSD_19counting_iterator_tIlEES8_S8_S8_S8_S8_S8_S8_S8_EEEEPS9_S9_NSD_9__find_if7functorIS9_EEEE10hipError_tPvRmT1_T2_T3_mT4_P12ihipStream_tbEUlT_E0_NS1_11comp_targetILNS1_3genE3ELNS1_11target_archE908ELNS1_3gpuE7ELNS1_3repE0EEENS1_30default_config_static_selectorELNS0_4arch9wavefront6targetE1EEEvS14_.kd
    .uniform_work_group_size: 1
    .uses_dynamic_stack: false
    .vgpr_count:     0
    .vgpr_spill_count: 0
    .wavefront_size: 64
  - .args:
      - .offset:         0
        .size:           104
        .value_kind:     by_value
    .group_segment_fixed_size: 64
    .kernarg_segment_align: 8
    .kernarg_segment_size: 104
    .language:       OpenCL C
    .language_version:
      - 2
      - 0
    .max_flat_workgroup_size: 128
    .name:           _ZN7rocprim17ROCPRIM_400000_NS6detail17trampoline_kernelINS0_14default_configENS1_22reduce_config_selectorIN6thrust23THRUST_200600_302600_NS5tupleIblNS6_9null_typeES8_S8_S8_S8_S8_S8_S8_EEEEZNS1_11reduce_implILb1ES3_NS6_12zip_iteratorINS7_INS6_11hip_rocprim26transform_input_iterator_tIbNSD_35transform_pair_of_input_iterators_tIbNS6_6detail15normal_iteratorINS6_10device_ptrIKdEEEESL_NS6_8equal_toIdEEEENSG_9not_fun_tINSD_8identityEEEEENSD_19counting_iterator_tIlEES8_S8_S8_S8_S8_S8_S8_S8_EEEEPS9_S9_NSD_9__find_if7functorIS9_EEEE10hipError_tPvRmT1_T2_T3_mT4_P12ihipStream_tbEUlT_E0_NS1_11comp_targetILNS1_3genE2ELNS1_11target_archE906ELNS1_3gpuE6ELNS1_3repE0EEENS1_30default_config_static_selectorELNS0_4arch9wavefront6targetE1EEEvS14_
    .private_segment_fixed_size: 0
    .sgpr_count:     34
    .sgpr_spill_count: 0
    .symbol:         _ZN7rocprim17ROCPRIM_400000_NS6detail17trampoline_kernelINS0_14default_configENS1_22reduce_config_selectorIN6thrust23THRUST_200600_302600_NS5tupleIblNS6_9null_typeES8_S8_S8_S8_S8_S8_S8_EEEEZNS1_11reduce_implILb1ES3_NS6_12zip_iteratorINS7_INS6_11hip_rocprim26transform_input_iterator_tIbNSD_35transform_pair_of_input_iterators_tIbNS6_6detail15normal_iteratorINS6_10device_ptrIKdEEEESL_NS6_8equal_toIdEEEENSG_9not_fun_tINSD_8identityEEEEENSD_19counting_iterator_tIlEES8_S8_S8_S8_S8_S8_S8_S8_EEEEPS9_S9_NSD_9__find_if7functorIS9_EEEE10hipError_tPvRmT1_T2_T3_mT4_P12ihipStream_tbEUlT_E0_NS1_11comp_targetILNS1_3genE2ELNS1_11target_archE906ELNS1_3gpuE6ELNS1_3repE0EEENS1_30default_config_static_selectorELNS0_4arch9wavefront6targetE1EEEvS14_.kd
    .uniform_work_group_size: 1
    .uses_dynamic_stack: false
    .vgpr_count:     15
    .vgpr_spill_count: 0
    .wavefront_size: 64
  - .args:
      - .offset:         0
        .size:           104
        .value_kind:     by_value
    .group_segment_fixed_size: 0
    .kernarg_segment_align: 8
    .kernarg_segment_size: 104
    .language:       OpenCL C
    .language_version:
      - 2
      - 0
    .max_flat_workgroup_size: 256
    .name:           _ZN7rocprim17ROCPRIM_400000_NS6detail17trampoline_kernelINS0_14default_configENS1_22reduce_config_selectorIN6thrust23THRUST_200600_302600_NS5tupleIblNS6_9null_typeES8_S8_S8_S8_S8_S8_S8_EEEEZNS1_11reduce_implILb1ES3_NS6_12zip_iteratorINS7_INS6_11hip_rocprim26transform_input_iterator_tIbNSD_35transform_pair_of_input_iterators_tIbNS6_6detail15normal_iteratorINS6_10device_ptrIKdEEEESL_NS6_8equal_toIdEEEENSG_9not_fun_tINSD_8identityEEEEENSD_19counting_iterator_tIlEES8_S8_S8_S8_S8_S8_S8_S8_EEEEPS9_S9_NSD_9__find_if7functorIS9_EEEE10hipError_tPvRmT1_T2_T3_mT4_P12ihipStream_tbEUlT_E0_NS1_11comp_targetILNS1_3genE10ELNS1_11target_archE1201ELNS1_3gpuE5ELNS1_3repE0EEENS1_30default_config_static_selectorELNS0_4arch9wavefront6targetE1EEEvS14_
    .private_segment_fixed_size: 0
    .sgpr_count:     4
    .sgpr_spill_count: 0
    .symbol:         _ZN7rocprim17ROCPRIM_400000_NS6detail17trampoline_kernelINS0_14default_configENS1_22reduce_config_selectorIN6thrust23THRUST_200600_302600_NS5tupleIblNS6_9null_typeES8_S8_S8_S8_S8_S8_S8_EEEEZNS1_11reduce_implILb1ES3_NS6_12zip_iteratorINS7_INS6_11hip_rocprim26transform_input_iterator_tIbNSD_35transform_pair_of_input_iterators_tIbNS6_6detail15normal_iteratorINS6_10device_ptrIKdEEEESL_NS6_8equal_toIdEEEENSG_9not_fun_tINSD_8identityEEEEENSD_19counting_iterator_tIlEES8_S8_S8_S8_S8_S8_S8_S8_EEEEPS9_S9_NSD_9__find_if7functorIS9_EEEE10hipError_tPvRmT1_T2_T3_mT4_P12ihipStream_tbEUlT_E0_NS1_11comp_targetILNS1_3genE10ELNS1_11target_archE1201ELNS1_3gpuE5ELNS1_3repE0EEENS1_30default_config_static_selectorELNS0_4arch9wavefront6targetE1EEEvS14_.kd
    .uniform_work_group_size: 1
    .uses_dynamic_stack: false
    .vgpr_count:     0
    .vgpr_spill_count: 0
    .wavefront_size: 64
  - .args:
      - .offset:         0
        .size:           104
        .value_kind:     by_value
    .group_segment_fixed_size: 0
    .kernarg_segment_align: 8
    .kernarg_segment_size: 104
    .language:       OpenCL C
    .language_version:
      - 2
      - 0
    .max_flat_workgroup_size: 256
    .name:           _ZN7rocprim17ROCPRIM_400000_NS6detail17trampoline_kernelINS0_14default_configENS1_22reduce_config_selectorIN6thrust23THRUST_200600_302600_NS5tupleIblNS6_9null_typeES8_S8_S8_S8_S8_S8_S8_EEEEZNS1_11reduce_implILb1ES3_NS6_12zip_iteratorINS7_INS6_11hip_rocprim26transform_input_iterator_tIbNSD_35transform_pair_of_input_iterators_tIbNS6_6detail15normal_iteratorINS6_10device_ptrIKdEEEESL_NS6_8equal_toIdEEEENSG_9not_fun_tINSD_8identityEEEEENSD_19counting_iterator_tIlEES8_S8_S8_S8_S8_S8_S8_S8_EEEEPS9_S9_NSD_9__find_if7functorIS9_EEEE10hipError_tPvRmT1_T2_T3_mT4_P12ihipStream_tbEUlT_E0_NS1_11comp_targetILNS1_3genE10ELNS1_11target_archE1200ELNS1_3gpuE4ELNS1_3repE0EEENS1_30default_config_static_selectorELNS0_4arch9wavefront6targetE1EEEvS14_
    .private_segment_fixed_size: 0
    .sgpr_count:     4
    .sgpr_spill_count: 0
    .symbol:         _ZN7rocprim17ROCPRIM_400000_NS6detail17trampoline_kernelINS0_14default_configENS1_22reduce_config_selectorIN6thrust23THRUST_200600_302600_NS5tupleIblNS6_9null_typeES8_S8_S8_S8_S8_S8_S8_EEEEZNS1_11reduce_implILb1ES3_NS6_12zip_iteratorINS7_INS6_11hip_rocprim26transform_input_iterator_tIbNSD_35transform_pair_of_input_iterators_tIbNS6_6detail15normal_iteratorINS6_10device_ptrIKdEEEESL_NS6_8equal_toIdEEEENSG_9not_fun_tINSD_8identityEEEEENSD_19counting_iterator_tIlEES8_S8_S8_S8_S8_S8_S8_S8_EEEEPS9_S9_NSD_9__find_if7functorIS9_EEEE10hipError_tPvRmT1_T2_T3_mT4_P12ihipStream_tbEUlT_E0_NS1_11comp_targetILNS1_3genE10ELNS1_11target_archE1200ELNS1_3gpuE4ELNS1_3repE0EEENS1_30default_config_static_selectorELNS0_4arch9wavefront6targetE1EEEvS14_.kd
    .uniform_work_group_size: 1
    .uses_dynamic_stack: false
    .vgpr_count:     0
    .vgpr_spill_count: 0
    .wavefront_size: 64
  - .args:
      - .offset:         0
        .size:           104
        .value_kind:     by_value
    .group_segment_fixed_size: 0
    .kernarg_segment_align: 8
    .kernarg_segment_size: 104
    .language:       OpenCL C
    .language_version:
      - 2
      - 0
    .max_flat_workgroup_size: 256
    .name:           _ZN7rocprim17ROCPRIM_400000_NS6detail17trampoline_kernelINS0_14default_configENS1_22reduce_config_selectorIN6thrust23THRUST_200600_302600_NS5tupleIblNS6_9null_typeES8_S8_S8_S8_S8_S8_S8_EEEEZNS1_11reduce_implILb1ES3_NS6_12zip_iteratorINS7_INS6_11hip_rocprim26transform_input_iterator_tIbNSD_35transform_pair_of_input_iterators_tIbNS6_6detail15normal_iteratorINS6_10device_ptrIKdEEEESL_NS6_8equal_toIdEEEENSG_9not_fun_tINSD_8identityEEEEENSD_19counting_iterator_tIlEES8_S8_S8_S8_S8_S8_S8_S8_EEEEPS9_S9_NSD_9__find_if7functorIS9_EEEE10hipError_tPvRmT1_T2_T3_mT4_P12ihipStream_tbEUlT_E0_NS1_11comp_targetILNS1_3genE9ELNS1_11target_archE1100ELNS1_3gpuE3ELNS1_3repE0EEENS1_30default_config_static_selectorELNS0_4arch9wavefront6targetE1EEEvS14_
    .private_segment_fixed_size: 0
    .sgpr_count:     4
    .sgpr_spill_count: 0
    .symbol:         _ZN7rocprim17ROCPRIM_400000_NS6detail17trampoline_kernelINS0_14default_configENS1_22reduce_config_selectorIN6thrust23THRUST_200600_302600_NS5tupleIblNS6_9null_typeES8_S8_S8_S8_S8_S8_S8_EEEEZNS1_11reduce_implILb1ES3_NS6_12zip_iteratorINS7_INS6_11hip_rocprim26transform_input_iterator_tIbNSD_35transform_pair_of_input_iterators_tIbNS6_6detail15normal_iteratorINS6_10device_ptrIKdEEEESL_NS6_8equal_toIdEEEENSG_9not_fun_tINSD_8identityEEEEENSD_19counting_iterator_tIlEES8_S8_S8_S8_S8_S8_S8_S8_EEEEPS9_S9_NSD_9__find_if7functorIS9_EEEE10hipError_tPvRmT1_T2_T3_mT4_P12ihipStream_tbEUlT_E0_NS1_11comp_targetILNS1_3genE9ELNS1_11target_archE1100ELNS1_3gpuE3ELNS1_3repE0EEENS1_30default_config_static_selectorELNS0_4arch9wavefront6targetE1EEEvS14_.kd
    .uniform_work_group_size: 1
    .uses_dynamic_stack: false
    .vgpr_count:     0
    .vgpr_spill_count: 0
    .wavefront_size: 64
  - .args:
      - .offset:         0
        .size:           104
        .value_kind:     by_value
    .group_segment_fixed_size: 0
    .kernarg_segment_align: 8
    .kernarg_segment_size: 104
    .language:       OpenCL C
    .language_version:
      - 2
      - 0
    .max_flat_workgroup_size: 256
    .name:           _ZN7rocprim17ROCPRIM_400000_NS6detail17trampoline_kernelINS0_14default_configENS1_22reduce_config_selectorIN6thrust23THRUST_200600_302600_NS5tupleIblNS6_9null_typeES8_S8_S8_S8_S8_S8_S8_EEEEZNS1_11reduce_implILb1ES3_NS6_12zip_iteratorINS7_INS6_11hip_rocprim26transform_input_iterator_tIbNSD_35transform_pair_of_input_iterators_tIbNS6_6detail15normal_iteratorINS6_10device_ptrIKdEEEESL_NS6_8equal_toIdEEEENSG_9not_fun_tINSD_8identityEEEEENSD_19counting_iterator_tIlEES8_S8_S8_S8_S8_S8_S8_S8_EEEEPS9_S9_NSD_9__find_if7functorIS9_EEEE10hipError_tPvRmT1_T2_T3_mT4_P12ihipStream_tbEUlT_E0_NS1_11comp_targetILNS1_3genE8ELNS1_11target_archE1030ELNS1_3gpuE2ELNS1_3repE0EEENS1_30default_config_static_selectorELNS0_4arch9wavefront6targetE1EEEvS14_
    .private_segment_fixed_size: 0
    .sgpr_count:     4
    .sgpr_spill_count: 0
    .symbol:         _ZN7rocprim17ROCPRIM_400000_NS6detail17trampoline_kernelINS0_14default_configENS1_22reduce_config_selectorIN6thrust23THRUST_200600_302600_NS5tupleIblNS6_9null_typeES8_S8_S8_S8_S8_S8_S8_EEEEZNS1_11reduce_implILb1ES3_NS6_12zip_iteratorINS7_INS6_11hip_rocprim26transform_input_iterator_tIbNSD_35transform_pair_of_input_iterators_tIbNS6_6detail15normal_iteratorINS6_10device_ptrIKdEEEESL_NS6_8equal_toIdEEEENSG_9not_fun_tINSD_8identityEEEEENSD_19counting_iterator_tIlEES8_S8_S8_S8_S8_S8_S8_S8_EEEEPS9_S9_NSD_9__find_if7functorIS9_EEEE10hipError_tPvRmT1_T2_T3_mT4_P12ihipStream_tbEUlT_E0_NS1_11comp_targetILNS1_3genE8ELNS1_11target_archE1030ELNS1_3gpuE2ELNS1_3repE0EEENS1_30default_config_static_selectorELNS0_4arch9wavefront6targetE1EEEvS14_.kd
    .uniform_work_group_size: 1
    .uses_dynamic_stack: false
    .vgpr_count:     0
    .vgpr_spill_count: 0
    .wavefront_size: 64
  - .args:
      - .offset:         0
        .size:           88
        .value_kind:     by_value
    .group_segment_fixed_size: 0
    .kernarg_segment_align: 8
    .kernarg_segment_size: 88
    .language:       OpenCL C
    .language_version:
      - 2
      - 0
    .max_flat_workgroup_size: 128
    .name:           _ZN7rocprim17ROCPRIM_400000_NS6detail17trampoline_kernelINS0_14default_configENS1_22reduce_config_selectorIN6thrust23THRUST_200600_302600_NS5tupleIblNS6_9null_typeES8_S8_S8_S8_S8_S8_S8_EEEEZNS1_11reduce_implILb1ES3_NS6_12zip_iteratorINS7_INS6_11hip_rocprim26transform_input_iterator_tIbNSD_35transform_pair_of_input_iterators_tIbNS6_6detail15normal_iteratorINS6_10device_ptrIKdEEEESL_NS6_8equal_toIdEEEENSG_9not_fun_tINSD_8identityEEEEENSD_19counting_iterator_tIlEES8_S8_S8_S8_S8_S8_S8_S8_EEEEPS9_S9_NSD_9__find_if7functorIS9_EEEE10hipError_tPvRmT1_T2_T3_mT4_P12ihipStream_tbEUlT_E1_NS1_11comp_targetILNS1_3genE0ELNS1_11target_archE4294967295ELNS1_3gpuE0ELNS1_3repE0EEENS1_30default_config_static_selectorELNS0_4arch9wavefront6targetE1EEEvS14_
    .private_segment_fixed_size: 0
    .sgpr_count:     4
    .sgpr_spill_count: 0
    .symbol:         _ZN7rocprim17ROCPRIM_400000_NS6detail17trampoline_kernelINS0_14default_configENS1_22reduce_config_selectorIN6thrust23THRUST_200600_302600_NS5tupleIblNS6_9null_typeES8_S8_S8_S8_S8_S8_S8_EEEEZNS1_11reduce_implILb1ES3_NS6_12zip_iteratorINS7_INS6_11hip_rocprim26transform_input_iterator_tIbNSD_35transform_pair_of_input_iterators_tIbNS6_6detail15normal_iteratorINS6_10device_ptrIKdEEEESL_NS6_8equal_toIdEEEENSG_9not_fun_tINSD_8identityEEEEENSD_19counting_iterator_tIlEES8_S8_S8_S8_S8_S8_S8_S8_EEEEPS9_S9_NSD_9__find_if7functorIS9_EEEE10hipError_tPvRmT1_T2_T3_mT4_P12ihipStream_tbEUlT_E1_NS1_11comp_targetILNS1_3genE0ELNS1_11target_archE4294967295ELNS1_3gpuE0ELNS1_3repE0EEENS1_30default_config_static_selectorELNS0_4arch9wavefront6targetE1EEEvS14_.kd
    .uniform_work_group_size: 1
    .uses_dynamic_stack: false
    .vgpr_count:     0
    .vgpr_spill_count: 0
    .wavefront_size: 64
  - .args:
      - .offset:         0
        .size:           88
        .value_kind:     by_value
    .group_segment_fixed_size: 0
    .kernarg_segment_align: 8
    .kernarg_segment_size: 88
    .language:       OpenCL C
    .language_version:
      - 2
      - 0
    .max_flat_workgroup_size: 256
    .name:           _ZN7rocprim17ROCPRIM_400000_NS6detail17trampoline_kernelINS0_14default_configENS1_22reduce_config_selectorIN6thrust23THRUST_200600_302600_NS5tupleIblNS6_9null_typeES8_S8_S8_S8_S8_S8_S8_EEEEZNS1_11reduce_implILb1ES3_NS6_12zip_iteratorINS7_INS6_11hip_rocprim26transform_input_iterator_tIbNSD_35transform_pair_of_input_iterators_tIbNS6_6detail15normal_iteratorINS6_10device_ptrIKdEEEESL_NS6_8equal_toIdEEEENSG_9not_fun_tINSD_8identityEEEEENSD_19counting_iterator_tIlEES8_S8_S8_S8_S8_S8_S8_S8_EEEEPS9_S9_NSD_9__find_if7functorIS9_EEEE10hipError_tPvRmT1_T2_T3_mT4_P12ihipStream_tbEUlT_E1_NS1_11comp_targetILNS1_3genE5ELNS1_11target_archE942ELNS1_3gpuE9ELNS1_3repE0EEENS1_30default_config_static_selectorELNS0_4arch9wavefront6targetE1EEEvS14_
    .private_segment_fixed_size: 0
    .sgpr_count:     4
    .sgpr_spill_count: 0
    .symbol:         _ZN7rocprim17ROCPRIM_400000_NS6detail17trampoline_kernelINS0_14default_configENS1_22reduce_config_selectorIN6thrust23THRUST_200600_302600_NS5tupleIblNS6_9null_typeES8_S8_S8_S8_S8_S8_S8_EEEEZNS1_11reduce_implILb1ES3_NS6_12zip_iteratorINS7_INS6_11hip_rocprim26transform_input_iterator_tIbNSD_35transform_pair_of_input_iterators_tIbNS6_6detail15normal_iteratorINS6_10device_ptrIKdEEEESL_NS6_8equal_toIdEEEENSG_9not_fun_tINSD_8identityEEEEENSD_19counting_iterator_tIlEES8_S8_S8_S8_S8_S8_S8_S8_EEEEPS9_S9_NSD_9__find_if7functorIS9_EEEE10hipError_tPvRmT1_T2_T3_mT4_P12ihipStream_tbEUlT_E1_NS1_11comp_targetILNS1_3genE5ELNS1_11target_archE942ELNS1_3gpuE9ELNS1_3repE0EEENS1_30default_config_static_selectorELNS0_4arch9wavefront6targetE1EEEvS14_.kd
    .uniform_work_group_size: 1
    .uses_dynamic_stack: false
    .vgpr_count:     0
    .vgpr_spill_count: 0
    .wavefront_size: 64
  - .args:
      - .offset:         0
        .size:           88
        .value_kind:     by_value
    .group_segment_fixed_size: 0
    .kernarg_segment_align: 8
    .kernarg_segment_size: 88
    .language:       OpenCL C
    .language_version:
      - 2
      - 0
    .max_flat_workgroup_size: 256
    .name:           _ZN7rocprim17ROCPRIM_400000_NS6detail17trampoline_kernelINS0_14default_configENS1_22reduce_config_selectorIN6thrust23THRUST_200600_302600_NS5tupleIblNS6_9null_typeES8_S8_S8_S8_S8_S8_S8_EEEEZNS1_11reduce_implILb1ES3_NS6_12zip_iteratorINS7_INS6_11hip_rocprim26transform_input_iterator_tIbNSD_35transform_pair_of_input_iterators_tIbNS6_6detail15normal_iteratorINS6_10device_ptrIKdEEEESL_NS6_8equal_toIdEEEENSG_9not_fun_tINSD_8identityEEEEENSD_19counting_iterator_tIlEES8_S8_S8_S8_S8_S8_S8_S8_EEEEPS9_S9_NSD_9__find_if7functorIS9_EEEE10hipError_tPvRmT1_T2_T3_mT4_P12ihipStream_tbEUlT_E1_NS1_11comp_targetILNS1_3genE4ELNS1_11target_archE910ELNS1_3gpuE8ELNS1_3repE0EEENS1_30default_config_static_selectorELNS0_4arch9wavefront6targetE1EEEvS14_
    .private_segment_fixed_size: 0
    .sgpr_count:     4
    .sgpr_spill_count: 0
    .symbol:         _ZN7rocprim17ROCPRIM_400000_NS6detail17trampoline_kernelINS0_14default_configENS1_22reduce_config_selectorIN6thrust23THRUST_200600_302600_NS5tupleIblNS6_9null_typeES8_S8_S8_S8_S8_S8_S8_EEEEZNS1_11reduce_implILb1ES3_NS6_12zip_iteratorINS7_INS6_11hip_rocprim26transform_input_iterator_tIbNSD_35transform_pair_of_input_iterators_tIbNS6_6detail15normal_iteratorINS6_10device_ptrIKdEEEESL_NS6_8equal_toIdEEEENSG_9not_fun_tINSD_8identityEEEEENSD_19counting_iterator_tIlEES8_S8_S8_S8_S8_S8_S8_S8_EEEEPS9_S9_NSD_9__find_if7functorIS9_EEEE10hipError_tPvRmT1_T2_T3_mT4_P12ihipStream_tbEUlT_E1_NS1_11comp_targetILNS1_3genE4ELNS1_11target_archE910ELNS1_3gpuE8ELNS1_3repE0EEENS1_30default_config_static_selectorELNS0_4arch9wavefront6targetE1EEEvS14_.kd
    .uniform_work_group_size: 1
    .uses_dynamic_stack: false
    .vgpr_count:     0
    .vgpr_spill_count: 0
    .wavefront_size: 64
  - .args:
      - .offset:         0
        .size:           88
        .value_kind:     by_value
    .group_segment_fixed_size: 0
    .kernarg_segment_align: 8
    .kernarg_segment_size: 88
    .language:       OpenCL C
    .language_version:
      - 2
      - 0
    .max_flat_workgroup_size: 128
    .name:           _ZN7rocprim17ROCPRIM_400000_NS6detail17trampoline_kernelINS0_14default_configENS1_22reduce_config_selectorIN6thrust23THRUST_200600_302600_NS5tupleIblNS6_9null_typeES8_S8_S8_S8_S8_S8_S8_EEEEZNS1_11reduce_implILb1ES3_NS6_12zip_iteratorINS7_INS6_11hip_rocprim26transform_input_iterator_tIbNSD_35transform_pair_of_input_iterators_tIbNS6_6detail15normal_iteratorINS6_10device_ptrIKdEEEESL_NS6_8equal_toIdEEEENSG_9not_fun_tINSD_8identityEEEEENSD_19counting_iterator_tIlEES8_S8_S8_S8_S8_S8_S8_S8_EEEEPS9_S9_NSD_9__find_if7functorIS9_EEEE10hipError_tPvRmT1_T2_T3_mT4_P12ihipStream_tbEUlT_E1_NS1_11comp_targetILNS1_3genE3ELNS1_11target_archE908ELNS1_3gpuE7ELNS1_3repE0EEENS1_30default_config_static_selectorELNS0_4arch9wavefront6targetE1EEEvS14_
    .private_segment_fixed_size: 0
    .sgpr_count:     4
    .sgpr_spill_count: 0
    .symbol:         _ZN7rocprim17ROCPRIM_400000_NS6detail17trampoline_kernelINS0_14default_configENS1_22reduce_config_selectorIN6thrust23THRUST_200600_302600_NS5tupleIblNS6_9null_typeES8_S8_S8_S8_S8_S8_S8_EEEEZNS1_11reduce_implILb1ES3_NS6_12zip_iteratorINS7_INS6_11hip_rocprim26transform_input_iterator_tIbNSD_35transform_pair_of_input_iterators_tIbNS6_6detail15normal_iteratorINS6_10device_ptrIKdEEEESL_NS6_8equal_toIdEEEENSG_9not_fun_tINSD_8identityEEEEENSD_19counting_iterator_tIlEES8_S8_S8_S8_S8_S8_S8_S8_EEEEPS9_S9_NSD_9__find_if7functorIS9_EEEE10hipError_tPvRmT1_T2_T3_mT4_P12ihipStream_tbEUlT_E1_NS1_11comp_targetILNS1_3genE3ELNS1_11target_archE908ELNS1_3gpuE7ELNS1_3repE0EEENS1_30default_config_static_selectorELNS0_4arch9wavefront6targetE1EEEvS14_.kd
    .uniform_work_group_size: 1
    .uses_dynamic_stack: false
    .vgpr_count:     0
    .vgpr_spill_count: 0
    .wavefront_size: 64
  - .args:
      - .offset:         0
        .size:           88
        .value_kind:     by_value
    .group_segment_fixed_size: 160
    .kernarg_segment_align: 8
    .kernarg_segment_size: 88
    .language:       OpenCL C
    .language_version:
      - 2
      - 0
    .max_flat_workgroup_size: 128
    .name:           _ZN7rocprim17ROCPRIM_400000_NS6detail17trampoline_kernelINS0_14default_configENS1_22reduce_config_selectorIN6thrust23THRUST_200600_302600_NS5tupleIblNS6_9null_typeES8_S8_S8_S8_S8_S8_S8_EEEEZNS1_11reduce_implILb1ES3_NS6_12zip_iteratorINS7_INS6_11hip_rocprim26transform_input_iterator_tIbNSD_35transform_pair_of_input_iterators_tIbNS6_6detail15normal_iteratorINS6_10device_ptrIKdEEEESL_NS6_8equal_toIdEEEENSG_9not_fun_tINSD_8identityEEEEENSD_19counting_iterator_tIlEES8_S8_S8_S8_S8_S8_S8_S8_EEEEPS9_S9_NSD_9__find_if7functorIS9_EEEE10hipError_tPvRmT1_T2_T3_mT4_P12ihipStream_tbEUlT_E1_NS1_11comp_targetILNS1_3genE2ELNS1_11target_archE906ELNS1_3gpuE6ELNS1_3repE0EEENS1_30default_config_static_selectorELNS0_4arch9wavefront6targetE1EEEvS14_
    .private_segment_fixed_size: 0
    .sgpr_count:     46
    .sgpr_spill_count: 0
    .symbol:         _ZN7rocprim17ROCPRIM_400000_NS6detail17trampoline_kernelINS0_14default_configENS1_22reduce_config_selectorIN6thrust23THRUST_200600_302600_NS5tupleIblNS6_9null_typeES8_S8_S8_S8_S8_S8_S8_EEEEZNS1_11reduce_implILb1ES3_NS6_12zip_iteratorINS7_INS6_11hip_rocprim26transform_input_iterator_tIbNSD_35transform_pair_of_input_iterators_tIbNS6_6detail15normal_iteratorINS6_10device_ptrIKdEEEESL_NS6_8equal_toIdEEEENSG_9not_fun_tINSD_8identityEEEEENSD_19counting_iterator_tIlEES8_S8_S8_S8_S8_S8_S8_S8_EEEEPS9_S9_NSD_9__find_if7functorIS9_EEEE10hipError_tPvRmT1_T2_T3_mT4_P12ihipStream_tbEUlT_E1_NS1_11comp_targetILNS1_3genE2ELNS1_11target_archE906ELNS1_3gpuE6ELNS1_3repE0EEENS1_30default_config_static_selectorELNS0_4arch9wavefront6targetE1EEEvS14_.kd
    .uniform_work_group_size: 1
    .uses_dynamic_stack: false
    .vgpr_count:     28
    .vgpr_spill_count: 0
    .wavefront_size: 64
  - .args:
      - .offset:         0
        .size:           88
        .value_kind:     by_value
    .group_segment_fixed_size: 0
    .kernarg_segment_align: 8
    .kernarg_segment_size: 88
    .language:       OpenCL C
    .language_version:
      - 2
      - 0
    .max_flat_workgroup_size: 256
    .name:           _ZN7rocprim17ROCPRIM_400000_NS6detail17trampoline_kernelINS0_14default_configENS1_22reduce_config_selectorIN6thrust23THRUST_200600_302600_NS5tupleIblNS6_9null_typeES8_S8_S8_S8_S8_S8_S8_EEEEZNS1_11reduce_implILb1ES3_NS6_12zip_iteratorINS7_INS6_11hip_rocprim26transform_input_iterator_tIbNSD_35transform_pair_of_input_iterators_tIbNS6_6detail15normal_iteratorINS6_10device_ptrIKdEEEESL_NS6_8equal_toIdEEEENSG_9not_fun_tINSD_8identityEEEEENSD_19counting_iterator_tIlEES8_S8_S8_S8_S8_S8_S8_S8_EEEEPS9_S9_NSD_9__find_if7functorIS9_EEEE10hipError_tPvRmT1_T2_T3_mT4_P12ihipStream_tbEUlT_E1_NS1_11comp_targetILNS1_3genE10ELNS1_11target_archE1201ELNS1_3gpuE5ELNS1_3repE0EEENS1_30default_config_static_selectorELNS0_4arch9wavefront6targetE1EEEvS14_
    .private_segment_fixed_size: 0
    .sgpr_count:     4
    .sgpr_spill_count: 0
    .symbol:         _ZN7rocprim17ROCPRIM_400000_NS6detail17trampoline_kernelINS0_14default_configENS1_22reduce_config_selectorIN6thrust23THRUST_200600_302600_NS5tupleIblNS6_9null_typeES8_S8_S8_S8_S8_S8_S8_EEEEZNS1_11reduce_implILb1ES3_NS6_12zip_iteratorINS7_INS6_11hip_rocprim26transform_input_iterator_tIbNSD_35transform_pair_of_input_iterators_tIbNS6_6detail15normal_iteratorINS6_10device_ptrIKdEEEESL_NS6_8equal_toIdEEEENSG_9not_fun_tINSD_8identityEEEEENSD_19counting_iterator_tIlEES8_S8_S8_S8_S8_S8_S8_S8_EEEEPS9_S9_NSD_9__find_if7functorIS9_EEEE10hipError_tPvRmT1_T2_T3_mT4_P12ihipStream_tbEUlT_E1_NS1_11comp_targetILNS1_3genE10ELNS1_11target_archE1201ELNS1_3gpuE5ELNS1_3repE0EEENS1_30default_config_static_selectorELNS0_4arch9wavefront6targetE1EEEvS14_.kd
    .uniform_work_group_size: 1
    .uses_dynamic_stack: false
    .vgpr_count:     0
    .vgpr_spill_count: 0
    .wavefront_size: 64
  - .args:
      - .offset:         0
        .size:           88
        .value_kind:     by_value
    .group_segment_fixed_size: 0
    .kernarg_segment_align: 8
    .kernarg_segment_size: 88
    .language:       OpenCL C
    .language_version:
      - 2
      - 0
    .max_flat_workgroup_size: 256
    .name:           _ZN7rocprim17ROCPRIM_400000_NS6detail17trampoline_kernelINS0_14default_configENS1_22reduce_config_selectorIN6thrust23THRUST_200600_302600_NS5tupleIblNS6_9null_typeES8_S8_S8_S8_S8_S8_S8_EEEEZNS1_11reduce_implILb1ES3_NS6_12zip_iteratorINS7_INS6_11hip_rocprim26transform_input_iterator_tIbNSD_35transform_pair_of_input_iterators_tIbNS6_6detail15normal_iteratorINS6_10device_ptrIKdEEEESL_NS6_8equal_toIdEEEENSG_9not_fun_tINSD_8identityEEEEENSD_19counting_iterator_tIlEES8_S8_S8_S8_S8_S8_S8_S8_EEEEPS9_S9_NSD_9__find_if7functorIS9_EEEE10hipError_tPvRmT1_T2_T3_mT4_P12ihipStream_tbEUlT_E1_NS1_11comp_targetILNS1_3genE10ELNS1_11target_archE1200ELNS1_3gpuE4ELNS1_3repE0EEENS1_30default_config_static_selectorELNS0_4arch9wavefront6targetE1EEEvS14_
    .private_segment_fixed_size: 0
    .sgpr_count:     4
    .sgpr_spill_count: 0
    .symbol:         _ZN7rocprim17ROCPRIM_400000_NS6detail17trampoline_kernelINS0_14default_configENS1_22reduce_config_selectorIN6thrust23THRUST_200600_302600_NS5tupleIblNS6_9null_typeES8_S8_S8_S8_S8_S8_S8_EEEEZNS1_11reduce_implILb1ES3_NS6_12zip_iteratorINS7_INS6_11hip_rocprim26transform_input_iterator_tIbNSD_35transform_pair_of_input_iterators_tIbNS6_6detail15normal_iteratorINS6_10device_ptrIKdEEEESL_NS6_8equal_toIdEEEENSG_9not_fun_tINSD_8identityEEEEENSD_19counting_iterator_tIlEES8_S8_S8_S8_S8_S8_S8_S8_EEEEPS9_S9_NSD_9__find_if7functorIS9_EEEE10hipError_tPvRmT1_T2_T3_mT4_P12ihipStream_tbEUlT_E1_NS1_11comp_targetILNS1_3genE10ELNS1_11target_archE1200ELNS1_3gpuE4ELNS1_3repE0EEENS1_30default_config_static_selectorELNS0_4arch9wavefront6targetE1EEEvS14_.kd
    .uniform_work_group_size: 1
    .uses_dynamic_stack: false
    .vgpr_count:     0
    .vgpr_spill_count: 0
    .wavefront_size: 64
  - .args:
      - .offset:         0
        .size:           88
        .value_kind:     by_value
    .group_segment_fixed_size: 0
    .kernarg_segment_align: 8
    .kernarg_segment_size: 88
    .language:       OpenCL C
    .language_version:
      - 2
      - 0
    .max_flat_workgroup_size: 256
    .name:           _ZN7rocprim17ROCPRIM_400000_NS6detail17trampoline_kernelINS0_14default_configENS1_22reduce_config_selectorIN6thrust23THRUST_200600_302600_NS5tupleIblNS6_9null_typeES8_S8_S8_S8_S8_S8_S8_EEEEZNS1_11reduce_implILb1ES3_NS6_12zip_iteratorINS7_INS6_11hip_rocprim26transform_input_iterator_tIbNSD_35transform_pair_of_input_iterators_tIbNS6_6detail15normal_iteratorINS6_10device_ptrIKdEEEESL_NS6_8equal_toIdEEEENSG_9not_fun_tINSD_8identityEEEEENSD_19counting_iterator_tIlEES8_S8_S8_S8_S8_S8_S8_S8_EEEEPS9_S9_NSD_9__find_if7functorIS9_EEEE10hipError_tPvRmT1_T2_T3_mT4_P12ihipStream_tbEUlT_E1_NS1_11comp_targetILNS1_3genE9ELNS1_11target_archE1100ELNS1_3gpuE3ELNS1_3repE0EEENS1_30default_config_static_selectorELNS0_4arch9wavefront6targetE1EEEvS14_
    .private_segment_fixed_size: 0
    .sgpr_count:     4
    .sgpr_spill_count: 0
    .symbol:         _ZN7rocprim17ROCPRIM_400000_NS6detail17trampoline_kernelINS0_14default_configENS1_22reduce_config_selectorIN6thrust23THRUST_200600_302600_NS5tupleIblNS6_9null_typeES8_S8_S8_S8_S8_S8_S8_EEEEZNS1_11reduce_implILb1ES3_NS6_12zip_iteratorINS7_INS6_11hip_rocprim26transform_input_iterator_tIbNSD_35transform_pair_of_input_iterators_tIbNS6_6detail15normal_iteratorINS6_10device_ptrIKdEEEESL_NS6_8equal_toIdEEEENSG_9not_fun_tINSD_8identityEEEEENSD_19counting_iterator_tIlEES8_S8_S8_S8_S8_S8_S8_S8_EEEEPS9_S9_NSD_9__find_if7functorIS9_EEEE10hipError_tPvRmT1_T2_T3_mT4_P12ihipStream_tbEUlT_E1_NS1_11comp_targetILNS1_3genE9ELNS1_11target_archE1100ELNS1_3gpuE3ELNS1_3repE0EEENS1_30default_config_static_selectorELNS0_4arch9wavefront6targetE1EEEvS14_.kd
    .uniform_work_group_size: 1
    .uses_dynamic_stack: false
    .vgpr_count:     0
    .vgpr_spill_count: 0
    .wavefront_size: 64
  - .args:
      - .offset:         0
        .size:           88
        .value_kind:     by_value
    .group_segment_fixed_size: 0
    .kernarg_segment_align: 8
    .kernarg_segment_size: 88
    .language:       OpenCL C
    .language_version:
      - 2
      - 0
    .max_flat_workgroup_size: 256
    .name:           _ZN7rocprim17ROCPRIM_400000_NS6detail17trampoline_kernelINS0_14default_configENS1_22reduce_config_selectorIN6thrust23THRUST_200600_302600_NS5tupleIblNS6_9null_typeES8_S8_S8_S8_S8_S8_S8_EEEEZNS1_11reduce_implILb1ES3_NS6_12zip_iteratorINS7_INS6_11hip_rocprim26transform_input_iterator_tIbNSD_35transform_pair_of_input_iterators_tIbNS6_6detail15normal_iteratorINS6_10device_ptrIKdEEEESL_NS6_8equal_toIdEEEENSG_9not_fun_tINSD_8identityEEEEENSD_19counting_iterator_tIlEES8_S8_S8_S8_S8_S8_S8_S8_EEEEPS9_S9_NSD_9__find_if7functorIS9_EEEE10hipError_tPvRmT1_T2_T3_mT4_P12ihipStream_tbEUlT_E1_NS1_11comp_targetILNS1_3genE8ELNS1_11target_archE1030ELNS1_3gpuE2ELNS1_3repE0EEENS1_30default_config_static_selectorELNS0_4arch9wavefront6targetE1EEEvS14_
    .private_segment_fixed_size: 0
    .sgpr_count:     4
    .sgpr_spill_count: 0
    .symbol:         _ZN7rocprim17ROCPRIM_400000_NS6detail17trampoline_kernelINS0_14default_configENS1_22reduce_config_selectorIN6thrust23THRUST_200600_302600_NS5tupleIblNS6_9null_typeES8_S8_S8_S8_S8_S8_S8_EEEEZNS1_11reduce_implILb1ES3_NS6_12zip_iteratorINS7_INS6_11hip_rocprim26transform_input_iterator_tIbNSD_35transform_pair_of_input_iterators_tIbNS6_6detail15normal_iteratorINS6_10device_ptrIKdEEEESL_NS6_8equal_toIdEEEENSG_9not_fun_tINSD_8identityEEEEENSD_19counting_iterator_tIlEES8_S8_S8_S8_S8_S8_S8_S8_EEEEPS9_S9_NSD_9__find_if7functorIS9_EEEE10hipError_tPvRmT1_T2_T3_mT4_P12ihipStream_tbEUlT_E1_NS1_11comp_targetILNS1_3genE8ELNS1_11target_archE1030ELNS1_3gpuE2ELNS1_3repE0EEENS1_30default_config_static_selectorELNS0_4arch9wavefront6targetE1EEEvS14_.kd
    .uniform_work_group_size: 1
    .uses_dynamic_stack: false
    .vgpr_count:     0
    .vgpr_spill_count: 0
    .wavefront_size: 64
  - .args:
      - .offset:         0
        .size:           16
        .value_kind:     by_value
      - .offset:         16
        .size:           8
        .value_kind:     by_value
      - .offset:         24
        .size:           8
        .value_kind:     by_value
    .group_segment_fixed_size: 0
    .kernarg_segment_align: 8
    .kernarg_segment_size: 32
    .language:       OpenCL C
    .language_version:
      - 2
      - 0
    .max_flat_workgroup_size: 256
    .name:           _ZN6thrust23THRUST_200600_302600_NS11hip_rocprim14__parallel_for6kernelILj256ENS1_10for_each_fINS0_7pointerINS0_5tupleIblNS0_9null_typeES7_S7_S7_S7_S7_S7_S7_EENS1_3tagENS0_11use_defaultESA_EENS0_6detail16wrapped_functionINSC_23allocator_traits_detail24construct1_via_allocatorINSC_18no_throw_allocatorINSC_19temporary_allocatorIS8_S9_EEEEEEvEEEEmLj1EEEvT0_T1_SO_
    .private_segment_fixed_size: 0
    .sgpr_count:     16
    .sgpr_spill_count: 0
    .symbol:         _ZN6thrust23THRUST_200600_302600_NS11hip_rocprim14__parallel_for6kernelILj256ENS1_10for_each_fINS0_7pointerINS0_5tupleIblNS0_9null_typeES7_S7_S7_S7_S7_S7_S7_EENS1_3tagENS0_11use_defaultESA_EENS0_6detail16wrapped_functionINSC_23allocator_traits_detail24construct1_via_allocatorINSC_18no_throw_allocatorINSC_19temporary_allocatorIS8_S9_EEEEEEvEEEEmLj1EEEvT0_T1_SO_.kd
    .uniform_work_group_size: 1
    .uses_dynamic_stack: false
    .vgpr_count:     5
    .vgpr_spill_count: 0
    .wavefront_size: 64
  - .args:
      - .offset:         0
        .size:           16
        .value_kind:     by_value
      - .offset:         16
        .size:           8
        .value_kind:     by_value
      - .offset:         24
        .size:           8
        .value_kind:     by_value
    .group_segment_fixed_size: 0
    .kernarg_segment_align: 8
    .kernarg_segment_size: 32
    .language:       OpenCL C
    .language_version:
      - 2
      - 0
    .max_flat_workgroup_size: 256
    .name:           _ZN6thrust23THRUST_200600_302600_NS11hip_rocprim14__parallel_for6kernelILj256ENS1_10for_each_fINS0_7pointerINS0_5tupleIblNS0_9null_typeES7_S7_S7_S7_S7_S7_S7_EENS1_3tagENS0_11use_defaultESA_EENS0_6detail16wrapped_functionINSC_23allocator_traits_detail5gozerEvEEEElLj1EEEvT0_T1_SJ_
    .private_segment_fixed_size: 0
    .sgpr_count:     4
    .sgpr_spill_count: 0
    .symbol:         _ZN6thrust23THRUST_200600_302600_NS11hip_rocprim14__parallel_for6kernelILj256ENS1_10for_each_fINS0_7pointerINS0_5tupleIblNS0_9null_typeES7_S7_S7_S7_S7_S7_S7_EENS1_3tagENS0_11use_defaultESA_EENS0_6detail16wrapped_functionINSC_23allocator_traits_detail5gozerEvEEEElLj1EEEvT0_T1_SJ_.kd
    .uniform_work_group_size: 1
    .uses_dynamic_stack: false
    .vgpr_count:     0
    .vgpr_spill_count: 0
    .wavefront_size: 64
  - .args:
      - .offset:         0
        .size:           16
        .value_kind:     by_value
      - .offset:         16
        .size:           8
        .value_kind:     by_value
      - .offset:         24
        .size:           8
        .value_kind:     by_value
    .group_segment_fixed_size: 0
    .kernarg_segment_align: 8
    .kernarg_segment_size: 32
    .language:       OpenCL C
    .language_version:
      - 2
      - 0
    .max_flat_workgroup_size: 256
    .name:           _ZN6thrust23THRUST_200600_302600_NS11hip_rocprim14__parallel_for6kernelILj256ENS1_20__uninitialized_copy7functorIPNS0_5tupleIblNS0_9null_typeES7_S7_S7_S7_S7_S7_S7_EENS0_7pointerIS8_NS1_3tagENS0_11use_defaultESC_EEEEmLj1EEEvT0_T1_SG_
    .private_segment_fixed_size: 0
    .sgpr_count:     20
    .sgpr_spill_count: 0
    .symbol:         _ZN6thrust23THRUST_200600_302600_NS11hip_rocprim14__parallel_for6kernelILj256ENS1_20__uninitialized_copy7functorIPNS0_5tupleIblNS0_9null_typeES7_S7_S7_S7_S7_S7_S7_EENS0_7pointerIS8_NS1_3tagENS0_11use_defaultESC_EEEEmLj1EEEvT0_T1_SG_.kd
    .uniform_work_group_size: 1
    .uses_dynamic_stack: false
    .vgpr_count:     7
    .vgpr_spill_count: 0
    .wavefront_size: 64
  - .args:
      - .offset:         0
        .size:           104
        .value_kind:     by_value
    .group_segment_fixed_size: 0
    .kernarg_segment_align: 8
    .kernarg_segment_size: 104
    .language:       OpenCL C
    .language_version:
      - 2
      - 0
    .max_flat_workgroup_size: 128
    .name:           _ZN7rocprim17ROCPRIM_400000_NS6detail17trampoline_kernelINS0_14default_configENS1_22reduce_config_selectorIN6thrust23THRUST_200600_302600_NS5tupleIblNS6_9null_typeES8_S8_S8_S8_S8_S8_S8_EEEEZNS1_11reduce_implILb1ES3_NS6_12zip_iteratorINS7_INS6_11hip_rocprim26transform_input_iterator_tIbNSD_35transform_pair_of_input_iterators_tIbNS6_6detail15normal_iteratorINS6_10device_ptrIKfEEEESL_NS6_8equal_toIfEEEENSG_9not_fun_tINSD_8identityEEEEENSD_19counting_iterator_tIlEES8_S8_S8_S8_S8_S8_S8_S8_EEEEPS9_S9_NSD_9__find_if7functorIS9_EEEE10hipError_tPvRmT1_T2_T3_mT4_P12ihipStream_tbEUlT_E0_NS1_11comp_targetILNS1_3genE0ELNS1_11target_archE4294967295ELNS1_3gpuE0ELNS1_3repE0EEENS1_30default_config_static_selectorELNS0_4arch9wavefront6targetE1EEEvS14_
    .private_segment_fixed_size: 0
    .sgpr_count:     4
    .sgpr_spill_count: 0
    .symbol:         _ZN7rocprim17ROCPRIM_400000_NS6detail17trampoline_kernelINS0_14default_configENS1_22reduce_config_selectorIN6thrust23THRUST_200600_302600_NS5tupleIblNS6_9null_typeES8_S8_S8_S8_S8_S8_S8_EEEEZNS1_11reduce_implILb1ES3_NS6_12zip_iteratorINS7_INS6_11hip_rocprim26transform_input_iterator_tIbNSD_35transform_pair_of_input_iterators_tIbNS6_6detail15normal_iteratorINS6_10device_ptrIKfEEEESL_NS6_8equal_toIfEEEENSG_9not_fun_tINSD_8identityEEEEENSD_19counting_iterator_tIlEES8_S8_S8_S8_S8_S8_S8_S8_EEEEPS9_S9_NSD_9__find_if7functorIS9_EEEE10hipError_tPvRmT1_T2_T3_mT4_P12ihipStream_tbEUlT_E0_NS1_11comp_targetILNS1_3genE0ELNS1_11target_archE4294967295ELNS1_3gpuE0ELNS1_3repE0EEENS1_30default_config_static_selectorELNS0_4arch9wavefront6targetE1EEEvS14_.kd
    .uniform_work_group_size: 1
    .uses_dynamic_stack: false
    .vgpr_count:     0
    .vgpr_spill_count: 0
    .wavefront_size: 64
  - .args:
      - .offset:         0
        .size:           104
        .value_kind:     by_value
    .group_segment_fixed_size: 0
    .kernarg_segment_align: 8
    .kernarg_segment_size: 104
    .language:       OpenCL C
    .language_version:
      - 2
      - 0
    .max_flat_workgroup_size: 256
    .name:           _ZN7rocprim17ROCPRIM_400000_NS6detail17trampoline_kernelINS0_14default_configENS1_22reduce_config_selectorIN6thrust23THRUST_200600_302600_NS5tupleIblNS6_9null_typeES8_S8_S8_S8_S8_S8_S8_EEEEZNS1_11reduce_implILb1ES3_NS6_12zip_iteratorINS7_INS6_11hip_rocprim26transform_input_iterator_tIbNSD_35transform_pair_of_input_iterators_tIbNS6_6detail15normal_iteratorINS6_10device_ptrIKfEEEESL_NS6_8equal_toIfEEEENSG_9not_fun_tINSD_8identityEEEEENSD_19counting_iterator_tIlEES8_S8_S8_S8_S8_S8_S8_S8_EEEEPS9_S9_NSD_9__find_if7functorIS9_EEEE10hipError_tPvRmT1_T2_T3_mT4_P12ihipStream_tbEUlT_E0_NS1_11comp_targetILNS1_3genE5ELNS1_11target_archE942ELNS1_3gpuE9ELNS1_3repE0EEENS1_30default_config_static_selectorELNS0_4arch9wavefront6targetE1EEEvS14_
    .private_segment_fixed_size: 0
    .sgpr_count:     4
    .sgpr_spill_count: 0
    .symbol:         _ZN7rocprim17ROCPRIM_400000_NS6detail17trampoline_kernelINS0_14default_configENS1_22reduce_config_selectorIN6thrust23THRUST_200600_302600_NS5tupleIblNS6_9null_typeES8_S8_S8_S8_S8_S8_S8_EEEEZNS1_11reduce_implILb1ES3_NS6_12zip_iteratorINS7_INS6_11hip_rocprim26transform_input_iterator_tIbNSD_35transform_pair_of_input_iterators_tIbNS6_6detail15normal_iteratorINS6_10device_ptrIKfEEEESL_NS6_8equal_toIfEEEENSG_9not_fun_tINSD_8identityEEEEENSD_19counting_iterator_tIlEES8_S8_S8_S8_S8_S8_S8_S8_EEEEPS9_S9_NSD_9__find_if7functorIS9_EEEE10hipError_tPvRmT1_T2_T3_mT4_P12ihipStream_tbEUlT_E0_NS1_11comp_targetILNS1_3genE5ELNS1_11target_archE942ELNS1_3gpuE9ELNS1_3repE0EEENS1_30default_config_static_selectorELNS0_4arch9wavefront6targetE1EEEvS14_.kd
    .uniform_work_group_size: 1
    .uses_dynamic_stack: false
    .vgpr_count:     0
    .vgpr_spill_count: 0
    .wavefront_size: 64
  - .args:
      - .offset:         0
        .size:           104
        .value_kind:     by_value
    .group_segment_fixed_size: 0
    .kernarg_segment_align: 8
    .kernarg_segment_size: 104
    .language:       OpenCL C
    .language_version:
      - 2
      - 0
    .max_flat_workgroup_size: 256
    .name:           _ZN7rocprim17ROCPRIM_400000_NS6detail17trampoline_kernelINS0_14default_configENS1_22reduce_config_selectorIN6thrust23THRUST_200600_302600_NS5tupleIblNS6_9null_typeES8_S8_S8_S8_S8_S8_S8_EEEEZNS1_11reduce_implILb1ES3_NS6_12zip_iteratorINS7_INS6_11hip_rocprim26transform_input_iterator_tIbNSD_35transform_pair_of_input_iterators_tIbNS6_6detail15normal_iteratorINS6_10device_ptrIKfEEEESL_NS6_8equal_toIfEEEENSG_9not_fun_tINSD_8identityEEEEENSD_19counting_iterator_tIlEES8_S8_S8_S8_S8_S8_S8_S8_EEEEPS9_S9_NSD_9__find_if7functorIS9_EEEE10hipError_tPvRmT1_T2_T3_mT4_P12ihipStream_tbEUlT_E0_NS1_11comp_targetILNS1_3genE4ELNS1_11target_archE910ELNS1_3gpuE8ELNS1_3repE0EEENS1_30default_config_static_selectorELNS0_4arch9wavefront6targetE1EEEvS14_
    .private_segment_fixed_size: 0
    .sgpr_count:     4
    .sgpr_spill_count: 0
    .symbol:         _ZN7rocprim17ROCPRIM_400000_NS6detail17trampoline_kernelINS0_14default_configENS1_22reduce_config_selectorIN6thrust23THRUST_200600_302600_NS5tupleIblNS6_9null_typeES8_S8_S8_S8_S8_S8_S8_EEEEZNS1_11reduce_implILb1ES3_NS6_12zip_iteratorINS7_INS6_11hip_rocprim26transform_input_iterator_tIbNSD_35transform_pair_of_input_iterators_tIbNS6_6detail15normal_iteratorINS6_10device_ptrIKfEEEESL_NS6_8equal_toIfEEEENSG_9not_fun_tINSD_8identityEEEEENSD_19counting_iterator_tIlEES8_S8_S8_S8_S8_S8_S8_S8_EEEEPS9_S9_NSD_9__find_if7functorIS9_EEEE10hipError_tPvRmT1_T2_T3_mT4_P12ihipStream_tbEUlT_E0_NS1_11comp_targetILNS1_3genE4ELNS1_11target_archE910ELNS1_3gpuE8ELNS1_3repE0EEENS1_30default_config_static_selectorELNS0_4arch9wavefront6targetE1EEEvS14_.kd
    .uniform_work_group_size: 1
    .uses_dynamic_stack: false
    .vgpr_count:     0
    .vgpr_spill_count: 0
    .wavefront_size: 64
  - .args:
      - .offset:         0
        .size:           104
        .value_kind:     by_value
    .group_segment_fixed_size: 0
    .kernarg_segment_align: 8
    .kernarg_segment_size: 104
    .language:       OpenCL C
    .language_version:
      - 2
      - 0
    .max_flat_workgroup_size: 128
    .name:           _ZN7rocprim17ROCPRIM_400000_NS6detail17trampoline_kernelINS0_14default_configENS1_22reduce_config_selectorIN6thrust23THRUST_200600_302600_NS5tupleIblNS6_9null_typeES8_S8_S8_S8_S8_S8_S8_EEEEZNS1_11reduce_implILb1ES3_NS6_12zip_iteratorINS7_INS6_11hip_rocprim26transform_input_iterator_tIbNSD_35transform_pair_of_input_iterators_tIbNS6_6detail15normal_iteratorINS6_10device_ptrIKfEEEESL_NS6_8equal_toIfEEEENSG_9not_fun_tINSD_8identityEEEEENSD_19counting_iterator_tIlEES8_S8_S8_S8_S8_S8_S8_S8_EEEEPS9_S9_NSD_9__find_if7functorIS9_EEEE10hipError_tPvRmT1_T2_T3_mT4_P12ihipStream_tbEUlT_E0_NS1_11comp_targetILNS1_3genE3ELNS1_11target_archE908ELNS1_3gpuE7ELNS1_3repE0EEENS1_30default_config_static_selectorELNS0_4arch9wavefront6targetE1EEEvS14_
    .private_segment_fixed_size: 0
    .sgpr_count:     4
    .sgpr_spill_count: 0
    .symbol:         _ZN7rocprim17ROCPRIM_400000_NS6detail17trampoline_kernelINS0_14default_configENS1_22reduce_config_selectorIN6thrust23THRUST_200600_302600_NS5tupleIblNS6_9null_typeES8_S8_S8_S8_S8_S8_S8_EEEEZNS1_11reduce_implILb1ES3_NS6_12zip_iteratorINS7_INS6_11hip_rocprim26transform_input_iterator_tIbNSD_35transform_pair_of_input_iterators_tIbNS6_6detail15normal_iteratorINS6_10device_ptrIKfEEEESL_NS6_8equal_toIfEEEENSG_9not_fun_tINSD_8identityEEEEENSD_19counting_iterator_tIlEES8_S8_S8_S8_S8_S8_S8_S8_EEEEPS9_S9_NSD_9__find_if7functorIS9_EEEE10hipError_tPvRmT1_T2_T3_mT4_P12ihipStream_tbEUlT_E0_NS1_11comp_targetILNS1_3genE3ELNS1_11target_archE908ELNS1_3gpuE7ELNS1_3repE0EEENS1_30default_config_static_selectorELNS0_4arch9wavefront6targetE1EEEvS14_.kd
    .uniform_work_group_size: 1
    .uses_dynamic_stack: false
    .vgpr_count:     0
    .vgpr_spill_count: 0
    .wavefront_size: 64
  - .args:
      - .offset:         0
        .size:           104
        .value_kind:     by_value
    .group_segment_fixed_size: 64
    .kernarg_segment_align: 8
    .kernarg_segment_size: 104
    .language:       OpenCL C
    .language_version:
      - 2
      - 0
    .max_flat_workgroup_size: 128
    .name:           _ZN7rocprim17ROCPRIM_400000_NS6detail17trampoline_kernelINS0_14default_configENS1_22reduce_config_selectorIN6thrust23THRUST_200600_302600_NS5tupleIblNS6_9null_typeES8_S8_S8_S8_S8_S8_S8_EEEEZNS1_11reduce_implILb1ES3_NS6_12zip_iteratorINS7_INS6_11hip_rocprim26transform_input_iterator_tIbNSD_35transform_pair_of_input_iterators_tIbNS6_6detail15normal_iteratorINS6_10device_ptrIKfEEEESL_NS6_8equal_toIfEEEENSG_9not_fun_tINSD_8identityEEEEENSD_19counting_iterator_tIlEES8_S8_S8_S8_S8_S8_S8_S8_EEEEPS9_S9_NSD_9__find_if7functorIS9_EEEE10hipError_tPvRmT1_T2_T3_mT4_P12ihipStream_tbEUlT_E0_NS1_11comp_targetILNS1_3genE2ELNS1_11target_archE906ELNS1_3gpuE6ELNS1_3repE0EEENS1_30default_config_static_selectorELNS0_4arch9wavefront6targetE1EEEvS14_
    .private_segment_fixed_size: 0
    .sgpr_count:     34
    .sgpr_spill_count: 0
    .symbol:         _ZN7rocprim17ROCPRIM_400000_NS6detail17trampoline_kernelINS0_14default_configENS1_22reduce_config_selectorIN6thrust23THRUST_200600_302600_NS5tupleIblNS6_9null_typeES8_S8_S8_S8_S8_S8_S8_EEEEZNS1_11reduce_implILb1ES3_NS6_12zip_iteratorINS7_INS6_11hip_rocprim26transform_input_iterator_tIbNSD_35transform_pair_of_input_iterators_tIbNS6_6detail15normal_iteratorINS6_10device_ptrIKfEEEESL_NS6_8equal_toIfEEEENSG_9not_fun_tINSD_8identityEEEEENSD_19counting_iterator_tIlEES8_S8_S8_S8_S8_S8_S8_S8_EEEEPS9_S9_NSD_9__find_if7functorIS9_EEEE10hipError_tPvRmT1_T2_T3_mT4_P12ihipStream_tbEUlT_E0_NS1_11comp_targetILNS1_3genE2ELNS1_11target_archE906ELNS1_3gpuE6ELNS1_3repE0EEENS1_30default_config_static_selectorELNS0_4arch9wavefront6targetE1EEEvS14_.kd
    .uniform_work_group_size: 1
    .uses_dynamic_stack: false
    .vgpr_count:     14
    .vgpr_spill_count: 0
    .wavefront_size: 64
  - .args:
      - .offset:         0
        .size:           104
        .value_kind:     by_value
    .group_segment_fixed_size: 0
    .kernarg_segment_align: 8
    .kernarg_segment_size: 104
    .language:       OpenCL C
    .language_version:
      - 2
      - 0
    .max_flat_workgroup_size: 256
    .name:           _ZN7rocprim17ROCPRIM_400000_NS6detail17trampoline_kernelINS0_14default_configENS1_22reduce_config_selectorIN6thrust23THRUST_200600_302600_NS5tupleIblNS6_9null_typeES8_S8_S8_S8_S8_S8_S8_EEEEZNS1_11reduce_implILb1ES3_NS6_12zip_iteratorINS7_INS6_11hip_rocprim26transform_input_iterator_tIbNSD_35transform_pair_of_input_iterators_tIbNS6_6detail15normal_iteratorINS6_10device_ptrIKfEEEESL_NS6_8equal_toIfEEEENSG_9not_fun_tINSD_8identityEEEEENSD_19counting_iterator_tIlEES8_S8_S8_S8_S8_S8_S8_S8_EEEEPS9_S9_NSD_9__find_if7functorIS9_EEEE10hipError_tPvRmT1_T2_T3_mT4_P12ihipStream_tbEUlT_E0_NS1_11comp_targetILNS1_3genE10ELNS1_11target_archE1201ELNS1_3gpuE5ELNS1_3repE0EEENS1_30default_config_static_selectorELNS0_4arch9wavefront6targetE1EEEvS14_
    .private_segment_fixed_size: 0
    .sgpr_count:     4
    .sgpr_spill_count: 0
    .symbol:         _ZN7rocprim17ROCPRIM_400000_NS6detail17trampoline_kernelINS0_14default_configENS1_22reduce_config_selectorIN6thrust23THRUST_200600_302600_NS5tupleIblNS6_9null_typeES8_S8_S8_S8_S8_S8_S8_EEEEZNS1_11reduce_implILb1ES3_NS6_12zip_iteratorINS7_INS6_11hip_rocprim26transform_input_iterator_tIbNSD_35transform_pair_of_input_iterators_tIbNS6_6detail15normal_iteratorINS6_10device_ptrIKfEEEESL_NS6_8equal_toIfEEEENSG_9not_fun_tINSD_8identityEEEEENSD_19counting_iterator_tIlEES8_S8_S8_S8_S8_S8_S8_S8_EEEEPS9_S9_NSD_9__find_if7functorIS9_EEEE10hipError_tPvRmT1_T2_T3_mT4_P12ihipStream_tbEUlT_E0_NS1_11comp_targetILNS1_3genE10ELNS1_11target_archE1201ELNS1_3gpuE5ELNS1_3repE0EEENS1_30default_config_static_selectorELNS0_4arch9wavefront6targetE1EEEvS14_.kd
    .uniform_work_group_size: 1
    .uses_dynamic_stack: false
    .vgpr_count:     0
    .vgpr_spill_count: 0
    .wavefront_size: 64
  - .args:
      - .offset:         0
        .size:           104
        .value_kind:     by_value
    .group_segment_fixed_size: 0
    .kernarg_segment_align: 8
    .kernarg_segment_size: 104
    .language:       OpenCL C
    .language_version:
      - 2
      - 0
    .max_flat_workgroup_size: 256
    .name:           _ZN7rocprim17ROCPRIM_400000_NS6detail17trampoline_kernelINS0_14default_configENS1_22reduce_config_selectorIN6thrust23THRUST_200600_302600_NS5tupleIblNS6_9null_typeES8_S8_S8_S8_S8_S8_S8_EEEEZNS1_11reduce_implILb1ES3_NS6_12zip_iteratorINS7_INS6_11hip_rocprim26transform_input_iterator_tIbNSD_35transform_pair_of_input_iterators_tIbNS6_6detail15normal_iteratorINS6_10device_ptrIKfEEEESL_NS6_8equal_toIfEEEENSG_9not_fun_tINSD_8identityEEEEENSD_19counting_iterator_tIlEES8_S8_S8_S8_S8_S8_S8_S8_EEEEPS9_S9_NSD_9__find_if7functorIS9_EEEE10hipError_tPvRmT1_T2_T3_mT4_P12ihipStream_tbEUlT_E0_NS1_11comp_targetILNS1_3genE10ELNS1_11target_archE1200ELNS1_3gpuE4ELNS1_3repE0EEENS1_30default_config_static_selectorELNS0_4arch9wavefront6targetE1EEEvS14_
    .private_segment_fixed_size: 0
    .sgpr_count:     4
    .sgpr_spill_count: 0
    .symbol:         _ZN7rocprim17ROCPRIM_400000_NS6detail17trampoline_kernelINS0_14default_configENS1_22reduce_config_selectorIN6thrust23THRUST_200600_302600_NS5tupleIblNS6_9null_typeES8_S8_S8_S8_S8_S8_S8_EEEEZNS1_11reduce_implILb1ES3_NS6_12zip_iteratorINS7_INS6_11hip_rocprim26transform_input_iterator_tIbNSD_35transform_pair_of_input_iterators_tIbNS6_6detail15normal_iteratorINS6_10device_ptrIKfEEEESL_NS6_8equal_toIfEEEENSG_9not_fun_tINSD_8identityEEEEENSD_19counting_iterator_tIlEES8_S8_S8_S8_S8_S8_S8_S8_EEEEPS9_S9_NSD_9__find_if7functorIS9_EEEE10hipError_tPvRmT1_T2_T3_mT4_P12ihipStream_tbEUlT_E0_NS1_11comp_targetILNS1_3genE10ELNS1_11target_archE1200ELNS1_3gpuE4ELNS1_3repE0EEENS1_30default_config_static_selectorELNS0_4arch9wavefront6targetE1EEEvS14_.kd
    .uniform_work_group_size: 1
    .uses_dynamic_stack: false
    .vgpr_count:     0
    .vgpr_spill_count: 0
    .wavefront_size: 64
  - .args:
      - .offset:         0
        .size:           104
        .value_kind:     by_value
    .group_segment_fixed_size: 0
    .kernarg_segment_align: 8
    .kernarg_segment_size: 104
    .language:       OpenCL C
    .language_version:
      - 2
      - 0
    .max_flat_workgroup_size: 256
    .name:           _ZN7rocprim17ROCPRIM_400000_NS6detail17trampoline_kernelINS0_14default_configENS1_22reduce_config_selectorIN6thrust23THRUST_200600_302600_NS5tupleIblNS6_9null_typeES8_S8_S8_S8_S8_S8_S8_EEEEZNS1_11reduce_implILb1ES3_NS6_12zip_iteratorINS7_INS6_11hip_rocprim26transform_input_iterator_tIbNSD_35transform_pair_of_input_iterators_tIbNS6_6detail15normal_iteratorINS6_10device_ptrIKfEEEESL_NS6_8equal_toIfEEEENSG_9not_fun_tINSD_8identityEEEEENSD_19counting_iterator_tIlEES8_S8_S8_S8_S8_S8_S8_S8_EEEEPS9_S9_NSD_9__find_if7functorIS9_EEEE10hipError_tPvRmT1_T2_T3_mT4_P12ihipStream_tbEUlT_E0_NS1_11comp_targetILNS1_3genE9ELNS1_11target_archE1100ELNS1_3gpuE3ELNS1_3repE0EEENS1_30default_config_static_selectorELNS0_4arch9wavefront6targetE1EEEvS14_
    .private_segment_fixed_size: 0
    .sgpr_count:     4
    .sgpr_spill_count: 0
    .symbol:         _ZN7rocprim17ROCPRIM_400000_NS6detail17trampoline_kernelINS0_14default_configENS1_22reduce_config_selectorIN6thrust23THRUST_200600_302600_NS5tupleIblNS6_9null_typeES8_S8_S8_S8_S8_S8_S8_EEEEZNS1_11reduce_implILb1ES3_NS6_12zip_iteratorINS7_INS6_11hip_rocprim26transform_input_iterator_tIbNSD_35transform_pair_of_input_iterators_tIbNS6_6detail15normal_iteratorINS6_10device_ptrIKfEEEESL_NS6_8equal_toIfEEEENSG_9not_fun_tINSD_8identityEEEEENSD_19counting_iterator_tIlEES8_S8_S8_S8_S8_S8_S8_S8_EEEEPS9_S9_NSD_9__find_if7functorIS9_EEEE10hipError_tPvRmT1_T2_T3_mT4_P12ihipStream_tbEUlT_E0_NS1_11comp_targetILNS1_3genE9ELNS1_11target_archE1100ELNS1_3gpuE3ELNS1_3repE0EEENS1_30default_config_static_selectorELNS0_4arch9wavefront6targetE1EEEvS14_.kd
    .uniform_work_group_size: 1
    .uses_dynamic_stack: false
    .vgpr_count:     0
    .vgpr_spill_count: 0
    .wavefront_size: 64
  - .args:
      - .offset:         0
        .size:           104
        .value_kind:     by_value
    .group_segment_fixed_size: 0
    .kernarg_segment_align: 8
    .kernarg_segment_size: 104
    .language:       OpenCL C
    .language_version:
      - 2
      - 0
    .max_flat_workgroup_size: 256
    .name:           _ZN7rocprim17ROCPRIM_400000_NS6detail17trampoline_kernelINS0_14default_configENS1_22reduce_config_selectorIN6thrust23THRUST_200600_302600_NS5tupleIblNS6_9null_typeES8_S8_S8_S8_S8_S8_S8_EEEEZNS1_11reduce_implILb1ES3_NS6_12zip_iteratorINS7_INS6_11hip_rocprim26transform_input_iterator_tIbNSD_35transform_pair_of_input_iterators_tIbNS6_6detail15normal_iteratorINS6_10device_ptrIKfEEEESL_NS6_8equal_toIfEEEENSG_9not_fun_tINSD_8identityEEEEENSD_19counting_iterator_tIlEES8_S8_S8_S8_S8_S8_S8_S8_EEEEPS9_S9_NSD_9__find_if7functorIS9_EEEE10hipError_tPvRmT1_T2_T3_mT4_P12ihipStream_tbEUlT_E0_NS1_11comp_targetILNS1_3genE8ELNS1_11target_archE1030ELNS1_3gpuE2ELNS1_3repE0EEENS1_30default_config_static_selectorELNS0_4arch9wavefront6targetE1EEEvS14_
    .private_segment_fixed_size: 0
    .sgpr_count:     4
    .sgpr_spill_count: 0
    .symbol:         _ZN7rocprim17ROCPRIM_400000_NS6detail17trampoline_kernelINS0_14default_configENS1_22reduce_config_selectorIN6thrust23THRUST_200600_302600_NS5tupleIblNS6_9null_typeES8_S8_S8_S8_S8_S8_S8_EEEEZNS1_11reduce_implILb1ES3_NS6_12zip_iteratorINS7_INS6_11hip_rocprim26transform_input_iterator_tIbNSD_35transform_pair_of_input_iterators_tIbNS6_6detail15normal_iteratorINS6_10device_ptrIKfEEEESL_NS6_8equal_toIfEEEENSG_9not_fun_tINSD_8identityEEEEENSD_19counting_iterator_tIlEES8_S8_S8_S8_S8_S8_S8_S8_EEEEPS9_S9_NSD_9__find_if7functorIS9_EEEE10hipError_tPvRmT1_T2_T3_mT4_P12ihipStream_tbEUlT_E0_NS1_11comp_targetILNS1_3genE8ELNS1_11target_archE1030ELNS1_3gpuE2ELNS1_3repE0EEENS1_30default_config_static_selectorELNS0_4arch9wavefront6targetE1EEEvS14_.kd
    .uniform_work_group_size: 1
    .uses_dynamic_stack: false
    .vgpr_count:     0
    .vgpr_spill_count: 0
    .wavefront_size: 64
  - .args:
      - .offset:         0
        .size:           88
        .value_kind:     by_value
    .group_segment_fixed_size: 0
    .kernarg_segment_align: 8
    .kernarg_segment_size: 88
    .language:       OpenCL C
    .language_version:
      - 2
      - 0
    .max_flat_workgroup_size: 128
    .name:           _ZN7rocprim17ROCPRIM_400000_NS6detail17trampoline_kernelINS0_14default_configENS1_22reduce_config_selectorIN6thrust23THRUST_200600_302600_NS5tupleIblNS6_9null_typeES8_S8_S8_S8_S8_S8_S8_EEEEZNS1_11reduce_implILb1ES3_NS6_12zip_iteratorINS7_INS6_11hip_rocprim26transform_input_iterator_tIbNSD_35transform_pair_of_input_iterators_tIbNS6_6detail15normal_iteratorINS6_10device_ptrIKfEEEESL_NS6_8equal_toIfEEEENSG_9not_fun_tINSD_8identityEEEEENSD_19counting_iterator_tIlEES8_S8_S8_S8_S8_S8_S8_S8_EEEEPS9_S9_NSD_9__find_if7functorIS9_EEEE10hipError_tPvRmT1_T2_T3_mT4_P12ihipStream_tbEUlT_E1_NS1_11comp_targetILNS1_3genE0ELNS1_11target_archE4294967295ELNS1_3gpuE0ELNS1_3repE0EEENS1_30default_config_static_selectorELNS0_4arch9wavefront6targetE1EEEvS14_
    .private_segment_fixed_size: 0
    .sgpr_count:     4
    .sgpr_spill_count: 0
    .symbol:         _ZN7rocprim17ROCPRIM_400000_NS6detail17trampoline_kernelINS0_14default_configENS1_22reduce_config_selectorIN6thrust23THRUST_200600_302600_NS5tupleIblNS6_9null_typeES8_S8_S8_S8_S8_S8_S8_EEEEZNS1_11reduce_implILb1ES3_NS6_12zip_iteratorINS7_INS6_11hip_rocprim26transform_input_iterator_tIbNSD_35transform_pair_of_input_iterators_tIbNS6_6detail15normal_iteratorINS6_10device_ptrIKfEEEESL_NS6_8equal_toIfEEEENSG_9not_fun_tINSD_8identityEEEEENSD_19counting_iterator_tIlEES8_S8_S8_S8_S8_S8_S8_S8_EEEEPS9_S9_NSD_9__find_if7functorIS9_EEEE10hipError_tPvRmT1_T2_T3_mT4_P12ihipStream_tbEUlT_E1_NS1_11comp_targetILNS1_3genE0ELNS1_11target_archE4294967295ELNS1_3gpuE0ELNS1_3repE0EEENS1_30default_config_static_selectorELNS0_4arch9wavefront6targetE1EEEvS14_.kd
    .uniform_work_group_size: 1
    .uses_dynamic_stack: false
    .vgpr_count:     0
    .vgpr_spill_count: 0
    .wavefront_size: 64
  - .args:
      - .offset:         0
        .size:           88
        .value_kind:     by_value
    .group_segment_fixed_size: 0
    .kernarg_segment_align: 8
    .kernarg_segment_size: 88
    .language:       OpenCL C
    .language_version:
      - 2
      - 0
    .max_flat_workgroup_size: 256
    .name:           _ZN7rocprim17ROCPRIM_400000_NS6detail17trampoline_kernelINS0_14default_configENS1_22reduce_config_selectorIN6thrust23THRUST_200600_302600_NS5tupleIblNS6_9null_typeES8_S8_S8_S8_S8_S8_S8_EEEEZNS1_11reduce_implILb1ES3_NS6_12zip_iteratorINS7_INS6_11hip_rocprim26transform_input_iterator_tIbNSD_35transform_pair_of_input_iterators_tIbNS6_6detail15normal_iteratorINS6_10device_ptrIKfEEEESL_NS6_8equal_toIfEEEENSG_9not_fun_tINSD_8identityEEEEENSD_19counting_iterator_tIlEES8_S8_S8_S8_S8_S8_S8_S8_EEEEPS9_S9_NSD_9__find_if7functorIS9_EEEE10hipError_tPvRmT1_T2_T3_mT4_P12ihipStream_tbEUlT_E1_NS1_11comp_targetILNS1_3genE5ELNS1_11target_archE942ELNS1_3gpuE9ELNS1_3repE0EEENS1_30default_config_static_selectorELNS0_4arch9wavefront6targetE1EEEvS14_
    .private_segment_fixed_size: 0
    .sgpr_count:     4
    .sgpr_spill_count: 0
    .symbol:         _ZN7rocprim17ROCPRIM_400000_NS6detail17trampoline_kernelINS0_14default_configENS1_22reduce_config_selectorIN6thrust23THRUST_200600_302600_NS5tupleIblNS6_9null_typeES8_S8_S8_S8_S8_S8_S8_EEEEZNS1_11reduce_implILb1ES3_NS6_12zip_iteratorINS7_INS6_11hip_rocprim26transform_input_iterator_tIbNSD_35transform_pair_of_input_iterators_tIbNS6_6detail15normal_iteratorINS6_10device_ptrIKfEEEESL_NS6_8equal_toIfEEEENSG_9not_fun_tINSD_8identityEEEEENSD_19counting_iterator_tIlEES8_S8_S8_S8_S8_S8_S8_S8_EEEEPS9_S9_NSD_9__find_if7functorIS9_EEEE10hipError_tPvRmT1_T2_T3_mT4_P12ihipStream_tbEUlT_E1_NS1_11comp_targetILNS1_3genE5ELNS1_11target_archE942ELNS1_3gpuE9ELNS1_3repE0EEENS1_30default_config_static_selectorELNS0_4arch9wavefront6targetE1EEEvS14_.kd
    .uniform_work_group_size: 1
    .uses_dynamic_stack: false
    .vgpr_count:     0
    .vgpr_spill_count: 0
    .wavefront_size: 64
  - .args:
      - .offset:         0
        .size:           88
        .value_kind:     by_value
    .group_segment_fixed_size: 0
    .kernarg_segment_align: 8
    .kernarg_segment_size: 88
    .language:       OpenCL C
    .language_version:
      - 2
      - 0
    .max_flat_workgroup_size: 256
    .name:           _ZN7rocprim17ROCPRIM_400000_NS6detail17trampoline_kernelINS0_14default_configENS1_22reduce_config_selectorIN6thrust23THRUST_200600_302600_NS5tupleIblNS6_9null_typeES8_S8_S8_S8_S8_S8_S8_EEEEZNS1_11reduce_implILb1ES3_NS6_12zip_iteratorINS7_INS6_11hip_rocprim26transform_input_iterator_tIbNSD_35transform_pair_of_input_iterators_tIbNS6_6detail15normal_iteratorINS6_10device_ptrIKfEEEESL_NS6_8equal_toIfEEEENSG_9not_fun_tINSD_8identityEEEEENSD_19counting_iterator_tIlEES8_S8_S8_S8_S8_S8_S8_S8_EEEEPS9_S9_NSD_9__find_if7functorIS9_EEEE10hipError_tPvRmT1_T2_T3_mT4_P12ihipStream_tbEUlT_E1_NS1_11comp_targetILNS1_3genE4ELNS1_11target_archE910ELNS1_3gpuE8ELNS1_3repE0EEENS1_30default_config_static_selectorELNS0_4arch9wavefront6targetE1EEEvS14_
    .private_segment_fixed_size: 0
    .sgpr_count:     4
    .sgpr_spill_count: 0
    .symbol:         _ZN7rocprim17ROCPRIM_400000_NS6detail17trampoline_kernelINS0_14default_configENS1_22reduce_config_selectorIN6thrust23THRUST_200600_302600_NS5tupleIblNS6_9null_typeES8_S8_S8_S8_S8_S8_S8_EEEEZNS1_11reduce_implILb1ES3_NS6_12zip_iteratorINS7_INS6_11hip_rocprim26transform_input_iterator_tIbNSD_35transform_pair_of_input_iterators_tIbNS6_6detail15normal_iteratorINS6_10device_ptrIKfEEEESL_NS6_8equal_toIfEEEENSG_9not_fun_tINSD_8identityEEEEENSD_19counting_iterator_tIlEES8_S8_S8_S8_S8_S8_S8_S8_EEEEPS9_S9_NSD_9__find_if7functorIS9_EEEE10hipError_tPvRmT1_T2_T3_mT4_P12ihipStream_tbEUlT_E1_NS1_11comp_targetILNS1_3genE4ELNS1_11target_archE910ELNS1_3gpuE8ELNS1_3repE0EEENS1_30default_config_static_selectorELNS0_4arch9wavefront6targetE1EEEvS14_.kd
    .uniform_work_group_size: 1
    .uses_dynamic_stack: false
    .vgpr_count:     0
    .vgpr_spill_count: 0
    .wavefront_size: 64
  - .args:
      - .offset:         0
        .size:           88
        .value_kind:     by_value
    .group_segment_fixed_size: 0
    .kernarg_segment_align: 8
    .kernarg_segment_size: 88
    .language:       OpenCL C
    .language_version:
      - 2
      - 0
    .max_flat_workgroup_size: 128
    .name:           _ZN7rocprim17ROCPRIM_400000_NS6detail17trampoline_kernelINS0_14default_configENS1_22reduce_config_selectorIN6thrust23THRUST_200600_302600_NS5tupleIblNS6_9null_typeES8_S8_S8_S8_S8_S8_S8_EEEEZNS1_11reduce_implILb1ES3_NS6_12zip_iteratorINS7_INS6_11hip_rocprim26transform_input_iterator_tIbNSD_35transform_pair_of_input_iterators_tIbNS6_6detail15normal_iteratorINS6_10device_ptrIKfEEEESL_NS6_8equal_toIfEEEENSG_9not_fun_tINSD_8identityEEEEENSD_19counting_iterator_tIlEES8_S8_S8_S8_S8_S8_S8_S8_EEEEPS9_S9_NSD_9__find_if7functorIS9_EEEE10hipError_tPvRmT1_T2_T3_mT4_P12ihipStream_tbEUlT_E1_NS1_11comp_targetILNS1_3genE3ELNS1_11target_archE908ELNS1_3gpuE7ELNS1_3repE0EEENS1_30default_config_static_selectorELNS0_4arch9wavefront6targetE1EEEvS14_
    .private_segment_fixed_size: 0
    .sgpr_count:     4
    .sgpr_spill_count: 0
    .symbol:         _ZN7rocprim17ROCPRIM_400000_NS6detail17trampoline_kernelINS0_14default_configENS1_22reduce_config_selectorIN6thrust23THRUST_200600_302600_NS5tupleIblNS6_9null_typeES8_S8_S8_S8_S8_S8_S8_EEEEZNS1_11reduce_implILb1ES3_NS6_12zip_iteratorINS7_INS6_11hip_rocprim26transform_input_iterator_tIbNSD_35transform_pair_of_input_iterators_tIbNS6_6detail15normal_iteratorINS6_10device_ptrIKfEEEESL_NS6_8equal_toIfEEEENSG_9not_fun_tINSD_8identityEEEEENSD_19counting_iterator_tIlEES8_S8_S8_S8_S8_S8_S8_S8_EEEEPS9_S9_NSD_9__find_if7functorIS9_EEEE10hipError_tPvRmT1_T2_T3_mT4_P12ihipStream_tbEUlT_E1_NS1_11comp_targetILNS1_3genE3ELNS1_11target_archE908ELNS1_3gpuE7ELNS1_3repE0EEENS1_30default_config_static_selectorELNS0_4arch9wavefront6targetE1EEEvS14_.kd
    .uniform_work_group_size: 1
    .uses_dynamic_stack: false
    .vgpr_count:     0
    .vgpr_spill_count: 0
    .wavefront_size: 64
  - .args:
      - .offset:         0
        .size:           88
        .value_kind:     by_value
    .group_segment_fixed_size: 160
    .kernarg_segment_align: 8
    .kernarg_segment_size: 88
    .language:       OpenCL C
    .language_version:
      - 2
      - 0
    .max_flat_workgroup_size: 128
    .name:           _ZN7rocprim17ROCPRIM_400000_NS6detail17trampoline_kernelINS0_14default_configENS1_22reduce_config_selectorIN6thrust23THRUST_200600_302600_NS5tupleIblNS6_9null_typeES8_S8_S8_S8_S8_S8_S8_EEEEZNS1_11reduce_implILb1ES3_NS6_12zip_iteratorINS7_INS6_11hip_rocprim26transform_input_iterator_tIbNSD_35transform_pair_of_input_iterators_tIbNS6_6detail15normal_iteratorINS6_10device_ptrIKfEEEESL_NS6_8equal_toIfEEEENSG_9not_fun_tINSD_8identityEEEEENSD_19counting_iterator_tIlEES8_S8_S8_S8_S8_S8_S8_S8_EEEEPS9_S9_NSD_9__find_if7functorIS9_EEEE10hipError_tPvRmT1_T2_T3_mT4_P12ihipStream_tbEUlT_E1_NS1_11comp_targetILNS1_3genE2ELNS1_11target_archE906ELNS1_3gpuE6ELNS1_3repE0EEENS1_30default_config_static_selectorELNS0_4arch9wavefront6targetE1EEEvS14_
    .private_segment_fixed_size: 0
    .sgpr_count:     46
    .sgpr_spill_count: 0
    .symbol:         _ZN7rocprim17ROCPRIM_400000_NS6detail17trampoline_kernelINS0_14default_configENS1_22reduce_config_selectorIN6thrust23THRUST_200600_302600_NS5tupleIblNS6_9null_typeES8_S8_S8_S8_S8_S8_S8_EEEEZNS1_11reduce_implILb1ES3_NS6_12zip_iteratorINS7_INS6_11hip_rocprim26transform_input_iterator_tIbNSD_35transform_pair_of_input_iterators_tIbNS6_6detail15normal_iteratorINS6_10device_ptrIKfEEEESL_NS6_8equal_toIfEEEENSG_9not_fun_tINSD_8identityEEEEENSD_19counting_iterator_tIlEES8_S8_S8_S8_S8_S8_S8_S8_EEEEPS9_S9_NSD_9__find_if7functorIS9_EEEE10hipError_tPvRmT1_T2_T3_mT4_P12ihipStream_tbEUlT_E1_NS1_11comp_targetILNS1_3genE2ELNS1_11target_archE906ELNS1_3gpuE6ELNS1_3repE0EEENS1_30default_config_static_selectorELNS0_4arch9wavefront6targetE1EEEvS14_.kd
    .uniform_work_group_size: 1
    .uses_dynamic_stack: false
    .vgpr_count:     27
    .vgpr_spill_count: 0
    .wavefront_size: 64
  - .args:
      - .offset:         0
        .size:           88
        .value_kind:     by_value
    .group_segment_fixed_size: 0
    .kernarg_segment_align: 8
    .kernarg_segment_size: 88
    .language:       OpenCL C
    .language_version:
      - 2
      - 0
    .max_flat_workgroup_size: 256
    .name:           _ZN7rocprim17ROCPRIM_400000_NS6detail17trampoline_kernelINS0_14default_configENS1_22reduce_config_selectorIN6thrust23THRUST_200600_302600_NS5tupleIblNS6_9null_typeES8_S8_S8_S8_S8_S8_S8_EEEEZNS1_11reduce_implILb1ES3_NS6_12zip_iteratorINS7_INS6_11hip_rocprim26transform_input_iterator_tIbNSD_35transform_pair_of_input_iterators_tIbNS6_6detail15normal_iteratorINS6_10device_ptrIKfEEEESL_NS6_8equal_toIfEEEENSG_9not_fun_tINSD_8identityEEEEENSD_19counting_iterator_tIlEES8_S8_S8_S8_S8_S8_S8_S8_EEEEPS9_S9_NSD_9__find_if7functorIS9_EEEE10hipError_tPvRmT1_T2_T3_mT4_P12ihipStream_tbEUlT_E1_NS1_11comp_targetILNS1_3genE10ELNS1_11target_archE1201ELNS1_3gpuE5ELNS1_3repE0EEENS1_30default_config_static_selectorELNS0_4arch9wavefront6targetE1EEEvS14_
    .private_segment_fixed_size: 0
    .sgpr_count:     4
    .sgpr_spill_count: 0
    .symbol:         _ZN7rocprim17ROCPRIM_400000_NS6detail17trampoline_kernelINS0_14default_configENS1_22reduce_config_selectorIN6thrust23THRUST_200600_302600_NS5tupleIblNS6_9null_typeES8_S8_S8_S8_S8_S8_S8_EEEEZNS1_11reduce_implILb1ES3_NS6_12zip_iteratorINS7_INS6_11hip_rocprim26transform_input_iterator_tIbNSD_35transform_pair_of_input_iterators_tIbNS6_6detail15normal_iteratorINS6_10device_ptrIKfEEEESL_NS6_8equal_toIfEEEENSG_9not_fun_tINSD_8identityEEEEENSD_19counting_iterator_tIlEES8_S8_S8_S8_S8_S8_S8_S8_EEEEPS9_S9_NSD_9__find_if7functorIS9_EEEE10hipError_tPvRmT1_T2_T3_mT4_P12ihipStream_tbEUlT_E1_NS1_11comp_targetILNS1_3genE10ELNS1_11target_archE1201ELNS1_3gpuE5ELNS1_3repE0EEENS1_30default_config_static_selectorELNS0_4arch9wavefront6targetE1EEEvS14_.kd
    .uniform_work_group_size: 1
    .uses_dynamic_stack: false
    .vgpr_count:     0
    .vgpr_spill_count: 0
    .wavefront_size: 64
  - .args:
      - .offset:         0
        .size:           88
        .value_kind:     by_value
    .group_segment_fixed_size: 0
    .kernarg_segment_align: 8
    .kernarg_segment_size: 88
    .language:       OpenCL C
    .language_version:
      - 2
      - 0
    .max_flat_workgroup_size: 256
    .name:           _ZN7rocprim17ROCPRIM_400000_NS6detail17trampoline_kernelINS0_14default_configENS1_22reduce_config_selectorIN6thrust23THRUST_200600_302600_NS5tupleIblNS6_9null_typeES8_S8_S8_S8_S8_S8_S8_EEEEZNS1_11reduce_implILb1ES3_NS6_12zip_iteratorINS7_INS6_11hip_rocprim26transform_input_iterator_tIbNSD_35transform_pair_of_input_iterators_tIbNS6_6detail15normal_iteratorINS6_10device_ptrIKfEEEESL_NS6_8equal_toIfEEEENSG_9not_fun_tINSD_8identityEEEEENSD_19counting_iterator_tIlEES8_S8_S8_S8_S8_S8_S8_S8_EEEEPS9_S9_NSD_9__find_if7functorIS9_EEEE10hipError_tPvRmT1_T2_T3_mT4_P12ihipStream_tbEUlT_E1_NS1_11comp_targetILNS1_3genE10ELNS1_11target_archE1200ELNS1_3gpuE4ELNS1_3repE0EEENS1_30default_config_static_selectorELNS0_4arch9wavefront6targetE1EEEvS14_
    .private_segment_fixed_size: 0
    .sgpr_count:     4
    .sgpr_spill_count: 0
    .symbol:         _ZN7rocprim17ROCPRIM_400000_NS6detail17trampoline_kernelINS0_14default_configENS1_22reduce_config_selectorIN6thrust23THRUST_200600_302600_NS5tupleIblNS6_9null_typeES8_S8_S8_S8_S8_S8_S8_EEEEZNS1_11reduce_implILb1ES3_NS6_12zip_iteratorINS7_INS6_11hip_rocprim26transform_input_iterator_tIbNSD_35transform_pair_of_input_iterators_tIbNS6_6detail15normal_iteratorINS6_10device_ptrIKfEEEESL_NS6_8equal_toIfEEEENSG_9not_fun_tINSD_8identityEEEEENSD_19counting_iterator_tIlEES8_S8_S8_S8_S8_S8_S8_S8_EEEEPS9_S9_NSD_9__find_if7functorIS9_EEEE10hipError_tPvRmT1_T2_T3_mT4_P12ihipStream_tbEUlT_E1_NS1_11comp_targetILNS1_3genE10ELNS1_11target_archE1200ELNS1_3gpuE4ELNS1_3repE0EEENS1_30default_config_static_selectorELNS0_4arch9wavefront6targetE1EEEvS14_.kd
    .uniform_work_group_size: 1
    .uses_dynamic_stack: false
    .vgpr_count:     0
    .vgpr_spill_count: 0
    .wavefront_size: 64
  - .args:
      - .offset:         0
        .size:           88
        .value_kind:     by_value
    .group_segment_fixed_size: 0
    .kernarg_segment_align: 8
    .kernarg_segment_size: 88
    .language:       OpenCL C
    .language_version:
      - 2
      - 0
    .max_flat_workgroup_size: 256
    .name:           _ZN7rocprim17ROCPRIM_400000_NS6detail17trampoline_kernelINS0_14default_configENS1_22reduce_config_selectorIN6thrust23THRUST_200600_302600_NS5tupleIblNS6_9null_typeES8_S8_S8_S8_S8_S8_S8_EEEEZNS1_11reduce_implILb1ES3_NS6_12zip_iteratorINS7_INS6_11hip_rocprim26transform_input_iterator_tIbNSD_35transform_pair_of_input_iterators_tIbNS6_6detail15normal_iteratorINS6_10device_ptrIKfEEEESL_NS6_8equal_toIfEEEENSG_9not_fun_tINSD_8identityEEEEENSD_19counting_iterator_tIlEES8_S8_S8_S8_S8_S8_S8_S8_EEEEPS9_S9_NSD_9__find_if7functorIS9_EEEE10hipError_tPvRmT1_T2_T3_mT4_P12ihipStream_tbEUlT_E1_NS1_11comp_targetILNS1_3genE9ELNS1_11target_archE1100ELNS1_3gpuE3ELNS1_3repE0EEENS1_30default_config_static_selectorELNS0_4arch9wavefront6targetE1EEEvS14_
    .private_segment_fixed_size: 0
    .sgpr_count:     4
    .sgpr_spill_count: 0
    .symbol:         _ZN7rocprim17ROCPRIM_400000_NS6detail17trampoline_kernelINS0_14default_configENS1_22reduce_config_selectorIN6thrust23THRUST_200600_302600_NS5tupleIblNS6_9null_typeES8_S8_S8_S8_S8_S8_S8_EEEEZNS1_11reduce_implILb1ES3_NS6_12zip_iteratorINS7_INS6_11hip_rocprim26transform_input_iterator_tIbNSD_35transform_pair_of_input_iterators_tIbNS6_6detail15normal_iteratorINS6_10device_ptrIKfEEEESL_NS6_8equal_toIfEEEENSG_9not_fun_tINSD_8identityEEEEENSD_19counting_iterator_tIlEES8_S8_S8_S8_S8_S8_S8_S8_EEEEPS9_S9_NSD_9__find_if7functorIS9_EEEE10hipError_tPvRmT1_T2_T3_mT4_P12ihipStream_tbEUlT_E1_NS1_11comp_targetILNS1_3genE9ELNS1_11target_archE1100ELNS1_3gpuE3ELNS1_3repE0EEENS1_30default_config_static_selectorELNS0_4arch9wavefront6targetE1EEEvS14_.kd
    .uniform_work_group_size: 1
    .uses_dynamic_stack: false
    .vgpr_count:     0
    .vgpr_spill_count: 0
    .wavefront_size: 64
  - .args:
      - .offset:         0
        .size:           88
        .value_kind:     by_value
    .group_segment_fixed_size: 0
    .kernarg_segment_align: 8
    .kernarg_segment_size: 88
    .language:       OpenCL C
    .language_version:
      - 2
      - 0
    .max_flat_workgroup_size: 256
    .name:           _ZN7rocprim17ROCPRIM_400000_NS6detail17trampoline_kernelINS0_14default_configENS1_22reduce_config_selectorIN6thrust23THRUST_200600_302600_NS5tupleIblNS6_9null_typeES8_S8_S8_S8_S8_S8_S8_EEEEZNS1_11reduce_implILb1ES3_NS6_12zip_iteratorINS7_INS6_11hip_rocprim26transform_input_iterator_tIbNSD_35transform_pair_of_input_iterators_tIbNS6_6detail15normal_iteratorINS6_10device_ptrIKfEEEESL_NS6_8equal_toIfEEEENSG_9not_fun_tINSD_8identityEEEEENSD_19counting_iterator_tIlEES8_S8_S8_S8_S8_S8_S8_S8_EEEEPS9_S9_NSD_9__find_if7functorIS9_EEEE10hipError_tPvRmT1_T2_T3_mT4_P12ihipStream_tbEUlT_E1_NS1_11comp_targetILNS1_3genE8ELNS1_11target_archE1030ELNS1_3gpuE2ELNS1_3repE0EEENS1_30default_config_static_selectorELNS0_4arch9wavefront6targetE1EEEvS14_
    .private_segment_fixed_size: 0
    .sgpr_count:     4
    .sgpr_spill_count: 0
    .symbol:         _ZN7rocprim17ROCPRIM_400000_NS6detail17trampoline_kernelINS0_14default_configENS1_22reduce_config_selectorIN6thrust23THRUST_200600_302600_NS5tupleIblNS6_9null_typeES8_S8_S8_S8_S8_S8_S8_EEEEZNS1_11reduce_implILb1ES3_NS6_12zip_iteratorINS7_INS6_11hip_rocprim26transform_input_iterator_tIbNSD_35transform_pair_of_input_iterators_tIbNS6_6detail15normal_iteratorINS6_10device_ptrIKfEEEESL_NS6_8equal_toIfEEEENSG_9not_fun_tINSD_8identityEEEEENSD_19counting_iterator_tIlEES8_S8_S8_S8_S8_S8_S8_S8_EEEEPS9_S9_NSD_9__find_if7functorIS9_EEEE10hipError_tPvRmT1_T2_T3_mT4_P12ihipStream_tbEUlT_E1_NS1_11comp_targetILNS1_3genE8ELNS1_11target_archE1030ELNS1_3gpuE2ELNS1_3repE0EEENS1_30default_config_static_selectorELNS0_4arch9wavefront6targetE1EEEvS14_.kd
    .uniform_work_group_size: 1
    .uses_dynamic_stack: false
    .vgpr_count:     0
    .vgpr_spill_count: 0
    .wavefront_size: 64
  - .args:
      - .offset:         0
        .size:           104
        .value_kind:     by_value
    .group_segment_fixed_size: 0
    .kernarg_segment_align: 8
    .kernarg_segment_size: 104
    .language:       OpenCL C
    .language_version:
      - 2
      - 0
    .max_flat_workgroup_size: 128
    .name:           _ZN7rocprim17ROCPRIM_400000_NS6detail17trampoline_kernelINS0_14default_configENS1_22reduce_config_selectorIN6thrust23THRUST_200600_302600_NS5tupleIblNS6_9null_typeES8_S8_S8_S8_S8_S8_S8_EEEEZNS1_11reduce_implILb1ES3_NS6_12zip_iteratorINS7_INS6_11hip_rocprim26transform_input_iterator_tIbNSD_35transform_pair_of_input_iterators_tIbNS6_6detail15normal_iteratorINS6_10device_ptrIKyEEEESL_NS6_8equal_toIyEEEENSG_9not_fun_tINSD_8identityEEEEENSD_19counting_iterator_tIlEES8_S8_S8_S8_S8_S8_S8_S8_EEEEPS9_S9_NSD_9__find_if7functorIS9_EEEE10hipError_tPvRmT1_T2_T3_mT4_P12ihipStream_tbEUlT_E0_NS1_11comp_targetILNS1_3genE0ELNS1_11target_archE4294967295ELNS1_3gpuE0ELNS1_3repE0EEENS1_30default_config_static_selectorELNS0_4arch9wavefront6targetE1EEEvS14_
    .private_segment_fixed_size: 0
    .sgpr_count:     4
    .sgpr_spill_count: 0
    .symbol:         _ZN7rocprim17ROCPRIM_400000_NS6detail17trampoline_kernelINS0_14default_configENS1_22reduce_config_selectorIN6thrust23THRUST_200600_302600_NS5tupleIblNS6_9null_typeES8_S8_S8_S8_S8_S8_S8_EEEEZNS1_11reduce_implILb1ES3_NS6_12zip_iteratorINS7_INS6_11hip_rocprim26transform_input_iterator_tIbNSD_35transform_pair_of_input_iterators_tIbNS6_6detail15normal_iteratorINS6_10device_ptrIKyEEEESL_NS6_8equal_toIyEEEENSG_9not_fun_tINSD_8identityEEEEENSD_19counting_iterator_tIlEES8_S8_S8_S8_S8_S8_S8_S8_EEEEPS9_S9_NSD_9__find_if7functorIS9_EEEE10hipError_tPvRmT1_T2_T3_mT4_P12ihipStream_tbEUlT_E0_NS1_11comp_targetILNS1_3genE0ELNS1_11target_archE4294967295ELNS1_3gpuE0ELNS1_3repE0EEENS1_30default_config_static_selectorELNS0_4arch9wavefront6targetE1EEEvS14_.kd
    .uniform_work_group_size: 1
    .uses_dynamic_stack: false
    .vgpr_count:     0
    .vgpr_spill_count: 0
    .wavefront_size: 64
  - .args:
      - .offset:         0
        .size:           104
        .value_kind:     by_value
    .group_segment_fixed_size: 0
    .kernarg_segment_align: 8
    .kernarg_segment_size: 104
    .language:       OpenCL C
    .language_version:
      - 2
      - 0
    .max_flat_workgroup_size: 256
    .name:           _ZN7rocprim17ROCPRIM_400000_NS6detail17trampoline_kernelINS0_14default_configENS1_22reduce_config_selectorIN6thrust23THRUST_200600_302600_NS5tupleIblNS6_9null_typeES8_S8_S8_S8_S8_S8_S8_EEEEZNS1_11reduce_implILb1ES3_NS6_12zip_iteratorINS7_INS6_11hip_rocprim26transform_input_iterator_tIbNSD_35transform_pair_of_input_iterators_tIbNS6_6detail15normal_iteratorINS6_10device_ptrIKyEEEESL_NS6_8equal_toIyEEEENSG_9not_fun_tINSD_8identityEEEEENSD_19counting_iterator_tIlEES8_S8_S8_S8_S8_S8_S8_S8_EEEEPS9_S9_NSD_9__find_if7functorIS9_EEEE10hipError_tPvRmT1_T2_T3_mT4_P12ihipStream_tbEUlT_E0_NS1_11comp_targetILNS1_3genE5ELNS1_11target_archE942ELNS1_3gpuE9ELNS1_3repE0EEENS1_30default_config_static_selectorELNS0_4arch9wavefront6targetE1EEEvS14_
    .private_segment_fixed_size: 0
    .sgpr_count:     4
    .sgpr_spill_count: 0
    .symbol:         _ZN7rocprim17ROCPRIM_400000_NS6detail17trampoline_kernelINS0_14default_configENS1_22reduce_config_selectorIN6thrust23THRUST_200600_302600_NS5tupleIblNS6_9null_typeES8_S8_S8_S8_S8_S8_S8_EEEEZNS1_11reduce_implILb1ES3_NS6_12zip_iteratorINS7_INS6_11hip_rocprim26transform_input_iterator_tIbNSD_35transform_pair_of_input_iterators_tIbNS6_6detail15normal_iteratorINS6_10device_ptrIKyEEEESL_NS6_8equal_toIyEEEENSG_9not_fun_tINSD_8identityEEEEENSD_19counting_iterator_tIlEES8_S8_S8_S8_S8_S8_S8_S8_EEEEPS9_S9_NSD_9__find_if7functorIS9_EEEE10hipError_tPvRmT1_T2_T3_mT4_P12ihipStream_tbEUlT_E0_NS1_11comp_targetILNS1_3genE5ELNS1_11target_archE942ELNS1_3gpuE9ELNS1_3repE0EEENS1_30default_config_static_selectorELNS0_4arch9wavefront6targetE1EEEvS14_.kd
    .uniform_work_group_size: 1
    .uses_dynamic_stack: false
    .vgpr_count:     0
    .vgpr_spill_count: 0
    .wavefront_size: 64
  - .args:
      - .offset:         0
        .size:           104
        .value_kind:     by_value
    .group_segment_fixed_size: 0
    .kernarg_segment_align: 8
    .kernarg_segment_size: 104
    .language:       OpenCL C
    .language_version:
      - 2
      - 0
    .max_flat_workgroup_size: 256
    .name:           _ZN7rocprim17ROCPRIM_400000_NS6detail17trampoline_kernelINS0_14default_configENS1_22reduce_config_selectorIN6thrust23THRUST_200600_302600_NS5tupleIblNS6_9null_typeES8_S8_S8_S8_S8_S8_S8_EEEEZNS1_11reduce_implILb1ES3_NS6_12zip_iteratorINS7_INS6_11hip_rocprim26transform_input_iterator_tIbNSD_35transform_pair_of_input_iterators_tIbNS6_6detail15normal_iteratorINS6_10device_ptrIKyEEEESL_NS6_8equal_toIyEEEENSG_9not_fun_tINSD_8identityEEEEENSD_19counting_iterator_tIlEES8_S8_S8_S8_S8_S8_S8_S8_EEEEPS9_S9_NSD_9__find_if7functorIS9_EEEE10hipError_tPvRmT1_T2_T3_mT4_P12ihipStream_tbEUlT_E0_NS1_11comp_targetILNS1_3genE4ELNS1_11target_archE910ELNS1_3gpuE8ELNS1_3repE0EEENS1_30default_config_static_selectorELNS0_4arch9wavefront6targetE1EEEvS14_
    .private_segment_fixed_size: 0
    .sgpr_count:     4
    .sgpr_spill_count: 0
    .symbol:         _ZN7rocprim17ROCPRIM_400000_NS6detail17trampoline_kernelINS0_14default_configENS1_22reduce_config_selectorIN6thrust23THRUST_200600_302600_NS5tupleIblNS6_9null_typeES8_S8_S8_S8_S8_S8_S8_EEEEZNS1_11reduce_implILb1ES3_NS6_12zip_iteratorINS7_INS6_11hip_rocprim26transform_input_iterator_tIbNSD_35transform_pair_of_input_iterators_tIbNS6_6detail15normal_iteratorINS6_10device_ptrIKyEEEESL_NS6_8equal_toIyEEEENSG_9not_fun_tINSD_8identityEEEEENSD_19counting_iterator_tIlEES8_S8_S8_S8_S8_S8_S8_S8_EEEEPS9_S9_NSD_9__find_if7functorIS9_EEEE10hipError_tPvRmT1_T2_T3_mT4_P12ihipStream_tbEUlT_E0_NS1_11comp_targetILNS1_3genE4ELNS1_11target_archE910ELNS1_3gpuE8ELNS1_3repE0EEENS1_30default_config_static_selectorELNS0_4arch9wavefront6targetE1EEEvS14_.kd
    .uniform_work_group_size: 1
    .uses_dynamic_stack: false
    .vgpr_count:     0
    .vgpr_spill_count: 0
    .wavefront_size: 64
  - .args:
      - .offset:         0
        .size:           104
        .value_kind:     by_value
    .group_segment_fixed_size: 0
    .kernarg_segment_align: 8
    .kernarg_segment_size: 104
    .language:       OpenCL C
    .language_version:
      - 2
      - 0
    .max_flat_workgroup_size: 128
    .name:           _ZN7rocprim17ROCPRIM_400000_NS6detail17trampoline_kernelINS0_14default_configENS1_22reduce_config_selectorIN6thrust23THRUST_200600_302600_NS5tupleIblNS6_9null_typeES8_S8_S8_S8_S8_S8_S8_EEEEZNS1_11reduce_implILb1ES3_NS6_12zip_iteratorINS7_INS6_11hip_rocprim26transform_input_iterator_tIbNSD_35transform_pair_of_input_iterators_tIbNS6_6detail15normal_iteratorINS6_10device_ptrIKyEEEESL_NS6_8equal_toIyEEEENSG_9not_fun_tINSD_8identityEEEEENSD_19counting_iterator_tIlEES8_S8_S8_S8_S8_S8_S8_S8_EEEEPS9_S9_NSD_9__find_if7functorIS9_EEEE10hipError_tPvRmT1_T2_T3_mT4_P12ihipStream_tbEUlT_E0_NS1_11comp_targetILNS1_3genE3ELNS1_11target_archE908ELNS1_3gpuE7ELNS1_3repE0EEENS1_30default_config_static_selectorELNS0_4arch9wavefront6targetE1EEEvS14_
    .private_segment_fixed_size: 0
    .sgpr_count:     4
    .sgpr_spill_count: 0
    .symbol:         _ZN7rocprim17ROCPRIM_400000_NS6detail17trampoline_kernelINS0_14default_configENS1_22reduce_config_selectorIN6thrust23THRUST_200600_302600_NS5tupleIblNS6_9null_typeES8_S8_S8_S8_S8_S8_S8_EEEEZNS1_11reduce_implILb1ES3_NS6_12zip_iteratorINS7_INS6_11hip_rocprim26transform_input_iterator_tIbNSD_35transform_pair_of_input_iterators_tIbNS6_6detail15normal_iteratorINS6_10device_ptrIKyEEEESL_NS6_8equal_toIyEEEENSG_9not_fun_tINSD_8identityEEEEENSD_19counting_iterator_tIlEES8_S8_S8_S8_S8_S8_S8_S8_EEEEPS9_S9_NSD_9__find_if7functorIS9_EEEE10hipError_tPvRmT1_T2_T3_mT4_P12ihipStream_tbEUlT_E0_NS1_11comp_targetILNS1_3genE3ELNS1_11target_archE908ELNS1_3gpuE7ELNS1_3repE0EEENS1_30default_config_static_selectorELNS0_4arch9wavefront6targetE1EEEvS14_.kd
    .uniform_work_group_size: 1
    .uses_dynamic_stack: false
    .vgpr_count:     0
    .vgpr_spill_count: 0
    .wavefront_size: 64
  - .args:
      - .offset:         0
        .size:           104
        .value_kind:     by_value
    .group_segment_fixed_size: 64
    .kernarg_segment_align: 8
    .kernarg_segment_size: 104
    .language:       OpenCL C
    .language_version:
      - 2
      - 0
    .max_flat_workgroup_size: 128
    .name:           _ZN7rocprim17ROCPRIM_400000_NS6detail17trampoline_kernelINS0_14default_configENS1_22reduce_config_selectorIN6thrust23THRUST_200600_302600_NS5tupleIblNS6_9null_typeES8_S8_S8_S8_S8_S8_S8_EEEEZNS1_11reduce_implILb1ES3_NS6_12zip_iteratorINS7_INS6_11hip_rocprim26transform_input_iterator_tIbNSD_35transform_pair_of_input_iterators_tIbNS6_6detail15normal_iteratorINS6_10device_ptrIKyEEEESL_NS6_8equal_toIyEEEENSG_9not_fun_tINSD_8identityEEEEENSD_19counting_iterator_tIlEES8_S8_S8_S8_S8_S8_S8_S8_EEEEPS9_S9_NSD_9__find_if7functorIS9_EEEE10hipError_tPvRmT1_T2_T3_mT4_P12ihipStream_tbEUlT_E0_NS1_11comp_targetILNS1_3genE2ELNS1_11target_archE906ELNS1_3gpuE6ELNS1_3repE0EEENS1_30default_config_static_selectorELNS0_4arch9wavefront6targetE1EEEvS14_
    .private_segment_fixed_size: 0
    .sgpr_count:     34
    .sgpr_spill_count: 0
    .symbol:         _ZN7rocprim17ROCPRIM_400000_NS6detail17trampoline_kernelINS0_14default_configENS1_22reduce_config_selectorIN6thrust23THRUST_200600_302600_NS5tupleIblNS6_9null_typeES8_S8_S8_S8_S8_S8_S8_EEEEZNS1_11reduce_implILb1ES3_NS6_12zip_iteratorINS7_INS6_11hip_rocprim26transform_input_iterator_tIbNSD_35transform_pair_of_input_iterators_tIbNS6_6detail15normal_iteratorINS6_10device_ptrIKyEEEESL_NS6_8equal_toIyEEEENSG_9not_fun_tINSD_8identityEEEEENSD_19counting_iterator_tIlEES8_S8_S8_S8_S8_S8_S8_S8_EEEEPS9_S9_NSD_9__find_if7functorIS9_EEEE10hipError_tPvRmT1_T2_T3_mT4_P12ihipStream_tbEUlT_E0_NS1_11comp_targetILNS1_3genE2ELNS1_11target_archE906ELNS1_3gpuE6ELNS1_3repE0EEENS1_30default_config_static_selectorELNS0_4arch9wavefront6targetE1EEEvS14_.kd
    .uniform_work_group_size: 1
    .uses_dynamic_stack: false
    .vgpr_count:     18
    .vgpr_spill_count: 0
    .wavefront_size: 64
  - .args:
      - .offset:         0
        .size:           104
        .value_kind:     by_value
    .group_segment_fixed_size: 0
    .kernarg_segment_align: 8
    .kernarg_segment_size: 104
    .language:       OpenCL C
    .language_version:
      - 2
      - 0
    .max_flat_workgroup_size: 256
    .name:           _ZN7rocprim17ROCPRIM_400000_NS6detail17trampoline_kernelINS0_14default_configENS1_22reduce_config_selectorIN6thrust23THRUST_200600_302600_NS5tupleIblNS6_9null_typeES8_S8_S8_S8_S8_S8_S8_EEEEZNS1_11reduce_implILb1ES3_NS6_12zip_iteratorINS7_INS6_11hip_rocprim26transform_input_iterator_tIbNSD_35transform_pair_of_input_iterators_tIbNS6_6detail15normal_iteratorINS6_10device_ptrIKyEEEESL_NS6_8equal_toIyEEEENSG_9not_fun_tINSD_8identityEEEEENSD_19counting_iterator_tIlEES8_S8_S8_S8_S8_S8_S8_S8_EEEEPS9_S9_NSD_9__find_if7functorIS9_EEEE10hipError_tPvRmT1_T2_T3_mT4_P12ihipStream_tbEUlT_E0_NS1_11comp_targetILNS1_3genE10ELNS1_11target_archE1201ELNS1_3gpuE5ELNS1_3repE0EEENS1_30default_config_static_selectorELNS0_4arch9wavefront6targetE1EEEvS14_
    .private_segment_fixed_size: 0
    .sgpr_count:     4
    .sgpr_spill_count: 0
    .symbol:         _ZN7rocprim17ROCPRIM_400000_NS6detail17trampoline_kernelINS0_14default_configENS1_22reduce_config_selectorIN6thrust23THRUST_200600_302600_NS5tupleIblNS6_9null_typeES8_S8_S8_S8_S8_S8_S8_EEEEZNS1_11reduce_implILb1ES3_NS6_12zip_iteratorINS7_INS6_11hip_rocprim26transform_input_iterator_tIbNSD_35transform_pair_of_input_iterators_tIbNS6_6detail15normal_iteratorINS6_10device_ptrIKyEEEESL_NS6_8equal_toIyEEEENSG_9not_fun_tINSD_8identityEEEEENSD_19counting_iterator_tIlEES8_S8_S8_S8_S8_S8_S8_S8_EEEEPS9_S9_NSD_9__find_if7functorIS9_EEEE10hipError_tPvRmT1_T2_T3_mT4_P12ihipStream_tbEUlT_E0_NS1_11comp_targetILNS1_3genE10ELNS1_11target_archE1201ELNS1_3gpuE5ELNS1_3repE0EEENS1_30default_config_static_selectorELNS0_4arch9wavefront6targetE1EEEvS14_.kd
    .uniform_work_group_size: 1
    .uses_dynamic_stack: false
    .vgpr_count:     0
    .vgpr_spill_count: 0
    .wavefront_size: 64
  - .args:
      - .offset:         0
        .size:           104
        .value_kind:     by_value
    .group_segment_fixed_size: 0
    .kernarg_segment_align: 8
    .kernarg_segment_size: 104
    .language:       OpenCL C
    .language_version:
      - 2
      - 0
    .max_flat_workgroup_size: 256
    .name:           _ZN7rocprim17ROCPRIM_400000_NS6detail17trampoline_kernelINS0_14default_configENS1_22reduce_config_selectorIN6thrust23THRUST_200600_302600_NS5tupleIblNS6_9null_typeES8_S8_S8_S8_S8_S8_S8_EEEEZNS1_11reduce_implILb1ES3_NS6_12zip_iteratorINS7_INS6_11hip_rocprim26transform_input_iterator_tIbNSD_35transform_pair_of_input_iterators_tIbNS6_6detail15normal_iteratorINS6_10device_ptrIKyEEEESL_NS6_8equal_toIyEEEENSG_9not_fun_tINSD_8identityEEEEENSD_19counting_iterator_tIlEES8_S8_S8_S8_S8_S8_S8_S8_EEEEPS9_S9_NSD_9__find_if7functorIS9_EEEE10hipError_tPvRmT1_T2_T3_mT4_P12ihipStream_tbEUlT_E0_NS1_11comp_targetILNS1_3genE10ELNS1_11target_archE1200ELNS1_3gpuE4ELNS1_3repE0EEENS1_30default_config_static_selectorELNS0_4arch9wavefront6targetE1EEEvS14_
    .private_segment_fixed_size: 0
    .sgpr_count:     4
    .sgpr_spill_count: 0
    .symbol:         _ZN7rocprim17ROCPRIM_400000_NS6detail17trampoline_kernelINS0_14default_configENS1_22reduce_config_selectorIN6thrust23THRUST_200600_302600_NS5tupleIblNS6_9null_typeES8_S8_S8_S8_S8_S8_S8_EEEEZNS1_11reduce_implILb1ES3_NS6_12zip_iteratorINS7_INS6_11hip_rocprim26transform_input_iterator_tIbNSD_35transform_pair_of_input_iterators_tIbNS6_6detail15normal_iteratorINS6_10device_ptrIKyEEEESL_NS6_8equal_toIyEEEENSG_9not_fun_tINSD_8identityEEEEENSD_19counting_iterator_tIlEES8_S8_S8_S8_S8_S8_S8_S8_EEEEPS9_S9_NSD_9__find_if7functorIS9_EEEE10hipError_tPvRmT1_T2_T3_mT4_P12ihipStream_tbEUlT_E0_NS1_11comp_targetILNS1_3genE10ELNS1_11target_archE1200ELNS1_3gpuE4ELNS1_3repE0EEENS1_30default_config_static_selectorELNS0_4arch9wavefront6targetE1EEEvS14_.kd
    .uniform_work_group_size: 1
    .uses_dynamic_stack: false
    .vgpr_count:     0
    .vgpr_spill_count: 0
    .wavefront_size: 64
  - .args:
      - .offset:         0
        .size:           104
        .value_kind:     by_value
    .group_segment_fixed_size: 0
    .kernarg_segment_align: 8
    .kernarg_segment_size: 104
    .language:       OpenCL C
    .language_version:
      - 2
      - 0
    .max_flat_workgroup_size: 256
    .name:           _ZN7rocprim17ROCPRIM_400000_NS6detail17trampoline_kernelINS0_14default_configENS1_22reduce_config_selectorIN6thrust23THRUST_200600_302600_NS5tupleIblNS6_9null_typeES8_S8_S8_S8_S8_S8_S8_EEEEZNS1_11reduce_implILb1ES3_NS6_12zip_iteratorINS7_INS6_11hip_rocprim26transform_input_iterator_tIbNSD_35transform_pair_of_input_iterators_tIbNS6_6detail15normal_iteratorINS6_10device_ptrIKyEEEESL_NS6_8equal_toIyEEEENSG_9not_fun_tINSD_8identityEEEEENSD_19counting_iterator_tIlEES8_S8_S8_S8_S8_S8_S8_S8_EEEEPS9_S9_NSD_9__find_if7functorIS9_EEEE10hipError_tPvRmT1_T2_T3_mT4_P12ihipStream_tbEUlT_E0_NS1_11comp_targetILNS1_3genE9ELNS1_11target_archE1100ELNS1_3gpuE3ELNS1_3repE0EEENS1_30default_config_static_selectorELNS0_4arch9wavefront6targetE1EEEvS14_
    .private_segment_fixed_size: 0
    .sgpr_count:     4
    .sgpr_spill_count: 0
    .symbol:         _ZN7rocprim17ROCPRIM_400000_NS6detail17trampoline_kernelINS0_14default_configENS1_22reduce_config_selectorIN6thrust23THRUST_200600_302600_NS5tupleIblNS6_9null_typeES8_S8_S8_S8_S8_S8_S8_EEEEZNS1_11reduce_implILb1ES3_NS6_12zip_iteratorINS7_INS6_11hip_rocprim26transform_input_iterator_tIbNSD_35transform_pair_of_input_iterators_tIbNS6_6detail15normal_iteratorINS6_10device_ptrIKyEEEESL_NS6_8equal_toIyEEEENSG_9not_fun_tINSD_8identityEEEEENSD_19counting_iterator_tIlEES8_S8_S8_S8_S8_S8_S8_S8_EEEEPS9_S9_NSD_9__find_if7functorIS9_EEEE10hipError_tPvRmT1_T2_T3_mT4_P12ihipStream_tbEUlT_E0_NS1_11comp_targetILNS1_3genE9ELNS1_11target_archE1100ELNS1_3gpuE3ELNS1_3repE0EEENS1_30default_config_static_selectorELNS0_4arch9wavefront6targetE1EEEvS14_.kd
    .uniform_work_group_size: 1
    .uses_dynamic_stack: false
    .vgpr_count:     0
    .vgpr_spill_count: 0
    .wavefront_size: 64
  - .args:
      - .offset:         0
        .size:           104
        .value_kind:     by_value
    .group_segment_fixed_size: 0
    .kernarg_segment_align: 8
    .kernarg_segment_size: 104
    .language:       OpenCL C
    .language_version:
      - 2
      - 0
    .max_flat_workgroup_size: 256
    .name:           _ZN7rocprim17ROCPRIM_400000_NS6detail17trampoline_kernelINS0_14default_configENS1_22reduce_config_selectorIN6thrust23THRUST_200600_302600_NS5tupleIblNS6_9null_typeES8_S8_S8_S8_S8_S8_S8_EEEEZNS1_11reduce_implILb1ES3_NS6_12zip_iteratorINS7_INS6_11hip_rocprim26transform_input_iterator_tIbNSD_35transform_pair_of_input_iterators_tIbNS6_6detail15normal_iteratorINS6_10device_ptrIKyEEEESL_NS6_8equal_toIyEEEENSG_9not_fun_tINSD_8identityEEEEENSD_19counting_iterator_tIlEES8_S8_S8_S8_S8_S8_S8_S8_EEEEPS9_S9_NSD_9__find_if7functorIS9_EEEE10hipError_tPvRmT1_T2_T3_mT4_P12ihipStream_tbEUlT_E0_NS1_11comp_targetILNS1_3genE8ELNS1_11target_archE1030ELNS1_3gpuE2ELNS1_3repE0EEENS1_30default_config_static_selectorELNS0_4arch9wavefront6targetE1EEEvS14_
    .private_segment_fixed_size: 0
    .sgpr_count:     4
    .sgpr_spill_count: 0
    .symbol:         _ZN7rocprim17ROCPRIM_400000_NS6detail17trampoline_kernelINS0_14default_configENS1_22reduce_config_selectorIN6thrust23THRUST_200600_302600_NS5tupleIblNS6_9null_typeES8_S8_S8_S8_S8_S8_S8_EEEEZNS1_11reduce_implILb1ES3_NS6_12zip_iteratorINS7_INS6_11hip_rocprim26transform_input_iterator_tIbNSD_35transform_pair_of_input_iterators_tIbNS6_6detail15normal_iteratorINS6_10device_ptrIKyEEEESL_NS6_8equal_toIyEEEENSG_9not_fun_tINSD_8identityEEEEENSD_19counting_iterator_tIlEES8_S8_S8_S8_S8_S8_S8_S8_EEEEPS9_S9_NSD_9__find_if7functorIS9_EEEE10hipError_tPvRmT1_T2_T3_mT4_P12ihipStream_tbEUlT_E0_NS1_11comp_targetILNS1_3genE8ELNS1_11target_archE1030ELNS1_3gpuE2ELNS1_3repE0EEENS1_30default_config_static_selectorELNS0_4arch9wavefront6targetE1EEEvS14_.kd
    .uniform_work_group_size: 1
    .uses_dynamic_stack: false
    .vgpr_count:     0
    .vgpr_spill_count: 0
    .wavefront_size: 64
  - .args:
      - .offset:         0
        .size:           88
        .value_kind:     by_value
    .group_segment_fixed_size: 0
    .kernarg_segment_align: 8
    .kernarg_segment_size: 88
    .language:       OpenCL C
    .language_version:
      - 2
      - 0
    .max_flat_workgroup_size: 128
    .name:           _ZN7rocprim17ROCPRIM_400000_NS6detail17trampoline_kernelINS0_14default_configENS1_22reduce_config_selectorIN6thrust23THRUST_200600_302600_NS5tupleIblNS6_9null_typeES8_S8_S8_S8_S8_S8_S8_EEEEZNS1_11reduce_implILb1ES3_NS6_12zip_iteratorINS7_INS6_11hip_rocprim26transform_input_iterator_tIbNSD_35transform_pair_of_input_iterators_tIbNS6_6detail15normal_iteratorINS6_10device_ptrIKyEEEESL_NS6_8equal_toIyEEEENSG_9not_fun_tINSD_8identityEEEEENSD_19counting_iterator_tIlEES8_S8_S8_S8_S8_S8_S8_S8_EEEEPS9_S9_NSD_9__find_if7functorIS9_EEEE10hipError_tPvRmT1_T2_T3_mT4_P12ihipStream_tbEUlT_E1_NS1_11comp_targetILNS1_3genE0ELNS1_11target_archE4294967295ELNS1_3gpuE0ELNS1_3repE0EEENS1_30default_config_static_selectorELNS0_4arch9wavefront6targetE1EEEvS14_
    .private_segment_fixed_size: 0
    .sgpr_count:     4
    .sgpr_spill_count: 0
    .symbol:         _ZN7rocprim17ROCPRIM_400000_NS6detail17trampoline_kernelINS0_14default_configENS1_22reduce_config_selectorIN6thrust23THRUST_200600_302600_NS5tupleIblNS6_9null_typeES8_S8_S8_S8_S8_S8_S8_EEEEZNS1_11reduce_implILb1ES3_NS6_12zip_iteratorINS7_INS6_11hip_rocprim26transform_input_iterator_tIbNSD_35transform_pair_of_input_iterators_tIbNS6_6detail15normal_iteratorINS6_10device_ptrIKyEEEESL_NS6_8equal_toIyEEEENSG_9not_fun_tINSD_8identityEEEEENSD_19counting_iterator_tIlEES8_S8_S8_S8_S8_S8_S8_S8_EEEEPS9_S9_NSD_9__find_if7functorIS9_EEEE10hipError_tPvRmT1_T2_T3_mT4_P12ihipStream_tbEUlT_E1_NS1_11comp_targetILNS1_3genE0ELNS1_11target_archE4294967295ELNS1_3gpuE0ELNS1_3repE0EEENS1_30default_config_static_selectorELNS0_4arch9wavefront6targetE1EEEvS14_.kd
    .uniform_work_group_size: 1
    .uses_dynamic_stack: false
    .vgpr_count:     0
    .vgpr_spill_count: 0
    .wavefront_size: 64
  - .args:
      - .offset:         0
        .size:           88
        .value_kind:     by_value
    .group_segment_fixed_size: 0
    .kernarg_segment_align: 8
    .kernarg_segment_size: 88
    .language:       OpenCL C
    .language_version:
      - 2
      - 0
    .max_flat_workgroup_size: 256
    .name:           _ZN7rocprim17ROCPRIM_400000_NS6detail17trampoline_kernelINS0_14default_configENS1_22reduce_config_selectorIN6thrust23THRUST_200600_302600_NS5tupleIblNS6_9null_typeES8_S8_S8_S8_S8_S8_S8_EEEEZNS1_11reduce_implILb1ES3_NS6_12zip_iteratorINS7_INS6_11hip_rocprim26transform_input_iterator_tIbNSD_35transform_pair_of_input_iterators_tIbNS6_6detail15normal_iteratorINS6_10device_ptrIKyEEEESL_NS6_8equal_toIyEEEENSG_9not_fun_tINSD_8identityEEEEENSD_19counting_iterator_tIlEES8_S8_S8_S8_S8_S8_S8_S8_EEEEPS9_S9_NSD_9__find_if7functorIS9_EEEE10hipError_tPvRmT1_T2_T3_mT4_P12ihipStream_tbEUlT_E1_NS1_11comp_targetILNS1_3genE5ELNS1_11target_archE942ELNS1_3gpuE9ELNS1_3repE0EEENS1_30default_config_static_selectorELNS0_4arch9wavefront6targetE1EEEvS14_
    .private_segment_fixed_size: 0
    .sgpr_count:     4
    .sgpr_spill_count: 0
    .symbol:         _ZN7rocprim17ROCPRIM_400000_NS6detail17trampoline_kernelINS0_14default_configENS1_22reduce_config_selectorIN6thrust23THRUST_200600_302600_NS5tupleIblNS6_9null_typeES8_S8_S8_S8_S8_S8_S8_EEEEZNS1_11reduce_implILb1ES3_NS6_12zip_iteratorINS7_INS6_11hip_rocprim26transform_input_iterator_tIbNSD_35transform_pair_of_input_iterators_tIbNS6_6detail15normal_iteratorINS6_10device_ptrIKyEEEESL_NS6_8equal_toIyEEEENSG_9not_fun_tINSD_8identityEEEEENSD_19counting_iterator_tIlEES8_S8_S8_S8_S8_S8_S8_S8_EEEEPS9_S9_NSD_9__find_if7functorIS9_EEEE10hipError_tPvRmT1_T2_T3_mT4_P12ihipStream_tbEUlT_E1_NS1_11comp_targetILNS1_3genE5ELNS1_11target_archE942ELNS1_3gpuE9ELNS1_3repE0EEENS1_30default_config_static_selectorELNS0_4arch9wavefront6targetE1EEEvS14_.kd
    .uniform_work_group_size: 1
    .uses_dynamic_stack: false
    .vgpr_count:     0
    .vgpr_spill_count: 0
    .wavefront_size: 64
  - .args:
      - .offset:         0
        .size:           88
        .value_kind:     by_value
    .group_segment_fixed_size: 0
    .kernarg_segment_align: 8
    .kernarg_segment_size: 88
    .language:       OpenCL C
    .language_version:
      - 2
      - 0
    .max_flat_workgroup_size: 256
    .name:           _ZN7rocprim17ROCPRIM_400000_NS6detail17trampoline_kernelINS0_14default_configENS1_22reduce_config_selectorIN6thrust23THRUST_200600_302600_NS5tupleIblNS6_9null_typeES8_S8_S8_S8_S8_S8_S8_EEEEZNS1_11reduce_implILb1ES3_NS6_12zip_iteratorINS7_INS6_11hip_rocprim26transform_input_iterator_tIbNSD_35transform_pair_of_input_iterators_tIbNS6_6detail15normal_iteratorINS6_10device_ptrIKyEEEESL_NS6_8equal_toIyEEEENSG_9not_fun_tINSD_8identityEEEEENSD_19counting_iterator_tIlEES8_S8_S8_S8_S8_S8_S8_S8_EEEEPS9_S9_NSD_9__find_if7functorIS9_EEEE10hipError_tPvRmT1_T2_T3_mT4_P12ihipStream_tbEUlT_E1_NS1_11comp_targetILNS1_3genE4ELNS1_11target_archE910ELNS1_3gpuE8ELNS1_3repE0EEENS1_30default_config_static_selectorELNS0_4arch9wavefront6targetE1EEEvS14_
    .private_segment_fixed_size: 0
    .sgpr_count:     4
    .sgpr_spill_count: 0
    .symbol:         _ZN7rocprim17ROCPRIM_400000_NS6detail17trampoline_kernelINS0_14default_configENS1_22reduce_config_selectorIN6thrust23THRUST_200600_302600_NS5tupleIblNS6_9null_typeES8_S8_S8_S8_S8_S8_S8_EEEEZNS1_11reduce_implILb1ES3_NS6_12zip_iteratorINS7_INS6_11hip_rocprim26transform_input_iterator_tIbNSD_35transform_pair_of_input_iterators_tIbNS6_6detail15normal_iteratorINS6_10device_ptrIKyEEEESL_NS6_8equal_toIyEEEENSG_9not_fun_tINSD_8identityEEEEENSD_19counting_iterator_tIlEES8_S8_S8_S8_S8_S8_S8_S8_EEEEPS9_S9_NSD_9__find_if7functorIS9_EEEE10hipError_tPvRmT1_T2_T3_mT4_P12ihipStream_tbEUlT_E1_NS1_11comp_targetILNS1_3genE4ELNS1_11target_archE910ELNS1_3gpuE8ELNS1_3repE0EEENS1_30default_config_static_selectorELNS0_4arch9wavefront6targetE1EEEvS14_.kd
    .uniform_work_group_size: 1
    .uses_dynamic_stack: false
    .vgpr_count:     0
    .vgpr_spill_count: 0
    .wavefront_size: 64
  - .args:
      - .offset:         0
        .size:           88
        .value_kind:     by_value
    .group_segment_fixed_size: 0
    .kernarg_segment_align: 8
    .kernarg_segment_size: 88
    .language:       OpenCL C
    .language_version:
      - 2
      - 0
    .max_flat_workgroup_size: 128
    .name:           _ZN7rocprim17ROCPRIM_400000_NS6detail17trampoline_kernelINS0_14default_configENS1_22reduce_config_selectorIN6thrust23THRUST_200600_302600_NS5tupleIblNS6_9null_typeES8_S8_S8_S8_S8_S8_S8_EEEEZNS1_11reduce_implILb1ES3_NS6_12zip_iteratorINS7_INS6_11hip_rocprim26transform_input_iterator_tIbNSD_35transform_pair_of_input_iterators_tIbNS6_6detail15normal_iteratorINS6_10device_ptrIKyEEEESL_NS6_8equal_toIyEEEENSG_9not_fun_tINSD_8identityEEEEENSD_19counting_iterator_tIlEES8_S8_S8_S8_S8_S8_S8_S8_EEEEPS9_S9_NSD_9__find_if7functorIS9_EEEE10hipError_tPvRmT1_T2_T3_mT4_P12ihipStream_tbEUlT_E1_NS1_11comp_targetILNS1_3genE3ELNS1_11target_archE908ELNS1_3gpuE7ELNS1_3repE0EEENS1_30default_config_static_selectorELNS0_4arch9wavefront6targetE1EEEvS14_
    .private_segment_fixed_size: 0
    .sgpr_count:     4
    .sgpr_spill_count: 0
    .symbol:         _ZN7rocprim17ROCPRIM_400000_NS6detail17trampoline_kernelINS0_14default_configENS1_22reduce_config_selectorIN6thrust23THRUST_200600_302600_NS5tupleIblNS6_9null_typeES8_S8_S8_S8_S8_S8_S8_EEEEZNS1_11reduce_implILb1ES3_NS6_12zip_iteratorINS7_INS6_11hip_rocprim26transform_input_iterator_tIbNSD_35transform_pair_of_input_iterators_tIbNS6_6detail15normal_iteratorINS6_10device_ptrIKyEEEESL_NS6_8equal_toIyEEEENSG_9not_fun_tINSD_8identityEEEEENSD_19counting_iterator_tIlEES8_S8_S8_S8_S8_S8_S8_S8_EEEEPS9_S9_NSD_9__find_if7functorIS9_EEEE10hipError_tPvRmT1_T2_T3_mT4_P12ihipStream_tbEUlT_E1_NS1_11comp_targetILNS1_3genE3ELNS1_11target_archE908ELNS1_3gpuE7ELNS1_3repE0EEENS1_30default_config_static_selectorELNS0_4arch9wavefront6targetE1EEEvS14_.kd
    .uniform_work_group_size: 1
    .uses_dynamic_stack: false
    .vgpr_count:     0
    .vgpr_spill_count: 0
    .wavefront_size: 64
  - .args:
      - .offset:         0
        .size:           88
        .value_kind:     by_value
    .group_segment_fixed_size: 160
    .kernarg_segment_align: 8
    .kernarg_segment_size: 88
    .language:       OpenCL C
    .language_version:
      - 2
      - 0
    .max_flat_workgroup_size: 128
    .name:           _ZN7rocprim17ROCPRIM_400000_NS6detail17trampoline_kernelINS0_14default_configENS1_22reduce_config_selectorIN6thrust23THRUST_200600_302600_NS5tupleIblNS6_9null_typeES8_S8_S8_S8_S8_S8_S8_EEEEZNS1_11reduce_implILb1ES3_NS6_12zip_iteratorINS7_INS6_11hip_rocprim26transform_input_iterator_tIbNSD_35transform_pair_of_input_iterators_tIbNS6_6detail15normal_iteratorINS6_10device_ptrIKyEEEESL_NS6_8equal_toIyEEEENSG_9not_fun_tINSD_8identityEEEEENSD_19counting_iterator_tIlEES8_S8_S8_S8_S8_S8_S8_S8_EEEEPS9_S9_NSD_9__find_if7functorIS9_EEEE10hipError_tPvRmT1_T2_T3_mT4_P12ihipStream_tbEUlT_E1_NS1_11comp_targetILNS1_3genE2ELNS1_11target_archE906ELNS1_3gpuE6ELNS1_3repE0EEENS1_30default_config_static_selectorELNS0_4arch9wavefront6targetE1EEEvS14_
    .private_segment_fixed_size: 0
    .sgpr_count:     46
    .sgpr_spill_count: 0
    .symbol:         _ZN7rocprim17ROCPRIM_400000_NS6detail17trampoline_kernelINS0_14default_configENS1_22reduce_config_selectorIN6thrust23THRUST_200600_302600_NS5tupleIblNS6_9null_typeES8_S8_S8_S8_S8_S8_S8_EEEEZNS1_11reduce_implILb1ES3_NS6_12zip_iteratorINS7_INS6_11hip_rocprim26transform_input_iterator_tIbNSD_35transform_pair_of_input_iterators_tIbNS6_6detail15normal_iteratorINS6_10device_ptrIKyEEEESL_NS6_8equal_toIyEEEENSG_9not_fun_tINSD_8identityEEEEENSD_19counting_iterator_tIlEES8_S8_S8_S8_S8_S8_S8_S8_EEEEPS9_S9_NSD_9__find_if7functorIS9_EEEE10hipError_tPvRmT1_T2_T3_mT4_P12ihipStream_tbEUlT_E1_NS1_11comp_targetILNS1_3genE2ELNS1_11target_archE906ELNS1_3gpuE6ELNS1_3repE0EEENS1_30default_config_static_selectorELNS0_4arch9wavefront6targetE1EEEvS14_.kd
    .uniform_work_group_size: 1
    .uses_dynamic_stack: false
    .vgpr_count:     31
    .vgpr_spill_count: 0
    .wavefront_size: 64
  - .args:
      - .offset:         0
        .size:           88
        .value_kind:     by_value
    .group_segment_fixed_size: 0
    .kernarg_segment_align: 8
    .kernarg_segment_size: 88
    .language:       OpenCL C
    .language_version:
      - 2
      - 0
    .max_flat_workgroup_size: 256
    .name:           _ZN7rocprim17ROCPRIM_400000_NS6detail17trampoline_kernelINS0_14default_configENS1_22reduce_config_selectorIN6thrust23THRUST_200600_302600_NS5tupleIblNS6_9null_typeES8_S8_S8_S8_S8_S8_S8_EEEEZNS1_11reduce_implILb1ES3_NS6_12zip_iteratorINS7_INS6_11hip_rocprim26transform_input_iterator_tIbNSD_35transform_pair_of_input_iterators_tIbNS6_6detail15normal_iteratorINS6_10device_ptrIKyEEEESL_NS6_8equal_toIyEEEENSG_9not_fun_tINSD_8identityEEEEENSD_19counting_iterator_tIlEES8_S8_S8_S8_S8_S8_S8_S8_EEEEPS9_S9_NSD_9__find_if7functorIS9_EEEE10hipError_tPvRmT1_T2_T3_mT4_P12ihipStream_tbEUlT_E1_NS1_11comp_targetILNS1_3genE10ELNS1_11target_archE1201ELNS1_3gpuE5ELNS1_3repE0EEENS1_30default_config_static_selectorELNS0_4arch9wavefront6targetE1EEEvS14_
    .private_segment_fixed_size: 0
    .sgpr_count:     4
    .sgpr_spill_count: 0
    .symbol:         _ZN7rocprim17ROCPRIM_400000_NS6detail17trampoline_kernelINS0_14default_configENS1_22reduce_config_selectorIN6thrust23THRUST_200600_302600_NS5tupleIblNS6_9null_typeES8_S8_S8_S8_S8_S8_S8_EEEEZNS1_11reduce_implILb1ES3_NS6_12zip_iteratorINS7_INS6_11hip_rocprim26transform_input_iterator_tIbNSD_35transform_pair_of_input_iterators_tIbNS6_6detail15normal_iteratorINS6_10device_ptrIKyEEEESL_NS6_8equal_toIyEEEENSG_9not_fun_tINSD_8identityEEEEENSD_19counting_iterator_tIlEES8_S8_S8_S8_S8_S8_S8_S8_EEEEPS9_S9_NSD_9__find_if7functorIS9_EEEE10hipError_tPvRmT1_T2_T3_mT4_P12ihipStream_tbEUlT_E1_NS1_11comp_targetILNS1_3genE10ELNS1_11target_archE1201ELNS1_3gpuE5ELNS1_3repE0EEENS1_30default_config_static_selectorELNS0_4arch9wavefront6targetE1EEEvS14_.kd
    .uniform_work_group_size: 1
    .uses_dynamic_stack: false
    .vgpr_count:     0
    .vgpr_spill_count: 0
    .wavefront_size: 64
  - .args:
      - .offset:         0
        .size:           88
        .value_kind:     by_value
    .group_segment_fixed_size: 0
    .kernarg_segment_align: 8
    .kernarg_segment_size: 88
    .language:       OpenCL C
    .language_version:
      - 2
      - 0
    .max_flat_workgroup_size: 256
    .name:           _ZN7rocprim17ROCPRIM_400000_NS6detail17trampoline_kernelINS0_14default_configENS1_22reduce_config_selectorIN6thrust23THRUST_200600_302600_NS5tupleIblNS6_9null_typeES8_S8_S8_S8_S8_S8_S8_EEEEZNS1_11reduce_implILb1ES3_NS6_12zip_iteratorINS7_INS6_11hip_rocprim26transform_input_iterator_tIbNSD_35transform_pair_of_input_iterators_tIbNS6_6detail15normal_iteratorINS6_10device_ptrIKyEEEESL_NS6_8equal_toIyEEEENSG_9not_fun_tINSD_8identityEEEEENSD_19counting_iterator_tIlEES8_S8_S8_S8_S8_S8_S8_S8_EEEEPS9_S9_NSD_9__find_if7functorIS9_EEEE10hipError_tPvRmT1_T2_T3_mT4_P12ihipStream_tbEUlT_E1_NS1_11comp_targetILNS1_3genE10ELNS1_11target_archE1200ELNS1_3gpuE4ELNS1_3repE0EEENS1_30default_config_static_selectorELNS0_4arch9wavefront6targetE1EEEvS14_
    .private_segment_fixed_size: 0
    .sgpr_count:     4
    .sgpr_spill_count: 0
    .symbol:         _ZN7rocprim17ROCPRIM_400000_NS6detail17trampoline_kernelINS0_14default_configENS1_22reduce_config_selectorIN6thrust23THRUST_200600_302600_NS5tupleIblNS6_9null_typeES8_S8_S8_S8_S8_S8_S8_EEEEZNS1_11reduce_implILb1ES3_NS6_12zip_iteratorINS7_INS6_11hip_rocprim26transform_input_iterator_tIbNSD_35transform_pair_of_input_iterators_tIbNS6_6detail15normal_iteratorINS6_10device_ptrIKyEEEESL_NS6_8equal_toIyEEEENSG_9not_fun_tINSD_8identityEEEEENSD_19counting_iterator_tIlEES8_S8_S8_S8_S8_S8_S8_S8_EEEEPS9_S9_NSD_9__find_if7functorIS9_EEEE10hipError_tPvRmT1_T2_T3_mT4_P12ihipStream_tbEUlT_E1_NS1_11comp_targetILNS1_3genE10ELNS1_11target_archE1200ELNS1_3gpuE4ELNS1_3repE0EEENS1_30default_config_static_selectorELNS0_4arch9wavefront6targetE1EEEvS14_.kd
    .uniform_work_group_size: 1
    .uses_dynamic_stack: false
    .vgpr_count:     0
    .vgpr_spill_count: 0
    .wavefront_size: 64
  - .args:
      - .offset:         0
        .size:           88
        .value_kind:     by_value
    .group_segment_fixed_size: 0
    .kernarg_segment_align: 8
    .kernarg_segment_size: 88
    .language:       OpenCL C
    .language_version:
      - 2
      - 0
    .max_flat_workgroup_size: 256
    .name:           _ZN7rocprim17ROCPRIM_400000_NS6detail17trampoline_kernelINS0_14default_configENS1_22reduce_config_selectorIN6thrust23THRUST_200600_302600_NS5tupleIblNS6_9null_typeES8_S8_S8_S8_S8_S8_S8_EEEEZNS1_11reduce_implILb1ES3_NS6_12zip_iteratorINS7_INS6_11hip_rocprim26transform_input_iterator_tIbNSD_35transform_pair_of_input_iterators_tIbNS6_6detail15normal_iteratorINS6_10device_ptrIKyEEEESL_NS6_8equal_toIyEEEENSG_9not_fun_tINSD_8identityEEEEENSD_19counting_iterator_tIlEES8_S8_S8_S8_S8_S8_S8_S8_EEEEPS9_S9_NSD_9__find_if7functorIS9_EEEE10hipError_tPvRmT1_T2_T3_mT4_P12ihipStream_tbEUlT_E1_NS1_11comp_targetILNS1_3genE9ELNS1_11target_archE1100ELNS1_3gpuE3ELNS1_3repE0EEENS1_30default_config_static_selectorELNS0_4arch9wavefront6targetE1EEEvS14_
    .private_segment_fixed_size: 0
    .sgpr_count:     4
    .sgpr_spill_count: 0
    .symbol:         _ZN7rocprim17ROCPRIM_400000_NS6detail17trampoline_kernelINS0_14default_configENS1_22reduce_config_selectorIN6thrust23THRUST_200600_302600_NS5tupleIblNS6_9null_typeES8_S8_S8_S8_S8_S8_S8_EEEEZNS1_11reduce_implILb1ES3_NS6_12zip_iteratorINS7_INS6_11hip_rocprim26transform_input_iterator_tIbNSD_35transform_pair_of_input_iterators_tIbNS6_6detail15normal_iteratorINS6_10device_ptrIKyEEEESL_NS6_8equal_toIyEEEENSG_9not_fun_tINSD_8identityEEEEENSD_19counting_iterator_tIlEES8_S8_S8_S8_S8_S8_S8_S8_EEEEPS9_S9_NSD_9__find_if7functorIS9_EEEE10hipError_tPvRmT1_T2_T3_mT4_P12ihipStream_tbEUlT_E1_NS1_11comp_targetILNS1_3genE9ELNS1_11target_archE1100ELNS1_3gpuE3ELNS1_3repE0EEENS1_30default_config_static_selectorELNS0_4arch9wavefront6targetE1EEEvS14_.kd
    .uniform_work_group_size: 1
    .uses_dynamic_stack: false
    .vgpr_count:     0
    .vgpr_spill_count: 0
    .wavefront_size: 64
  - .args:
      - .offset:         0
        .size:           88
        .value_kind:     by_value
    .group_segment_fixed_size: 0
    .kernarg_segment_align: 8
    .kernarg_segment_size: 88
    .language:       OpenCL C
    .language_version:
      - 2
      - 0
    .max_flat_workgroup_size: 256
    .name:           _ZN7rocprim17ROCPRIM_400000_NS6detail17trampoline_kernelINS0_14default_configENS1_22reduce_config_selectorIN6thrust23THRUST_200600_302600_NS5tupleIblNS6_9null_typeES8_S8_S8_S8_S8_S8_S8_EEEEZNS1_11reduce_implILb1ES3_NS6_12zip_iteratorINS7_INS6_11hip_rocprim26transform_input_iterator_tIbNSD_35transform_pair_of_input_iterators_tIbNS6_6detail15normal_iteratorINS6_10device_ptrIKyEEEESL_NS6_8equal_toIyEEEENSG_9not_fun_tINSD_8identityEEEEENSD_19counting_iterator_tIlEES8_S8_S8_S8_S8_S8_S8_S8_EEEEPS9_S9_NSD_9__find_if7functorIS9_EEEE10hipError_tPvRmT1_T2_T3_mT4_P12ihipStream_tbEUlT_E1_NS1_11comp_targetILNS1_3genE8ELNS1_11target_archE1030ELNS1_3gpuE2ELNS1_3repE0EEENS1_30default_config_static_selectorELNS0_4arch9wavefront6targetE1EEEvS14_
    .private_segment_fixed_size: 0
    .sgpr_count:     4
    .sgpr_spill_count: 0
    .symbol:         _ZN7rocprim17ROCPRIM_400000_NS6detail17trampoline_kernelINS0_14default_configENS1_22reduce_config_selectorIN6thrust23THRUST_200600_302600_NS5tupleIblNS6_9null_typeES8_S8_S8_S8_S8_S8_S8_EEEEZNS1_11reduce_implILb1ES3_NS6_12zip_iteratorINS7_INS6_11hip_rocprim26transform_input_iterator_tIbNSD_35transform_pair_of_input_iterators_tIbNS6_6detail15normal_iteratorINS6_10device_ptrIKyEEEESL_NS6_8equal_toIyEEEENSG_9not_fun_tINSD_8identityEEEEENSD_19counting_iterator_tIlEES8_S8_S8_S8_S8_S8_S8_S8_EEEEPS9_S9_NSD_9__find_if7functorIS9_EEEE10hipError_tPvRmT1_T2_T3_mT4_P12ihipStream_tbEUlT_E1_NS1_11comp_targetILNS1_3genE8ELNS1_11target_archE1030ELNS1_3gpuE2ELNS1_3repE0EEENS1_30default_config_static_selectorELNS0_4arch9wavefront6targetE1EEEvS14_.kd
    .uniform_work_group_size: 1
    .uses_dynamic_stack: false
    .vgpr_count:     0
    .vgpr_spill_count: 0
    .wavefront_size: 64
  - .args:
      - .offset:         0
        .size:           104
        .value_kind:     by_value
    .group_segment_fixed_size: 0
    .kernarg_segment_align: 8
    .kernarg_segment_size: 104
    .language:       OpenCL C
    .language_version:
      - 2
      - 0
    .max_flat_workgroup_size: 128
    .name:           _ZN7rocprim17ROCPRIM_400000_NS6detail17trampoline_kernelINS0_14default_configENS1_22reduce_config_selectorIN6thrust23THRUST_200600_302600_NS5tupleIblNS6_9null_typeES8_S8_S8_S8_S8_S8_S8_EEEEZNS1_11reduce_implILb1ES3_NS6_12zip_iteratorINS7_INS6_11hip_rocprim26transform_input_iterator_tIbNSD_35transform_pair_of_input_iterators_tIbNS6_6detail15normal_iteratorINS6_10device_ptrIKjEEEESL_NS6_8equal_toIjEEEENSG_9not_fun_tINSD_8identityEEEEENSD_19counting_iterator_tIlEES8_S8_S8_S8_S8_S8_S8_S8_EEEEPS9_S9_NSD_9__find_if7functorIS9_EEEE10hipError_tPvRmT1_T2_T3_mT4_P12ihipStream_tbEUlT_E0_NS1_11comp_targetILNS1_3genE0ELNS1_11target_archE4294967295ELNS1_3gpuE0ELNS1_3repE0EEENS1_30default_config_static_selectorELNS0_4arch9wavefront6targetE1EEEvS14_
    .private_segment_fixed_size: 0
    .sgpr_count:     4
    .sgpr_spill_count: 0
    .symbol:         _ZN7rocprim17ROCPRIM_400000_NS6detail17trampoline_kernelINS0_14default_configENS1_22reduce_config_selectorIN6thrust23THRUST_200600_302600_NS5tupleIblNS6_9null_typeES8_S8_S8_S8_S8_S8_S8_EEEEZNS1_11reduce_implILb1ES3_NS6_12zip_iteratorINS7_INS6_11hip_rocprim26transform_input_iterator_tIbNSD_35transform_pair_of_input_iterators_tIbNS6_6detail15normal_iteratorINS6_10device_ptrIKjEEEESL_NS6_8equal_toIjEEEENSG_9not_fun_tINSD_8identityEEEEENSD_19counting_iterator_tIlEES8_S8_S8_S8_S8_S8_S8_S8_EEEEPS9_S9_NSD_9__find_if7functorIS9_EEEE10hipError_tPvRmT1_T2_T3_mT4_P12ihipStream_tbEUlT_E0_NS1_11comp_targetILNS1_3genE0ELNS1_11target_archE4294967295ELNS1_3gpuE0ELNS1_3repE0EEENS1_30default_config_static_selectorELNS0_4arch9wavefront6targetE1EEEvS14_.kd
    .uniform_work_group_size: 1
    .uses_dynamic_stack: false
    .vgpr_count:     0
    .vgpr_spill_count: 0
    .wavefront_size: 64
  - .args:
      - .offset:         0
        .size:           104
        .value_kind:     by_value
    .group_segment_fixed_size: 0
    .kernarg_segment_align: 8
    .kernarg_segment_size: 104
    .language:       OpenCL C
    .language_version:
      - 2
      - 0
    .max_flat_workgroup_size: 256
    .name:           _ZN7rocprim17ROCPRIM_400000_NS6detail17trampoline_kernelINS0_14default_configENS1_22reduce_config_selectorIN6thrust23THRUST_200600_302600_NS5tupleIblNS6_9null_typeES8_S8_S8_S8_S8_S8_S8_EEEEZNS1_11reduce_implILb1ES3_NS6_12zip_iteratorINS7_INS6_11hip_rocprim26transform_input_iterator_tIbNSD_35transform_pair_of_input_iterators_tIbNS6_6detail15normal_iteratorINS6_10device_ptrIKjEEEESL_NS6_8equal_toIjEEEENSG_9not_fun_tINSD_8identityEEEEENSD_19counting_iterator_tIlEES8_S8_S8_S8_S8_S8_S8_S8_EEEEPS9_S9_NSD_9__find_if7functorIS9_EEEE10hipError_tPvRmT1_T2_T3_mT4_P12ihipStream_tbEUlT_E0_NS1_11comp_targetILNS1_3genE5ELNS1_11target_archE942ELNS1_3gpuE9ELNS1_3repE0EEENS1_30default_config_static_selectorELNS0_4arch9wavefront6targetE1EEEvS14_
    .private_segment_fixed_size: 0
    .sgpr_count:     4
    .sgpr_spill_count: 0
    .symbol:         _ZN7rocprim17ROCPRIM_400000_NS6detail17trampoline_kernelINS0_14default_configENS1_22reduce_config_selectorIN6thrust23THRUST_200600_302600_NS5tupleIblNS6_9null_typeES8_S8_S8_S8_S8_S8_S8_EEEEZNS1_11reduce_implILb1ES3_NS6_12zip_iteratorINS7_INS6_11hip_rocprim26transform_input_iterator_tIbNSD_35transform_pair_of_input_iterators_tIbNS6_6detail15normal_iteratorINS6_10device_ptrIKjEEEESL_NS6_8equal_toIjEEEENSG_9not_fun_tINSD_8identityEEEEENSD_19counting_iterator_tIlEES8_S8_S8_S8_S8_S8_S8_S8_EEEEPS9_S9_NSD_9__find_if7functorIS9_EEEE10hipError_tPvRmT1_T2_T3_mT4_P12ihipStream_tbEUlT_E0_NS1_11comp_targetILNS1_3genE5ELNS1_11target_archE942ELNS1_3gpuE9ELNS1_3repE0EEENS1_30default_config_static_selectorELNS0_4arch9wavefront6targetE1EEEvS14_.kd
    .uniform_work_group_size: 1
    .uses_dynamic_stack: false
    .vgpr_count:     0
    .vgpr_spill_count: 0
    .wavefront_size: 64
  - .args:
      - .offset:         0
        .size:           104
        .value_kind:     by_value
    .group_segment_fixed_size: 0
    .kernarg_segment_align: 8
    .kernarg_segment_size: 104
    .language:       OpenCL C
    .language_version:
      - 2
      - 0
    .max_flat_workgroup_size: 256
    .name:           _ZN7rocprim17ROCPRIM_400000_NS6detail17trampoline_kernelINS0_14default_configENS1_22reduce_config_selectorIN6thrust23THRUST_200600_302600_NS5tupleIblNS6_9null_typeES8_S8_S8_S8_S8_S8_S8_EEEEZNS1_11reduce_implILb1ES3_NS6_12zip_iteratorINS7_INS6_11hip_rocprim26transform_input_iterator_tIbNSD_35transform_pair_of_input_iterators_tIbNS6_6detail15normal_iteratorINS6_10device_ptrIKjEEEESL_NS6_8equal_toIjEEEENSG_9not_fun_tINSD_8identityEEEEENSD_19counting_iterator_tIlEES8_S8_S8_S8_S8_S8_S8_S8_EEEEPS9_S9_NSD_9__find_if7functorIS9_EEEE10hipError_tPvRmT1_T2_T3_mT4_P12ihipStream_tbEUlT_E0_NS1_11comp_targetILNS1_3genE4ELNS1_11target_archE910ELNS1_3gpuE8ELNS1_3repE0EEENS1_30default_config_static_selectorELNS0_4arch9wavefront6targetE1EEEvS14_
    .private_segment_fixed_size: 0
    .sgpr_count:     4
    .sgpr_spill_count: 0
    .symbol:         _ZN7rocprim17ROCPRIM_400000_NS6detail17trampoline_kernelINS0_14default_configENS1_22reduce_config_selectorIN6thrust23THRUST_200600_302600_NS5tupleIblNS6_9null_typeES8_S8_S8_S8_S8_S8_S8_EEEEZNS1_11reduce_implILb1ES3_NS6_12zip_iteratorINS7_INS6_11hip_rocprim26transform_input_iterator_tIbNSD_35transform_pair_of_input_iterators_tIbNS6_6detail15normal_iteratorINS6_10device_ptrIKjEEEESL_NS6_8equal_toIjEEEENSG_9not_fun_tINSD_8identityEEEEENSD_19counting_iterator_tIlEES8_S8_S8_S8_S8_S8_S8_S8_EEEEPS9_S9_NSD_9__find_if7functorIS9_EEEE10hipError_tPvRmT1_T2_T3_mT4_P12ihipStream_tbEUlT_E0_NS1_11comp_targetILNS1_3genE4ELNS1_11target_archE910ELNS1_3gpuE8ELNS1_3repE0EEENS1_30default_config_static_selectorELNS0_4arch9wavefront6targetE1EEEvS14_.kd
    .uniform_work_group_size: 1
    .uses_dynamic_stack: false
    .vgpr_count:     0
    .vgpr_spill_count: 0
    .wavefront_size: 64
  - .args:
      - .offset:         0
        .size:           104
        .value_kind:     by_value
    .group_segment_fixed_size: 0
    .kernarg_segment_align: 8
    .kernarg_segment_size: 104
    .language:       OpenCL C
    .language_version:
      - 2
      - 0
    .max_flat_workgroup_size: 128
    .name:           _ZN7rocprim17ROCPRIM_400000_NS6detail17trampoline_kernelINS0_14default_configENS1_22reduce_config_selectorIN6thrust23THRUST_200600_302600_NS5tupleIblNS6_9null_typeES8_S8_S8_S8_S8_S8_S8_EEEEZNS1_11reduce_implILb1ES3_NS6_12zip_iteratorINS7_INS6_11hip_rocprim26transform_input_iterator_tIbNSD_35transform_pair_of_input_iterators_tIbNS6_6detail15normal_iteratorINS6_10device_ptrIKjEEEESL_NS6_8equal_toIjEEEENSG_9not_fun_tINSD_8identityEEEEENSD_19counting_iterator_tIlEES8_S8_S8_S8_S8_S8_S8_S8_EEEEPS9_S9_NSD_9__find_if7functorIS9_EEEE10hipError_tPvRmT1_T2_T3_mT4_P12ihipStream_tbEUlT_E0_NS1_11comp_targetILNS1_3genE3ELNS1_11target_archE908ELNS1_3gpuE7ELNS1_3repE0EEENS1_30default_config_static_selectorELNS0_4arch9wavefront6targetE1EEEvS14_
    .private_segment_fixed_size: 0
    .sgpr_count:     4
    .sgpr_spill_count: 0
    .symbol:         _ZN7rocprim17ROCPRIM_400000_NS6detail17trampoline_kernelINS0_14default_configENS1_22reduce_config_selectorIN6thrust23THRUST_200600_302600_NS5tupleIblNS6_9null_typeES8_S8_S8_S8_S8_S8_S8_EEEEZNS1_11reduce_implILb1ES3_NS6_12zip_iteratorINS7_INS6_11hip_rocprim26transform_input_iterator_tIbNSD_35transform_pair_of_input_iterators_tIbNS6_6detail15normal_iteratorINS6_10device_ptrIKjEEEESL_NS6_8equal_toIjEEEENSG_9not_fun_tINSD_8identityEEEEENSD_19counting_iterator_tIlEES8_S8_S8_S8_S8_S8_S8_S8_EEEEPS9_S9_NSD_9__find_if7functorIS9_EEEE10hipError_tPvRmT1_T2_T3_mT4_P12ihipStream_tbEUlT_E0_NS1_11comp_targetILNS1_3genE3ELNS1_11target_archE908ELNS1_3gpuE7ELNS1_3repE0EEENS1_30default_config_static_selectorELNS0_4arch9wavefront6targetE1EEEvS14_.kd
    .uniform_work_group_size: 1
    .uses_dynamic_stack: false
    .vgpr_count:     0
    .vgpr_spill_count: 0
    .wavefront_size: 64
  - .args:
      - .offset:         0
        .size:           104
        .value_kind:     by_value
    .group_segment_fixed_size: 64
    .kernarg_segment_align: 8
    .kernarg_segment_size: 104
    .language:       OpenCL C
    .language_version:
      - 2
      - 0
    .max_flat_workgroup_size: 128
    .name:           _ZN7rocprim17ROCPRIM_400000_NS6detail17trampoline_kernelINS0_14default_configENS1_22reduce_config_selectorIN6thrust23THRUST_200600_302600_NS5tupleIblNS6_9null_typeES8_S8_S8_S8_S8_S8_S8_EEEEZNS1_11reduce_implILb1ES3_NS6_12zip_iteratorINS7_INS6_11hip_rocprim26transform_input_iterator_tIbNSD_35transform_pair_of_input_iterators_tIbNS6_6detail15normal_iteratorINS6_10device_ptrIKjEEEESL_NS6_8equal_toIjEEEENSG_9not_fun_tINSD_8identityEEEEENSD_19counting_iterator_tIlEES8_S8_S8_S8_S8_S8_S8_S8_EEEEPS9_S9_NSD_9__find_if7functorIS9_EEEE10hipError_tPvRmT1_T2_T3_mT4_P12ihipStream_tbEUlT_E0_NS1_11comp_targetILNS1_3genE2ELNS1_11target_archE906ELNS1_3gpuE6ELNS1_3repE0EEENS1_30default_config_static_selectorELNS0_4arch9wavefront6targetE1EEEvS14_
    .private_segment_fixed_size: 0
    .sgpr_count:     34
    .sgpr_spill_count: 0
    .symbol:         _ZN7rocprim17ROCPRIM_400000_NS6detail17trampoline_kernelINS0_14default_configENS1_22reduce_config_selectorIN6thrust23THRUST_200600_302600_NS5tupleIblNS6_9null_typeES8_S8_S8_S8_S8_S8_S8_EEEEZNS1_11reduce_implILb1ES3_NS6_12zip_iteratorINS7_INS6_11hip_rocprim26transform_input_iterator_tIbNSD_35transform_pair_of_input_iterators_tIbNS6_6detail15normal_iteratorINS6_10device_ptrIKjEEEESL_NS6_8equal_toIjEEEENSG_9not_fun_tINSD_8identityEEEEENSD_19counting_iterator_tIlEES8_S8_S8_S8_S8_S8_S8_S8_EEEEPS9_S9_NSD_9__find_if7functorIS9_EEEE10hipError_tPvRmT1_T2_T3_mT4_P12ihipStream_tbEUlT_E0_NS1_11comp_targetILNS1_3genE2ELNS1_11target_archE906ELNS1_3gpuE6ELNS1_3repE0EEENS1_30default_config_static_selectorELNS0_4arch9wavefront6targetE1EEEvS14_.kd
    .uniform_work_group_size: 1
    .uses_dynamic_stack: false
    .vgpr_count:     14
    .vgpr_spill_count: 0
    .wavefront_size: 64
  - .args:
      - .offset:         0
        .size:           104
        .value_kind:     by_value
    .group_segment_fixed_size: 0
    .kernarg_segment_align: 8
    .kernarg_segment_size: 104
    .language:       OpenCL C
    .language_version:
      - 2
      - 0
    .max_flat_workgroup_size: 256
    .name:           _ZN7rocprim17ROCPRIM_400000_NS6detail17trampoline_kernelINS0_14default_configENS1_22reduce_config_selectorIN6thrust23THRUST_200600_302600_NS5tupleIblNS6_9null_typeES8_S8_S8_S8_S8_S8_S8_EEEEZNS1_11reduce_implILb1ES3_NS6_12zip_iteratorINS7_INS6_11hip_rocprim26transform_input_iterator_tIbNSD_35transform_pair_of_input_iterators_tIbNS6_6detail15normal_iteratorINS6_10device_ptrIKjEEEESL_NS6_8equal_toIjEEEENSG_9not_fun_tINSD_8identityEEEEENSD_19counting_iterator_tIlEES8_S8_S8_S8_S8_S8_S8_S8_EEEEPS9_S9_NSD_9__find_if7functorIS9_EEEE10hipError_tPvRmT1_T2_T3_mT4_P12ihipStream_tbEUlT_E0_NS1_11comp_targetILNS1_3genE10ELNS1_11target_archE1201ELNS1_3gpuE5ELNS1_3repE0EEENS1_30default_config_static_selectorELNS0_4arch9wavefront6targetE1EEEvS14_
    .private_segment_fixed_size: 0
    .sgpr_count:     4
    .sgpr_spill_count: 0
    .symbol:         _ZN7rocprim17ROCPRIM_400000_NS6detail17trampoline_kernelINS0_14default_configENS1_22reduce_config_selectorIN6thrust23THRUST_200600_302600_NS5tupleIblNS6_9null_typeES8_S8_S8_S8_S8_S8_S8_EEEEZNS1_11reduce_implILb1ES3_NS6_12zip_iteratorINS7_INS6_11hip_rocprim26transform_input_iterator_tIbNSD_35transform_pair_of_input_iterators_tIbNS6_6detail15normal_iteratorINS6_10device_ptrIKjEEEESL_NS6_8equal_toIjEEEENSG_9not_fun_tINSD_8identityEEEEENSD_19counting_iterator_tIlEES8_S8_S8_S8_S8_S8_S8_S8_EEEEPS9_S9_NSD_9__find_if7functorIS9_EEEE10hipError_tPvRmT1_T2_T3_mT4_P12ihipStream_tbEUlT_E0_NS1_11comp_targetILNS1_3genE10ELNS1_11target_archE1201ELNS1_3gpuE5ELNS1_3repE0EEENS1_30default_config_static_selectorELNS0_4arch9wavefront6targetE1EEEvS14_.kd
    .uniform_work_group_size: 1
    .uses_dynamic_stack: false
    .vgpr_count:     0
    .vgpr_spill_count: 0
    .wavefront_size: 64
  - .args:
      - .offset:         0
        .size:           104
        .value_kind:     by_value
    .group_segment_fixed_size: 0
    .kernarg_segment_align: 8
    .kernarg_segment_size: 104
    .language:       OpenCL C
    .language_version:
      - 2
      - 0
    .max_flat_workgroup_size: 256
    .name:           _ZN7rocprim17ROCPRIM_400000_NS6detail17trampoline_kernelINS0_14default_configENS1_22reduce_config_selectorIN6thrust23THRUST_200600_302600_NS5tupleIblNS6_9null_typeES8_S8_S8_S8_S8_S8_S8_EEEEZNS1_11reduce_implILb1ES3_NS6_12zip_iteratorINS7_INS6_11hip_rocprim26transform_input_iterator_tIbNSD_35transform_pair_of_input_iterators_tIbNS6_6detail15normal_iteratorINS6_10device_ptrIKjEEEESL_NS6_8equal_toIjEEEENSG_9not_fun_tINSD_8identityEEEEENSD_19counting_iterator_tIlEES8_S8_S8_S8_S8_S8_S8_S8_EEEEPS9_S9_NSD_9__find_if7functorIS9_EEEE10hipError_tPvRmT1_T2_T3_mT4_P12ihipStream_tbEUlT_E0_NS1_11comp_targetILNS1_3genE10ELNS1_11target_archE1200ELNS1_3gpuE4ELNS1_3repE0EEENS1_30default_config_static_selectorELNS0_4arch9wavefront6targetE1EEEvS14_
    .private_segment_fixed_size: 0
    .sgpr_count:     4
    .sgpr_spill_count: 0
    .symbol:         _ZN7rocprim17ROCPRIM_400000_NS6detail17trampoline_kernelINS0_14default_configENS1_22reduce_config_selectorIN6thrust23THRUST_200600_302600_NS5tupleIblNS6_9null_typeES8_S8_S8_S8_S8_S8_S8_EEEEZNS1_11reduce_implILb1ES3_NS6_12zip_iteratorINS7_INS6_11hip_rocprim26transform_input_iterator_tIbNSD_35transform_pair_of_input_iterators_tIbNS6_6detail15normal_iteratorINS6_10device_ptrIKjEEEESL_NS6_8equal_toIjEEEENSG_9not_fun_tINSD_8identityEEEEENSD_19counting_iterator_tIlEES8_S8_S8_S8_S8_S8_S8_S8_EEEEPS9_S9_NSD_9__find_if7functorIS9_EEEE10hipError_tPvRmT1_T2_T3_mT4_P12ihipStream_tbEUlT_E0_NS1_11comp_targetILNS1_3genE10ELNS1_11target_archE1200ELNS1_3gpuE4ELNS1_3repE0EEENS1_30default_config_static_selectorELNS0_4arch9wavefront6targetE1EEEvS14_.kd
    .uniform_work_group_size: 1
    .uses_dynamic_stack: false
    .vgpr_count:     0
    .vgpr_spill_count: 0
    .wavefront_size: 64
  - .args:
      - .offset:         0
        .size:           104
        .value_kind:     by_value
    .group_segment_fixed_size: 0
    .kernarg_segment_align: 8
    .kernarg_segment_size: 104
    .language:       OpenCL C
    .language_version:
      - 2
      - 0
    .max_flat_workgroup_size: 256
    .name:           _ZN7rocprim17ROCPRIM_400000_NS6detail17trampoline_kernelINS0_14default_configENS1_22reduce_config_selectorIN6thrust23THRUST_200600_302600_NS5tupleIblNS6_9null_typeES8_S8_S8_S8_S8_S8_S8_EEEEZNS1_11reduce_implILb1ES3_NS6_12zip_iteratorINS7_INS6_11hip_rocprim26transform_input_iterator_tIbNSD_35transform_pair_of_input_iterators_tIbNS6_6detail15normal_iteratorINS6_10device_ptrIKjEEEESL_NS6_8equal_toIjEEEENSG_9not_fun_tINSD_8identityEEEEENSD_19counting_iterator_tIlEES8_S8_S8_S8_S8_S8_S8_S8_EEEEPS9_S9_NSD_9__find_if7functorIS9_EEEE10hipError_tPvRmT1_T2_T3_mT4_P12ihipStream_tbEUlT_E0_NS1_11comp_targetILNS1_3genE9ELNS1_11target_archE1100ELNS1_3gpuE3ELNS1_3repE0EEENS1_30default_config_static_selectorELNS0_4arch9wavefront6targetE1EEEvS14_
    .private_segment_fixed_size: 0
    .sgpr_count:     4
    .sgpr_spill_count: 0
    .symbol:         _ZN7rocprim17ROCPRIM_400000_NS6detail17trampoline_kernelINS0_14default_configENS1_22reduce_config_selectorIN6thrust23THRUST_200600_302600_NS5tupleIblNS6_9null_typeES8_S8_S8_S8_S8_S8_S8_EEEEZNS1_11reduce_implILb1ES3_NS6_12zip_iteratorINS7_INS6_11hip_rocprim26transform_input_iterator_tIbNSD_35transform_pair_of_input_iterators_tIbNS6_6detail15normal_iteratorINS6_10device_ptrIKjEEEESL_NS6_8equal_toIjEEEENSG_9not_fun_tINSD_8identityEEEEENSD_19counting_iterator_tIlEES8_S8_S8_S8_S8_S8_S8_S8_EEEEPS9_S9_NSD_9__find_if7functorIS9_EEEE10hipError_tPvRmT1_T2_T3_mT4_P12ihipStream_tbEUlT_E0_NS1_11comp_targetILNS1_3genE9ELNS1_11target_archE1100ELNS1_3gpuE3ELNS1_3repE0EEENS1_30default_config_static_selectorELNS0_4arch9wavefront6targetE1EEEvS14_.kd
    .uniform_work_group_size: 1
    .uses_dynamic_stack: false
    .vgpr_count:     0
    .vgpr_spill_count: 0
    .wavefront_size: 64
  - .args:
      - .offset:         0
        .size:           104
        .value_kind:     by_value
    .group_segment_fixed_size: 0
    .kernarg_segment_align: 8
    .kernarg_segment_size: 104
    .language:       OpenCL C
    .language_version:
      - 2
      - 0
    .max_flat_workgroup_size: 256
    .name:           _ZN7rocprim17ROCPRIM_400000_NS6detail17trampoline_kernelINS0_14default_configENS1_22reduce_config_selectorIN6thrust23THRUST_200600_302600_NS5tupleIblNS6_9null_typeES8_S8_S8_S8_S8_S8_S8_EEEEZNS1_11reduce_implILb1ES3_NS6_12zip_iteratorINS7_INS6_11hip_rocprim26transform_input_iterator_tIbNSD_35transform_pair_of_input_iterators_tIbNS6_6detail15normal_iteratorINS6_10device_ptrIKjEEEESL_NS6_8equal_toIjEEEENSG_9not_fun_tINSD_8identityEEEEENSD_19counting_iterator_tIlEES8_S8_S8_S8_S8_S8_S8_S8_EEEEPS9_S9_NSD_9__find_if7functorIS9_EEEE10hipError_tPvRmT1_T2_T3_mT4_P12ihipStream_tbEUlT_E0_NS1_11comp_targetILNS1_3genE8ELNS1_11target_archE1030ELNS1_3gpuE2ELNS1_3repE0EEENS1_30default_config_static_selectorELNS0_4arch9wavefront6targetE1EEEvS14_
    .private_segment_fixed_size: 0
    .sgpr_count:     4
    .sgpr_spill_count: 0
    .symbol:         _ZN7rocprim17ROCPRIM_400000_NS6detail17trampoline_kernelINS0_14default_configENS1_22reduce_config_selectorIN6thrust23THRUST_200600_302600_NS5tupleIblNS6_9null_typeES8_S8_S8_S8_S8_S8_S8_EEEEZNS1_11reduce_implILb1ES3_NS6_12zip_iteratorINS7_INS6_11hip_rocprim26transform_input_iterator_tIbNSD_35transform_pair_of_input_iterators_tIbNS6_6detail15normal_iteratorINS6_10device_ptrIKjEEEESL_NS6_8equal_toIjEEEENSG_9not_fun_tINSD_8identityEEEEENSD_19counting_iterator_tIlEES8_S8_S8_S8_S8_S8_S8_S8_EEEEPS9_S9_NSD_9__find_if7functorIS9_EEEE10hipError_tPvRmT1_T2_T3_mT4_P12ihipStream_tbEUlT_E0_NS1_11comp_targetILNS1_3genE8ELNS1_11target_archE1030ELNS1_3gpuE2ELNS1_3repE0EEENS1_30default_config_static_selectorELNS0_4arch9wavefront6targetE1EEEvS14_.kd
    .uniform_work_group_size: 1
    .uses_dynamic_stack: false
    .vgpr_count:     0
    .vgpr_spill_count: 0
    .wavefront_size: 64
  - .args:
      - .offset:         0
        .size:           88
        .value_kind:     by_value
    .group_segment_fixed_size: 0
    .kernarg_segment_align: 8
    .kernarg_segment_size: 88
    .language:       OpenCL C
    .language_version:
      - 2
      - 0
    .max_flat_workgroup_size: 128
    .name:           _ZN7rocprim17ROCPRIM_400000_NS6detail17trampoline_kernelINS0_14default_configENS1_22reduce_config_selectorIN6thrust23THRUST_200600_302600_NS5tupleIblNS6_9null_typeES8_S8_S8_S8_S8_S8_S8_EEEEZNS1_11reduce_implILb1ES3_NS6_12zip_iteratorINS7_INS6_11hip_rocprim26transform_input_iterator_tIbNSD_35transform_pair_of_input_iterators_tIbNS6_6detail15normal_iteratorINS6_10device_ptrIKjEEEESL_NS6_8equal_toIjEEEENSG_9not_fun_tINSD_8identityEEEEENSD_19counting_iterator_tIlEES8_S8_S8_S8_S8_S8_S8_S8_EEEEPS9_S9_NSD_9__find_if7functorIS9_EEEE10hipError_tPvRmT1_T2_T3_mT4_P12ihipStream_tbEUlT_E1_NS1_11comp_targetILNS1_3genE0ELNS1_11target_archE4294967295ELNS1_3gpuE0ELNS1_3repE0EEENS1_30default_config_static_selectorELNS0_4arch9wavefront6targetE1EEEvS14_
    .private_segment_fixed_size: 0
    .sgpr_count:     4
    .sgpr_spill_count: 0
    .symbol:         _ZN7rocprim17ROCPRIM_400000_NS6detail17trampoline_kernelINS0_14default_configENS1_22reduce_config_selectorIN6thrust23THRUST_200600_302600_NS5tupleIblNS6_9null_typeES8_S8_S8_S8_S8_S8_S8_EEEEZNS1_11reduce_implILb1ES3_NS6_12zip_iteratorINS7_INS6_11hip_rocprim26transform_input_iterator_tIbNSD_35transform_pair_of_input_iterators_tIbNS6_6detail15normal_iteratorINS6_10device_ptrIKjEEEESL_NS6_8equal_toIjEEEENSG_9not_fun_tINSD_8identityEEEEENSD_19counting_iterator_tIlEES8_S8_S8_S8_S8_S8_S8_S8_EEEEPS9_S9_NSD_9__find_if7functorIS9_EEEE10hipError_tPvRmT1_T2_T3_mT4_P12ihipStream_tbEUlT_E1_NS1_11comp_targetILNS1_3genE0ELNS1_11target_archE4294967295ELNS1_3gpuE0ELNS1_3repE0EEENS1_30default_config_static_selectorELNS0_4arch9wavefront6targetE1EEEvS14_.kd
    .uniform_work_group_size: 1
    .uses_dynamic_stack: false
    .vgpr_count:     0
    .vgpr_spill_count: 0
    .wavefront_size: 64
  - .args:
      - .offset:         0
        .size:           88
        .value_kind:     by_value
    .group_segment_fixed_size: 0
    .kernarg_segment_align: 8
    .kernarg_segment_size: 88
    .language:       OpenCL C
    .language_version:
      - 2
      - 0
    .max_flat_workgroup_size: 256
    .name:           _ZN7rocprim17ROCPRIM_400000_NS6detail17trampoline_kernelINS0_14default_configENS1_22reduce_config_selectorIN6thrust23THRUST_200600_302600_NS5tupleIblNS6_9null_typeES8_S8_S8_S8_S8_S8_S8_EEEEZNS1_11reduce_implILb1ES3_NS6_12zip_iteratorINS7_INS6_11hip_rocprim26transform_input_iterator_tIbNSD_35transform_pair_of_input_iterators_tIbNS6_6detail15normal_iteratorINS6_10device_ptrIKjEEEESL_NS6_8equal_toIjEEEENSG_9not_fun_tINSD_8identityEEEEENSD_19counting_iterator_tIlEES8_S8_S8_S8_S8_S8_S8_S8_EEEEPS9_S9_NSD_9__find_if7functorIS9_EEEE10hipError_tPvRmT1_T2_T3_mT4_P12ihipStream_tbEUlT_E1_NS1_11comp_targetILNS1_3genE5ELNS1_11target_archE942ELNS1_3gpuE9ELNS1_3repE0EEENS1_30default_config_static_selectorELNS0_4arch9wavefront6targetE1EEEvS14_
    .private_segment_fixed_size: 0
    .sgpr_count:     4
    .sgpr_spill_count: 0
    .symbol:         _ZN7rocprim17ROCPRIM_400000_NS6detail17trampoline_kernelINS0_14default_configENS1_22reduce_config_selectorIN6thrust23THRUST_200600_302600_NS5tupleIblNS6_9null_typeES8_S8_S8_S8_S8_S8_S8_EEEEZNS1_11reduce_implILb1ES3_NS6_12zip_iteratorINS7_INS6_11hip_rocprim26transform_input_iterator_tIbNSD_35transform_pair_of_input_iterators_tIbNS6_6detail15normal_iteratorINS6_10device_ptrIKjEEEESL_NS6_8equal_toIjEEEENSG_9not_fun_tINSD_8identityEEEEENSD_19counting_iterator_tIlEES8_S8_S8_S8_S8_S8_S8_S8_EEEEPS9_S9_NSD_9__find_if7functorIS9_EEEE10hipError_tPvRmT1_T2_T3_mT4_P12ihipStream_tbEUlT_E1_NS1_11comp_targetILNS1_3genE5ELNS1_11target_archE942ELNS1_3gpuE9ELNS1_3repE0EEENS1_30default_config_static_selectorELNS0_4arch9wavefront6targetE1EEEvS14_.kd
    .uniform_work_group_size: 1
    .uses_dynamic_stack: false
    .vgpr_count:     0
    .vgpr_spill_count: 0
    .wavefront_size: 64
  - .args:
      - .offset:         0
        .size:           88
        .value_kind:     by_value
    .group_segment_fixed_size: 0
    .kernarg_segment_align: 8
    .kernarg_segment_size: 88
    .language:       OpenCL C
    .language_version:
      - 2
      - 0
    .max_flat_workgroup_size: 256
    .name:           _ZN7rocprim17ROCPRIM_400000_NS6detail17trampoline_kernelINS0_14default_configENS1_22reduce_config_selectorIN6thrust23THRUST_200600_302600_NS5tupleIblNS6_9null_typeES8_S8_S8_S8_S8_S8_S8_EEEEZNS1_11reduce_implILb1ES3_NS6_12zip_iteratorINS7_INS6_11hip_rocprim26transform_input_iterator_tIbNSD_35transform_pair_of_input_iterators_tIbNS6_6detail15normal_iteratorINS6_10device_ptrIKjEEEESL_NS6_8equal_toIjEEEENSG_9not_fun_tINSD_8identityEEEEENSD_19counting_iterator_tIlEES8_S8_S8_S8_S8_S8_S8_S8_EEEEPS9_S9_NSD_9__find_if7functorIS9_EEEE10hipError_tPvRmT1_T2_T3_mT4_P12ihipStream_tbEUlT_E1_NS1_11comp_targetILNS1_3genE4ELNS1_11target_archE910ELNS1_3gpuE8ELNS1_3repE0EEENS1_30default_config_static_selectorELNS0_4arch9wavefront6targetE1EEEvS14_
    .private_segment_fixed_size: 0
    .sgpr_count:     4
    .sgpr_spill_count: 0
    .symbol:         _ZN7rocprim17ROCPRIM_400000_NS6detail17trampoline_kernelINS0_14default_configENS1_22reduce_config_selectorIN6thrust23THRUST_200600_302600_NS5tupleIblNS6_9null_typeES8_S8_S8_S8_S8_S8_S8_EEEEZNS1_11reduce_implILb1ES3_NS6_12zip_iteratorINS7_INS6_11hip_rocprim26transform_input_iterator_tIbNSD_35transform_pair_of_input_iterators_tIbNS6_6detail15normal_iteratorINS6_10device_ptrIKjEEEESL_NS6_8equal_toIjEEEENSG_9not_fun_tINSD_8identityEEEEENSD_19counting_iterator_tIlEES8_S8_S8_S8_S8_S8_S8_S8_EEEEPS9_S9_NSD_9__find_if7functorIS9_EEEE10hipError_tPvRmT1_T2_T3_mT4_P12ihipStream_tbEUlT_E1_NS1_11comp_targetILNS1_3genE4ELNS1_11target_archE910ELNS1_3gpuE8ELNS1_3repE0EEENS1_30default_config_static_selectorELNS0_4arch9wavefront6targetE1EEEvS14_.kd
    .uniform_work_group_size: 1
    .uses_dynamic_stack: false
    .vgpr_count:     0
    .vgpr_spill_count: 0
    .wavefront_size: 64
  - .args:
      - .offset:         0
        .size:           88
        .value_kind:     by_value
    .group_segment_fixed_size: 0
    .kernarg_segment_align: 8
    .kernarg_segment_size: 88
    .language:       OpenCL C
    .language_version:
      - 2
      - 0
    .max_flat_workgroup_size: 128
    .name:           _ZN7rocprim17ROCPRIM_400000_NS6detail17trampoline_kernelINS0_14default_configENS1_22reduce_config_selectorIN6thrust23THRUST_200600_302600_NS5tupleIblNS6_9null_typeES8_S8_S8_S8_S8_S8_S8_EEEEZNS1_11reduce_implILb1ES3_NS6_12zip_iteratorINS7_INS6_11hip_rocprim26transform_input_iterator_tIbNSD_35transform_pair_of_input_iterators_tIbNS6_6detail15normal_iteratorINS6_10device_ptrIKjEEEESL_NS6_8equal_toIjEEEENSG_9not_fun_tINSD_8identityEEEEENSD_19counting_iterator_tIlEES8_S8_S8_S8_S8_S8_S8_S8_EEEEPS9_S9_NSD_9__find_if7functorIS9_EEEE10hipError_tPvRmT1_T2_T3_mT4_P12ihipStream_tbEUlT_E1_NS1_11comp_targetILNS1_3genE3ELNS1_11target_archE908ELNS1_3gpuE7ELNS1_3repE0EEENS1_30default_config_static_selectorELNS0_4arch9wavefront6targetE1EEEvS14_
    .private_segment_fixed_size: 0
    .sgpr_count:     4
    .sgpr_spill_count: 0
    .symbol:         _ZN7rocprim17ROCPRIM_400000_NS6detail17trampoline_kernelINS0_14default_configENS1_22reduce_config_selectorIN6thrust23THRUST_200600_302600_NS5tupleIblNS6_9null_typeES8_S8_S8_S8_S8_S8_S8_EEEEZNS1_11reduce_implILb1ES3_NS6_12zip_iteratorINS7_INS6_11hip_rocprim26transform_input_iterator_tIbNSD_35transform_pair_of_input_iterators_tIbNS6_6detail15normal_iteratorINS6_10device_ptrIKjEEEESL_NS6_8equal_toIjEEEENSG_9not_fun_tINSD_8identityEEEEENSD_19counting_iterator_tIlEES8_S8_S8_S8_S8_S8_S8_S8_EEEEPS9_S9_NSD_9__find_if7functorIS9_EEEE10hipError_tPvRmT1_T2_T3_mT4_P12ihipStream_tbEUlT_E1_NS1_11comp_targetILNS1_3genE3ELNS1_11target_archE908ELNS1_3gpuE7ELNS1_3repE0EEENS1_30default_config_static_selectorELNS0_4arch9wavefront6targetE1EEEvS14_.kd
    .uniform_work_group_size: 1
    .uses_dynamic_stack: false
    .vgpr_count:     0
    .vgpr_spill_count: 0
    .wavefront_size: 64
  - .args:
      - .offset:         0
        .size:           88
        .value_kind:     by_value
    .group_segment_fixed_size: 160
    .kernarg_segment_align: 8
    .kernarg_segment_size: 88
    .language:       OpenCL C
    .language_version:
      - 2
      - 0
    .max_flat_workgroup_size: 128
    .name:           _ZN7rocprim17ROCPRIM_400000_NS6detail17trampoline_kernelINS0_14default_configENS1_22reduce_config_selectorIN6thrust23THRUST_200600_302600_NS5tupleIblNS6_9null_typeES8_S8_S8_S8_S8_S8_S8_EEEEZNS1_11reduce_implILb1ES3_NS6_12zip_iteratorINS7_INS6_11hip_rocprim26transform_input_iterator_tIbNSD_35transform_pair_of_input_iterators_tIbNS6_6detail15normal_iteratorINS6_10device_ptrIKjEEEESL_NS6_8equal_toIjEEEENSG_9not_fun_tINSD_8identityEEEEENSD_19counting_iterator_tIlEES8_S8_S8_S8_S8_S8_S8_S8_EEEEPS9_S9_NSD_9__find_if7functorIS9_EEEE10hipError_tPvRmT1_T2_T3_mT4_P12ihipStream_tbEUlT_E1_NS1_11comp_targetILNS1_3genE2ELNS1_11target_archE906ELNS1_3gpuE6ELNS1_3repE0EEENS1_30default_config_static_selectorELNS0_4arch9wavefront6targetE1EEEvS14_
    .private_segment_fixed_size: 0
    .sgpr_count:     46
    .sgpr_spill_count: 0
    .symbol:         _ZN7rocprim17ROCPRIM_400000_NS6detail17trampoline_kernelINS0_14default_configENS1_22reduce_config_selectorIN6thrust23THRUST_200600_302600_NS5tupleIblNS6_9null_typeES8_S8_S8_S8_S8_S8_S8_EEEEZNS1_11reduce_implILb1ES3_NS6_12zip_iteratorINS7_INS6_11hip_rocprim26transform_input_iterator_tIbNSD_35transform_pair_of_input_iterators_tIbNS6_6detail15normal_iteratorINS6_10device_ptrIKjEEEESL_NS6_8equal_toIjEEEENSG_9not_fun_tINSD_8identityEEEEENSD_19counting_iterator_tIlEES8_S8_S8_S8_S8_S8_S8_S8_EEEEPS9_S9_NSD_9__find_if7functorIS9_EEEE10hipError_tPvRmT1_T2_T3_mT4_P12ihipStream_tbEUlT_E1_NS1_11comp_targetILNS1_3genE2ELNS1_11target_archE906ELNS1_3gpuE6ELNS1_3repE0EEENS1_30default_config_static_selectorELNS0_4arch9wavefront6targetE1EEEvS14_.kd
    .uniform_work_group_size: 1
    .uses_dynamic_stack: false
    .vgpr_count:     27
    .vgpr_spill_count: 0
    .wavefront_size: 64
  - .args:
      - .offset:         0
        .size:           88
        .value_kind:     by_value
    .group_segment_fixed_size: 0
    .kernarg_segment_align: 8
    .kernarg_segment_size: 88
    .language:       OpenCL C
    .language_version:
      - 2
      - 0
    .max_flat_workgroup_size: 256
    .name:           _ZN7rocprim17ROCPRIM_400000_NS6detail17trampoline_kernelINS0_14default_configENS1_22reduce_config_selectorIN6thrust23THRUST_200600_302600_NS5tupleIblNS6_9null_typeES8_S8_S8_S8_S8_S8_S8_EEEEZNS1_11reduce_implILb1ES3_NS6_12zip_iteratorINS7_INS6_11hip_rocprim26transform_input_iterator_tIbNSD_35transform_pair_of_input_iterators_tIbNS6_6detail15normal_iteratorINS6_10device_ptrIKjEEEESL_NS6_8equal_toIjEEEENSG_9not_fun_tINSD_8identityEEEEENSD_19counting_iterator_tIlEES8_S8_S8_S8_S8_S8_S8_S8_EEEEPS9_S9_NSD_9__find_if7functorIS9_EEEE10hipError_tPvRmT1_T2_T3_mT4_P12ihipStream_tbEUlT_E1_NS1_11comp_targetILNS1_3genE10ELNS1_11target_archE1201ELNS1_3gpuE5ELNS1_3repE0EEENS1_30default_config_static_selectorELNS0_4arch9wavefront6targetE1EEEvS14_
    .private_segment_fixed_size: 0
    .sgpr_count:     4
    .sgpr_spill_count: 0
    .symbol:         _ZN7rocprim17ROCPRIM_400000_NS6detail17trampoline_kernelINS0_14default_configENS1_22reduce_config_selectorIN6thrust23THRUST_200600_302600_NS5tupleIblNS6_9null_typeES8_S8_S8_S8_S8_S8_S8_EEEEZNS1_11reduce_implILb1ES3_NS6_12zip_iteratorINS7_INS6_11hip_rocprim26transform_input_iterator_tIbNSD_35transform_pair_of_input_iterators_tIbNS6_6detail15normal_iteratorINS6_10device_ptrIKjEEEESL_NS6_8equal_toIjEEEENSG_9not_fun_tINSD_8identityEEEEENSD_19counting_iterator_tIlEES8_S8_S8_S8_S8_S8_S8_S8_EEEEPS9_S9_NSD_9__find_if7functorIS9_EEEE10hipError_tPvRmT1_T2_T3_mT4_P12ihipStream_tbEUlT_E1_NS1_11comp_targetILNS1_3genE10ELNS1_11target_archE1201ELNS1_3gpuE5ELNS1_3repE0EEENS1_30default_config_static_selectorELNS0_4arch9wavefront6targetE1EEEvS14_.kd
    .uniform_work_group_size: 1
    .uses_dynamic_stack: false
    .vgpr_count:     0
    .vgpr_spill_count: 0
    .wavefront_size: 64
  - .args:
      - .offset:         0
        .size:           88
        .value_kind:     by_value
    .group_segment_fixed_size: 0
    .kernarg_segment_align: 8
    .kernarg_segment_size: 88
    .language:       OpenCL C
    .language_version:
      - 2
      - 0
    .max_flat_workgroup_size: 256
    .name:           _ZN7rocprim17ROCPRIM_400000_NS6detail17trampoline_kernelINS0_14default_configENS1_22reduce_config_selectorIN6thrust23THRUST_200600_302600_NS5tupleIblNS6_9null_typeES8_S8_S8_S8_S8_S8_S8_EEEEZNS1_11reduce_implILb1ES3_NS6_12zip_iteratorINS7_INS6_11hip_rocprim26transform_input_iterator_tIbNSD_35transform_pair_of_input_iterators_tIbNS6_6detail15normal_iteratorINS6_10device_ptrIKjEEEESL_NS6_8equal_toIjEEEENSG_9not_fun_tINSD_8identityEEEEENSD_19counting_iterator_tIlEES8_S8_S8_S8_S8_S8_S8_S8_EEEEPS9_S9_NSD_9__find_if7functorIS9_EEEE10hipError_tPvRmT1_T2_T3_mT4_P12ihipStream_tbEUlT_E1_NS1_11comp_targetILNS1_3genE10ELNS1_11target_archE1200ELNS1_3gpuE4ELNS1_3repE0EEENS1_30default_config_static_selectorELNS0_4arch9wavefront6targetE1EEEvS14_
    .private_segment_fixed_size: 0
    .sgpr_count:     4
    .sgpr_spill_count: 0
    .symbol:         _ZN7rocprim17ROCPRIM_400000_NS6detail17trampoline_kernelINS0_14default_configENS1_22reduce_config_selectorIN6thrust23THRUST_200600_302600_NS5tupleIblNS6_9null_typeES8_S8_S8_S8_S8_S8_S8_EEEEZNS1_11reduce_implILb1ES3_NS6_12zip_iteratorINS7_INS6_11hip_rocprim26transform_input_iterator_tIbNSD_35transform_pair_of_input_iterators_tIbNS6_6detail15normal_iteratorINS6_10device_ptrIKjEEEESL_NS6_8equal_toIjEEEENSG_9not_fun_tINSD_8identityEEEEENSD_19counting_iterator_tIlEES8_S8_S8_S8_S8_S8_S8_S8_EEEEPS9_S9_NSD_9__find_if7functorIS9_EEEE10hipError_tPvRmT1_T2_T3_mT4_P12ihipStream_tbEUlT_E1_NS1_11comp_targetILNS1_3genE10ELNS1_11target_archE1200ELNS1_3gpuE4ELNS1_3repE0EEENS1_30default_config_static_selectorELNS0_4arch9wavefront6targetE1EEEvS14_.kd
    .uniform_work_group_size: 1
    .uses_dynamic_stack: false
    .vgpr_count:     0
    .vgpr_spill_count: 0
    .wavefront_size: 64
  - .args:
      - .offset:         0
        .size:           88
        .value_kind:     by_value
    .group_segment_fixed_size: 0
    .kernarg_segment_align: 8
    .kernarg_segment_size: 88
    .language:       OpenCL C
    .language_version:
      - 2
      - 0
    .max_flat_workgroup_size: 256
    .name:           _ZN7rocprim17ROCPRIM_400000_NS6detail17trampoline_kernelINS0_14default_configENS1_22reduce_config_selectorIN6thrust23THRUST_200600_302600_NS5tupleIblNS6_9null_typeES8_S8_S8_S8_S8_S8_S8_EEEEZNS1_11reduce_implILb1ES3_NS6_12zip_iteratorINS7_INS6_11hip_rocprim26transform_input_iterator_tIbNSD_35transform_pair_of_input_iterators_tIbNS6_6detail15normal_iteratorINS6_10device_ptrIKjEEEESL_NS6_8equal_toIjEEEENSG_9not_fun_tINSD_8identityEEEEENSD_19counting_iterator_tIlEES8_S8_S8_S8_S8_S8_S8_S8_EEEEPS9_S9_NSD_9__find_if7functorIS9_EEEE10hipError_tPvRmT1_T2_T3_mT4_P12ihipStream_tbEUlT_E1_NS1_11comp_targetILNS1_3genE9ELNS1_11target_archE1100ELNS1_3gpuE3ELNS1_3repE0EEENS1_30default_config_static_selectorELNS0_4arch9wavefront6targetE1EEEvS14_
    .private_segment_fixed_size: 0
    .sgpr_count:     4
    .sgpr_spill_count: 0
    .symbol:         _ZN7rocprim17ROCPRIM_400000_NS6detail17trampoline_kernelINS0_14default_configENS1_22reduce_config_selectorIN6thrust23THRUST_200600_302600_NS5tupleIblNS6_9null_typeES8_S8_S8_S8_S8_S8_S8_EEEEZNS1_11reduce_implILb1ES3_NS6_12zip_iteratorINS7_INS6_11hip_rocprim26transform_input_iterator_tIbNSD_35transform_pair_of_input_iterators_tIbNS6_6detail15normal_iteratorINS6_10device_ptrIKjEEEESL_NS6_8equal_toIjEEEENSG_9not_fun_tINSD_8identityEEEEENSD_19counting_iterator_tIlEES8_S8_S8_S8_S8_S8_S8_S8_EEEEPS9_S9_NSD_9__find_if7functorIS9_EEEE10hipError_tPvRmT1_T2_T3_mT4_P12ihipStream_tbEUlT_E1_NS1_11comp_targetILNS1_3genE9ELNS1_11target_archE1100ELNS1_3gpuE3ELNS1_3repE0EEENS1_30default_config_static_selectorELNS0_4arch9wavefront6targetE1EEEvS14_.kd
    .uniform_work_group_size: 1
    .uses_dynamic_stack: false
    .vgpr_count:     0
    .vgpr_spill_count: 0
    .wavefront_size: 64
  - .args:
      - .offset:         0
        .size:           88
        .value_kind:     by_value
    .group_segment_fixed_size: 0
    .kernarg_segment_align: 8
    .kernarg_segment_size: 88
    .language:       OpenCL C
    .language_version:
      - 2
      - 0
    .max_flat_workgroup_size: 256
    .name:           _ZN7rocprim17ROCPRIM_400000_NS6detail17trampoline_kernelINS0_14default_configENS1_22reduce_config_selectorIN6thrust23THRUST_200600_302600_NS5tupleIblNS6_9null_typeES8_S8_S8_S8_S8_S8_S8_EEEEZNS1_11reduce_implILb1ES3_NS6_12zip_iteratorINS7_INS6_11hip_rocprim26transform_input_iterator_tIbNSD_35transform_pair_of_input_iterators_tIbNS6_6detail15normal_iteratorINS6_10device_ptrIKjEEEESL_NS6_8equal_toIjEEEENSG_9not_fun_tINSD_8identityEEEEENSD_19counting_iterator_tIlEES8_S8_S8_S8_S8_S8_S8_S8_EEEEPS9_S9_NSD_9__find_if7functorIS9_EEEE10hipError_tPvRmT1_T2_T3_mT4_P12ihipStream_tbEUlT_E1_NS1_11comp_targetILNS1_3genE8ELNS1_11target_archE1030ELNS1_3gpuE2ELNS1_3repE0EEENS1_30default_config_static_selectorELNS0_4arch9wavefront6targetE1EEEvS14_
    .private_segment_fixed_size: 0
    .sgpr_count:     4
    .sgpr_spill_count: 0
    .symbol:         _ZN7rocprim17ROCPRIM_400000_NS6detail17trampoline_kernelINS0_14default_configENS1_22reduce_config_selectorIN6thrust23THRUST_200600_302600_NS5tupleIblNS6_9null_typeES8_S8_S8_S8_S8_S8_S8_EEEEZNS1_11reduce_implILb1ES3_NS6_12zip_iteratorINS7_INS6_11hip_rocprim26transform_input_iterator_tIbNSD_35transform_pair_of_input_iterators_tIbNS6_6detail15normal_iteratorINS6_10device_ptrIKjEEEESL_NS6_8equal_toIjEEEENSG_9not_fun_tINSD_8identityEEEEENSD_19counting_iterator_tIlEES8_S8_S8_S8_S8_S8_S8_S8_EEEEPS9_S9_NSD_9__find_if7functorIS9_EEEE10hipError_tPvRmT1_T2_T3_mT4_P12ihipStream_tbEUlT_E1_NS1_11comp_targetILNS1_3genE8ELNS1_11target_archE1030ELNS1_3gpuE2ELNS1_3repE0EEENS1_30default_config_static_selectorELNS0_4arch9wavefront6targetE1EEEvS14_.kd
    .uniform_work_group_size: 1
    .uses_dynamic_stack: false
    .vgpr_count:     0
    .vgpr_spill_count: 0
    .wavefront_size: 64
  - .args:
      - .offset:         0
        .size:           104
        .value_kind:     by_value
    .group_segment_fixed_size: 0
    .kernarg_segment_align: 8
    .kernarg_segment_size: 104
    .language:       OpenCL C
    .language_version:
      - 2
      - 0
    .max_flat_workgroup_size: 128
    .name:           _ZN7rocprim17ROCPRIM_400000_NS6detail17trampoline_kernelINS0_14default_configENS1_22reduce_config_selectorIN6thrust23THRUST_200600_302600_NS5tupleIblNS6_9null_typeES8_S8_S8_S8_S8_S8_S8_EEEEZNS1_11reduce_implILb1ES3_NS6_12zip_iteratorINS7_INS6_11hip_rocprim26transform_input_iterator_tIbNSD_35transform_pair_of_input_iterators_tIbNS6_6detail15normal_iteratorINS6_10device_ptrIKtEEEESL_NS6_8equal_toItEEEENSG_9not_fun_tINSD_8identityEEEEENSD_19counting_iterator_tIlEES8_S8_S8_S8_S8_S8_S8_S8_EEEEPS9_S9_NSD_9__find_if7functorIS9_EEEE10hipError_tPvRmT1_T2_T3_mT4_P12ihipStream_tbEUlT_E0_NS1_11comp_targetILNS1_3genE0ELNS1_11target_archE4294967295ELNS1_3gpuE0ELNS1_3repE0EEENS1_30default_config_static_selectorELNS0_4arch9wavefront6targetE1EEEvS14_
    .private_segment_fixed_size: 0
    .sgpr_count:     4
    .sgpr_spill_count: 0
    .symbol:         _ZN7rocprim17ROCPRIM_400000_NS6detail17trampoline_kernelINS0_14default_configENS1_22reduce_config_selectorIN6thrust23THRUST_200600_302600_NS5tupleIblNS6_9null_typeES8_S8_S8_S8_S8_S8_S8_EEEEZNS1_11reduce_implILb1ES3_NS6_12zip_iteratorINS7_INS6_11hip_rocprim26transform_input_iterator_tIbNSD_35transform_pair_of_input_iterators_tIbNS6_6detail15normal_iteratorINS6_10device_ptrIKtEEEESL_NS6_8equal_toItEEEENSG_9not_fun_tINSD_8identityEEEEENSD_19counting_iterator_tIlEES8_S8_S8_S8_S8_S8_S8_S8_EEEEPS9_S9_NSD_9__find_if7functorIS9_EEEE10hipError_tPvRmT1_T2_T3_mT4_P12ihipStream_tbEUlT_E0_NS1_11comp_targetILNS1_3genE0ELNS1_11target_archE4294967295ELNS1_3gpuE0ELNS1_3repE0EEENS1_30default_config_static_selectorELNS0_4arch9wavefront6targetE1EEEvS14_.kd
    .uniform_work_group_size: 1
    .uses_dynamic_stack: false
    .vgpr_count:     0
    .vgpr_spill_count: 0
    .wavefront_size: 64
  - .args:
      - .offset:         0
        .size:           104
        .value_kind:     by_value
    .group_segment_fixed_size: 0
    .kernarg_segment_align: 8
    .kernarg_segment_size: 104
    .language:       OpenCL C
    .language_version:
      - 2
      - 0
    .max_flat_workgroup_size: 256
    .name:           _ZN7rocprim17ROCPRIM_400000_NS6detail17trampoline_kernelINS0_14default_configENS1_22reduce_config_selectorIN6thrust23THRUST_200600_302600_NS5tupleIblNS6_9null_typeES8_S8_S8_S8_S8_S8_S8_EEEEZNS1_11reduce_implILb1ES3_NS6_12zip_iteratorINS7_INS6_11hip_rocprim26transform_input_iterator_tIbNSD_35transform_pair_of_input_iterators_tIbNS6_6detail15normal_iteratorINS6_10device_ptrIKtEEEESL_NS6_8equal_toItEEEENSG_9not_fun_tINSD_8identityEEEEENSD_19counting_iterator_tIlEES8_S8_S8_S8_S8_S8_S8_S8_EEEEPS9_S9_NSD_9__find_if7functorIS9_EEEE10hipError_tPvRmT1_T2_T3_mT4_P12ihipStream_tbEUlT_E0_NS1_11comp_targetILNS1_3genE5ELNS1_11target_archE942ELNS1_3gpuE9ELNS1_3repE0EEENS1_30default_config_static_selectorELNS0_4arch9wavefront6targetE1EEEvS14_
    .private_segment_fixed_size: 0
    .sgpr_count:     4
    .sgpr_spill_count: 0
    .symbol:         _ZN7rocprim17ROCPRIM_400000_NS6detail17trampoline_kernelINS0_14default_configENS1_22reduce_config_selectorIN6thrust23THRUST_200600_302600_NS5tupleIblNS6_9null_typeES8_S8_S8_S8_S8_S8_S8_EEEEZNS1_11reduce_implILb1ES3_NS6_12zip_iteratorINS7_INS6_11hip_rocprim26transform_input_iterator_tIbNSD_35transform_pair_of_input_iterators_tIbNS6_6detail15normal_iteratorINS6_10device_ptrIKtEEEESL_NS6_8equal_toItEEEENSG_9not_fun_tINSD_8identityEEEEENSD_19counting_iterator_tIlEES8_S8_S8_S8_S8_S8_S8_S8_EEEEPS9_S9_NSD_9__find_if7functorIS9_EEEE10hipError_tPvRmT1_T2_T3_mT4_P12ihipStream_tbEUlT_E0_NS1_11comp_targetILNS1_3genE5ELNS1_11target_archE942ELNS1_3gpuE9ELNS1_3repE0EEENS1_30default_config_static_selectorELNS0_4arch9wavefront6targetE1EEEvS14_.kd
    .uniform_work_group_size: 1
    .uses_dynamic_stack: false
    .vgpr_count:     0
    .vgpr_spill_count: 0
    .wavefront_size: 64
  - .args:
      - .offset:         0
        .size:           104
        .value_kind:     by_value
    .group_segment_fixed_size: 0
    .kernarg_segment_align: 8
    .kernarg_segment_size: 104
    .language:       OpenCL C
    .language_version:
      - 2
      - 0
    .max_flat_workgroup_size: 256
    .name:           _ZN7rocprim17ROCPRIM_400000_NS6detail17trampoline_kernelINS0_14default_configENS1_22reduce_config_selectorIN6thrust23THRUST_200600_302600_NS5tupleIblNS6_9null_typeES8_S8_S8_S8_S8_S8_S8_EEEEZNS1_11reduce_implILb1ES3_NS6_12zip_iteratorINS7_INS6_11hip_rocprim26transform_input_iterator_tIbNSD_35transform_pair_of_input_iterators_tIbNS6_6detail15normal_iteratorINS6_10device_ptrIKtEEEESL_NS6_8equal_toItEEEENSG_9not_fun_tINSD_8identityEEEEENSD_19counting_iterator_tIlEES8_S8_S8_S8_S8_S8_S8_S8_EEEEPS9_S9_NSD_9__find_if7functorIS9_EEEE10hipError_tPvRmT1_T2_T3_mT4_P12ihipStream_tbEUlT_E0_NS1_11comp_targetILNS1_3genE4ELNS1_11target_archE910ELNS1_3gpuE8ELNS1_3repE0EEENS1_30default_config_static_selectorELNS0_4arch9wavefront6targetE1EEEvS14_
    .private_segment_fixed_size: 0
    .sgpr_count:     4
    .sgpr_spill_count: 0
    .symbol:         _ZN7rocprim17ROCPRIM_400000_NS6detail17trampoline_kernelINS0_14default_configENS1_22reduce_config_selectorIN6thrust23THRUST_200600_302600_NS5tupleIblNS6_9null_typeES8_S8_S8_S8_S8_S8_S8_EEEEZNS1_11reduce_implILb1ES3_NS6_12zip_iteratorINS7_INS6_11hip_rocprim26transform_input_iterator_tIbNSD_35transform_pair_of_input_iterators_tIbNS6_6detail15normal_iteratorINS6_10device_ptrIKtEEEESL_NS6_8equal_toItEEEENSG_9not_fun_tINSD_8identityEEEEENSD_19counting_iterator_tIlEES8_S8_S8_S8_S8_S8_S8_S8_EEEEPS9_S9_NSD_9__find_if7functorIS9_EEEE10hipError_tPvRmT1_T2_T3_mT4_P12ihipStream_tbEUlT_E0_NS1_11comp_targetILNS1_3genE4ELNS1_11target_archE910ELNS1_3gpuE8ELNS1_3repE0EEENS1_30default_config_static_selectorELNS0_4arch9wavefront6targetE1EEEvS14_.kd
    .uniform_work_group_size: 1
    .uses_dynamic_stack: false
    .vgpr_count:     0
    .vgpr_spill_count: 0
    .wavefront_size: 64
  - .args:
      - .offset:         0
        .size:           104
        .value_kind:     by_value
    .group_segment_fixed_size: 0
    .kernarg_segment_align: 8
    .kernarg_segment_size: 104
    .language:       OpenCL C
    .language_version:
      - 2
      - 0
    .max_flat_workgroup_size: 128
    .name:           _ZN7rocprim17ROCPRIM_400000_NS6detail17trampoline_kernelINS0_14default_configENS1_22reduce_config_selectorIN6thrust23THRUST_200600_302600_NS5tupleIblNS6_9null_typeES8_S8_S8_S8_S8_S8_S8_EEEEZNS1_11reduce_implILb1ES3_NS6_12zip_iteratorINS7_INS6_11hip_rocprim26transform_input_iterator_tIbNSD_35transform_pair_of_input_iterators_tIbNS6_6detail15normal_iteratorINS6_10device_ptrIKtEEEESL_NS6_8equal_toItEEEENSG_9not_fun_tINSD_8identityEEEEENSD_19counting_iterator_tIlEES8_S8_S8_S8_S8_S8_S8_S8_EEEEPS9_S9_NSD_9__find_if7functorIS9_EEEE10hipError_tPvRmT1_T2_T3_mT4_P12ihipStream_tbEUlT_E0_NS1_11comp_targetILNS1_3genE3ELNS1_11target_archE908ELNS1_3gpuE7ELNS1_3repE0EEENS1_30default_config_static_selectorELNS0_4arch9wavefront6targetE1EEEvS14_
    .private_segment_fixed_size: 0
    .sgpr_count:     4
    .sgpr_spill_count: 0
    .symbol:         _ZN7rocprim17ROCPRIM_400000_NS6detail17trampoline_kernelINS0_14default_configENS1_22reduce_config_selectorIN6thrust23THRUST_200600_302600_NS5tupleIblNS6_9null_typeES8_S8_S8_S8_S8_S8_S8_EEEEZNS1_11reduce_implILb1ES3_NS6_12zip_iteratorINS7_INS6_11hip_rocprim26transform_input_iterator_tIbNSD_35transform_pair_of_input_iterators_tIbNS6_6detail15normal_iteratorINS6_10device_ptrIKtEEEESL_NS6_8equal_toItEEEENSG_9not_fun_tINSD_8identityEEEEENSD_19counting_iterator_tIlEES8_S8_S8_S8_S8_S8_S8_S8_EEEEPS9_S9_NSD_9__find_if7functorIS9_EEEE10hipError_tPvRmT1_T2_T3_mT4_P12ihipStream_tbEUlT_E0_NS1_11comp_targetILNS1_3genE3ELNS1_11target_archE908ELNS1_3gpuE7ELNS1_3repE0EEENS1_30default_config_static_selectorELNS0_4arch9wavefront6targetE1EEEvS14_.kd
    .uniform_work_group_size: 1
    .uses_dynamic_stack: false
    .vgpr_count:     0
    .vgpr_spill_count: 0
    .wavefront_size: 64
  - .args:
      - .offset:         0
        .size:           104
        .value_kind:     by_value
    .group_segment_fixed_size: 64
    .kernarg_segment_align: 8
    .kernarg_segment_size: 104
    .language:       OpenCL C
    .language_version:
      - 2
      - 0
    .max_flat_workgroup_size: 128
    .name:           _ZN7rocprim17ROCPRIM_400000_NS6detail17trampoline_kernelINS0_14default_configENS1_22reduce_config_selectorIN6thrust23THRUST_200600_302600_NS5tupleIblNS6_9null_typeES8_S8_S8_S8_S8_S8_S8_EEEEZNS1_11reduce_implILb1ES3_NS6_12zip_iteratorINS7_INS6_11hip_rocprim26transform_input_iterator_tIbNSD_35transform_pair_of_input_iterators_tIbNS6_6detail15normal_iteratorINS6_10device_ptrIKtEEEESL_NS6_8equal_toItEEEENSG_9not_fun_tINSD_8identityEEEEENSD_19counting_iterator_tIlEES8_S8_S8_S8_S8_S8_S8_S8_EEEEPS9_S9_NSD_9__find_if7functorIS9_EEEE10hipError_tPvRmT1_T2_T3_mT4_P12ihipStream_tbEUlT_E0_NS1_11comp_targetILNS1_3genE2ELNS1_11target_archE906ELNS1_3gpuE6ELNS1_3repE0EEENS1_30default_config_static_selectorELNS0_4arch9wavefront6targetE1EEEvS14_
    .private_segment_fixed_size: 0
    .sgpr_count:     34
    .sgpr_spill_count: 0
    .symbol:         _ZN7rocprim17ROCPRIM_400000_NS6detail17trampoline_kernelINS0_14default_configENS1_22reduce_config_selectorIN6thrust23THRUST_200600_302600_NS5tupleIblNS6_9null_typeES8_S8_S8_S8_S8_S8_S8_EEEEZNS1_11reduce_implILb1ES3_NS6_12zip_iteratorINS7_INS6_11hip_rocprim26transform_input_iterator_tIbNSD_35transform_pair_of_input_iterators_tIbNS6_6detail15normal_iteratorINS6_10device_ptrIKtEEEESL_NS6_8equal_toItEEEENSG_9not_fun_tINSD_8identityEEEEENSD_19counting_iterator_tIlEES8_S8_S8_S8_S8_S8_S8_S8_EEEEPS9_S9_NSD_9__find_if7functorIS9_EEEE10hipError_tPvRmT1_T2_T3_mT4_P12ihipStream_tbEUlT_E0_NS1_11comp_targetILNS1_3genE2ELNS1_11target_archE906ELNS1_3gpuE6ELNS1_3repE0EEENS1_30default_config_static_selectorELNS0_4arch9wavefront6targetE1EEEvS14_.kd
    .uniform_work_group_size: 1
    .uses_dynamic_stack: false
    .vgpr_count:     14
    .vgpr_spill_count: 0
    .wavefront_size: 64
  - .args:
      - .offset:         0
        .size:           104
        .value_kind:     by_value
    .group_segment_fixed_size: 0
    .kernarg_segment_align: 8
    .kernarg_segment_size: 104
    .language:       OpenCL C
    .language_version:
      - 2
      - 0
    .max_flat_workgroup_size: 256
    .name:           _ZN7rocprim17ROCPRIM_400000_NS6detail17trampoline_kernelINS0_14default_configENS1_22reduce_config_selectorIN6thrust23THRUST_200600_302600_NS5tupleIblNS6_9null_typeES8_S8_S8_S8_S8_S8_S8_EEEEZNS1_11reduce_implILb1ES3_NS6_12zip_iteratorINS7_INS6_11hip_rocprim26transform_input_iterator_tIbNSD_35transform_pair_of_input_iterators_tIbNS6_6detail15normal_iteratorINS6_10device_ptrIKtEEEESL_NS6_8equal_toItEEEENSG_9not_fun_tINSD_8identityEEEEENSD_19counting_iterator_tIlEES8_S8_S8_S8_S8_S8_S8_S8_EEEEPS9_S9_NSD_9__find_if7functorIS9_EEEE10hipError_tPvRmT1_T2_T3_mT4_P12ihipStream_tbEUlT_E0_NS1_11comp_targetILNS1_3genE10ELNS1_11target_archE1201ELNS1_3gpuE5ELNS1_3repE0EEENS1_30default_config_static_selectorELNS0_4arch9wavefront6targetE1EEEvS14_
    .private_segment_fixed_size: 0
    .sgpr_count:     4
    .sgpr_spill_count: 0
    .symbol:         _ZN7rocprim17ROCPRIM_400000_NS6detail17trampoline_kernelINS0_14default_configENS1_22reduce_config_selectorIN6thrust23THRUST_200600_302600_NS5tupleIblNS6_9null_typeES8_S8_S8_S8_S8_S8_S8_EEEEZNS1_11reduce_implILb1ES3_NS6_12zip_iteratorINS7_INS6_11hip_rocprim26transform_input_iterator_tIbNSD_35transform_pair_of_input_iterators_tIbNS6_6detail15normal_iteratorINS6_10device_ptrIKtEEEESL_NS6_8equal_toItEEEENSG_9not_fun_tINSD_8identityEEEEENSD_19counting_iterator_tIlEES8_S8_S8_S8_S8_S8_S8_S8_EEEEPS9_S9_NSD_9__find_if7functorIS9_EEEE10hipError_tPvRmT1_T2_T3_mT4_P12ihipStream_tbEUlT_E0_NS1_11comp_targetILNS1_3genE10ELNS1_11target_archE1201ELNS1_3gpuE5ELNS1_3repE0EEENS1_30default_config_static_selectorELNS0_4arch9wavefront6targetE1EEEvS14_.kd
    .uniform_work_group_size: 1
    .uses_dynamic_stack: false
    .vgpr_count:     0
    .vgpr_spill_count: 0
    .wavefront_size: 64
  - .args:
      - .offset:         0
        .size:           104
        .value_kind:     by_value
    .group_segment_fixed_size: 0
    .kernarg_segment_align: 8
    .kernarg_segment_size: 104
    .language:       OpenCL C
    .language_version:
      - 2
      - 0
    .max_flat_workgroup_size: 256
    .name:           _ZN7rocprim17ROCPRIM_400000_NS6detail17trampoline_kernelINS0_14default_configENS1_22reduce_config_selectorIN6thrust23THRUST_200600_302600_NS5tupleIblNS6_9null_typeES8_S8_S8_S8_S8_S8_S8_EEEEZNS1_11reduce_implILb1ES3_NS6_12zip_iteratorINS7_INS6_11hip_rocprim26transform_input_iterator_tIbNSD_35transform_pair_of_input_iterators_tIbNS6_6detail15normal_iteratorINS6_10device_ptrIKtEEEESL_NS6_8equal_toItEEEENSG_9not_fun_tINSD_8identityEEEEENSD_19counting_iterator_tIlEES8_S8_S8_S8_S8_S8_S8_S8_EEEEPS9_S9_NSD_9__find_if7functorIS9_EEEE10hipError_tPvRmT1_T2_T3_mT4_P12ihipStream_tbEUlT_E0_NS1_11comp_targetILNS1_3genE10ELNS1_11target_archE1200ELNS1_3gpuE4ELNS1_3repE0EEENS1_30default_config_static_selectorELNS0_4arch9wavefront6targetE1EEEvS14_
    .private_segment_fixed_size: 0
    .sgpr_count:     4
    .sgpr_spill_count: 0
    .symbol:         _ZN7rocprim17ROCPRIM_400000_NS6detail17trampoline_kernelINS0_14default_configENS1_22reduce_config_selectorIN6thrust23THRUST_200600_302600_NS5tupleIblNS6_9null_typeES8_S8_S8_S8_S8_S8_S8_EEEEZNS1_11reduce_implILb1ES3_NS6_12zip_iteratorINS7_INS6_11hip_rocprim26transform_input_iterator_tIbNSD_35transform_pair_of_input_iterators_tIbNS6_6detail15normal_iteratorINS6_10device_ptrIKtEEEESL_NS6_8equal_toItEEEENSG_9not_fun_tINSD_8identityEEEEENSD_19counting_iterator_tIlEES8_S8_S8_S8_S8_S8_S8_S8_EEEEPS9_S9_NSD_9__find_if7functorIS9_EEEE10hipError_tPvRmT1_T2_T3_mT4_P12ihipStream_tbEUlT_E0_NS1_11comp_targetILNS1_3genE10ELNS1_11target_archE1200ELNS1_3gpuE4ELNS1_3repE0EEENS1_30default_config_static_selectorELNS0_4arch9wavefront6targetE1EEEvS14_.kd
    .uniform_work_group_size: 1
    .uses_dynamic_stack: false
    .vgpr_count:     0
    .vgpr_spill_count: 0
    .wavefront_size: 64
  - .args:
      - .offset:         0
        .size:           104
        .value_kind:     by_value
    .group_segment_fixed_size: 0
    .kernarg_segment_align: 8
    .kernarg_segment_size: 104
    .language:       OpenCL C
    .language_version:
      - 2
      - 0
    .max_flat_workgroup_size: 256
    .name:           _ZN7rocprim17ROCPRIM_400000_NS6detail17trampoline_kernelINS0_14default_configENS1_22reduce_config_selectorIN6thrust23THRUST_200600_302600_NS5tupleIblNS6_9null_typeES8_S8_S8_S8_S8_S8_S8_EEEEZNS1_11reduce_implILb1ES3_NS6_12zip_iteratorINS7_INS6_11hip_rocprim26transform_input_iterator_tIbNSD_35transform_pair_of_input_iterators_tIbNS6_6detail15normal_iteratorINS6_10device_ptrIKtEEEESL_NS6_8equal_toItEEEENSG_9not_fun_tINSD_8identityEEEEENSD_19counting_iterator_tIlEES8_S8_S8_S8_S8_S8_S8_S8_EEEEPS9_S9_NSD_9__find_if7functorIS9_EEEE10hipError_tPvRmT1_T2_T3_mT4_P12ihipStream_tbEUlT_E0_NS1_11comp_targetILNS1_3genE9ELNS1_11target_archE1100ELNS1_3gpuE3ELNS1_3repE0EEENS1_30default_config_static_selectorELNS0_4arch9wavefront6targetE1EEEvS14_
    .private_segment_fixed_size: 0
    .sgpr_count:     4
    .sgpr_spill_count: 0
    .symbol:         _ZN7rocprim17ROCPRIM_400000_NS6detail17trampoline_kernelINS0_14default_configENS1_22reduce_config_selectorIN6thrust23THRUST_200600_302600_NS5tupleIblNS6_9null_typeES8_S8_S8_S8_S8_S8_S8_EEEEZNS1_11reduce_implILb1ES3_NS6_12zip_iteratorINS7_INS6_11hip_rocprim26transform_input_iterator_tIbNSD_35transform_pair_of_input_iterators_tIbNS6_6detail15normal_iteratorINS6_10device_ptrIKtEEEESL_NS6_8equal_toItEEEENSG_9not_fun_tINSD_8identityEEEEENSD_19counting_iterator_tIlEES8_S8_S8_S8_S8_S8_S8_S8_EEEEPS9_S9_NSD_9__find_if7functorIS9_EEEE10hipError_tPvRmT1_T2_T3_mT4_P12ihipStream_tbEUlT_E0_NS1_11comp_targetILNS1_3genE9ELNS1_11target_archE1100ELNS1_3gpuE3ELNS1_3repE0EEENS1_30default_config_static_selectorELNS0_4arch9wavefront6targetE1EEEvS14_.kd
    .uniform_work_group_size: 1
    .uses_dynamic_stack: false
    .vgpr_count:     0
    .vgpr_spill_count: 0
    .wavefront_size: 64
  - .args:
      - .offset:         0
        .size:           104
        .value_kind:     by_value
    .group_segment_fixed_size: 0
    .kernarg_segment_align: 8
    .kernarg_segment_size: 104
    .language:       OpenCL C
    .language_version:
      - 2
      - 0
    .max_flat_workgroup_size: 256
    .name:           _ZN7rocprim17ROCPRIM_400000_NS6detail17trampoline_kernelINS0_14default_configENS1_22reduce_config_selectorIN6thrust23THRUST_200600_302600_NS5tupleIblNS6_9null_typeES8_S8_S8_S8_S8_S8_S8_EEEEZNS1_11reduce_implILb1ES3_NS6_12zip_iteratorINS7_INS6_11hip_rocprim26transform_input_iterator_tIbNSD_35transform_pair_of_input_iterators_tIbNS6_6detail15normal_iteratorINS6_10device_ptrIKtEEEESL_NS6_8equal_toItEEEENSG_9not_fun_tINSD_8identityEEEEENSD_19counting_iterator_tIlEES8_S8_S8_S8_S8_S8_S8_S8_EEEEPS9_S9_NSD_9__find_if7functorIS9_EEEE10hipError_tPvRmT1_T2_T3_mT4_P12ihipStream_tbEUlT_E0_NS1_11comp_targetILNS1_3genE8ELNS1_11target_archE1030ELNS1_3gpuE2ELNS1_3repE0EEENS1_30default_config_static_selectorELNS0_4arch9wavefront6targetE1EEEvS14_
    .private_segment_fixed_size: 0
    .sgpr_count:     4
    .sgpr_spill_count: 0
    .symbol:         _ZN7rocprim17ROCPRIM_400000_NS6detail17trampoline_kernelINS0_14default_configENS1_22reduce_config_selectorIN6thrust23THRUST_200600_302600_NS5tupleIblNS6_9null_typeES8_S8_S8_S8_S8_S8_S8_EEEEZNS1_11reduce_implILb1ES3_NS6_12zip_iteratorINS7_INS6_11hip_rocprim26transform_input_iterator_tIbNSD_35transform_pair_of_input_iterators_tIbNS6_6detail15normal_iteratorINS6_10device_ptrIKtEEEESL_NS6_8equal_toItEEEENSG_9not_fun_tINSD_8identityEEEEENSD_19counting_iterator_tIlEES8_S8_S8_S8_S8_S8_S8_S8_EEEEPS9_S9_NSD_9__find_if7functorIS9_EEEE10hipError_tPvRmT1_T2_T3_mT4_P12ihipStream_tbEUlT_E0_NS1_11comp_targetILNS1_3genE8ELNS1_11target_archE1030ELNS1_3gpuE2ELNS1_3repE0EEENS1_30default_config_static_selectorELNS0_4arch9wavefront6targetE1EEEvS14_.kd
    .uniform_work_group_size: 1
    .uses_dynamic_stack: false
    .vgpr_count:     0
    .vgpr_spill_count: 0
    .wavefront_size: 64
  - .args:
      - .offset:         0
        .size:           88
        .value_kind:     by_value
    .group_segment_fixed_size: 0
    .kernarg_segment_align: 8
    .kernarg_segment_size: 88
    .language:       OpenCL C
    .language_version:
      - 2
      - 0
    .max_flat_workgroup_size: 128
    .name:           _ZN7rocprim17ROCPRIM_400000_NS6detail17trampoline_kernelINS0_14default_configENS1_22reduce_config_selectorIN6thrust23THRUST_200600_302600_NS5tupleIblNS6_9null_typeES8_S8_S8_S8_S8_S8_S8_EEEEZNS1_11reduce_implILb1ES3_NS6_12zip_iteratorINS7_INS6_11hip_rocprim26transform_input_iterator_tIbNSD_35transform_pair_of_input_iterators_tIbNS6_6detail15normal_iteratorINS6_10device_ptrIKtEEEESL_NS6_8equal_toItEEEENSG_9not_fun_tINSD_8identityEEEEENSD_19counting_iterator_tIlEES8_S8_S8_S8_S8_S8_S8_S8_EEEEPS9_S9_NSD_9__find_if7functorIS9_EEEE10hipError_tPvRmT1_T2_T3_mT4_P12ihipStream_tbEUlT_E1_NS1_11comp_targetILNS1_3genE0ELNS1_11target_archE4294967295ELNS1_3gpuE0ELNS1_3repE0EEENS1_30default_config_static_selectorELNS0_4arch9wavefront6targetE1EEEvS14_
    .private_segment_fixed_size: 0
    .sgpr_count:     4
    .sgpr_spill_count: 0
    .symbol:         _ZN7rocprim17ROCPRIM_400000_NS6detail17trampoline_kernelINS0_14default_configENS1_22reduce_config_selectorIN6thrust23THRUST_200600_302600_NS5tupleIblNS6_9null_typeES8_S8_S8_S8_S8_S8_S8_EEEEZNS1_11reduce_implILb1ES3_NS6_12zip_iteratorINS7_INS6_11hip_rocprim26transform_input_iterator_tIbNSD_35transform_pair_of_input_iterators_tIbNS6_6detail15normal_iteratorINS6_10device_ptrIKtEEEESL_NS6_8equal_toItEEEENSG_9not_fun_tINSD_8identityEEEEENSD_19counting_iterator_tIlEES8_S8_S8_S8_S8_S8_S8_S8_EEEEPS9_S9_NSD_9__find_if7functorIS9_EEEE10hipError_tPvRmT1_T2_T3_mT4_P12ihipStream_tbEUlT_E1_NS1_11comp_targetILNS1_3genE0ELNS1_11target_archE4294967295ELNS1_3gpuE0ELNS1_3repE0EEENS1_30default_config_static_selectorELNS0_4arch9wavefront6targetE1EEEvS14_.kd
    .uniform_work_group_size: 1
    .uses_dynamic_stack: false
    .vgpr_count:     0
    .vgpr_spill_count: 0
    .wavefront_size: 64
  - .args:
      - .offset:         0
        .size:           88
        .value_kind:     by_value
    .group_segment_fixed_size: 0
    .kernarg_segment_align: 8
    .kernarg_segment_size: 88
    .language:       OpenCL C
    .language_version:
      - 2
      - 0
    .max_flat_workgroup_size: 256
    .name:           _ZN7rocprim17ROCPRIM_400000_NS6detail17trampoline_kernelINS0_14default_configENS1_22reduce_config_selectorIN6thrust23THRUST_200600_302600_NS5tupleIblNS6_9null_typeES8_S8_S8_S8_S8_S8_S8_EEEEZNS1_11reduce_implILb1ES3_NS6_12zip_iteratorINS7_INS6_11hip_rocprim26transform_input_iterator_tIbNSD_35transform_pair_of_input_iterators_tIbNS6_6detail15normal_iteratorINS6_10device_ptrIKtEEEESL_NS6_8equal_toItEEEENSG_9not_fun_tINSD_8identityEEEEENSD_19counting_iterator_tIlEES8_S8_S8_S8_S8_S8_S8_S8_EEEEPS9_S9_NSD_9__find_if7functorIS9_EEEE10hipError_tPvRmT1_T2_T3_mT4_P12ihipStream_tbEUlT_E1_NS1_11comp_targetILNS1_3genE5ELNS1_11target_archE942ELNS1_3gpuE9ELNS1_3repE0EEENS1_30default_config_static_selectorELNS0_4arch9wavefront6targetE1EEEvS14_
    .private_segment_fixed_size: 0
    .sgpr_count:     4
    .sgpr_spill_count: 0
    .symbol:         _ZN7rocprim17ROCPRIM_400000_NS6detail17trampoline_kernelINS0_14default_configENS1_22reduce_config_selectorIN6thrust23THRUST_200600_302600_NS5tupleIblNS6_9null_typeES8_S8_S8_S8_S8_S8_S8_EEEEZNS1_11reduce_implILb1ES3_NS6_12zip_iteratorINS7_INS6_11hip_rocprim26transform_input_iterator_tIbNSD_35transform_pair_of_input_iterators_tIbNS6_6detail15normal_iteratorINS6_10device_ptrIKtEEEESL_NS6_8equal_toItEEEENSG_9not_fun_tINSD_8identityEEEEENSD_19counting_iterator_tIlEES8_S8_S8_S8_S8_S8_S8_S8_EEEEPS9_S9_NSD_9__find_if7functorIS9_EEEE10hipError_tPvRmT1_T2_T3_mT4_P12ihipStream_tbEUlT_E1_NS1_11comp_targetILNS1_3genE5ELNS1_11target_archE942ELNS1_3gpuE9ELNS1_3repE0EEENS1_30default_config_static_selectorELNS0_4arch9wavefront6targetE1EEEvS14_.kd
    .uniform_work_group_size: 1
    .uses_dynamic_stack: false
    .vgpr_count:     0
    .vgpr_spill_count: 0
    .wavefront_size: 64
  - .args:
      - .offset:         0
        .size:           88
        .value_kind:     by_value
    .group_segment_fixed_size: 0
    .kernarg_segment_align: 8
    .kernarg_segment_size: 88
    .language:       OpenCL C
    .language_version:
      - 2
      - 0
    .max_flat_workgroup_size: 256
    .name:           _ZN7rocprim17ROCPRIM_400000_NS6detail17trampoline_kernelINS0_14default_configENS1_22reduce_config_selectorIN6thrust23THRUST_200600_302600_NS5tupleIblNS6_9null_typeES8_S8_S8_S8_S8_S8_S8_EEEEZNS1_11reduce_implILb1ES3_NS6_12zip_iteratorINS7_INS6_11hip_rocprim26transform_input_iterator_tIbNSD_35transform_pair_of_input_iterators_tIbNS6_6detail15normal_iteratorINS6_10device_ptrIKtEEEESL_NS6_8equal_toItEEEENSG_9not_fun_tINSD_8identityEEEEENSD_19counting_iterator_tIlEES8_S8_S8_S8_S8_S8_S8_S8_EEEEPS9_S9_NSD_9__find_if7functorIS9_EEEE10hipError_tPvRmT1_T2_T3_mT4_P12ihipStream_tbEUlT_E1_NS1_11comp_targetILNS1_3genE4ELNS1_11target_archE910ELNS1_3gpuE8ELNS1_3repE0EEENS1_30default_config_static_selectorELNS0_4arch9wavefront6targetE1EEEvS14_
    .private_segment_fixed_size: 0
    .sgpr_count:     4
    .sgpr_spill_count: 0
    .symbol:         _ZN7rocprim17ROCPRIM_400000_NS6detail17trampoline_kernelINS0_14default_configENS1_22reduce_config_selectorIN6thrust23THRUST_200600_302600_NS5tupleIblNS6_9null_typeES8_S8_S8_S8_S8_S8_S8_EEEEZNS1_11reduce_implILb1ES3_NS6_12zip_iteratorINS7_INS6_11hip_rocprim26transform_input_iterator_tIbNSD_35transform_pair_of_input_iterators_tIbNS6_6detail15normal_iteratorINS6_10device_ptrIKtEEEESL_NS6_8equal_toItEEEENSG_9not_fun_tINSD_8identityEEEEENSD_19counting_iterator_tIlEES8_S8_S8_S8_S8_S8_S8_S8_EEEEPS9_S9_NSD_9__find_if7functorIS9_EEEE10hipError_tPvRmT1_T2_T3_mT4_P12ihipStream_tbEUlT_E1_NS1_11comp_targetILNS1_3genE4ELNS1_11target_archE910ELNS1_3gpuE8ELNS1_3repE0EEENS1_30default_config_static_selectorELNS0_4arch9wavefront6targetE1EEEvS14_.kd
    .uniform_work_group_size: 1
    .uses_dynamic_stack: false
    .vgpr_count:     0
    .vgpr_spill_count: 0
    .wavefront_size: 64
  - .args:
      - .offset:         0
        .size:           88
        .value_kind:     by_value
    .group_segment_fixed_size: 0
    .kernarg_segment_align: 8
    .kernarg_segment_size: 88
    .language:       OpenCL C
    .language_version:
      - 2
      - 0
    .max_flat_workgroup_size: 128
    .name:           _ZN7rocprim17ROCPRIM_400000_NS6detail17trampoline_kernelINS0_14default_configENS1_22reduce_config_selectorIN6thrust23THRUST_200600_302600_NS5tupleIblNS6_9null_typeES8_S8_S8_S8_S8_S8_S8_EEEEZNS1_11reduce_implILb1ES3_NS6_12zip_iteratorINS7_INS6_11hip_rocprim26transform_input_iterator_tIbNSD_35transform_pair_of_input_iterators_tIbNS6_6detail15normal_iteratorINS6_10device_ptrIKtEEEESL_NS6_8equal_toItEEEENSG_9not_fun_tINSD_8identityEEEEENSD_19counting_iterator_tIlEES8_S8_S8_S8_S8_S8_S8_S8_EEEEPS9_S9_NSD_9__find_if7functorIS9_EEEE10hipError_tPvRmT1_T2_T3_mT4_P12ihipStream_tbEUlT_E1_NS1_11comp_targetILNS1_3genE3ELNS1_11target_archE908ELNS1_3gpuE7ELNS1_3repE0EEENS1_30default_config_static_selectorELNS0_4arch9wavefront6targetE1EEEvS14_
    .private_segment_fixed_size: 0
    .sgpr_count:     4
    .sgpr_spill_count: 0
    .symbol:         _ZN7rocprim17ROCPRIM_400000_NS6detail17trampoline_kernelINS0_14default_configENS1_22reduce_config_selectorIN6thrust23THRUST_200600_302600_NS5tupleIblNS6_9null_typeES8_S8_S8_S8_S8_S8_S8_EEEEZNS1_11reduce_implILb1ES3_NS6_12zip_iteratorINS7_INS6_11hip_rocprim26transform_input_iterator_tIbNSD_35transform_pair_of_input_iterators_tIbNS6_6detail15normal_iteratorINS6_10device_ptrIKtEEEESL_NS6_8equal_toItEEEENSG_9not_fun_tINSD_8identityEEEEENSD_19counting_iterator_tIlEES8_S8_S8_S8_S8_S8_S8_S8_EEEEPS9_S9_NSD_9__find_if7functorIS9_EEEE10hipError_tPvRmT1_T2_T3_mT4_P12ihipStream_tbEUlT_E1_NS1_11comp_targetILNS1_3genE3ELNS1_11target_archE908ELNS1_3gpuE7ELNS1_3repE0EEENS1_30default_config_static_selectorELNS0_4arch9wavefront6targetE1EEEvS14_.kd
    .uniform_work_group_size: 1
    .uses_dynamic_stack: false
    .vgpr_count:     0
    .vgpr_spill_count: 0
    .wavefront_size: 64
  - .args:
      - .offset:         0
        .size:           88
        .value_kind:     by_value
    .group_segment_fixed_size: 160
    .kernarg_segment_align: 8
    .kernarg_segment_size: 88
    .language:       OpenCL C
    .language_version:
      - 2
      - 0
    .max_flat_workgroup_size: 128
    .name:           _ZN7rocprim17ROCPRIM_400000_NS6detail17trampoline_kernelINS0_14default_configENS1_22reduce_config_selectorIN6thrust23THRUST_200600_302600_NS5tupleIblNS6_9null_typeES8_S8_S8_S8_S8_S8_S8_EEEEZNS1_11reduce_implILb1ES3_NS6_12zip_iteratorINS7_INS6_11hip_rocprim26transform_input_iterator_tIbNSD_35transform_pair_of_input_iterators_tIbNS6_6detail15normal_iteratorINS6_10device_ptrIKtEEEESL_NS6_8equal_toItEEEENSG_9not_fun_tINSD_8identityEEEEENSD_19counting_iterator_tIlEES8_S8_S8_S8_S8_S8_S8_S8_EEEEPS9_S9_NSD_9__find_if7functorIS9_EEEE10hipError_tPvRmT1_T2_T3_mT4_P12ihipStream_tbEUlT_E1_NS1_11comp_targetILNS1_3genE2ELNS1_11target_archE906ELNS1_3gpuE6ELNS1_3repE0EEENS1_30default_config_static_selectorELNS0_4arch9wavefront6targetE1EEEvS14_
    .private_segment_fixed_size: 0
    .sgpr_count:     46
    .sgpr_spill_count: 0
    .symbol:         _ZN7rocprim17ROCPRIM_400000_NS6detail17trampoline_kernelINS0_14default_configENS1_22reduce_config_selectorIN6thrust23THRUST_200600_302600_NS5tupleIblNS6_9null_typeES8_S8_S8_S8_S8_S8_S8_EEEEZNS1_11reduce_implILb1ES3_NS6_12zip_iteratorINS7_INS6_11hip_rocprim26transform_input_iterator_tIbNSD_35transform_pair_of_input_iterators_tIbNS6_6detail15normal_iteratorINS6_10device_ptrIKtEEEESL_NS6_8equal_toItEEEENSG_9not_fun_tINSD_8identityEEEEENSD_19counting_iterator_tIlEES8_S8_S8_S8_S8_S8_S8_S8_EEEEPS9_S9_NSD_9__find_if7functorIS9_EEEE10hipError_tPvRmT1_T2_T3_mT4_P12ihipStream_tbEUlT_E1_NS1_11comp_targetILNS1_3genE2ELNS1_11target_archE906ELNS1_3gpuE6ELNS1_3repE0EEENS1_30default_config_static_selectorELNS0_4arch9wavefront6targetE1EEEvS14_.kd
    .uniform_work_group_size: 1
    .uses_dynamic_stack: false
    .vgpr_count:     27
    .vgpr_spill_count: 0
    .wavefront_size: 64
  - .args:
      - .offset:         0
        .size:           88
        .value_kind:     by_value
    .group_segment_fixed_size: 0
    .kernarg_segment_align: 8
    .kernarg_segment_size: 88
    .language:       OpenCL C
    .language_version:
      - 2
      - 0
    .max_flat_workgroup_size: 256
    .name:           _ZN7rocprim17ROCPRIM_400000_NS6detail17trampoline_kernelINS0_14default_configENS1_22reduce_config_selectorIN6thrust23THRUST_200600_302600_NS5tupleIblNS6_9null_typeES8_S8_S8_S8_S8_S8_S8_EEEEZNS1_11reduce_implILb1ES3_NS6_12zip_iteratorINS7_INS6_11hip_rocprim26transform_input_iterator_tIbNSD_35transform_pair_of_input_iterators_tIbNS6_6detail15normal_iteratorINS6_10device_ptrIKtEEEESL_NS6_8equal_toItEEEENSG_9not_fun_tINSD_8identityEEEEENSD_19counting_iterator_tIlEES8_S8_S8_S8_S8_S8_S8_S8_EEEEPS9_S9_NSD_9__find_if7functorIS9_EEEE10hipError_tPvRmT1_T2_T3_mT4_P12ihipStream_tbEUlT_E1_NS1_11comp_targetILNS1_3genE10ELNS1_11target_archE1201ELNS1_3gpuE5ELNS1_3repE0EEENS1_30default_config_static_selectorELNS0_4arch9wavefront6targetE1EEEvS14_
    .private_segment_fixed_size: 0
    .sgpr_count:     4
    .sgpr_spill_count: 0
    .symbol:         _ZN7rocprim17ROCPRIM_400000_NS6detail17trampoline_kernelINS0_14default_configENS1_22reduce_config_selectorIN6thrust23THRUST_200600_302600_NS5tupleIblNS6_9null_typeES8_S8_S8_S8_S8_S8_S8_EEEEZNS1_11reduce_implILb1ES3_NS6_12zip_iteratorINS7_INS6_11hip_rocprim26transform_input_iterator_tIbNSD_35transform_pair_of_input_iterators_tIbNS6_6detail15normal_iteratorINS6_10device_ptrIKtEEEESL_NS6_8equal_toItEEEENSG_9not_fun_tINSD_8identityEEEEENSD_19counting_iterator_tIlEES8_S8_S8_S8_S8_S8_S8_S8_EEEEPS9_S9_NSD_9__find_if7functorIS9_EEEE10hipError_tPvRmT1_T2_T3_mT4_P12ihipStream_tbEUlT_E1_NS1_11comp_targetILNS1_3genE10ELNS1_11target_archE1201ELNS1_3gpuE5ELNS1_3repE0EEENS1_30default_config_static_selectorELNS0_4arch9wavefront6targetE1EEEvS14_.kd
    .uniform_work_group_size: 1
    .uses_dynamic_stack: false
    .vgpr_count:     0
    .vgpr_spill_count: 0
    .wavefront_size: 64
  - .args:
      - .offset:         0
        .size:           88
        .value_kind:     by_value
    .group_segment_fixed_size: 0
    .kernarg_segment_align: 8
    .kernarg_segment_size: 88
    .language:       OpenCL C
    .language_version:
      - 2
      - 0
    .max_flat_workgroup_size: 256
    .name:           _ZN7rocprim17ROCPRIM_400000_NS6detail17trampoline_kernelINS0_14default_configENS1_22reduce_config_selectorIN6thrust23THRUST_200600_302600_NS5tupleIblNS6_9null_typeES8_S8_S8_S8_S8_S8_S8_EEEEZNS1_11reduce_implILb1ES3_NS6_12zip_iteratorINS7_INS6_11hip_rocprim26transform_input_iterator_tIbNSD_35transform_pair_of_input_iterators_tIbNS6_6detail15normal_iteratorINS6_10device_ptrIKtEEEESL_NS6_8equal_toItEEEENSG_9not_fun_tINSD_8identityEEEEENSD_19counting_iterator_tIlEES8_S8_S8_S8_S8_S8_S8_S8_EEEEPS9_S9_NSD_9__find_if7functorIS9_EEEE10hipError_tPvRmT1_T2_T3_mT4_P12ihipStream_tbEUlT_E1_NS1_11comp_targetILNS1_3genE10ELNS1_11target_archE1200ELNS1_3gpuE4ELNS1_3repE0EEENS1_30default_config_static_selectorELNS0_4arch9wavefront6targetE1EEEvS14_
    .private_segment_fixed_size: 0
    .sgpr_count:     4
    .sgpr_spill_count: 0
    .symbol:         _ZN7rocprim17ROCPRIM_400000_NS6detail17trampoline_kernelINS0_14default_configENS1_22reduce_config_selectorIN6thrust23THRUST_200600_302600_NS5tupleIblNS6_9null_typeES8_S8_S8_S8_S8_S8_S8_EEEEZNS1_11reduce_implILb1ES3_NS6_12zip_iteratorINS7_INS6_11hip_rocprim26transform_input_iterator_tIbNSD_35transform_pair_of_input_iterators_tIbNS6_6detail15normal_iteratorINS6_10device_ptrIKtEEEESL_NS6_8equal_toItEEEENSG_9not_fun_tINSD_8identityEEEEENSD_19counting_iterator_tIlEES8_S8_S8_S8_S8_S8_S8_S8_EEEEPS9_S9_NSD_9__find_if7functorIS9_EEEE10hipError_tPvRmT1_T2_T3_mT4_P12ihipStream_tbEUlT_E1_NS1_11comp_targetILNS1_3genE10ELNS1_11target_archE1200ELNS1_3gpuE4ELNS1_3repE0EEENS1_30default_config_static_selectorELNS0_4arch9wavefront6targetE1EEEvS14_.kd
    .uniform_work_group_size: 1
    .uses_dynamic_stack: false
    .vgpr_count:     0
    .vgpr_spill_count: 0
    .wavefront_size: 64
  - .args:
      - .offset:         0
        .size:           88
        .value_kind:     by_value
    .group_segment_fixed_size: 0
    .kernarg_segment_align: 8
    .kernarg_segment_size: 88
    .language:       OpenCL C
    .language_version:
      - 2
      - 0
    .max_flat_workgroup_size: 256
    .name:           _ZN7rocprim17ROCPRIM_400000_NS6detail17trampoline_kernelINS0_14default_configENS1_22reduce_config_selectorIN6thrust23THRUST_200600_302600_NS5tupleIblNS6_9null_typeES8_S8_S8_S8_S8_S8_S8_EEEEZNS1_11reduce_implILb1ES3_NS6_12zip_iteratorINS7_INS6_11hip_rocprim26transform_input_iterator_tIbNSD_35transform_pair_of_input_iterators_tIbNS6_6detail15normal_iteratorINS6_10device_ptrIKtEEEESL_NS6_8equal_toItEEEENSG_9not_fun_tINSD_8identityEEEEENSD_19counting_iterator_tIlEES8_S8_S8_S8_S8_S8_S8_S8_EEEEPS9_S9_NSD_9__find_if7functorIS9_EEEE10hipError_tPvRmT1_T2_T3_mT4_P12ihipStream_tbEUlT_E1_NS1_11comp_targetILNS1_3genE9ELNS1_11target_archE1100ELNS1_3gpuE3ELNS1_3repE0EEENS1_30default_config_static_selectorELNS0_4arch9wavefront6targetE1EEEvS14_
    .private_segment_fixed_size: 0
    .sgpr_count:     4
    .sgpr_spill_count: 0
    .symbol:         _ZN7rocprim17ROCPRIM_400000_NS6detail17trampoline_kernelINS0_14default_configENS1_22reduce_config_selectorIN6thrust23THRUST_200600_302600_NS5tupleIblNS6_9null_typeES8_S8_S8_S8_S8_S8_S8_EEEEZNS1_11reduce_implILb1ES3_NS6_12zip_iteratorINS7_INS6_11hip_rocprim26transform_input_iterator_tIbNSD_35transform_pair_of_input_iterators_tIbNS6_6detail15normal_iteratorINS6_10device_ptrIKtEEEESL_NS6_8equal_toItEEEENSG_9not_fun_tINSD_8identityEEEEENSD_19counting_iterator_tIlEES8_S8_S8_S8_S8_S8_S8_S8_EEEEPS9_S9_NSD_9__find_if7functorIS9_EEEE10hipError_tPvRmT1_T2_T3_mT4_P12ihipStream_tbEUlT_E1_NS1_11comp_targetILNS1_3genE9ELNS1_11target_archE1100ELNS1_3gpuE3ELNS1_3repE0EEENS1_30default_config_static_selectorELNS0_4arch9wavefront6targetE1EEEvS14_.kd
    .uniform_work_group_size: 1
    .uses_dynamic_stack: false
    .vgpr_count:     0
    .vgpr_spill_count: 0
    .wavefront_size: 64
  - .args:
      - .offset:         0
        .size:           88
        .value_kind:     by_value
    .group_segment_fixed_size: 0
    .kernarg_segment_align: 8
    .kernarg_segment_size: 88
    .language:       OpenCL C
    .language_version:
      - 2
      - 0
    .max_flat_workgroup_size: 256
    .name:           _ZN7rocprim17ROCPRIM_400000_NS6detail17trampoline_kernelINS0_14default_configENS1_22reduce_config_selectorIN6thrust23THRUST_200600_302600_NS5tupleIblNS6_9null_typeES8_S8_S8_S8_S8_S8_S8_EEEEZNS1_11reduce_implILb1ES3_NS6_12zip_iteratorINS7_INS6_11hip_rocprim26transform_input_iterator_tIbNSD_35transform_pair_of_input_iterators_tIbNS6_6detail15normal_iteratorINS6_10device_ptrIKtEEEESL_NS6_8equal_toItEEEENSG_9not_fun_tINSD_8identityEEEEENSD_19counting_iterator_tIlEES8_S8_S8_S8_S8_S8_S8_S8_EEEEPS9_S9_NSD_9__find_if7functorIS9_EEEE10hipError_tPvRmT1_T2_T3_mT4_P12ihipStream_tbEUlT_E1_NS1_11comp_targetILNS1_3genE8ELNS1_11target_archE1030ELNS1_3gpuE2ELNS1_3repE0EEENS1_30default_config_static_selectorELNS0_4arch9wavefront6targetE1EEEvS14_
    .private_segment_fixed_size: 0
    .sgpr_count:     4
    .sgpr_spill_count: 0
    .symbol:         _ZN7rocprim17ROCPRIM_400000_NS6detail17trampoline_kernelINS0_14default_configENS1_22reduce_config_selectorIN6thrust23THRUST_200600_302600_NS5tupleIblNS6_9null_typeES8_S8_S8_S8_S8_S8_S8_EEEEZNS1_11reduce_implILb1ES3_NS6_12zip_iteratorINS7_INS6_11hip_rocprim26transform_input_iterator_tIbNSD_35transform_pair_of_input_iterators_tIbNS6_6detail15normal_iteratorINS6_10device_ptrIKtEEEESL_NS6_8equal_toItEEEENSG_9not_fun_tINSD_8identityEEEEENSD_19counting_iterator_tIlEES8_S8_S8_S8_S8_S8_S8_S8_EEEEPS9_S9_NSD_9__find_if7functorIS9_EEEE10hipError_tPvRmT1_T2_T3_mT4_P12ihipStream_tbEUlT_E1_NS1_11comp_targetILNS1_3genE8ELNS1_11target_archE1030ELNS1_3gpuE2ELNS1_3repE0EEENS1_30default_config_static_selectorELNS0_4arch9wavefront6targetE1EEEvS14_.kd
    .uniform_work_group_size: 1
    .uses_dynamic_stack: false
    .vgpr_count:     0
    .vgpr_spill_count: 0
    .wavefront_size: 64
  - .args:
      - .offset:         0
        .size:           104
        .value_kind:     by_value
    .group_segment_fixed_size: 0
    .kernarg_segment_align: 8
    .kernarg_segment_size: 104
    .language:       OpenCL C
    .language_version:
      - 2
      - 0
    .max_flat_workgroup_size: 128
    .name:           _ZN7rocprim17ROCPRIM_400000_NS6detail17trampoline_kernelINS0_14default_configENS1_22reduce_config_selectorIN6thrust23THRUST_200600_302600_NS5tupleIblNS6_9null_typeES8_S8_S8_S8_S8_S8_S8_EEEEZNS1_11reduce_implILb1ES3_NS6_12zip_iteratorINS7_INS6_11hip_rocprim26transform_input_iterator_tIbNSD_35transform_pair_of_input_iterators_tIbNS6_6detail15normal_iteratorINS6_10device_ptrIKxEEEESL_NS6_8equal_toIxEEEENSG_9not_fun_tINSD_8identityEEEEENSD_19counting_iterator_tIlEES8_S8_S8_S8_S8_S8_S8_S8_EEEEPS9_S9_NSD_9__find_if7functorIS9_EEEE10hipError_tPvRmT1_T2_T3_mT4_P12ihipStream_tbEUlT_E0_NS1_11comp_targetILNS1_3genE0ELNS1_11target_archE4294967295ELNS1_3gpuE0ELNS1_3repE0EEENS1_30default_config_static_selectorELNS0_4arch9wavefront6targetE1EEEvS14_
    .private_segment_fixed_size: 0
    .sgpr_count:     4
    .sgpr_spill_count: 0
    .symbol:         _ZN7rocprim17ROCPRIM_400000_NS6detail17trampoline_kernelINS0_14default_configENS1_22reduce_config_selectorIN6thrust23THRUST_200600_302600_NS5tupleIblNS6_9null_typeES8_S8_S8_S8_S8_S8_S8_EEEEZNS1_11reduce_implILb1ES3_NS6_12zip_iteratorINS7_INS6_11hip_rocprim26transform_input_iterator_tIbNSD_35transform_pair_of_input_iterators_tIbNS6_6detail15normal_iteratorINS6_10device_ptrIKxEEEESL_NS6_8equal_toIxEEEENSG_9not_fun_tINSD_8identityEEEEENSD_19counting_iterator_tIlEES8_S8_S8_S8_S8_S8_S8_S8_EEEEPS9_S9_NSD_9__find_if7functorIS9_EEEE10hipError_tPvRmT1_T2_T3_mT4_P12ihipStream_tbEUlT_E0_NS1_11comp_targetILNS1_3genE0ELNS1_11target_archE4294967295ELNS1_3gpuE0ELNS1_3repE0EEENS1_30default_config_static_selectorELNS0_4arch9wavefront6targetE1EEEvS14_.kd
    .uniform_work_group_size: 1
    .uses_dynamic_stack: false
    .vgpr_count:     0
    .vgpr_spill_count: 0
    .wavefront_size: 64
  - .args:
      - .offset:         0
        .size:           104
        .value_kind:     by_value
    .group_segment_fixed_size: 0
    .kernarg_segment_align: 8
    .kernarg_segment_size: 104
    .language:       OpenCL C
    .language_version:
      - 2
      - 0
    .max_flat_workgroup_size: 256
    .name:           _ZN7rocprim17ROCPRIM_400000_NS6detail17trampoline_kernelINS0_14default_configENS1_22reduce_config_selectorIN6thrust23THRUST_200600_302600_NS5tupleIblNS6_9null_typeES8_S8_S8_S8_S8_S8_S8_EEEEZNS1_11reduce_implILb1ES3_NS6_12zip_iteratorINS7_INS6_11hip_rocprim26transform_input_iterator_tIbNSD_35transform_pair_of_input_iterators_tIbNS6_6detail15normal_iteratorINS6_10device_ptrIKxEEEESL_NS6_8equal_toIxEEEENSG_9not_fun_tINSD_8identityEEEEENSD_19counting_iterator_tIlEES8_S8_S8_S8_S8_S8_S8_S8_EEEEPS9_S9_NSD_9__find_if7functorIS9_EEEE10hipError_tPvRmT1_T2_T3_mT4_P12ihipStream_tbEUlT_E0_NS1_11comp_targetILNS1_3genE5ELNS1_11target_archE942ELNS1_3gpuE9ELNS1_3repE0EEENS1_30default_config_static_selectorELNS0_4arch9wavefront6targetE1EEEvS14_
    .private_segment_fixed_size: 0
    .sgpr_count:     4
    .sgpr_spill_count: 0
    .symbol:         _ZN7rocprim17ROCPRIM_400000_NS6detail17trampoline_kernelINS0_14default_configENS1_22reduce_config_selectorIN6thrust23THRUST_200600_302600_NS5tupleIblNS6_9null_typeES8_S8_S8_S8_S8_S8_S8_EEEEZNS1_11reduce_implILb1ES3_NS6_12zip_iteratorINS7_INS6_11hip_rocprim26transform_input_iterator_tIbNSD_35transform_pair_of_input_iterators_tIbNS6_6detail15normal_iteratorINS6_10device_ptrIKxEEEESL_NS6_8equal_toIxEEEENSG_9not_fun_tINSD_8identityEEEEENSD_19counting_iterator_tIlEES8_S8_S8_S8_S8_S8_S8_S8_EEEEPS9_S9_NSD_9__find_if7functorIS9_EEEE10hipError_tPvRmT1_T2_T3_mT4_P12ihipStream_tbEUlT_E0_NS1_11comp_targetILNS1_3genE5ELNS1_11target_archE942ELNS1_3gpuE9ELNS1_3repE0EEENS1_30default_config_static_selectorELNS0_4arch9wavefront6targetE1EEEvS14_.kd
    .uniform_work_group_size: 1
    .uses_dynamic_stack: false
    .vgpr_count:     0
    .vgpr_spill_count: 0
    .wavefront_size: 64
  - .args:
      - .offset:         0
        .size:           104
        .value_kind:     by_value
    .group_segment_fixed_size: 0
    .kernarg_segment_align: 8
    .kernarg_segment_size: 104
    .language:       OpenCL C
    .language_version:
      - 2
      - 0
    .max_flat_workgroup_size: 256
    .name:           _ZN7rocprim17ROCPRIM_400000_NS6detail17trampoline_kernelINS0_14default_configENS1_22reduce_config_selectorIN6thrust23THRUST_200600_302600_NS5tupleIblNS6_9null_typeES8_S8_S8_S8_S8_S8_S8_EEEEZNS1_11reduce_implILb1ES3_NS6_12zip_iteratorINS7_INS6_11hip_rocprim26transform_input_iterator_tIbNSD_35transform_pair_of_input_iterators_tIbNS6_6detail15normal_iteratorINS6_10device_ptrIKxEEEESL_NS6_8equal_toIxEEEENSG_9not_fun_tINSD_8identityEEEEENSD_19counting_iterator_tIlEES8_S8_S8_S8_S8_S8_S8_S8_EEEEPS9_S9_NSD_9__find_if7functorIS9_EEEE10hipError_tPvRmT1_T2_T3_mT4_P12ihipStream_tbEUlT_E0_NS1_11comp_targetILNS1_3genE4ELNS1_11target_archE910ELNS1_3gpuE8ELNS1_3repE0EEENS1_30default_config_static_selectorELNS0_4arch9wavefront6targetE1EEEvS14_
    .private_segment_fixed_size: 0
    .sgpr_count:     4
    .sgpr_spill_count: 0
    .symbol:         _ZN7rocprim17ROCPRIM_400000_NS6detail17trampoline_kernelINS0_14default_configENS1_22reduce_config_selectorIN6thrust23THRUST_200600_302600_NS5tupleIblNS6_9null_typeES8_S8_S8_S8_S8_S8_S8_EEEEZNS1_11reduce_implILb1ES3_NS6_12zip_iteratorINS7_INS6_11hip_rocprim26transform_input_iterator_tIbNSD_35transform_pair_of_input_iterators_tIbNS6_6detail15normal_iteratorINS6_10device_ptrIKxEEEESL_NS6_8equal_toIxEEEENSG_9not_fun_tINSD_8identityEEEEENSD_19counting_iterator_tIlEES8_S8_S8_S8_S8_S8_S8_S8_EEEEPS9_S9_NSD_9__find_if7functorIS9_EEEE10hipError_tPvRmT1_T2_T3_mT4_P12ihipStream_tbEUlT_E0_NS1_11comp_targetILNS1_3genE4ELNS1_11target_archE910ELNS1_3gpuE8ELNS1_3repE0EEENS1_30default_config_static_selectorELNS0_4arch9wavefront6targetE1EEEvS14_.kd
    .uniform_work_group_size: 1
    .uses_dynamic_stack: false
    .vgpr_count:     0
    .vgpr_spill_count: 0
    .wavefront_size: 64
  - .args:
      - .offset:         0
        .size:           104
        .value_kind:     by_value
    .group_segment_fixed_size: 0
    .kernarg_segment_align: 8
    .kernarg_segment_size: 104
    .language:       OpenCL C
    .language_version:
      - 2
      - 0
    .max_flat_workgroup_size: 128
    .name:           _ZN7rocprim17ROCPRIM_400000_NS6detail17trampoline_kernelINS0_14default_configENS1_22reduce_config_selectorIN6thrust23THRUST_200600_302600_NS5tupleIblNS6_9null_typeES8_S8_S8_S8_S8_S8_S8_EEEEZNS1_11reduce_implILb1ES3_NS6_12zip_iteratorINS7_INS6_11hip_rocprim26transform_input_iterator_tIbNSD_35transform_pair_of_input_iterators_tIbNS6_6detail15normal_iteratorINS6_10device_ptrIKxEEEESL_NS6_8equal_toIxEEEENSG_9not_fun_tINSD_8identityEEEEENSD_19counting_iterator_tIlEES8_S8_S8_S8_S8_S8_S8_S8_EEEEPS9_S9_NSD_9__find_if7functorIS9_EEEE10hipError_tPvRmT1_T2_T3_mT4_P12ihipStream_tbEUlT_E0_NS1_11comp_targetILNS1_3genE3ELNS1_11target_archE908ELNS1_3gpuE7ELNS1_3repE0EEENS1_30default_config_static_selectorELNS0_4arch9wavefront6targetE1EEEvS14_
    .private_segment_fixed_size: 0
    .sgpr_count:     4
    .sgpr_spill_count: 0
    .symbol:         _ZN7rocprim17ROCPRIM_400000_NS6detail17trampoline_kernelINS0_14default_configENS1_22reduce_config_selectorIN6thrust23THRUST_200600_302600_NS5tupleIblNS6_9null_typeES8_S8_S8_S8_S8_S8_S8_EEEEZNS1_11reduce_implILb1ES3_NS6_12zip_iteratorINS7_INS6_11hip_rocprim26transform_input_iterator_tIbNSD_35transform_pair_of_input_iterators_tIbNS6_6detail15normal_iteratorINS6_10device_ptrIKxEEEESL_NS6_8equal_toIxEEEENSG_9not_fun_tINSD_8identityEEEEENSD_19counting_iterator_tIlEES8_S8_S8_S8_S8_S8_S8_S8_EEEEPS9_S9_NSD_9__find_if7functorIS9_EEEE10hipError_tPvRmT1_T2_T3_mT4_P12ihipStream_tbEUlT_E0_NS1_11comp_targetILNS1_3genE3ELNS1_11target_archE908ELNS1_3gpuE7ELNS1_3repE0EEENS1_30default_config_static_selectorELNS0_4arch9wavefront6targetE1EEEvS14_.kd
    .uniform_work_group_size: 1
    .uses_dynamic_stack: false
    .vgpr_count:     0
    .vgpr_spill_count: 0
    .wavefront_size: 64
  - .args:
      - .offset:         0
        .size:           104
        .value_kind:     by_value
    .group_segment_fixed_size: 64
    .kernarg_segment_align: 8
    .kernarg_segment_size: 104
    .language:       OpenCL C
    .language_version:
      - 2
      - 0
    .max_flat_workgroup_size: 128
    .name:           _ZN7rocprim17ROCPRIM_400000_NS6detail17trampoline_kernelINS0_14default_configENS1_22reduce_config_selectorIN6thrust23THRUST_200600_302600_NS5tupleIblNS6_9null_typeES8_S8_S8_S8_S8_S8_S8_EEEEZNS1_11reduce_implILb1ES3_NS6_12zip_iteratorINS7_INS6_11hip_rocprim26transform_input_iterator_tIbNSD_35transform_pair_of_input_iterators_tIbNS6_6detail15normal_iteratorINS6_10device_ptrIKxEEEESL_NS6_8equal_toIxEEEENSG_9not_fun_tINSD_8identityEEEEENSD_19counting_iterator_tIlEES8_S8_S8_S8_S8_S8_S8_S8_EEEEPS9_S9_NSD_9__find_if7functorIS9_EEEE10hipError_tPvRmT1_T2_T3_mT4_P12ihipStream_tbEUlT_E0_NS1_11comp_targetILNS1_3genE2ELNS1_11target_archE906ELNS1_3gpuE6ELNS1_3repE0EEENS1_30default_config_static_selectorELNS0_4arch9wavefront6targetE1EEEvS14_
    .private_segment_fixed_size: 0
    .sgpr_count:     34
    .sgpr_spill_count: 0
    .symbol:         _ZN7rocprim17ROCPRIM_400000_NS6detail17trampoline_kernelINS0_14default_configENS1_22reduce_config_selectorIN6thrust23THRUST_200600_302600_NS5tupleIblNS6_9null_typeES8_S8_S8_S8_S8_S8_S8_EEEEZNS1_11reduce_implILb1ES3_NS6_12zip_iteratorINS7_INS6_11hip_rocprim26transform_input_iterator_tIbNSD_35transform_pair_of_input_iterators_tIbNS6_6detail15normal_iteratorINS6_10device_ptrIKxEEEESL_NS6_8equal_toIxEEEENSG_9not_fun_tINSD_8identityEEEEENSD_19counting_iterator_tIlEES8_S8_S8_S8_S8_S8_S8_S8_EEEEPS9_S9_NSD_9__find_if7functorIS9_EEEE10hipError_tPvRmT1_T2_T3_mT4_P12ihipStream_tbEUlT_E0_NS1_11comp_targetILNS1_3genE2ELNS1_11target_archE906ELNS1_3gpuE6ELNS1_3repE0EEENS1_30default_config_static_selectorELNS0_4arch9wavefront6targetE1EEEvS14_.kd
    .uniform_work_group_size: 1
    .uses_dynamic_stack: false
    .vgpr_count:     18
    .vgpr_spill_count: 0
    .wavefront_size: 64
  - .args:
      - .offset:         0
        .size:           104
        .value_kind:     by_value
    .group_segment_fixed_size: 0
    .kernarg_segment_align: 8
    .kernarg_segment_size: 104
    .language:       OpenCL C
    .language_version:
      - 2
      - 0
    .max_flat_workgroup_size: 256
    .name:           _ZN7rocprim17ROCPRIM_400000_NS6detail17trampoline_kernelINS0_14default_configENS1_22reduce_config_selectorIN6thrust23THRUST_200600_302600_NS5tupleIblNS6_9null_typeES8_S8_S8_S8_S8_S8_S8_EEEEZNS1_11reduce_implILb1ES3_NS6_12zip_iteratorINS7_INS6_11hip_rocprim26transform_input_iterator_tIbNSD_35transform_pair_of_input_iterators_tIbNS6_6detail15normal_iteratorINS6_10device_ptrIKxEEEESL_NS6_8equal_toIxEEEENSG_9not_fun_tINSD_8identityEEEEENSD_19counting_iterator_tIlEES8_S8_S8_S8_S8_S8_S8_S8_EEEEPS9_S9_NSD_9__find_if7functorIS9_EEEE10hipError_tPvRmT1_T2_T3_mT4_P12ihipStream_tbEUlT_E0_NS1_11comp_targetILNS1_3genE10ELNS1_11target_archE1201ELNS1_3gpuE5ELNS1_3repE0EEENS1_30default_config_static_selectorELNS0_4arch9wavefront6targetE1EEEvS14_
    .private_segment_fixed_size: 0
    .sgpr_count:     4
    .sgpr_spill_count: 0
    .symbol:         _ZN7rocprim17ROCPRIM_400000_NS6detail17trampoline_kernelINS0_14default_configENS1_22reduce_config_selectorIN6thrust23THRUST_200600_302600_NS5tupleIblNS6_9null_typeES8_S8_S8_S8_S8_S8_S8_EEEEZNS1_11reduce_implILb1ES3_NS6_12zip_iteratorINS7_INS6_11hip_rocprim26transform_input_iterator_tIbNSD_35transform_pair_of_input_iterators_tIbNS6_6detail15normal_iteratorINS6_10device_ptrIKxEEEESL_NS6_8equal_toIxEEEENSG_9not_fun_tINSD_8identityEEEEENSD_19counting_iterator_tIlEES8_S8_S8_S8_S8_S8_S8_S8_EEEEPS9_S9_NSD_9__find_if7functorIS9_EEEE10hipError_tPvRmT1_T2_T3_mT4_P12ihipStream_tbEUlT_E0_NS1_11comp_targetILNS1_3genE10ELNS1_11target_archE1201ELNS1_3gpuE5ELNS1_3repE0EEENS1_30default_config_static_selectorELNS0_4arch9wavefront6targetE1EEEvS14_.kd
    .uniform_work_group_size: 1
    .uses_dynamic_stack: false
    .vgpr_count:     0
    .vgpr_spill_count: 0
    .wavefront_size: 64
  - .args:
      - .offset:         0
        .size:           104
        .value_kind:     by_value
    .group_segment_fixed_size: 0
    .kernarg_segment_align: 8
    .kernarg_segment_size: 104
    .language:       OpenCL C
    .language_version:
      - 2
      - 0
    .max_flat_workgroup_size: 256
    .name:           _ZN7rocprim17ROCPRIM_400000_NS6detail17trampoline_kernelINS0_14default_configENS1_22reduce_config_selectorIN6thrust23THRUST_200600_302600_NS5tupleIblNS6_9null_typeES8_S8_S8_S8_S8_S8_S8_EEEEZNS1_11reduce_implILb1ES3_NS6_12zip_iteratorINS7_INS6_11hip_rocprim26transform_input_iterator_tIbNSD_35transform_pair_of_input_iterators_tIbNS6_6detail15normal_iteratorINS6_10device_ptrIKxEEEESL_NS6_8equal_toIxEEEENSG_9not_fun_tINSD_8identityEEEEENSD_19counting_iterator_tIlEES8_S8_S8_S8_S8_S8_S8_S8_EEEEPS9_S9_NSD_9__find_if7functorIS9_EEEE10hipError_tPvRmT1_T2_T3_mT4_P12ihipStream_tbEUlT_E0_NS1_11comp_targetILNS1_3genE10ELNS1_11target_archE1200ELNS1_3gpuE4ELNS1_3repE0EEENS1_30default_config_static_selectorELNS0_4arch9wavefront6targetE1EEEvS14_
    .private_segment_fixed_size: 0
    .sgpr_count:     4
    .sgpr_spill_count: 0
    .symbol:         _ZN7rocprim17ROCPRIM_400000_NS6detail17trampoline_kernelINS0_14default_configENS1_22reduce_config_selectorIN6thrust23THRUST_200600_302600_NS5tupleIblNS6_9null_typeES8_S8_S8_S8_S8_S8_S8_EEEEZNS1_11reduce_implILb1ES3_NS6_12zip_iteratorINS7_INS6_11hip_rocprim26transform_input_iterator_tIbNSD_35transform_pair_of_input_iterators_tIbNS6_6detail15normal_iteratorINS6_10device_ptrIKxEEEESL_NS6_8equal_toIxEEEENSG_9not_fun_tINSD_8identityEEEEENSD_19counting_iterator_tIlEES8_S8_S8_S8_S8_S8_S8_S8_EEEEPS9_S9_NSD_9__find_if7functorIS9_EEEE10hipError_tPvRmT1_T2_T3_mT4_P12ihipStream_tbEUlT_E0_NS1_11comp_targetILNS1_3genE10ELNS1_11target_archE1200ELNS1_3gpuE4ELNS1_3repE0EEENS1_30default_config_static_selectorELNS0_4arch9wavefront6targetE1EEEvS14_.kd
    .uniform_work_group_size: 1
    .uses_dynamic_stack: false
    .vgpr_count:     0
    .vgpr_spill_count: 0
    .wavefront_size: 64
  - .args:
      - .offset:         0
        .size:           104
        .value_kind:     by_value
    .group_segment_fixed_size: 0
    .kernarg_segment_align: 8
    .kernarg_segment_size: 104
    .language:       OpenCL C
    .language_version:
      - 2
      - 0
    .max_flat_workgroup_size: 256
    .name:           _ZN7rocprim17ROCPRIM_400000_NS6detail17trampoline_kernelINS0_14default_configENS1_22reduce_config_selectorIN6thrust23THRUST_200600_302600_NS5tupleIblNS6_9null_typeES8_S8_S8_S8_S8_S8_S8_EEEEZNS1_11reduce_implILb1ES3_NS6_12zip_iteratorINS7_INS6_11hip_rocprim26transform_input_iterator_tIbNSD_35transform_pair_of_input_iterators_tIbNS6_6detail15normal_iteratorINS6_10device_ptrIKxEEEESL_NS6_8equal_toIxEEEENSG_9not_fun_tINSD_8identityEEEEENSD_19counting_iterator_tIlEES8_S8_S8_S8_S8_S8_S8_S8_EEEEPS9_S9_NSD_9__find_if7functorIS9_EEEE10hipError_tPvRmT1_T2_T3_mT4_P12ihipStream_tbEUlT_E0_NS1_11comp_targetILNS1_3genE9ELNS1_11target_archE1100ELNS1_3gpuE3ELNS1_3repE0EEENS1_30default_config_static_selectorELNS0_4arch9wavefront6targetE1EEEvS14_
    .private_segment_fixed_size: 0
    .sgpr_count:     4
    .sgpr_spill_count: 0
    .symbol:         _ZN7rocprim17ROCPRIM_400000_NS6detail17trampoline_kernelINS0_14default_configENS1_22reduce_config_selectorIN6thrust23THRUST_200600_302600_NS5tupleIblNS6_9null_typeES8_S8_S8_S8_S8_S8_S8_EEEEZNS1_11reduce_implILb1ES3_NS6_12zip_iteratorINS7_INS6_11hip_rocprim26transform_input_iterator_tIbNSD_35transform_pair_of_input_iterators_tIbNS6_6detail15normal_iteratorINS6_10device_ptrIKxEEEESL_NS6_8equal_toIxEEEENSG_9not_fun_tINSD_8identityEEEEENSD_19counting_iterator_tIlEES8_S8_S8_S8_S8_S8_S8_S8_EEEEPS9_S9_NSD_9__find_if7functorIS9_EEEE10hipError_tPvRmT1_T2_T3_mT4_P12ihipStream_tbEUlT_E0_NS1_11comp_targetILNS1_3genE9ELNS1_11target_archE1100ELNS1_3gpuE3ELNS1_3repE0EEENS1_30default_config_static_selectorELNS0_4arch9wavefront6targetE1EEEvS14_.kd
    .uniform_work_group_size: 1
    .uses_dynamic_stack: false
    .vgpr_count:     0
    .vgpr_spill_count: 0
    .wavefront_size: 64
  - .args:
      - .offset:         0
        .size:           104
        .value_kind:     by_value
    .group_segment_fixed_size: 0
    .kernarg_segment_align: 8
    .kernarg_segment_size: 104
    .language:       OpenCL C
    .language_version:
      - 2
      - 0
    .max_flat_workgroup_size: 256
    .name:           _ZN7rocprim17ROCPRIM_400000_NS6detail17trampoline_kernelINS0_14default_configENS1_22reduce_config_selectorIN6thrust23THRUST_200600_302600_NS5tupleIblNS6_9null_typeES8_S8_S8_S8_S8_S8_S8_EEEEZNS1_11reduce_implILb1ES3_NS6_12zip_iteratorINS7_INS6_11hip_rocprim26transform_input_iterator_tIbNSD_35transform_pair_of_input_iterators_tIbNS6_6detail15normal_iteratorINS6_10device_ptrIKxEEEESL_NS6_8equal_toIxEEEENSG_9not_fun_tINSD_8identityEEEEENSD_19counting_iterator_tIlEES8_S8_S8_S8_S8_S8_S8_S8_EEEEPS9_S9_NSD_9__find_if7functorIS9_EEEE10hipError_tPvRmT1_T2_T3_mT4_P12ihipStream_tbEUlT_E0_NS1_11comp_targetILNS1_3genE8ELNS1_11target_archE1030ELNS1_3gpuE2ELNS1_3repE0EEENS1_30default_config_static_selectorELNS0_4arch9wavefront6targetE1EEEvS14_
    .private_segment_fixed_size: 0
    .sgpr_count:     4
    .sgpr_spill_count: 0
    .symbol:         _ZN7rocprim17ROCPRIM_400000_NS6detail17trampoline_kernelINS0_14default_configENS1_22reduce_config_selectorIN6thrust23THRUST_200600_302600_NS5tupleIblNS6_9null_typeES8_S8_S8_S8_S8_S8_S8_EEEEZNS1_11reduce_implILb1ES3_NS6_12zip_iteratorINS7_INS6_11hip_rocprim26transform_input_iterator_tIbNSD_35transform_pair_of_input_iterators_tIbNS6_6detail15normal_iteratorINS6_10device_ptrIKxEEEESL_NS6_8equal_toIxEEEENSG_9not_fun_tINSD_8identityEEEEENSD_19counting_iterator_tIlEES8_S8_S8_S8_S8_S8_S8_S8_EEEEPS9_S9_NSD_9__find_if7functorIS9_EEEE10hipError_tPvRmT1_T2_T3_mT4_P12ihipStream_tbEUlT_E0_NS1_11comp_targetILNS1_3genE8ELNS1_11target_archE1030ELNS1_3gpuE2ELNS1_3repE0EEENS1_30default_config_static_selectorELNS0_4arch9wavefront6targetE1EEEvS14_.kd
    .uniform_work_group_size: 1
    .uses_dynamic_stack: false
    .vgpr_count:     0
    .vgpr_spill_count: 0
    .wavefront_size: 64
  - .args:
      - .offset:         0
        .size:           88
        .value_kind:     by_value
    .group_segment_fixed_size: 0
    .kernarg_segment_align: 8
    .kernarg_segment_size: 88
    .language:       OpenCL C
    .language_version:
      - 2
      - 0
    .max_flat_workgroup_size: 128
    .name:           _ZN7rocprim17ROCPRIM_400000_NS6detail17trampoline_kernelINS0_14default_configENS1_22reduce_config_selectorIN6thrust23THRUST_200600_302600_NS5tupleIblNS6_9null_typeES8_S8_S8_S8_S8_S8_S8_EEEEZNS1_11reduce_implILb1ES3_NS6_12zip_iteratorINS7_INS6_11hip_rocprim26transform_input_iterator_tIbNSD_35transform_pair_of_input_iterators_tIbNS6_6detail15normal_iteratorINS6_10device_ptrIKxEEEESL_NS6_8equal_toIxEEEENSG_9not_fun_tINSD_8identityEEEEENSD_19counting_iterator_tIlEES8_S8_S8_S8_S8_S8_S8_S8_EEEEPS9_S9_NSD_9__find_if7functorIS9_EEEE10hipError_tPvRmT1_T2_T3_mT4_P12ihipStream_tbEUlT_E1_NS1_11comp_targetILNS1_3genE0ELNS1_11target_archE4294967295ELNS1_3gpuE0ELNS1_3repE0EEENS1_30default_config_static_selectorELNS0_4arch9wavefront6targetE1EEEvS14_
    .private_segment_fixed_size: 0
    .sgpr_count:     4
    .sgpr_spill_count: 0
    .symbol:         _ZN7rocprim17ROCPRIM_400000_NS6detail17trampoline_kernelINS0_14default_configENS1_22reduce_config_selectorIN6thrust23THRUST_200600_302600_NS5tupleIblNS6_9null_typeES8_S8_S8_S8_S8_S8_S8_EEEEZNS1_11reduce_implILb1ES3_NS6_12zip_iteratorINS7_INS6_11hip_rocprim26transform_input_iterator_tIbNSD_35transform_pair_of_input_iterators_tIbNS6_6detail15normal_iteratorINS6_10device_ptrIKxEEEESL_NS6_8equal_toIxEEEENSG_9not_fun_tINSD_8identityEEEEENSD_19counting_iterator_tIlEES8_S8_S8_S8_S8_S8_S8_S8_EEEEPS9_S9_NSD_9__find_if7functorIS9_EEEE10hipError_tPvRmT1_T2_T3_mT4_P12ihipStream_tbEUlT_E1_NS1_11comp_targetILNS1_3genE0ELNS1_11target_archE4294967295ELNS1_3gpuE0ELNS1_3repE0EEENS1_30default_config_static_selectorELNS0_4arch9wavefront6targetE1EEEvS14_.kd
    .uniform_work_group_size: 1
    .uses_dynamic_stack: false
    .vgpr_count:     0
    .vgpr_spill_count: 0
    .wavefront_size: 64
  - .args:
      - .offset:         0
        .size:           88
        .value_kind:     by_value
    .group_segment_fixed_size: 0
    .kernarg_segment_align: 8
    .kernarg_segment_size: 88
    .language:       OpenCL C
    .language_version:
      - 2
      - 0
    .max_flat_workgroup_size: 256
    .name:           _ZN7rocprim17ROCPRIM_400000_NS6detail17trampoline_kernelINS0_14default_configENS1_22reduce_config_selectorIN6thrust23THRUST_200600_302600_NS5tupleIblNS6_9null_typeES8_S8_S8_S8_S8_S8_S8_EEEEZNS1_11reduce_implILb1ES3_NS6_12zip_iteratorINS7_INS6_11hip_rocprim26transform_input_iterator_tIbNSD_35transform_pair_of_input_iterators_tIbNS6_6detail15normal_iteratorINS6_10device_ptrIKxEEEESL_NS6_8equal_toIxEEEENSG_9not_fun_tINSD_8identityEEEEENSD_19counting_iterator_tIlEES8_S8_S8_S8_S8_S8_S8_S8_EEEEPS9_S9_NSD_9__find_if7functorIS9_EEEE10hipError_tPvRmT1_T2_T3_mT4_P12ihipStream_tbEUlT_E1_NS1_11comp_targetILNS1_3genE5ELNS1_11target_archE942ELNS1_3gpuE9ELNS1_3repE0EEENS1_30default_config_static_selectorELNS0_4arch9wavefront6targetE1EEEvS14_
    .private_segment_fixed_size: 0
    .sgpr_count:     4
    .sgpr_spill_count: 0
    .symbol:         _ZN7rocprim17ROCPRIM_400000_NS6detail17trampoline_kernelINS0_14default_configENS1_22reduce_config_selectorIN6thrust23THRUST_200600_302600_NS5tupleIblNS6_9null_typeES8_S8_S8_S8_S8_S8_S8_EEEEZNS1_11reduce_implILb1ES3_NS6_12zip_iteratorINS7_INS6_11hip_rocprim26transform_input_iterator_tIbNSD_35transform_pair_of_input_iterators_tIbNS6_6detail15normal_iteratorINS6_10device_ptrIKxEEEESL_NS6_8equal_toIxEEEENSG_9not_fun_tINSD_8identityEEEEENSD_19counting_iterator_tIlEES8_S8_S8_S8_S8_S8_S8_S8_EEEEPS9_S9_NSD_9__find_if7functorIS9_EEEE10hipError_tPvRmT1_T2_T3_mT4_P12ihipStream_tbEUlT_E1_NS1_11comp_targetILNS1_3genE5ELNS1_11target_archE942ELNS1_3gpuE9ELNS1_3repE0EEENS1_30default_config_static_selectorELNS0_4arch9wavefront6targetE1EEEvS14_.kd
    .uniform_work_group_size: 1
    .uses_dynamic_stack: false
    .vgpr_count:     0
    .vgpr_spill_count: 0
    .wavefront_size: 64
  - .args:
      - .offset:         0
        .size:           88
        .value_kind:     by_value
    .group_segment_fixed_size: 0
    .kernarg_segment_align: 8
    .kernarg_segment_size: 88
    .language:       OpenCL C
    .language_version:
      - 2
      - 0
    .max_flat_workgroup_size: 256
    .name:           _ZN7rocprim17ROCPRIM_400000_NS6detail17trampoline_kernelINS0_14default_configENS1_22reduce_config_selectorIN6thrust23THRUST_200600_302600_NS5tupleIblNS6_9null_typeES8_S8_S8_S8_S8_S8_S8_EEEEZNS1_11reduce_implILb1ES3_NS6_12zip_iteratorINS7_INS6_11hip_rocprim26transform_input_iterator_tIbNSD_35transform_pair_of_input_iterators_tIbNS6_6detail15normal_iteratorINS6_10device_ptrIKxEEEESL_NS6_8equal_toIxEEEENSG_9not_fun_tINSD_8identityEEEEENSD_19counting_iterator_tIlEES8_S8_S8_S8_S8_S8_S8_S8_EEEEPS9_S9_NSD_9__find_if7functorIS9_EEEE10hipError_tPvRmT1_T2_T3_mT4_P12ihipStream_tbEUlT_E1_NS1_11comp_targetILNS1_3genE4ELNS1_11target_archE910ELNS1_3gpuE8ELNS1_3repE0EEENS1_30default_config_static_selectorELNS0_4arch9wavefront6targetE1EEEvS14_
    .private_segment_fixed_size: 0
    .sgpr_count:     4
    .sgpr_spill_count: 0
    .symbol:         _ZN7rocprim17ROCPRIM_400000_NS6detail17trampoline_kernelINS0_14default_configENS1_22reduce_config_selectorIN6thrust23THRUST_200600_302600_NS5tupleIblNS6_9null_typeES8_S8_S8_S8_S8_S8_S8_EEEEZNS1_11reduce_implILb1ES3_NS6_12zip_iteratorINS7_INS6_11hip_rocprim26transform_input_iterator_tIbNSD_35transform_pair_of_input_iterators_tIbNS6_6detail15normal_iteratorINS6_10device_ptrIKxEEEESL_NS6_8equal_toIxEEEENSG_9not_fun_tINSD_8identityEEEEENSD_19counting_iterator_tIlEES8_S8_S8_S8_S8_S8_S8_S8_EEEEPS9_S9_NSD_9__find_if7functorIS9_EEEE10hipError_tPvRmT1_T2_T3_mT4_P12ihipStream_tbEUlT_E1_NS1_11comp_targetILNS1_3genE4ELNS1_11target_archE910ELNS1_3gpuE8ELNS1_3repE0EEENS1_30default_config_static_selectorELNS0_4arch9wavefront6targetE1EEEvS14_.kd
    .uniform_work_group_size: 1
    .uses_dynamic_stack: false
    .vgpr_count:     0
    .vgpr_spill_count: 0
    .wavefront_size: 64
  - .args:
      - .offset:         0
        .size:           88
        .value_kind:     by_value
    .group_segment_fixed_size: 0
    .kernarg_segment_align: 8
    .kernarg_segment_size: 88
    .language:       OpenCL C
    .language_version:
      - 2
      - 0
    .max_flat_workgroup_size: 128
    .name:           _ZN7rocprim17ROCPRIM_400000_NS6detail17trampoline_kernelINS0_14default_configENS1_22reduce_config_selectorIN6thrust23THRUST_200600_302600_NS5tupleIblNS6_9null_typeES8_S8_S8_S8_S8_S8_S8_EEEEZNS1_11reduce_implILb1ES3_NS6_12zip_iteratorINS7_INS6_11hip_rocprim26transform_input_iterator_tIbNSD_35transform_pair_of_input_iterators_tIbNS6_6detail15normal_iteratorINS6_10device_ptrIKxEEEESL_NS6_8equal_toIxEEEENSG_9not_fun_tINSD_8identityEEEEENSD_19counting_iterator_tIlEES8_S8_S8_S8_S8_S8_S8_S8_EEEEPS9_S9_NSD_9__find_if7functorIS9_EEEE10hipError_tPvRmT1_T2_T3_mT4_P12ihipStream_tbEUlT_E1_NS1_11comp_targetILNS1_3genE3ELNS1_11target_archE908ELNS1_3gpuE7ELNS1_3repE0EEENS1_30default_config_static_selectorELNS0_4arch9wavefront6targetE1EEEvS14_
    .private_segment_fixed_size: 0
    .sgpr_count:     4
    .sgpr_spill_count: 0
    .symbol:         _ZN7rocprim17ROCPRIM_400000_NS6detail17trampoline_kernelINS0_14default_configENS1_22reduce_config_selectorIN6thrust23THRUST_200600_302600_NS5tupleIblNS6_9null_typeES8_S8_S8_S8_S8_S8_S8_EEEEZNS1_11reduce_implILb1ES3_NS6_12zip_iteratorINS7_INS6_11hip_rocprim26transform_input_iterator_tIbNSD_35transform_pair_of_input_iterators_tIbNS6_6detail15normal_iteratorINS6_10device_ptrIKxEEEESL_NS6_8equal_toIxEEEENSG_9not_fun_tINSD_8identityEEEEENSD_19counting_iterator_tIlEES8_S8_S8_S8_S8_S8_S8_S8_EEEEPS9_S9_NSD_9__find_if7functorIS9_EEEE10hipError_tPvRmT1_T2_T3_mT4_P12ihipStream_tbEUlT_E1_NS1_11comp_targetILNS1_3genE3ELNS1_11target_archE908ELNS1_3gpuE7ELNS1_3repE0EEENS1_30default_config_static_selectorELNS0_4arch9wavefront6targetE1EEEvS14_.kd
    .uniform_work_group_size: 1
    .uses_dynamic_stack: false
    .vgpr_count:     0
    .vgpr_spill_count: 0
    .wavefront_size: 64
  - .args:
      - .offset:         0
        .size:           88
        .value_kind:     by_value
    .group_segment_fixed_size: 160
    .kernarg_segment_align: 8
    .kernarg_segment_size: 88
    .language:       OpenCL C
    .language_version:
      - 2
      - 0
    .max_flat_workgroup_size: 128
    .name:           _ZN7rocprim17ROCPRIM_400000_NS6detail17trampoline_kernelINS0_14default_configENS1_22reduce_config_selectorIN6thrust23THRUST_200600_302600_NS5tupleIblNS6_9null_typeES8_S8_S8_S8_S8_S8_S8_EEEEZNS1_11reduce_implILb1ES3_NS6_12zip_iteratorINS7_INS6_11hip_rocprim26transform_input_iterator_tIbNSD_35transform_pair_of_input_iterators_tIbNS6_6detail15normal_iteratorINS6_10device_ptrIKxEEEESL_NS6_8equal_toIxEEEENSG_9not_fun_tINSD_8identityEEEEENSD_19counting_iterator_tIlEES8_S8_S8_S8_S8_S8_S8_S8_EEEEPS9_S9_NSD_9__find_if7functorIS9_EEEE10hipError_tPvRmT1_T2_T3_mT4_P12ihipStream_tbEUlT_E1_NS1_11comp_targetILNS1_3genE2ELNS1_11target_archE906ELNS1_3gpuE6ELNS1_3repE0EEENS1_30default_config_static_selectorELNS0_4arch9wavefront6targetE1EEEvS14_
    .private_segment_fixed_size: 0
    .sgpr_count:     46
    .sgpr_spill_count: 0
    .symbol:         _ZN7rocprim17ROCPRIM_400000_NS6detail17trampoline_kernelINS0_14default_configENS1_22reduce_config_selectorIN6thrust23THRUST_200600_302600_NS5tupleIblNS6_9null_typeES8_S8_S8_S8_S8_S8_S8_EEEEZNS1_11reduce_implILb1ES3_NS6_12zip_iteratorINS7_INS6_11hip_rocprim26transform_input_iterator_tIbNSD_35transform_pair_of_input_iterators_tIbNS6_6detail15normal_iteratorINS6_10device_ptrIKxEEEESL_NS6_8equal_toIxEEEENSG_9not_fun_tINSD_8identityEEEEENSD_19counting_iterator_tIlEES8_S8_S8_S8_S8_S8_S8_S8_EEEEPS9_S9_NSD_9__find_if7functorIS9_EEEE10hipError_tPvRmT1_T2_T3_mT4_P12ihipStream_tbEUlT_E1_NS1_11comp_targetILNS1_3genE2ELNS1_11target_archE906ELNS1_3gpuE6ELNS1_3repE0EEENS1_30default_config_static_selectorELNS0_4arch9wavefront6targetE1EEEvS14_.kd
    .uniform_work_group_size: 1
    .uses_dynamic_stack: false
    .vgpr_count:     31
    .vgpr_spill_count: 0
    .wavefront_size: 64
  - .args:
      - .offset:         0
        .size:           88
        .value_kind:     by_value
    .group_segment_fixed_size: 0
    .kernarg_segment_align: 8
    .kernarg_segment_size: 88
    .language:       OpenCL C
    .language_version:
      - 2
      - 0
    .max_flat_workgroup_size: 256
    .name:           _ZN7rocprim17ROCPRIM_400000_NS6detail17trampoline_kernelINS0_14default_configENS1_22reduce_config_selectorIN6thrust23THRUST_200600_302600_NS5tupleIblNS6_9null_typeES8_S8_S8_S8_S8_S8_S8_EEEEZNS1_11reduce_implILb1ES3_NS6_12zip_iteratorINS7_INS6_11hip_rocprim26transform_input_iterator_tIbNSD_35transform_pair_of_input_iterators_tIbNS6_6detail15normal_iteratorINS6_10device_ptrIKxEEEESL_NS6_8equal_toIxEEEENSG_9not_fun_tINSD_8identityEEEEENSD_19counting_iterator_tIlEES8_S8_S8_S8_S8_S8_S8_S8_EEEEPS9_S9_NSD_9__find_if7functorIS9_EEEE10hipError_tPvRmT1_T2_T3_mT4_P12ihipStream_tbEUlT_E1_NS1_11comp_targetILNS1_3genE10ELNS1_11target_archE1201ELNS1_3gpuE5ELNS1_3repE0EEENS1_30default_config_static_selectorELNS0_4arch9wavefront6targetE1EEEvS14_
    .private_segment_fixed_size: 0
    .sgpr_count:     4
    .sgpr_spill_count: 0
    .symbol:         _ZN7rocprim17ROCPRIM_400000_NS6detail17trampoline_kernelINS0_14default_configENS1_22reduce_config_selectorIN6thrust23THRUST_200600_302600_NS5tupleIblNS6_9null_typeES8_S8_S8_S8_S8_S8_S8_EEEEZNS1_11reduce_implILb1ES3_NS6_12zip_iteratorINS7_INS6_11hip_rocprim26transform_input_iterator_tIbNSD_35transform_pair_of_input_iterators_tIbNS6_6detail15normal_iteratorINS6_10device_ptrIKxEEEESL_NS6_8equal_toIxEEEENSG_9not_fun_tINSD_8identityEEEEENSD_19counting_iterator_tIlEES8_S8_S8_S8_S8_S8_S8_S8_EEEEPS9_S9_NSD_9__find_if7functorIS9_EEEE10hipError_tPvRmT1_T2_T3_mT4_P12ihipStream_tbEUlT_E1_NS1_11comp_targetILNS1_3genE10ELNS1_11target_archE1201ELNS1_3gpuE5ELNS1_3repE0EEENS1_30default_config_static_selectorELNS0_4arch9wavefront6targetE1EEEvS14_.kd
    .uniform_work_group_size: 1
    .uses_dynamic_stack: false
    .vgpr_count:     0
    .vgpr_spill_count: 0
    .wavefront_size: 64
  - .args:
      - .offset:         0
        .size:           88
        .value_kind:     by_value
    .group_segment_fixed_size: 0
    .kernarg_segment_align: 8
    .kernarg_segment_size: 88
    .language:       OpenCL C
    .language_version:
      - 2
      - 0
    .max_flat_workgroup_size: 256
    .name:           _ZN7rocprim17ROCPRIM_400000_NS6detail17trampoline_kernelINS0_14default_configENS1_22reduce_config_selectorIN6thrust23THRUST_200600_302600_NS5tupleIblNS6_9null_typeES8_S8_S8_S8_S8_S8_S8_EEEEZNS1_11reduce_implILb1ES3_NS6_12zip_iteratorINS7_INS6_11hip_rocprim26transform_input_iterator_tIbNSD_35transform_pair_of_input_iterators_tIbNS6_6detail15normal_iteratorINS6_10device_ptrIKxEEEESL_NS6_8equal_toIxEEEENSG_9not_fun_tINSD_8identityEEEEENSD_19counting_iterator_tIlEES8_S8_S8_S8_S8_S8_S8_S8_EEEEPS9_S9_NSD_9__find_if7functorIS9_EEEE10hipError_tPvRmT1_T2_T3_mT4_P12ihipStream_tbEUlT_E1_NS1_11comp_targetILNS1_3genE10ELNS1_11target_archE1200ELNS1_3gpuE4ELNS1_3repE0EEENS1_30default_config_static_selectorELNS0_4arch9wavefront6targetE1EEEvS14_
    .private_segment_fixed_size: 0
    .sgpr_count:     4
    .sgpr_spill_count: 0
    .symbol:         _ZN7rocprim17ROCPRIM_400000_NS6detail17trampoline_kernelINS0_14default_configENS1_22reduce_config_selectorIN6thrust23THRUST_200600_302600_NS5tupleIblNS6_9null_typeES8_S8_S8_S8_S8_S8_S8_EEEEZNS1_11reduce_implILb1ES3_NS6_12zip_iteratorINS7_INS6_11hip_rocprim26transform_input_iterator_tIbNSD_35transform_pair_of_input_iterators_tIbNS6_6detail15normal_iteratorINS6_10device_ptrIKxEEEESL_NS6_8equal_toIxEEEENSG_9not_fun_tINSD_8identityEEEEENSD_19counting_iterator_tIlEES8_S8_S8_S8_S8_S8_S8_S8_EEEEPS9_S9_NSD_9__find_if7functorIS9_EEEE10hipError_tPvRmT1_T2_T3_mT4_P12ihipStream_tbEUlT_E1_NS1_11comp_targetILNS1_3genE10ELNS1_11target_archE1200ELNS1_3gpuE4ELNS1_3repE0EEENS1_30default_config_static_selectorELNS0_4arch9wavefront6targetE1EEEvS14_.kd
    .uniform_work_group_size: 1
    .uses_dynamic_stack: false
    .vgpr_count:     0
    .vgpr_spill_count: 0
    .wavefront_size: 64
  - .args:
      - .offset:         0
        .size:           88
        .value_kind:     by_value
    .group_segment_fixed_size: 0
    .kernarg_segment_align: 8
    .kernarg_segment_size: 88
    .language:       OpenCL C
    .language_version:
      - 2
      - 0
    .max_flat_workgroup_size: 256
    .name:           _ZN7rocprim17ROCPRIM_400000_NS6detail17trampoline_kernelINS0_14default_configENS1_22reduce_config_selectorIN6thrust23THRUST_200600_302600_NS5tupleIblNS6_9null_typeES8_S8_S8_S8_S8_S8_S8_EEEEZNS1_11reduce_implILb1ES3_NS6_12zip_iteratorINS7_INS6_11hip_rocprim26transform_input_iterator_tIbNSD_35transform_pair_of_input_iterators_tIbNS6_6detail15normal_iteratorINS6_10device_ptrIKxEEEESL_NS6_8equal_toIxEEEENSG_9not_fun_tINSD_8identityEEEEENSD_19counting_iterator_tIlEES8_S8_S8_S8_S8_S8_S8_S8_EEEEPS9_S9_NSD_9__find_if7functorIS9_EEEE10hipError_tPvRmT1_T2_T3_mT4_P12ihipStream_tbEUlT_E1_NS1_11comp_targetILNS1_3genE9ELNS1_11target_archE1100ELNS1_3gpuE3ELNS1_3repE0EEENS1_30default_config_static_selectorELNS0_4arch9wavefront6targetE1EEEvS14_
    .private_segment_fixed_size: 0
    .sgpr_count:     4
    .sgpr_spill_count: 0
    .symbol:         _ZN7rocprim17ROCPRIM_400000_NS6detail17trampoline_kernelINS0_14default_configENS1_22reduce_config_selectorIN6thrust23THRUST_200600_302600_NS5tupleIblNS6_9null_typeES8_S8_S8_S8_S8_S8_S8_EEEEZNS1_11reduce_implILb1ES3_NS6_12zip_iteratorINS7_INS6_11hip_rocprim26transform_input_iterator_tIbNSD_35transform_pair_of_input_iterators_tIbNS6_6detail15normal_iteratorINS6_10device_ptrIKxEEEESL_NS6_8equal_toIxEEEENSG_9not_fun_tINSD_8identityEEEEENSD_19counting_iterator_tIlEES8_S8_S8_S8_S8_S8_S8_S8_EEEEPS9_S9_NSD_9__find_if7functorIS9_EEEE10hipError_tPvRmT1_T2_T3_mT4_P12ihipStream_tbEUlT_E1_NS1_11comp_targetILNS1_3genE9ELNS1_11target_archE1100ELNS1_3gpuE3ELNS1_3repE0EEENS1_30default_config_static_selectorELNS0_4arch9wavefront6targetE1EEEvS14_.kd
    .uniform_work_group_size: 1
    .uses_dynamic_stack: false
    .vgpr_count:     0
    .vgpr_spill_count: 0
    .wavefront_size: 64
  - .args:
      - .offset:         0
        .size:           88
        .value_kind:     by_value
    .group_segment_fixed_size: 0
    .kernarg_segment_align: 8
    .kernarg_segment_size: 88
    .language:       OpenCL C
    .language_version:
      - 2
      - 0
    .max_flat_workgroup_size: 256
    .name:           _ZN7rocprim17ROCPRIM_400000_NS6detail17trampoline_kernelINS0_14default_configENS1_22reduce_config_selectorIN6thrust23THRUST_200600_302600_NS5tupleIblNS6_9null_typeES8_S8_S8_S8_S8_S8_S8_EEEEZNS1_11reduce_implILb1ES3_NS6_12zip_iteratorINS7_INS6_11hip_rocprim26transform_input_iterator_tIbNSD_35transform_pair_of_input_iterators_tIbNS6_6detail15normal_iteratorINS6_10device_ptrIKxEEEESL_NS6_8equal_toIxEEEENSG_9not_fun_tINSD_8identityEEEEENSD_19counting_iterator_tIlEES8_S8_S8_S8_S8_S8_S8_S8_EEEEPS9_S9_NSD_9__find_if7functorIS9_EEEE10hipError_tPvRmT1_T2_T3_mT4_P12ihipStream_tbEUlT_E1_NS1_11comp_targetILNS1_3genE8ELNS1_11target_archE1030ELNS1_3gpuE2ELNS1_3repE0EEENS1_30default_config_static_selectorELNS0_4arch9wavefront6targetE1EEEvS14_
    .private_segment_fixed_size: 0
    .sgpr_count:     4
    .sgpr_spill_count: 0
    .symbol:         _ZN7rocprim17ROCPRIM_400000_NS6detail17trampoline_kernelINS0_14default_configENS1_22reduce_config_selectorIN6thrust23THRUST_200600_302600_NS5tupleIblNS6_9null_typeES8_S8_S8_S8_S8_S8_S8_EEEEZNS1_11reduce_implILb1ES3_NS6_12zip_iteratorINS7_INS6_11hip_rocprim26transform_input_iterator_tIbNSD_35transform_pair_of_input_iterators_tIbNS6_6detail15normal_iteratorINS6_10device_ptrIKxEEEESL_NS6_8equal_toIxEEEENSG_9not_fun_tINSD_8identityEEEEENSD_19counting_iterator_tIlEES8_S8_S8_S8_S8_S8_S8_S8_EEEEPS9_S9_NSD_9__find_if7functorIS9_EEEE10hipError_tPvRmT1_T2_T3_mT4_P12ihipStream_tbEUlT_E1_NS1_11comp_targetILNS1_3genE8ELNS1_11target_archE1030ELNS1_3gpuE2ELNS1_3repE0EEENS1_30default_config_static_selectorELNS0_4arch9wavefront6targetE1EEEvS14_.kd
    .uniform_work_group_size: 1
    .uses_dynamic_stack: false
    .vgpr_count:     0
    .vgpr_spill_count: 0
    .wavefront_size: 64
  - .args:
      - .offset:         0
        .size:           104
        .value_kind:     by_value
    .group_segment_fixed_size: 0
    .kernarg_segment_align: 8
    .kernarg_segment_size: 104
    .language:       OpenCL C
    .language_version:
      - 2
      - 0
    .max_flat_workgroup_size: 128
    .name:           _ZN7rocprim17ROCPRIM_400000_NS6detail17trampoline_kernelINS0_14default_configENS1_22reduce_config_selectorIN6thrust23THRUST_200600_302600_NS5tupleIblNS6_9null_typeES8_S8_S8_S8_S8_S8_S8_EEEEZNS1_11reduce_implILb1ES3_NS6_12zip_iteratorINS7_INS6_11hip_rocprim26transform_input_iterator_tIbNSD_35transform_pair_of_input_iterators_tIbNS6_6detail15normal_iteratorINS6_10device_ptrIKiEEEESL_NS6_8equal_toIiEEEENSG_9not_fun_tINSD_8identityEEEEENSD_19counting_iterator_tIlEES8_S8_S8_S8_S8_S8_S8_S8_EEEEPS9_S9_NSD_9__find_if7functorIS9_EEEE10hipError_tPvRmT1_T2_T3_mT4_P12ihipStream_tbEUlT_E0_NS1_11comp_targetILNS1_3genE0ELNS1_11target_archE4294967295ELNS1_3gpuE0ELNS1_3repE0EEENS1_30default_config_static_selectorELNS0_4arch9wavefront6targetE1EEEvS14_
    .private_segment_fixed_size: 0
    .sgpr_count:     4
    .sgpr_spill_count: 0
    .symbol:         _ZN7rocprim17ROCPRIM_400000_NS6detail17trampoline_kernelINS0_14default_configENS1_22reduce_config_selectorIN6thrust23THRUST_200600_302600_NS5tupleIblNS6_9null_typeES8_S8_S8_S8_S8_S8_S8_EEEEZNS1_11reduce_implILb1ES3_NS6_12zip_iteratorINS7_INS6_11hip_rocprim26transform_input_iterator_tIbNSD_35transform_pair_of_input_iterators_tIbNS6_6detail15normal_iteratorINS6_10device_ptrIKiEEEESL_NS6_8equal_toIiEEEENSG_9not_fun_tINSD_8identityEEEEENSD_19counting_iterator_tIlEES8_S8_S8_S8_S8_S8_S8_S8_EEEEPS9_S9_NSD_9__find_if7functorIS9_EEEE10hipError_tPvRmT1_T2_T3_mT4_P12ihipStream_tbEUlT_E0_NS1_11comp_targetILNS1_3genE0ELNS1_11target_archE4294967295ELNS1_3gpuE0ELNS1_3repE0EEENS1_30default_config_static_selectorELNS0_4arch9wavefront6targetE1EEEvS14_.kd
    .uniform_work_group_size: 1
    .uses_dynamic_stack: false
    .vgpr_count:     0
    .vgpr_spill_count: 0
    .wavefront_size: 64
  - .args:
      - .offset:         0
        .size:           104
        .value_kind:     by_value
    .group_segment_fixed_size: 0
    .kernarg_segment_align: 8
    .kernarg_segment_size: 104
    .language:       OpenCL C
    .language_version:
      - 2
      - 0
    .max_flat_workgroup_size: 256
    .name:           _ZN7rocprim17ROCPRIM_400000_NS6detail17trampoline_kernelINS0_14default_configENS1_22reduce_config_selectorIN6thrust23THRUST_200600_302600_NS5tupleIblNS6_9null_typeES8_S8_S8_S8_S8_S8_S8_EEEEZNS1_11reduce_implILb1ES3_NS6_12zip_iteratorINS7_INS6_11hip_rocprim26transform_input_iterator_tIbNSD_35transform_pair_of_input_iterators_tIbNS6_6detail15normal_iteratorINS6_10device_ptrIKiEEEESL_NS6_8equal_toIiEEEENSG_9not_fun_tINSD_8identityEEEEENSD_19counting_iterator_tIlEES8_S8_S8_S8_S8_S8_S8_S8_EEEEPS9_S9_NSD_9__find_if7functorIS9_EEEE10hipError_tPvRmT1_T2_T3_mT4_P12ihipStream_tbEUlT_E0_NS1_11comp_targetILNS1_3genE5ELNS1_11target_archE942ELNS1_3gpuE9ELNS1_3repE0EEENS1_30default_config_static_selectorELNS0_4arch9wavefront6targetE1EEEvS14_
    .private_segment_fixed_size: 0
    .sgpr_count:     4
    .sgpr_spill_count: 0
    .symbol:         _ZN7rocprim17ROCPRIM_400000_NS6detail17trampoline_kernelINS0_14default_configENS1_22reduce_config_selectorIN6thrust23THRUST_200600_302600_NS5tupleIblNS6_9null_typeES8_S8_S8_S8_S8_S8_S8_EEEEZNS1_11reduce_implILb1ES3_NS6_12zip_iteratorINS7_INS6_11hip_rocprim26transform_input_iterator_tIbNSD_35transform_pair_of_input_iterators_tIbNS6_6detail15normal_iteratorINS6_10device_ptrIKiEEEESL_NS6_8equal_toIiEEEENSG_9not_fun_tINSD_8identityEEEEENSD_19counting_iterator_tIlEES8_S8_S8_S8_S8_S8_S8_S8_EEEEPS9_S9_NSD_9__find_if7functorIS9_EEEE10hipError_tPvRmT1_T2_T3_mT4_P12ihipStream_tbEUlT_E0_NS1_11comp_targetILNS1_3genE5ELNS1_11target_archE942ELNS1_3gpuE9ELNS1_3repE0EEENS1_30default_config_static_selectorELNS0_4arch9wavefront6targetE1EEEvS14_.kd
    .uniform_work_group_size: 1
    .uses_dynamic_stack: false
    .vgpr_count:     0
    .vgpr_spill_count: 0
    .wavefront_size: 64
  - .args:
      - .offset:         0
        .size:           104
        .value_kind:     by_value
    .group_segment_fixed_size: 0
    .kernarg_segment_align: 8
    .kernarg_segment_size: 104
    .language:       OpenCL C
    .language_version:
      - 2
      - 0
    .max_flat_workgroup_size: 256
    .name:           _ZN7rocprim17ROCPRIM_400000_NS6detail17trampoline_kernelINS0_14default_configENS1_22reduce_config_selectorIN6thrust23THRUST_200600_302600_NS5tupleIblNS6_9null_typeES8_S8_S8_S8_S8_S8_S8_EEEEZNS1_11reduce_implILb1ES3_NS6_12zip_iteratorINS7_INS6_11hip_rocprim26transform_input_iterator_tIbNSD_35transform_pair_of_input_iterators_tIbNS6_6detail15normal_iteratorINS6_10device_ptrIKiEEEESL_NS6_8equal_toIiEEEENSG_9not_fun_tINSD_8identityEEEEENSD_19counting_iterator_tIlEES8_S8_S8_S8_S8_S8_S8_S8_EEEEPS9_S9_NSD_9__find_if7functorIS9_EEEE10hipError_tPvRmT1_T2_T3_mT4_P12ihipStream_tbEUlT_E0_NS1_11comp_targetILNS1_3genE4ELNS1_11target_archE910ELNS1_3gpuE8ELNS1_3repE0EEENS1_30default_config_static_selectorELNS0_4arch9wavefront6targetE1EEEvS14_
    .private_segment_fixed_size: 0
    .sgpr_count:     4
    .sgpr_spill_count: 0
    .symbol:         _ZN7rocprim17ROCPRIM_400000_NS6detail17trampoline_kernelINS0_14default_configENS1_22reduce_config_selectorIN6thrust23THRUST_200600_302600_NS5tupleIblNS6_9null_typeES8_S8_S8_S8_S8_S8_S8_EEEEZNS1_11reduce_implILb1ES3_NS6_12zip_iteratorINS7_INS6_11hip_rocprim26transform_input_iterator_tIbNSD_35transform_pair_of_input_iterators_tIbNS6_6detail15normal_iteratorINS6_10device_ptrIKiEEEESL_NS6_8equal_toIiEEEENSG_9not_fun_tINSD_8identityEEEEENSD_19counting_iterator_tIlEES8_S8_S8_S8_S8_S8_S8_S8_EEEEPS9_S9_NSD_9__find_if7functorIS9_EEEE10hipError_tPvRmT1_T2_T3_mT4_P12ihipStream_tbEUlT_E0_NS1_11comp_targetILNS1_3genE4ELNS1_11target_archE910ELNS1_3gpuE8ELNS1_3repE0EEENS1_30default_config_static_selectorELNS0_4arch9wavefront6targetE1EEEvS14_.kd
    .uniform_work_group_size: 1
    .uses_dynamic_stack: false
    .vgpr_count:     0
    .vgpr_spill_count: 0
    .wavefront_size: 64
  - .args:
      - .offset:         0
        .size:           104
        .value_kind:     by_value
    .group_segment_fixed_size: 0
    .kernarg_segment_align: 8
    .kernarg_segment_size: 104
    .language:       OpenCL C
    .language_version:
      - 2
      - 0
    .max_flat_workgroup_size: 128
    .name:           _ZN7rocprim17ROCPRIM_400000_NS6detail17trampoline_kernelINS0_14default_configENS1_22reduce_config_selectorIN6thrust23THRUST_200600_302600_NS5tupleIblNS6_9null_typeES8_S8_S8_S8_S8_S8_S8_EEEEZNS1_11reduce_implILb1ES3_NS6_12zip_iteratorINS7_INS6_11hip_rocprim26transform_input_iterator_tIbNSD_35transform_pair_of_input_iterators_tIbNS6_6detail15normal_iteratorINS6_10device_ptrIKiEEEESL_NS6_8equal_toIiEEEENSG_9not_fun_tINSD_8identityEEEEENSD_19counting_iterator_tIlEES8_S8_S8_S8_S8_S8_S8_S8_EEEEPS9_S9_NSD_9__find_if7functorIS9_EEEE10hipError_tPvRmT1_T2_T3_mT4_P12ihipStream_tbEUlT_E0_NS1_11comp_targetILNS1_3genE3ELNS1_11target_archE908ELNS1_3gpuE7ELNS1_3repE0EEENS1_30default_config_static_selectorELNS0_4arch9wavefront6targetE1EEEvS14_
    .private_segment_fixed_size: 0
    .sgpr_count:     4
    .sgpr_spill_count: 0
    .symbol:         _ZN7rocprim17ROCPRIM_400000_NS6detail17trampoline_kernelINS0_14default_configENS1_22reduce_config_selectorIN6thrust23THRUST_200600_302600_NS5tupleIblNS6_9null_typeES8_S8_S8_S8_S8_S8_S8_EEEEZNS1_11reduce_implILb1ES3_NS6_12zip_iteratorINS7_INS6_11hip_rocprim26transform_input_iterator_tIbNSD_35transform_pair_of_input_iterators_tIbNS6_6detail15normal_iteratorINS6_10device_ptrIKiEEEESL_NS6_8equal_toIiEEEENSG_9not_fun_tINSD_8identityEEEEENSD_19counting_iterator_tIlEES8_S8_S8_S8_S8_S8_S8_S8_EEEEPS9_S9_NSD_9__find_if7functorIS9_EEEE10hipError_tPvRmT1_T2_T3_mT4_P12ihipStream_tbEUlT_E0_NS1_11comp_targetILNS1_3genE3ELNS1_11target_archE908ELNS1_3gpuE7ELNS1_3repE0EEENS1_30default_config_static_selectorELNS0_4arch9wavefront6targetE1EEEvS14_.kd
    .uniform_work_group_size: 1
    .uses_dynamic_stack: false
    .vgpr_count:     0
    .vgpr_spill_count: 0
    .wavefront_size: 64
  - .args:
      - .offset:         0
        .size:           104
        .value_kind:     by_value
    .group_segment_fixed_size: 64
    .kernarg_segment_align: 8
    .kernarg_segment_size: 104
    .language:       OpenCL C
    .language_version:
      - 2
      - 0
    .max_flat_workgroup_size: 128
    .name:           _ZN7rocprim17ROCPRIM_400000_NS6detail17trampoline_kernelINS0_14default_configENS1_22reduce_config_selectorIN6thrust23THRUST_200600_302600_NS5tupleIblNS6_9null_typeES8_S8_S8_S8_S8_S8_S8_EEEEZNS1_11reduce_implILb1ES3_NS6_12zip_iteratorINS7_INS6_11hip_rocprim26transform_input_iterator_tIbNSD_35transform_pair_of_input_iterators_tIbNS6_6detail15normal_iteratorINS6_10device_ptrIKiEEEESL_NS6_8equal_toIiEEEENSG_9not_fun_tINSD_8identityEEEEENSD_19counting_iterator_tIlEES8_S8_S8_S8_S8_S8_S8_S8_EEEEPS9_S9_NSD_9__find_if7functorIS9_EEEE10hipError_tPvRmT1_T2_T3_mT4_P12ihipStream_tbEUlT_E0_NS1_11comp_targetILNS1_3genE2ELNS1_11target_archE906ELNS1_3gpuE6ELNS1_3repE0EEENS1_30default_config_static_selectorELNS0_4arch9wavefront6targetE1EEEvS14_
    .private_segment_fixed_size: 0
    .sgpr_count:     34
    .sgpr_spill_count: 0
    .symbol:         _ZN7rocprim17ROCPRIM_400000_NS6detail17trampoline_kernelINS0_14default_configENS1_22reduce_config_selectorIN6thrust23THRUST_200600_302600_NS5tupleIblNS6_9null_typeES8_S8_S8_S8_S8_S8_S8_EEEEZNS1_11reduce_implILb1ES3_NS6_12zip_iteratorINS7_INS6_11hip_rocprim26transform_input_iterator_tIbNSD_35transform_pair_of_input_iterators_tIbNS6_6detail15normal_iteratorINS6_10device_ptrIKiEEEESL_NS6_8equal_toIiEEEENSG_9not_fun_tINSD_8identityEEEEENSD_19counting_iterator_tIlEES8_S8_S8_S8_S8_S8_S8_S8_EEEEPS9_S9_NSD_9__find_if7functorIS9_EEEE10hipError_tPvRmT1_T2_T3_mT4_P12ihipStream_tbEUlT_E0_NS1_11comp_targetILNS1_3genE2ELNS1_11target_archE906ELNS1_3gpuE6ELNS1_3repE0EEENS1_30default_config_static_selectorELNS0_4arch9wavefront6targetE1EEEvS14_.kd
    .uniform_work_group_size: 1
    .uses_dynamic_stack: false
    .vgpr_count:     14
    .vgpr_spill_count: 0
    .wavefront_size: 64
  - .args:
      - .offset:         0
        .size:           104
        .value_kind:     by_value
    .group_segment_fixed_size: 0
    .kernarg_segment_align: 8
    .kernarg_segment_size: 104
    .language:       OpenCL C
    .language_version:
      - 2
      - 0
    .max_flat_workgroup_size: 256
    .name:           _ZN7rocprim17ROCPRIM_400000_NS6detail17trampoline_kernelINS0_14default_configENS1_22reduce_config_selectorIN6thrust23THRUST_200600_302600_NS5tupleIblNS6_9null_typeES8_S8_S8_S8_S8_S8_S8_EEEEZNS1_11reduce_implILb1ES3_NS6_12zip_iteratorINS7_INS6_11hip_rocprim26transform_input_iterator_tIbNSD_35transform_pair_of_input_iterators_tIbNS6_6detail15normal_iteratorINS6_10device_ptrIKiEEEESL_NS6_8equal_toIiEEEENSG_9not_fun_tINSD_8identityEEEEENSD_19counting_iterator_tIlEES8_S8_S8_S8_S8_S8_S8_S8_EEEEPS9_S9_NSD_9__find_if7functorIS9_EEEE10hipError_tPvRmT1_T2_T3_mT4_P12ihipStream_tbEUlT_E0_NS1_11comp_targetILNS1_3genE10ELNS1_11target_archE1201ELNS1_3gpuE5ELNS1_3repE0EEENS1_30default_config_static_selectorELNS0_4arch9wavefront6targetE1EEEvS14_
    .private_segment_fixed_size: 0
    .sgpr_count:     4
    .sgpr_spill_count: 0
    .symbol:         _ZN7rocprim17ROCPRIM_400000_NS6detail17trampoline_kernelINS0_14default_configENS1_22reduce_config_selectorIN6thrust23THRUST_200600_302600_NS5tupleIblNS6_9null_typeES8_S8_S8_S8_S8_S8_S8_EEEEZNS1_11reduce_implILb1ES3_NS6_12zip_iteratorINS7_INS6_11hip_rocprim26transform_input_iterator_tIbNSD_35transform_pair_of_input_iterators_tIbNS6_6detail15normal_iteratorINS6_10device_ptrIKiEEEESL_NS6_8equal_toIiEEEENSG_9not_fun_tINSD_8identityEEEEENSD_19counting_iterator_tIlEES8_S8_S8_S8_S8_S8_S8_S8_EEEEPS9_S9_NSD_9__find_if7functorIS9_EEEE10hipError_tPvRmT1_T2_T3_mT4_P12ihipStream_tbEUlT_E0_NS1_11comp_targetILNS1_3genE10ELNS1_11target_archE1201ELNS1_3gpuE5ELNS1_3repE0EEENS1_30default_config_static_selectorELNS0_4arch9wavefront6targetE1EEEvS14_.kd
    .uniform_work_group_size: 1
    .uses_dynamic_stack: false
    .vgpr_count:     0
    .vgpr_spill_count: 0
    .wavefront_size: 64
  - .args:
      - .offset:         0
        .size:           104
        .value_kind:     by_value
    .group_segment_fixed_size: 0
    .kernarg_segment_align: 8
    .kernarg_segment_size: 104
    .language:       OpenCL C
    .language_version:
      - 2
      - 0
    .max_flat_workgroup_size: 256
    .name:           _ZN7rocprim17ROCPRIM_400000_NS6detail17trampoline_kernelINS0_14default_configENS1_22reduce_config_selectorIN6thrust23THRUST_200600_302600_NS5tupleIblNS6_9null_typeES8_S8_S8_S8_S8_S8_S8_EEEEZNS1_11reduce_implILb1ES3_NS6_12zip_iteratorINS7_INS6_11hip_rocprim26transform_input_iterator_tIbNSD_35transform_pair_of_input_iterators_tIbNS6_6detail15normal_iteratorINS6_10device_ptrIKiEEEESL_NS6_8equal_toIiEEEENSG_9not_fun_tINSD_8identityEEEEENSD_19counting_iterator_tIlEES8_S8_S8_S8_S8_S8_S8_S8_EEEEPS9_S9_NSD_9__find_if7functorIS9_EEEE10hipError_tPvRmT1_T2_T3_mT4_P12ihipStream_tbEUlT_E0_NS1_11comp_targetILNS1_3genE10ELNS1_11target_archE1200ELNS1_3gpuE4ELNS1_3repE0EEENS1_30default_config_static_selectorELNS0_4arch9wavefront6targetE1EEEvS14_
    .private_segment_fixed_size: 0
    .sgpr_count:     4
    .sgpr_spill_count: 0
    .symbol:         _ZN7rocprim17ROCPRIM_400000_NS6detail17trampoline_kernelINS0_14default_configENS1_22reduce_config_selectorIN6thrust23THRUST_200600_302600_NS5tupleIblNS6_9null_typeES8_S8_S8_S8_S8_S8_S8_EEEEZNS1_11reduce_implILb1ES3_NS6_12zip_iteratorINS7_INS6_11hip_rocprim26transform_input_iterator_tIbNSD_35transform_pair_of_input_iterators_tIbNS6_6detail15normal_iteratorINS6_10device_ptrIKiEEEESL_NS6_8equal_toIiEEEENSG_9not_fun_tINSD_8identityEEEEENSD_19counting_iterator_tIlEES8_S8_S8_S8_S8_S8_S8_S8_EEEEPS9_S9_NSD_9__find_if7functorIS9_EEEE10hipError_tPvRmT1_T2_T3_mT4_P12ihipStream_tbEUlT_E0_NS1_11comp_targetILNS1_3genE10ELNS1_11target_archE1200ELNS1_3gpuE4ELNS1_3repE0EEENS1_30default_config_static_selectorELNS0_4arch9wavefront6targetE1EEEvS14_.kd
    .uniform_work_group_size: 1
    .uses_dynamic_stack: false
    .vgpr_count:     0
    .vgpr_spill_count: 0
    .wavefront_size: 64
  - .args:
      - .offset:         0
        .size:           104
        .value_kind:     by_value
    .group_segment_fixed_size: 0
    .kernarg_segment_align: 8
    .kernarg_segment_size: 104
    .language:       OpenCL C
    .language_version:
      - 2
      - 0
    .max_flat_workgroup_size: 256
    .name:           _ZN7rocprim17ROCPRIM_400000_NS6detail17trampoline_kernelINS0_14default_configENS1_22reduce_config_selectorIN6thrust23THRUST_200600_302600_NS5tupleIblNS6_9null_typeES8_S8_S8_S8_S8_S8_S8_EEEEZNS1_11reduce_implILb1ES3_NS6_12zip_iteratorINS7_INS6_11hip_rocprim26transform_input_iterator_tIbNSD_35transform_pair_of_input_iterators_tIbNS6_6detail15normal_iteratorINS6_10device_ptrIKiEEEESL_NS6_8equal_toIiEEEENSG_9not_fun_tINSD_8identityEEEEENSD_19counting_iterator_tIlEES8_S8_S8_S8_S8_S8_S8_S8_EEEEPS9_S9_NSD_9__find_if7functorIS9_EEEE10hipError_tPvRmT1_T2_T3_mT4_P12ihipStream_tbEUlT_E0_NS1_11comp_targetILNS1_3genE9ELNS1_11target_archE1100ELNS1_3gpuE3ELNS1_3repE0EEENS1_30default_config_static_selectorELNS0_4arch9wavefront6targetE1EEEvS14_
    .private_segment_fixed_size: 0
    .sgpr_count:     4
    .sgpr_spill_count: 0
    .symbol:         _ZN7rocprim17ROCPRIM_400000_NS6detail17trampoline_kernelINS0_14default_configENS1_22reduce_config_selectorIN6thrust23THRUST_200600_302600_NS5tupleIblNS6_9null_typeES8_S8_S8_S8_S8_S8_S8_EEEEZNS1_11reduce_implILb1ES3_NS6_12zip_iteratorINS7_INS6_11hip_rocprim26transform_input_iterator_tIbNSD_35transform_pair_of_input_iterators_tIbNS6_6detail15normal_iteratorINS6_10device_ptrIKiEEEESL_NS6_8equal_toIiEEEENSG_9not_fun_tINSD_8identityEEEEENSD_19counting_iterator_tIlEES8_S8_S8_S8_S8_S8_S8_S8_EEEEPS9_S9_NSD_9__find_if7functorIS9_EEEE10hipError_tPvRmT1_T2_T3_mT4_P12ihipStream_tbEUlT_E0_NS1_11comp_targetILNS1_3genE9ELNS1_11target_archE1100ELNS1_3gpuE3ELNS1_3repE0EEENS1_30default_config_static_selectorELNS0_4arch9wavefront6targetE1EEEvS14_.kd
    .uniform_work_group_size: 1
    .uses_dynamic_stack: false
    .vgpr_count:     0
    .vgpr_spill_count: 0
    .wavefront_size: 64
  - .args:
      - .offset:         0
        .size:           104
        .value_kind:     by_value
    .group_segment_fixed_size: 0
    .kernarg_segment_align: 8
    .kernarg_segment_size: 104
    .language:       OpenCL C
    .language_version:
      - 2
      - 0
    .max_flat_workgroup_size: 256
    .name:           _ZN7rocprim17ROCPRIM_400000_NS6detail17trampoline_kernelINS0_14default_configENS1_22reduce_config_selectorIN6thrust23THRUST_200600_302600_NS5tupleIblNS6_9null_typeES8_S8_S8_S8_S8_S8_S8_EEEEZNS1_11reduce_implILb1ES3_NS6_12zip_iteratorINS7_INS6_11hip_rocprim26transform_input_iterator_tIbNSD_35transform_pair_of_input_iterators_tIbNS6_6detail15normal_iteratorINS6_10device_ptrIKiEEEESL_NS6_8equal_toIiEEEENSG_9not_fun_tINSD_8identityEEEEENSD_19counting_iterator_tIlEES8_S8_S8_S8_S8_S8_S8_S8_EEEEPS9_S9_NSD_9__find_if7functorIS9_EEEE10hipError_tPvRmT1_T2_T3_mT4_P12ihipStream_tbEUlT_E0_NS1_11comp_targetILNS1_3genE8ELNS1_11target_archE1030ELNS1_3gpuE2ELNS1_3repE0EEENS1_30default_config_static_selectorELNS0_4arch9wavefront6targetE1EEEvS14_
    .private_segment_fixed_size: 0
    .sgpr_count:     4
    .sgpr_spill_count: 0
    .symbol:         _ZN7rocprim17ROCPRIM_400000_NS6detail17trampoline_kernelINS0_14default_configENS1_22reduce_config_selectorIN6thrust23THRUST_200600_302600_NS5tupleIblNS6_9null_typeES8_S8_S8_S8_S8_S8_S8_EEEEZNS1_11reduce_implILb1ES3_NS6_12zip_iteratorINS7_INS6_11hip_rocprim26transform_input_iterator_tIbNSD_35transform_pair_of_input_iterators_tIbNS6_6detail15normal_iteratorINS6_10device_ptrIKiEEEESL_NS6_8equal_toIiEEEENSG_9not_fun_tINSD_8identityEEEEENSD_19counting_iterator_tIlEES8_S8_S8_S8_S8_S8_S8_S8_EEEEPS9_S9_NSD_9__find_if7functorIS9_EEEE10hipError_tPvRmT1_T2_T3_mT4_P12ihipStream_tbEUlT_E0_NS1_11comp_targetILNS1_3genE8ELNS1_11target_archE1030ELNS1_3gpuE2ELNS1_3repE0EEENS1_30default_config_static_selectorELNS0_4arch9wavefront6targetE1EEEvS14_.kd
    .uniform_work_group_size: 1
    .uses_dynamic_stack: false
    .vgpr_count:     0
    .vgpr_spill_count: 0
    .wavefront_size: 64
  - .args:
      - .offset:         0
        .size:           88
        .value_kind:     by_value
    .group_segment_fixed_size: 0
    .kernarg_segment_align: 8
    .kernarg_segment_size: 88
    .language:       OpenCL C
    .language_version:
      - 2
      - 0
    .max_flat_workgroup_size: 128
    .name:           _ZN7rocprim17ROCPRIM_400000_NS6detail17trampoline_kernelINS0_14default_configENS1_22reduce_config_selectorIN6thrust23THRUST_200600_302600_NS5tupleIblNS6_9null_typeES8_S8_S8_S8_S8_S8_S8_EEEEZNS1_11reduce_implILb1ES3_NS6_12zip_iteratorINS7_INS6_11hip_rocprim26transform_input_iterator_tIbNSD_35transform_pair_of_input_iterators_tIbNS6_6detail15normal_iteratorINS6_10device_ptrIKiEEEESL_NS6_8equal_toIiEEEENSG_9not_fun_tINSD_8identityEEEEENSD_19counting_iterator_tIlEES8_S8_S8_S8_S8_S8_S8_S8_EEEEPS9_S9_NSD_9__find_if7functorIS9_EEEE10hipError_tPvRmT1_T2_T3_mT4_P12ihipStream_tbEUlT_E1_NS1_11comp_targetILNS1_3genE0ELNS1_11target_archE4294967295ELNS1_3gpuE0ELNS1_3repE0EEENS1_30default_config_static_selectorELNS0_4arch9wavefront6targetE1EEEvS14_
    .private_segment_fixed_size: 0
    .sgpr_count:     4
    .sgpr_spill_count: 0
    .symbol:         _ZN7rocprim17ROCPRIM_400000_NS6detail17trampoline_kernelINS0_14default_configENS1_22reduce_config_selectorIN6thrust23THRUST_200600_302600_NS5tupleIblNS6_9null_typeES8_S8_S8_S8_S8_S8_S8_EEEEZNS1_11reduce_implILb1ES3_NS6_12zip_iteratorINS7_INS6_11hip_rocprim26transform_input_iterator_tIbNSD_35transform_pair_of_input_iterators_tIbNS6_6detail15normal_iteratorINS6_10device_ptrIKiEEEESL_NS6_8equal_toIiEEEENSG_9not_fun_tINSD_8identityEEEEENSD_19counting_iterator_tIlEES8_S8_S8_S8_S8_S8_S8_S8_EEEEPS9_S9_NSD_9__find_if7functorIS9_EEEE10hipError_tPvRmT1_T2_T3_mT4_P12ihipStream_tbEUlT_E1_NS1_11comp_targetILNS1_3genE0ELNS1_11target_archE4294967295ELNS1_3gpuE0ELNS1_3repE0EEENS1_30default_config_static_selectorELNS0_4arch9wavefront6targetE1EEEvS14_.kd
    .uniform_work_group_size: 1
    .uses_dynamic_stack: false
    .vgpr_count:     0
    .vgpr_spill_count: 0
    .wavefront_size: 64
  - .args:
      - .offset:         0
        .size:           88
        .value_kind:     by_value
    .group_segment_fixed_size: 0
    .kernarg_segment_align: 8
    .kernarg_segment_size: 88
    .language:       OpenCL C
    .language_version:
      - 2
      - 0
    .max_flat_workgroup_size: 256
    .name:           _ZN7rocprim17ROCPRIM_400000_NS6detail17trampoline_kernelINS0_14default_configENS1_22reduce_config_selectorIN6thrust23THRUST_200600_302600_NS5tupleIblNS6_9null_typeES8_S8_S8_S8_S8_S8_S8_EEEEZNS1_11reduce_implILb1ES3_NS6_12zip_iteratorINS7_INS6_11hip_rocprim26transform_input_iterator_tIbNSD_35transform_pair_of_input_iterators_tIbNS6_6detail15normal_iteratorINS6_10device_ptrIKiEEEESL_NS6_8equal_toIiEEEENSG_9not_fun_tINSD_8identityEEEEENSD_19counting_iterator_tIlEES8_S8_S8_S8_S8_S8_S8_S8_EEEEPS9_S9_NSD_9__find_if7functorIS9_EEEE10hipError_tPvRmT1_T2_T3_mT4_P12ihipStream_tbEUlT_E1_NS1_11comp_targetILNS1_3genE5ELNS1_11target_archE942ELNS1_3gpuE9ELNS1_3repE0EEENS1_30default_config_static_selectorELNS0_4arch9wavefront6targetE1EEEvS14_
    .private_segment_fixed_size: 0
    .sgpr_count:     4
    .sgpr_spill_count: 0
    .symbol:         _ZN7rocprim17ROCPRIM_400000_NS6detail17trampoline_kernelINS0_14default_configENS1_22reduce_config_selectorIN6thrust23THRUST_200600_302600_NS5tupleIblNS6_9null_typeES8_S8_S8_S8_S8_S8_S8_EEEEZNS1_11reduce_implILb1ES3_NS6_12zip_iteratorINS7_INS6_11hip_rocprim26transform_input_iterator_tIbNSD_35transform_pair_of_input_iterators_tIbNS6_6detail15normal_iteratorINS6_10device_ptrIKiEEEESL_NS6_8equal_toIiEEEENSG_9not_fun_tINSD_8identityEEEEENSD_19counting_iterator_tIlEES8_S8_S8_S8_S8_S8_S8_S8_EEEEPS9_S9_NSD_9__find_if7functorIS9_EEEE10hipError_tPvRmT1_T2_T3_mT4_P12ihipStream_tbEUlT_E1_NS1_11comp_targetILNS1_3genE5ELNS1_11target_archE942ELNS1_3gpuE9ELNS1_3repE0EEENS1_30default_config_static_selectorELNS0_4arch9wavefront6targetE1EEEvS14_.kd
    .uniform_work_group_size: 1
    .uses_dynamic_stack: false
    .vgpr_count:     0
    .vgpr_spill_count: 0
    .wavefront_size: 64
  - .args:
      - .offset:         0
        .size:           88
        .value_kind:     by_value
    .group_segment_fixed_size: 0
    .kernarg_segment_align: 8
    .kernarg_segment_size: 88
    .language:       OpenCL C
    .language_version:
      - 2
      - 0
    .max_flat_workgroup_size: 256
    .name:           _ZN7rocprim17ROCPRIM_400000_NS6detail17trampoline_kernelINS0_14default_configENS1_22reduce_config_selectorIN6thrust23THRUST_200600_302600_NS5tupleIblNS6_9null_typeES8_S8_S8_S8_S8_S8_S8_EEEEZNS1_11reduce_implILb1ES3_NS6_12zip_iteratorINS7_INS6_11hip_rocprim26transform_input_iterator_tIbNSD_35transform_pair_of_input_iterators_tIbNS6_6detail15normal_iteratorINS6_10device_ptrIKiEEEESL_NS6_8equal_toIiEEEENSG_9not_fun_tINSD_8identityEEEEENSD_19counting_iterator_tIlEES8_S8_S8_S8_S8_S8_S8_S8_EEEEPS9_S9_NSD_9__find_if7functorIS9_EEEE10hipError_tPvRmT1_T2_T3_mT4_P12ihipStream_tbEUlT_E1_NS1_11comp_targetILNS1_3genE4ELNS1_11target_archE910ELNS1_3gpuE8ELNS1_3repE0EEENS1_30default_config_static_selectorELNS0_4arch9wavefront6targetE1EEEvS14_
    .private_segment_fixed_size: 0
    .sgpr_count:     4
    .sgpr_spill_count: 0
    .symbol:         _ZN7rocprim17ROCPRIM_400000_NS6detail17trampoline_kernelINS0_14default_configENS1_22reduce_config_selectorIN6thrust23THRUST_200600_302600_NS5tupleIblNS6_9null_typeES8_S8_S8_S8_S8_S8_S8_EEEEZNS1_11reduce_implILb1ES3_NS6_12zip_iteratorINS7_INS6_11hip_rocprim26transform_input_iterator_tIbNSD_35transform_pair_of_input_iterators_tIbNS6_6detail15normal_iteratorINS6_10device_ptrIKiEEEESL_NS6_8equal_toIiEEEENSG_9not_fun_tINSD_8identityEEEEENSD_19counting_iterator_tIlEES8_S8_S8_S8_S8_S8_S8_S8_EEEEPS9_S9_NSD_9__find_if7functorIS9_EEEE10hipError_tPvRmT1_T2_T3_mT4_P12ihipStream_tbEUlT_E1_NS1_11comp_targetILNS1_3genE4ELNS1_11target_archE910ELNS1_3gpuE8ELNS1_3repE0EEENS1_30default_config_static_selectorELNS0_4arch9wavefront6targetE1EEEvS14_.kd
    .uniform_work_group_size: 1
    .uses_dynamic_stack: false
    .vgpr_count:     0
    .vgpr_spill_count: 0
    .wavefront_size: 64
  - .args:
      - .offset:         0
        .size:           88
        .value_kind:     by_value
    .group_segment_fixed_size: 0
    .kernarg_segment_align: 8
    .kernarg_segment_size: 88
    .language:       OpenCL C
    .language_version:
      - 2
      - 0
    .max_flat_workgroup_size: 128
    .name:           _ZN7rocprim17ROCPRIM_400000_NS6detail17trampoline_kernelINS0_14default_configENS1_22reduce_config_selectorIN6thrust23THRUST_200600_302600_NS5tupleIblNS6_9null_typeES8_S8_S8_S8_S8_S8_S8_EEEEZNS1_11reduce_implILb1ES3_NS6_12zip_iteratorINS7_INS6_11hip_rocprim26transform_input_iterator_tIbNSD_35transform_pair_of_input_iterators_tIbNS6_6detail15normal_iteratorINS6_10device_ptrIKiEEEESL_NS6_8equal_toIiEEEENSG_9not_fun_tINSD_8identityEEEEENSD_19counting_iterator_tIlEES8_S8_S8_S8_S8_S8_S8_S8_EEEEPS9_S9_NSD_9__find_if7functorIS9_EEEE10hipError_tPvRmT1_T2_T3_mT4_P12ihipStream_tbEUlT_E1_NS1_11comp_targetILNS1_3genE3ELNS1_11target_archE908ELNS1_3gpuE7ELNS1_3repE0EEENS1_30default_config_static_selectorELNS0_4arch9wavefront6targetE1EEEvS14_
    .private_segment_fixed_size: 0
    .sgpr_count:     4
    .sgpr_spill_count: 0
    .symbol:         _ZN7rocprim17ROCPRIM_400000_NS6detail17trampoline_kernelINS0_14default_configENS1_22reduce_config_selectorIN6thrust23THRUST_200600_302600_NS5tupleIblNS6_9null_typeES8_S8_S8_S8_S8_S8_S8_EEEEZNS1_11reduce_implILb1ES3_NS6_12zip_iteratorINS7_INS6_11hip_rocprim26transform_input_iterator_tIbNSD_35transform_pair_of_input_iterators_tIbNS6_6detail15normal_iteratorINS6_10device_ptrIKiEEEESL_NS6_8equal_toIiEEEENSG_9not_fun_tINSD_8identityEEEEENSD_19counting_iterator_tIlEES8_S8_S8_S8_S8_S8_S8_S8_EEEEPS9_S9_NSD_9__find_if7functorIS9_EEEE10hipError_tPvRmT1_T2_T3_mT4_P12ihipStream_tbEUlT_E1_NS1_11comp_targetILNS1_3genE3ELNS1_11target_archE908ELNS1_3gpuE7ELNS1_3repE0EEENS1_30default_config_static_selectorELNS0_4arch9wavefront6targetE1EEEvS14_.kd
    .uniform_work_group_size: 1
    .uses_dynamic_stack: false
    .vgpr_count:     0
    .vgpr_spill_count: 0
    .wavefront_size: 64
  - .args:
      - .offset:         0
        .size:           88
        .value_kind:     by_value
    .group_segment_fixed_size: 160
    .kernarg_segment_align: 8
    .kernarg_segment_size: 88
    .language:       OpenCL C
    .language_version:
      - 2
      - 0
    .max_flat_workgroup_size: 128
    .name:           _ZN7rocprim17ROCPRIM_400000_NS6detail17trampoline_kernelINS0_14default_configENS1_22reduce_config_selectorIN6thrust23THRUST_200600_302600_NS5tupleIblNS6_9null_typeES8_S8_S8_S8_S8_S8_S8_EEEEZNS1_11reduce_implILb1ES3_NS6_12zip_iteratorINS7_INS6_11hip_rocprim26transform_input_iterator_tIbNSD_35transform_pair_of_input_iterators_tIbNS6_6detail15normal_iteratorINS6_10device_ptrIKiEEEESL_NS6_8equal_toIiEEEENSG_9not_fun_tINSD_8identityEEEEENSD_19counting_iterator_tIlEES8_S8_S8_S8_S8_S8_S8_S8_EEEEPS9_S9_NSD_9__find_if7functorIS9_EEEE10hipError_tPvRmT1_T2_T3_mT4_P12ihipStream_tbEUlT_E1_NS1_11comp_targetILNS1_3genE2ELNS1_11target_archE906ELNS1_3gpuE6ELNS1_3repE0EEENS1_30default_config_static_selectorELNS0_4arch9wavefront6targetE1EEEvS14_
    .private_segment_fixed_size: 0
    .sgpr_count:     46
    .sgpr_spill_count: 0
    .symbol:         _ZN7rocprim17ROCPRIM_400000_NS6detail17trampoline_kernelINS0_14default_configENS1_22reduce_config_selectorIN6thrust23THRUST_200600_302600_NS5tupleIblNS6_9null_typeES8_S8_S8_S8_S8_S8_S8_EEEEZNS1_11reduce_implILb1ES3_NS6_12zip_iteratorINS7_INS6_11hip_rocprim26transform_input_iterator_tIbNSD_35transform_pair_of_input_iterators_tIbNS6_6detail15normal_iteratorINS6_10device_ptrIKiEEEESL_NS6_8equal_toIiEEEENSG_9not_fun_tINSD_8identityEEEEENSD_19counting_iterator_tIlEES8_S8_S8_S8_S8_S8_S8_S8_EEEEPS9_S9_NSD_9__find_if7functorIS9_EEEE10hipError_tPvRmT1_T2_T3_mT4_P12ihipStream_tbEUlT_E1_NS1_11comp_targetILNS1_3genE2ELNS1_11target_archE906ELNS1_3gpuE6ELNS1_3repE0EEENS1_30default_config_static_selectorELNS0_4arch9wavefront6targetE1EEEvS14_.kd
    .uniform_work_group_size: 1
    .uses_dynamic_stack: false
    .vgpr_count:     27
    .vgpr_spill_count: 0
    .wavefront_size: 64
  - .args:
      - .offset:         0
        .size:           88
        .value_kind:     by_value
    .group_segment_fixed_size: 0
    .kernarg_segment_align: 8
    .kernarg_segment_size: 88
    .language:       OpenCL C
    .language_version:
      - 2
      - 0
    .max_flat_workgroup_size: 256
    .name:           _ZN7rocprim17ROCPRIM_400000_NS6detail17trampoline_kernelINS0_14default_configENS1_22reduce_config_selectorIN6thrust23THRUST_200600_302600_NS5tupleIblNS6_9null_typeES8_S8_S8_S8_S8_S8_S8_EEEEZNS1_11reduce_implILb1ES3_NS6_12zip_iteratorINS7_INS6_11hip_rocprim26transform_input_iterator_tIbNSD_35transform_pair_of_input_iterators_tIbNS6_6detail15normal_iteratorINS6_10device_ptrIKiEEEESL_NS6_8equal_toIiEEEENSG_9not_fun_tINSD_8identityEEEEENSD_19counting_iterator_tIlEES8_S8_S8_S8_S8_S8_S8_S8_EEEEPS9_S9_NSD_9__find_if7functorIS9_EEEE10hipError_tPvRmT1_T2_T3_mT4_P12ihipStream_tbEUlT_E1_NS1_11comp_targetILNS1_3genE10ELNS1_11target_archE1201ELNS1_3gpuE5ELNS1_3repE0EEENS1_30default_config_static_selectorELNS0_4arch9wavefront6targetE1EEEvS14_
    .private_segment_fixed_size: 0
    .sgpr_count:     4
    .sgpr_spill_count: 0
    .symbol:         _ZN7rocprim17ROCPRIM_400000_NS6detail17trampoline_kernelINS0_14default_configENS1_22reduce_config_selectorIN6thrust23THRUST_200600_302600_NS5tupleIblNS6_9null_typeES8_S8_S8_S8_S8_S8_S8_EEEEZNS1_11reduce_implILb1ES3_NS6_12zip_iteratorINS7_INS6_11hip_rocprim26transform_input_iterator_tIbNSD_35transform_pair_of_input_iterators_tIbNS6_6detail15normal_iteratorINS6_10device_ptrIKiEEEESL_NS6_8equal_toIiEEEENSG_9not_fun_tINSD_8identityEEEEENSD_19counting_iterator_tIlEES8_S8_S8_S8_S8_S8_S8_S8_EEEEPS9_S9_NSD_9__find_if7functorIS9_EEEE10hipError_tPvRmT1_T2_T3_mT4_P12ihipStream_tbEUlT_E1_NS1_11comp_targetILNS1_3genE10ELNS1_11target_archE1201ELNS1_3gpuE5ELNS1_3repE0EEENS1_30default_config_static_selectorELNS0_4arch9wavefront6targetE1EEEvS14_.kd
    .uniform_work_group_size: 1
    .uses_dynamic_stack: false
    .vgpr_count:     0
    .vgpr_spill_count: 0
    .wavefront_size: 64
  - .args:
      - .offset:         0
        .size:           88
        .value_kind:     by_value
    .group_segment_fixed_size: 0
    .kernarg_segment_align: 8
    .kernarg_segment_size: 88
    .language:       OpenCL C
    .language_version:
      - 2
      - 0
    .max_flat_workgroup_size: 256
    .name:           _ZN7rocprim17ROCPRIM_400000_NS6detail17trampoline_kernelINS0_14default_configENS1_22reduce_config_selectorIN6thrust23THRUST_200600_302600_NS5tupleIblNS6_9null_typeES8_S8_S8_S8_S8_S8_S8_EEEEZNS1_11reduce_implILb1ES3_NS6_12zip_iteratorINS7_INS6_11hip_rocprim26transform_input_iterator_tIbNSD_35transform_pair_of_input_iterators_tIbNS6_6detail15normal_iteratorINS6_10device_ptrIKiEEEESL_NS6_8equal_toIiEEEENSG_9not_fun_tINSD_8identityEEEEENSD_19counting_iterator_tIlEES8_S8_S8_S8_S8_S8_S8_S8_EEEEPS9_S9_NSD_9__find_if7functorIS9_EEEE10hipError_tPvRmT1_T2_T3_mT4_P12ihipStream_tbEUlT_E1_NS1_11comp_targetILNS1_3genE10ELNS1_11target_archE1200ELNS1_3gpuE4ELNS1_3repE0EEENS1_30default_config_static_selectorELNS0_4arch9wavefront6targetE1EEEvS14_
    .private_segment_fixed_size: 0
    .sgpr_count:     4
    .sgpr_spill_count: 0
    .symbol:         _ZN7rocprim17ROCPRIM_400000_NS6detail17trampoline_kernelINS0_14default_configENS1_22reduce_config_selectorIN6thrust23THRUST_200600_302600_NS5tupleIblNS6_9null_typeES8_S8_S8_S8_S8_S8_S8_EEEEZNS1_11reduce_implILb1ES3_NS6_12zip_iteratorINS7_INS6_11hip_rocprim26transform_input_iterator_tIbNSD_35transform_pair_of_input_iterators_tIbNS6_6detail15normal_iteratorINS6_10device_ptrIKiEEEESL_NS6_8equal_toIiEEEENSG_9not_fun_tINSD_8identityEEEEENSD_19counting_iterator_tIlEES8_S8_S8_S8_S8_S8_S8_S8_EEEEPS9_S9_NSD_9__find_if7functorIS9_EEEE10hipError_tPvRmT1_T2_T3_mT4_P12ihipStream_tbEUlT_E1_NS1_11comp_targetILNS1_3genE10ELNS1_11target_archE1200ELNS1_3gpuE4ELNS1_3repE0EEENS1_30default_config_static_selectorELNS0_4arch9wavefront6targetE1EEEvS14_.kd
    .uniform_work_group_size: 1
    .uses_dynamic_stack: false
    .vgpr_count:     0
    .vgpr_spill_count: 0
    .wavefront_size: 64
  - .args:
      - .offset:         0
        .size:           88
        .value_kind:     by_value
    .group_segment_fixed_size: 0
    .kernarg_segment_align: 8
    .kernarg_segment_size: 88
    .language:       OpenCL C
    .language_version:
      - 2
      - 0
    .max_flat_workgroup_size: 256
    .name:           _ZN7rocprim17ROCPRIM_400000_NS6detail17trampoline_kernelINS0_14default_configENS1_22reduce_config_selectorIN6thrust23THRUST_200600_302600_NS5tupleIblNS6_9null_typeES8_S8_S8_S8_S8_S8_S8_EEEEZNS1_11reduce_implILb1ES3_NS6_12zip_iteratorINS7_INS6_11hip_rocprim26transform_input_iterator_tIbNSD_35transform_pair_of_input_iterators_tIbNS6_6detail15normal_iteratorINS6_10device_ptrIKiEEEESL_NS6_8equal_toIiEEEENSG_9not_fun_tINSD_8identityEEEEENSD_19counting_iterator_tIlEES8_S8_S8_S8_S8_S8_S8_S8_EEEEPS9_S9_NSD_9__find_if7functorIS9_EEEE10hipError_tPvRmT1_T2_T3_mT4_P12ihipStream_tbEUlT_E1_NS1_11comp_targetILNS1_3genE9ELNS1_11target_archE1100ELNS1_3gpuE3ELNS1_3repE0EEENS1_30default_config_static_selectorELNS0_4arch9wavefront6targetE1EEEvS14_
    .private_segment_fixed_size: 0
    .sgpr_count:     4
    .sgpr_spill_count: 0
    .symbol:         _ZN7rocprim17ROCPRIM_400000_NS6detail17trampoline_kernelINS0_14default_configENS1_22reduce_config_selectorIN6thrust23THRUST_200600_302600_NS5tupleIblNS6_9null_typeES8_S8_S8_S8_S8_S8_S8_EEEEZNS1_11reduce_implILb1ES3_NS6_12zip_iteratorINS7_INS6_11hip_rocprim26transform_input_iterator_tIbNSD_35transform_pair_of_input_iterators_tIbNS6_6detail15normal_iteratorINS6_10device_ptrIKiEEEESL_NS6_8equal_toIiEEEENSG_9not_fun_tINSD_8identityEEEEENSD_19counting_iterator_tIlEES8_S8_S8_S8_S8_S8_S8_S8_EEEEPS9_S9_NSD_9__find_if7functorIS9_EEEE10hipError_tPvRmT1_T2_T3_mT4_P12ihipStream_tbEUlT_E1_NS1_11comp_targetILNS1_3genE9ELNS1_11target_archE1100ELNS1_3gpuE3ELNS1_3repE0EEENS1_30default_config_static_selectorELNS0_4arch9wavefront6targetE1EEEvS14_.kd
    .uniform_work_group_size: 1
    .uses_dynamic_stack: false
    .vgpr_count:     0
    .vgpr_spill_count: 0
    .wavefront_size: 64
  - .args:
      - .offset:         0
        .size:           88
        .value_kind:     by_value
    .group_segment_fixed_size: 0
    .kernarg_segment_align: 8
    .kernarg_segment_size: 88
    .language:       OpenCL C
    .language_version:
      - 2
      - 0
    .max_flat_workgroup_size: 256
    .name:           _ZN7rocprim17ROCPRIM_400000_NS6detail17trampoline_kernelINS0_14default_configENS1_22reduce_config_selectorIN6thrust23THRUST_200600_302600_NS5tupleIblNS6_9null_typeES8_S8_S8_S8_S8_S8_S8_EEEEZNS1_11reduce_implILb1ES3_NS6_12zip_iteratorINS7_INS6_11hip_rocprim26transform_input_iterator_tIbNSD_35transform_pair_of_input_iterators_tIbNS6_6detail15normal_iteratorINS6_10device_ptrIKiEEEESL_NS6_8equal_toIiEEEENSG_9not_fun_tINSD_8identityEEEEENSD_19counting_iterator_tIlEES8_S8_S8_S8_S8_S8_S8_S8_EEEEPS9_S9_NSD_9__find_if7functorIS9_EEEE10hipError_tPvRmT1_T2_T3_mT4_P12ihipStream_tbEUlT_E1_NS1_11comp_targetILNS1_3genE8ELNS1_11target_archE1030ELNS1_3gpuE2ELNS1_3repE0EEENS1_30default_config_static_selectorELNS0_4arch9wavefront6targetE1EEEvS14_
    .private_segment_fixed_size: 0
    .sgpr_count:     4
    .sgpr_spill_count: 0
    .symbol:         _ZN7rocprim17ROCPRIM_400000_NS6detail17trampoline_kernelINS0_14default_configENS1_22reduce_config_selectorIN6thrust23THRUST_200600_302600_NS5tupleIblNS6_9null_typeES8_S8_S8_S8_S8_S8_S8_EEEEZNS1_11reduce_implILb1ES3_NS6_12zip_iteratorINS7_INS6_11hip_rocprim26transform_input_iterator_tIbNSD_35transform_pair_of_input_iterators_tIbNS6_6detail15normal_iteratorINS6_10device_ptrIKiEEEESL_NS6_8equal_toIiEEEENSG_9not_fun_tINSD_8identityEEEEENSD_19counting_iterator_tIlEES8_S8_S8_S8_S8_S8_S8_S8_EEEEPS9_S9_NSD_9__find_if7functorIS9_EEEE10hipError_tPvRmT1_T2_T3_mT4_P12ihipStream_tbEUlT_E1_NS1_11comp_targetILNS1_3genE8ELNS1_11target_archE1030ELNS1_3gpuE2ELNS1_3repE0EEENS1_30default_config_static_selectorELNS0_4arch9wavefront6targetE1EEEvS14_.kd
    .uniform_work_group_size: 1
    .uses_dynamic_stack: false
    .vgpr_count:     0
    .vgpr_spill_count: 0
    .wavefront_size: 64
  - .args:
      - .offset:         0
        .size:           104
        .value_kind:     by_value
    .group_segment_fixed_size: 0
    .kernarg_segment_align: 8
    .kernarg_segment_size: 104
    .language:       OpenCL C
    .language_version:
      - 2
      - 0
    .max_flat_workgroup_size: 128
    .name:           _ZN7rocprim17ROCPRIM_400000_NS6detail17trampoline_kernelINS0_14default_configENS1_22reduce_config_selectorIN6thrust23THRUST_200600_302600_NS5tupleIblNS6_9null_typeES8_S8_S8_S8_S8_S8_S8_EEEEZNS1_11reduce_implILb1ES3_NS6_12zip_iteratorINS7_INS6_11hip_rocprim26transform_input_iterator_tIbNSD_35transform_pair_of_input_iterators_tIbNS6_6detail15normal_iteratorINS6_10device_ptrIKsEEEESL_NS6_8equal_toIsEEEENSG_9not_fun_tINSD_8identityEEEEENSD_19counting_iterator_tIlEES8_S8_S8_S8_S8_S8_S8_S8_EEEEPS9_S9_NSD_9__find_if7functorIS9_EEEE10hipError_tPvRmT1_T2_T3_mT4_P12ihipStream_tbEUlT_E0_NS1_11comp_targetILNS1_3genE0ELNS1_11target_archE4294967295ELNS1_3gpuE0ELNS1_3repE0EEENS1_30default_config_static_selectorELNS0_4arch9wavefront6targetE1EEEvS14_
    .private_segment_fixed_size: 0
    .sgpr_count:     4
    .sgpr_spill_count: 0
    .symbol:         _ZN7rocprim17ROCPRIM_400000_NS6detail17trampoline_kernelINS0_14default_configENS1_22reduce_config_selectorIN6thrust23THRUST_200600_302600_NS5tupleIblNS6_9null_typeES8_S8_S8_S8_S8_S8_S8_EEEEZNS1_11reduce_implILb1ES3_NS6_12zip_iteratorINS7_INS6_11hip_rocprim26transform_input_iterator_tIbNSD_35transform_pair_of_input_iterators_tIbNS6_6detail15normal_iteratorINS6_10device_ptrIKsEEEESL_NS6_8equal_toIsEEEENSG_9not_fun_tINSD_8identityEEEEENSD_19counting_iterator_tIlEES8_S8_S8_S8_S8_S8_S8_S8_EEEEPS9_S9_NSD_9__find_if7functorIS9_EEEE10hipError_tPvRmT1_T2_T3_mT4_P12ihipStream_tbEUlT_E0_NS1_11comp_targetILNS1_3genE0ELNS1_11target_archE4294967295ELNS1_3gpuE0ELNS1_3repE0EEENS1_30default_config_static_selectorELNS0_4arch9wavefront6targetE1EEEvS14_.kd
    .uniform_work_group_size: 1
    .uses_dynamic_stack: false
    .vgpr_count:     0
    .vgpr_spill_count: 0
    .wavefront_size: 64
  - .args:
      - .offset:         0
        .size:           104
        .value_kind:     by_value
    .group_segment_fixed_size: 0
    .kernarg_segment_align: 8
    .kernarg_segment_size: 104
    .language:       OpenCL C
    .language_version:
      - 2
      - 0
    .max_flat_workgroup_size: 256
    .name:           _ZN7rocprim17ROCPRIM_400000_NS6detail17trampoline_kernelINS0_14default_configENS1_22reduce_config_selectorIN6thrust23THRUST_200600_302600_NS5tupleIblNS6_9null_typeES8_S8_S8_S8_S8_S8_S8_EEEEZNS1_11reduce_implILb1ES3_NS6_12zip_iteratorINS7_INS6_11hip_rocprim26transform_input_iterator_tIbNSD_35transform_pair_of_input_iterators_tIbNS6_6detail15normal_iteratorINS6_10device_ptrIKsEEEESL_NS6_8equal_toIsEEEENSG_9not_fun_tINSD_8identityEEEEENSD_19counting_iterator_tIlEES8_S8_S8_S8_S8_S8_S8_S8_EEEEPS9_S9_NSD_9__find_if7functorIS9_EEEE10hipError_tPvRmT1_T2_T3_mT4_P12ihipStream_tbEUlT_E0_NS1_11comp_targetILNS1_3genE5ELNS1_11target_archE942ELNS1_3gpuE9ELNS1_3repE0EEENS1_30default_config_static_selectorELNS0_4arch9wavefront6targetE1EEEvS14_
    .private_segment_fixed_size: 0
    .sgpr_count:     4
    .sgpr_spill_count: 0
    .symbol:         _ZN7rocprim17ROCPRIM_400000_NS6detail17trampoline_kernelINS0_14default_configENS1_22reduce_config_selectorIN6thrust23THRUST_200600_302600_NS5tupleIblNS6_9null_typeES8_S8_S8_S8_S8_S8_S8_EEEEZNS1_11reduce_implILb1ES3_NS6_12zip_iteratorINS7_INS6_11hip_rocprim26transform_input_iterator_tIbNSD_35transform_pair_of_input_iterators_tIbNS6_6detail15normal_iteratorINS6_10device_ptrIKsEEEESL_NS6_8equal_toIsEEEENSG_9not_fun_tINSD_8identityEEEEENSD_19counting_iterator_tIlEES8_S8_S8_S8_S8_S8_S8_S8_EEEEPS9_S9_NSD_9__find_if7functorIS9_EEEE10hipError_tPvRmT1_T2_T3_mT4_P12ihipStream_tbEUlT_E0_NS1_11comp_targetILNS1_3genE5ELNS1_11target_archE942ELNS1_3gpuE9ELNS1_3repE0EEENS1_30default_config_static_selectorELNS0_4arch9wavefront6targetE1EEEvS14_.kd
    .uniform_work_group_size: 1
    .uses_dynamic_stack: false
    .vgpr_count:     0
    .vgpr_spill_count: 0
    .wavefront_size: 64
  - .args:
      - .offset:         0
        .size:           104
        .value_kind:     by_value
    .group_segment_fixed_size: 0
    .kernarg_segment_align: 8
    .kernarg_segment_size: 104
    .language:       OpenCL C
    .language_version:
      - 2
      - 0
    .max_flat_workgroup_size: 256
    .name:           _ZN7rocprim17ROCPRIM_400000_NS6detail17trampoline_kernelINS0_14default_configENS1_22reduce_config_selectorIN6thrust23THRUST_200600_302600_NS5tupleIblNS6_9null_typeES8_S8_S8_S8_S8_S8_S8_EEEEZNS1_11reduce_implILb1ES3_NS6_12zip_iteratorINS7_INS6_11hip_rocprim26transform_input_iterator_tIbNSD_35transform_pair_of_input_iterators_tIbNS6_6detail15normal_iteratorINS6_10device_ptrIKsEEEESL_NS6_8equal_toIsEEEENSG_9not_fun_tINSD_8identityEEEEENSD_19counting_iterator_tIlEES8_S8_S8_S8_S8_S8_S8_S8_EEEEPS9_S9_NSD_9__find_if7functorIS9_EEEE10hipError_tPvRmT1_T2_T3_mT4_P12ihipStream_tbEUlT_E0_NS1_11comp_targetILNS1_3genE4ELNS1_11target_archE910ELNS1_3gpuE8ELNS1_3repE0EEENS1_30default_config_static_selectorELNS0_4arch9wavefront6targetE1EEEvS14_
    .private_segment_fixed_size: 0
    .sgpr_count:     4
    .sgpr_spill_count: 0
    .symbol:         _ZN7rocprim17ROCPRIM_400000_NS6detail17trampoline_kernelINS0_14default_configENS1_22reduce_config_selectorIN6thrust23THRUST_200600_302600_NS5tupleIblNS6_9null_typeES8_S8_S8_S8_S8_S8_S8_EEEEZNS1_11reduce_implILb1ES3_NS6_12zip_iteratorINS7_INS6_11hip_rocprim26transform_input_iterator_tIbNSD_35transform_pair_of_input_iterators_tIbNS6_6detail15normal_iteratorINS6_10device_ptrIKsEEEESL_NS6_8equal_toIsEEEENSG_9not_fun_tINSD_8identityEEEEENSD_19counting_iterator_tIlEES8_S8_S8_S8_S8_S8_S8_S8_EEEEPS9_S9_NSD_9__find_if7functorIS9_EEEE10hipError_tPvRmT1_T2_T3_mT4_P12ihipStream_tbEUlT_E0_NS1_11comp_targetILNS1_3genE4ELNS1_11target_archE910ELNS1_3gpuE8ELNS1_3repE0EEENS1_30default_config_static_selectorELNS0_4arch9wavefront6targetE1EEEvS14_.kd
    .uniform_work_group_size: 1
    .uses_dynamic_stack: false
    .vgpr_count:     0
    .vgpr_spill_count: 0
    .wavefront_size: 64
  - .args:
      - .offset:         0
        .size:           104
        .value_kind:     by_value
    .group_segment_fixed_size: 0
    .kernarg_segment_align: 8
    .kernarg_segment_size: 104
    .language:       OpenCL C
    .language_version:
      - 2
      - 0
    .max_flat_workgroup_size: 128
    .name:           _ZN7rocprim17ROCPRIM_400000_NS6detail17trampoline_kernelINS0_14default_configENS1_22reduce_config_selectorIN6thrust23THRUST_200600_302600_NS5tupleIblNS6_9null_typeES8_S8_S8_S8_S8_S8_S8_EEEEZNS1_11reduce_implILb1ES3_NS6_12zip_iteratorINS7_INS6_11hip_rocprim26transform_input_iterator_tIbNSD_35transform_pair_of_input_iterators_tIbNS6_6detail15normal_iteratorINS6_10device_ptrIKsEEEESL_NS6_8equal_toIsEEEENSG_9not_fun_tINSD_8identityEEEEENSD_19counting_iterator_tIlEES8_S8_S8_S8_S8_S8_S8_S8_EEEEPS9_S9_NSD_9__find_if7functorIS9_EEEE10hipError_tPvRmT1_T2_T3_mT4_P12ihipStream_tbEUlT_E0_NS1_11comp_targetILNS1_3genE3ELNS1_11target_archE908ELNS1_3gpuE7ELNS1_3repE0EEENS1_30default_config_static_selectorELNS0_4arch9wavefront6targetE1EEEvS14_
    .private_segment_fixed_size: 0
    .sgpr_count:     4
    .sgpr_spill_count: 0
    .symbol:         _ZN7rocprim17ROCPRIM_400000_NS6detail17trampoline_kernelINS0_14default_configENS1_22reduce_config_selectorIN6thrust23THRUST_200600_302600_NS5tupleIblNS6_9null_typeES8_S8_S8_S8_S8_S8_S8_EEEEZNS1_11reduce_implILb1ES3_NS6_12zip_iteratorINS7_INS6_11hip_rocprim26transform_input_iterator_tIbNSD_35transform_pair_of_input_iterators_tIbNS6_6detail15normal_iteratorINS6_10device_ptrIKsEEEESL_NS6_8equal_toIsEEEENSG_9not_fun_tINSD_8identityEEEEENSD_19counting_iterator_tIlEES8_S8_S8_S8_S8_S8_S8_S8_EEEEPS9_S9_NSD_9__find_if7functorIS9_EEEE10hipError_tPvRmT1_T2_T3_mT4_P12ihipStream_tbEUlT_E0_NS1_11comp_targetILNS1_3genE3ELNS1_11target_archE908ELNS1_3gpuE7ELNS1_3repE0EEENS1_30default_config_static_selectorELNS0_4arch9wavefront6targetE1EEEvS14_.kd
    .uniform_work_group_size: 1
    .uses_dynamic_stack: false
    .vgpr_count:     0
    .vgpr_spill_count: 0
    .wavefront_size: 64
  - .args:
      - .offset:         0
        .size:           104
        .value_kind:     by_value
    .group_segment_fixed_size: 64
    .kernarg_segment_align: 8
    .kernarg_segment_size: 104
    .language:       OpenCL C
    .language_version:
      - 2
      - 0
    .max_flat_workgroup_size: 128
    .name:           _ZN7rocprim17ROCPRIM_400000_NS6detail17trampoline_kernelINS0_14default_configENS1_22reduce_config_selectorIN6thrust23THRUST_200600_302600_NS5tupleIblNS6_9null_typeES8_S8_S8_S8_S8_S8_S8_EEEEZNS1_11reduce_implILb1ES3_NS6_12zip_iteratorINS7_INS6_11hip_rocprim26transform_input_iterator_tIbNSD_35transform_pair_of_input_iterators_tIbNS6_6detail15normal_iteratorINS6_10device_ptrIKsEEEESL_NS6_8equal_toIsEEEENSG_9not_fun_tINSD_8identityEEEEENSD_19counting_iterator_tIlEES8_S8_S8_S8_S8_S8_S8_S8_EEEEPS9_S9_NSD_9__find_if7functorIS9_EEEE10hipError_tPvRmT1_T2_T3_mT4_P12ihipStream_tbEUlT_E0_NS1_11comp_targetILNS1_3genE2ELNS1_11target_archE906ELNS1_3gpuE6ELNS1_3repE0EEENS1_30default_config_static_selectorELNS0_4arch9wavefront6targetE1EEEvS14_
    .private_segment_fixed_size: 0
    .sgpr_count:     34
    .sgpr_spill_count: 0
    .symbol:         _ZN7rocprim17ROCPRIM_400000_NS6detail17trampoline_kernelINS0_14default_configENS1_22reduce_config_selectorIN6thrust23THRUST_200600_302600_NS5tupleIblNS6_9null_typeES8_S8_S8_S8_S8_S8_S8_EEEEZNS1_11reduce_implILb1ES3_NS6_12zip_iteratorINS7_INS6_11hip_rocprim26transform_input_iterator_tIbNSD_35transform_pair_of_input_iterators_tIbNS6_6detail15normal_iteratorINS6_10device_ptrIKsEEEESL_NS6_8equal_toIsEEEENSG_9not_fun_tINSD_8identityEEEEENSD_19counting_iterator_tIlEES8_S8_S8_S8_S8_S8_S8_S8_EEEEPS9_S9_NSD_9__find_if7functorIS9_EEEE10hipError_tPvRmT1_T2_T3_mT4_P12ihipStream_tbEUlT_E0_NS1_11comp_targetILNS1_3genE2ELNS1_11target_archE906ELNS1_3gpuE6ELNS1_3repE0EEENS1_30default_config_static_selectorELNS0_4arch9wavefront6targetE1EEEvS14_.kd
    .uniform_work_group_size: 1
    .uses_dynamic_stack: false
    .vgpr_count:     14
    .vgpr_spill_count: 0
    .wavefront_size: 64
  - .args:
      - .offset:         0
        .size:           104
        .value_kind:     by_value
    .group_segment_fixed_size: 0
    .kernarg_segment_align: 8
    .kernarg_segment_size: 104
    .language:       OpenCL C
    .language_version:
      - 2
      - 0
    .max_flat_workgroup_size: 256
    .name:           _ZN7rocprim17ROCPRIM_400000_NS6detail17trampoline_kernelINS0_14default_configENS1_22reduce_config_selectorIN6thrust23THRUST_200600_302600_NS5tupleIblNS6_9null_typeES8_S8_S8_S8_S8_S8_S8_EEEEZNS1_11reduce_implILb1ES3_NS6_12zip_iteratorINS7_INS6_11hip_rocprim26transform_input_iterator_tIbNSD_35transform_pair_of_input_iterators_tIbNS6_6detail15normal_iteratorINS6_10device_ptrIKsEEEESL_NS6_8equal_toIsEEEENSG_9not_fun_tINSD_8identityEEEEENSD_19counting_iterator_tIlEES8_S8_S8_S8_S8_S8_S8_S8_EEEEPS9_S9_NSD_9__find_if7functorIS9_EEEE10hipError_tPvRmT1_T2_T3_mT4_P12ihipStream_tbEUlT_E0_NS1_11comp_targetILNS1_3genE10ELNS1_11target_archE1201ELNS1_3gpuE5ELNS1_3repE0EEENS1_30default_config_static_selectorELNS0_4arch9wavefront6targetE1EEEvS14_
    .private_segment_fixed_size: 0
    .sgpr_count:     4
    .sgpr_spill_count: 0
    .symbol:         _ZN7rocprim17ROCPRIM_400000_NS6detail17trampoline_kernelINS0_14default_configENS1_22reduce_config_selectorIN6thrust23THRUST_200600_302600_NS5tupleIblNS6_9null_typeES8_S8_S8_S8_S8_S8_S8_EEEEZNS1_11reduce_implILb1ES3_NS6_12zip_iteratorINS7_INS6_11hip_rocprim26transform_input_iterator_tIbNSD_35transform_pair_of_input_iterators_tIbNS6_6detail15normal_iteratorINS6_10device_ptrIKsEEEESL_NS6_8equal_toIsEEEENSG_9not_fun_tINSD_8identityEEEEENSD_19counting_iterator_tIlEES8_S8_S8_S8_S8_S8_S8_S8_EEEEPS9_S9_NSD_9__find_if7functorIS9_EEEE10hipError_tPvRmT1_T2_T3_mT4_P12ihipStream_tbEUlT_E0_NS1_11comp_targetILNS1_3genE10ELNS1_11target_archE1201ELNS1_3gpuE5ELNS1_3repE0EEENS1_30default_config_static_selectorELNS0_4arch9wavefront6targetE1EEEvS14_.kd
    .uniform_work_group_size: 1
    .uses_dynamic_stack: false
    .vgpr_count:     0
    .vgpr_spill_count: 0
    .wavefront_size: 64
  - .args:
      - .offset:         0
        .size:           104
        .value_kind:     by_value
    .group_segment_fixed_size: 0
    .kernarg_segment_align: 8
    .kernarg_segment_size: 104
    .language:       OpenCL C
    .language_version:
      - 2
      - 0
    .max_flat_workgroup_size: 256
    .name:           _ZN7rocprim17ROCPRIM_400000_NS6detail17trampoline_kernelINS0_14default_configENS1_22reduce_config_selectorIN6thrust23THRUST_200600_302600_NS5tupleIblNS6_9null_typeES8_S8_S8_S8_S8_S8_S8_EEEEZNS1_11reduce_implILb1ES3_NS6_12zip_iteratorINS7_INS6_11hip_rocprim26transform_input_iterator_tIbNSD_35transform_pair_of_input_iterators_tIbNS6_6detail15normal_iteratorINS6_10device_ptrIKsEEEESL_NS6_8equal_toIsEEEENSG_9not_fun_tINSD_8identityEEEEENSD_19counting_iterator_tIlEES8_S8_S8_S8_S8_S8_S8_S8_EEEEPS9_S9_NSD_9__find_if7functorIS9_EEEE10hipError_tPvRmT1_T2_T3_mT4_P12ihipStream_tbEUlT_E0_NS1_11comp_targetILNS1_3genE10ELNS1_11target_archE1200ELNS1_3gpuE4ELNS1_3repE0EEENS1_30default_config_static_selectorELNS0_4arch9wavefront6targetE1EEEvS14_
    .private_segment_fixed_size: 0
    .sgpr_count:     4
    .sgpr_spill_count: 0
    .symbol:         _ZN7rocprim17ROCPRIM_400000_NS6detail17trampoline_kernelINS0_14default_configENS1_22reduce_config_selectorIN6thrust23THRUST_200600_302600_NS5tupleIblNS6_9null_typeES8_S8_S8_S8_S8_S8_S8_EEEEZNS1_11reduce_implILb1ES3_NS6_12zip_iteratorINS7_INS6_11hip_rocprim26transform_input_iterator_tIbNSD_35transform_pair_of_input_iterators_tIbNS6_6detail15normal_iteratorINS6_10device_ptrIKsEEEESL_NS6_8equal_toIsEEEENSG_9not_fun_tINSD_8identityEEEEENSD_19counting_iterator_tIlEES8_S8_S8_S8_S8_S8_S8_S8_EEEEPS9_S9_NSD_9__find_if7functorIS9_EEEE10hipError_tPvRmT1_T2_T3_mT4_P12ihipStream_tbEUlT_E0_NS1_11comp_targetILNS1_3genE10ELNS1_11target_archE1200ELNS1_3gpuE4ELNS1_3repE0EEENS1_30default_config_static_selectorELNS0_4arch9wavefront6targetE1EEEvS14_.kd
    .uniform_work_group_size: 1
    .uses_dynamic_stack: false
    .vgpr_count:     0
    .vgpr_spill_count: 0
    .wavefront_size: 64
  - .args:
      - .offset:         0
        .size:           104
        .value_kind:     by_value
    .group_segment_fixed_size: 0
    .kernarg_segment_align: 8
    .kernarg_segment_size: 104
    .language:       OpenCL C
    .language_version:
      - 2
      - 0
    .max_flat_workgroup_size: 256
    .name:           _ZN7rocprim17ROCPRIM_400000_NS6detail17trampoline_kernelINS0_14default_configENS1_22reduce_config_selectorIN6thrust23THRUST_200600_302600_NS5tupleIblNS6_9null_typeES8_S8_S8_S8_S8_S8_S8_EEEEZNS1_11reduce_implILb1ES3_NS6_12zip_iteratorINS7_INS6_11hip_rocprim26transform_input_iterator_tIbNSD_35transform_pair_of_input_iterators_tIbNS6_6detail15normal_iteratorINS6_10device_ptrIKsEEEESL_NS6_8equal_toIsEEEENSG_9not_fun_tINSD_8identityEEEEENSD_19counting_iterator_tIlEES8_S8_S8_S8_S8_S8_S8_S8_EEEEPS9_S9_NSD_9__find_if7functorIS9_EEEE10hipError_tPvRmT1_T2_T3_mT4_P12ihipStream_tbEUlT_E0_NS1_11comp_targetILNS1_3genE9ELNS1_11target_archE1100ELNS1_3gpuE3ELNS1_3repE0EEENS1_30default_config_static_selectorELNS0_4arch9wavefront6targetE1EEEvS14_
    .private_segment_fixed_size: 0
    .sgpr_count:     4
    .sgpr_spill_count: 0
    .symbol:         _ZN7rocprim17ROCPRIM_400000_NS6detail17trampoline_kernelINS0_14default_configENS1_22reduce_config_selectorIN6thrust23THRUST_200600_302600_NS5tupleIblNS6_9null_typeES8_S8_S8_S8_S8_S8_S8_EEEEZNS1_11reduce_implILb1ES3_NS6_12zip_iteratorINS7_INS6_11hip_rocprim26transform_input_iterator_tIbNSD_35transform_pair_of_input_iterators_tIbNS6_6detail15normal_iteratorINS6_10device_ptrIKsEEEESL_NS6_8equal_toIsEEEENSG_9not_fun_tINSD_8identityEEEEENSD_19counting_iterator_tIlEES8_S8_S8_S8_S8_S8_S8_S8_EEEEPS9_S9_NSD_9__find_if7functorIS9_EEEE10hipError_tPvRmT1_T2_T3_mT4_P12ihipStream_tbEUlT_E0_NS1_11comp_targetILNS1_3genE9ELNS1_11target_archE1100ELNS1_3gpuE3ELNS1_3repE0EEENS1_30default_config_static_selectorELNS0_4arch9wavefront6targetE1EEEvS14_.kd
    .uniform_work_group_size: 1
    .uses_dynamic_stack: false
    .vgpr_count:     0
    .vgpr_spill_count: 0
    .wavefront_size: 64
  - .args:
      - .offset:         0
        .size:           104
        .value_kind:     by_value
    .group_segment_fixed_size: 0
    .kernarg_segment_align: 8
    .kernarg_segment_size: 104
    .language:       OpenCL C
    .language_version:
      - 2
      - 0
    .max_flat_workgroup_size: 256
    .name:           _ZN7rocprim17ROCPRIM_400000_NS6detail17trampoline_kernelINS0_14default_configENS1_22reduce_config_selectorIN6thrust23THRUST_200600_302600_NS5tupleIblNS6_9null_typeES8_S8_S8_S8_S8_S8_S8_EEEEZNS1_11reduce_implILb1ES3_NS6_12zip_iteratorINS7_INS6_11hip_rocprim26transform_input_iterator_tIbNSD_35transform_pair_of_input_iterators_tIbNS6_6detail15normal_iteratorINS6_10device_ptrIKsEEEESL_NS6_8equal_toIsEEEENSG_9not_fun_tINSD_8identityEEEEENSD_19counting_iterator_tIlEES8_S8_S8_S8_S8_S8_S8_S8_EEEEPS9_S9_NSD_9__find_if7functorIS9_EEEE10hipError_tPvRmT1_T2_T3_mT4_P12ihipStream_tbEUlT_E0_NS1_11comp_targetILNS1_3genE8ELNS1_11target_archE1030ELNS1_3gpuE2ELNS1_3repE0EEENS1_30default_config_static_selectorELNS0_4arch9wavefront6targetE1EEEvS14_
    .private_segment_fixed_size: 0
    .sgpr_count:     4
    .sgpr_spill_count: 0
    .symbol:         _ZN7rocprim17ROCPRIM_400000_NS6detail17trampoline_kernelINS0_14default_configENS1_22reduce_config_selectorIN6thrust23THRUST_200600_302600_NS5tupleIblNS6_9null_typeES8_S8_S8_S8_S8_S8_S8_EEEEZNS1_11reduce_implILb1ES3_NS6_12zip_iteratorINS7_INS6_11hip_rocprim26transform_input_iterator_tIbNSD_35transform_pair_of_input_iterators_tIbNS6_6detail15normal_iteratorINS6_10device_ptrIKsEEEESL_NS6_8equal_toIsEEEENSG_9not_fun_tINSD_8identityEEEEENSD_19counting_iterator_tIlEES8_S8_S8_S8_S8_S8_S8_S8_EEEEPS9_S9_NSD_9__find_if7functorIS9_EEEE10hipError_tPvRmT1_T2_T3_mT4_P12ihipStream_tbEUlT_E0_NS1_11comp_targetILNS1_3genE8ELNS1_11target_archE1030ELNS1_3gpuE2ELNS1_3repE0EEENS1_30default_config_static_selectorELNS0_4arch9wavefront6targetE1EEEvS14_.kd
    .uniform_work_group_size: 1
    .uses_dynamic_stack: false
    .vgpr_count:     0
    .vgpr_spill_count: 0
    .wavefront_size: 64
  - .args:
      - .offset:         0
        .size:           88
        .value_kind:     by_value
    .group_segment_fixed_size: 0
    .kernarg_segment_align: 8
    .kernarg_segment_size: 88
    .language:       OpenCL C
    .language_version:
      - 2
      - 0
    .max_flat_workgroup_size: 128
    .name:           _ZN7rocprim17ROCPRIM_400000_NS6detail17trampoline_kernelINS0_14default_configENS1_22reduce_config_selectorIN6thrust23THRUST_200600_302600_NS5tupleIblNS6_9null_typeES8_S8_S8_S8_S8_S8_S8_EEEEZNS1_11reduce_implILb1ES3_NS6_12zip_iteratorINS7_INS6_11hip_rocprim26transform_input_iterator_tIbNSD_35transform_pair_of_input_iterators_tIbNS6_6detail15normal_iteratorINS6_10device_ptrIKsEEEESL_NS6_8equal_toIsEEEENSG_9not_fun_tINSD_8identityEEEEENSD_19counting_iterator_tIlEES8_S8_S8_S8_S8_S8_S8_S8_EEEEPS9_S9_NSD_9__find_if7functorIS9_EEEE10hipError_tPvRmT1_T2_T3_mT4_P12ihipStream_tbEUlT_E1_NS1_11comp_targetILNS1_3genE0ELNS1_11target_archE4294967295ELNS1_3gpuE0ELNS1_3repE0EEENS1_30default_config_static_selectorELNS0_4arch9wavefront6targetE1EEEvS14_
    .private_segment_fixed_size: 0
    .sgpr_count:     4
    .sgpr_spill_count: 0
    .symbol:         _ZN7rocprim17ROCPRIM_400000_NS6detail17trampoline_kernelINS0_14default_configENS1_22reduce_config_selectorIN6thrust23THRUST_200600_302600_NS5tupleIblNS6_9null_typeES8_S8_S8_S8_S8_S8_S8_EEEEZNS1_11reduce_implILb1ES3_NS6_12zip_iteratorINS7_INS6_11hip_rocprim26transform_input_iterator_tIbNSD_35transform_pair_of_input_iterators_tIbNS6_6detail15normal_iteratorINS6_10device_ptrIKsEEEESL_NS6_8equal_toIsEEEENSG_9not_fun_tINSD_8identityEEEEENSD_19counting_iterator_tIlEES8_S8_S8_S8_S8_S8_S8_S8_EEEEPS9_S9_NSD_9__find_if7functorIS9_EEEE10hipError_tPvRmT1_T2_T3_mT4_P12ihipStream_tbEUlT_E1_NS1_11comp_targetILNS1_3genE0ELNS1_11target_archE4294967295ELNS1_3gpuE0ELNS1_3repE0EEENS1_30default_config_static_selectorELNS0_4arch9wavefront6targetE1EEEvS14_.kd
    .uniform_work_group_size: 1
    .uses_dynamic_stack: false
    .vgpr_count:     0
    .vgpr_spill_count: 0
    .wavefront_size: 64
  - .args:
      - .offset:         0
        .size:           88
        .value_kind:     by_value
    .group_segment_fixed_size: 0
    .kernarg_segment_align: 8
    .kernarg_segment_size: 88
    .language:       OpenCL C
    .language_version:
      - 2
      - 0
    .max_flat_workgroup_size: 256
    .name:           _ZN7rocprim17ROCPRIM_400000_NS6detail17trampoline_kernelINS0_14default_configENS1_22reduce_config_selectorIN6thrust23THRUST_200600_302600_NS5tupleIblNS6_9null_typeES8_S8_S8_S8_S8_S8_S8_EEEEZNS1_11reduce_implILb1ES3_NS6_12zip_iteratorINS7_INS6_11hip_rocprim26transform_input_iterator_tIbNSD_35transform_pair_of_input_iterators_tIbNS6_6detail15normal_iteratorINS6_10device_ptrIKsEEEESL_NS6_8equal_toIsEEEENSG_9not_fun_tINSD_8identityEEEEENSD_19counting_iterator_tIlEES8_S8_S8_S8_S8_S8_S8_S8_EEEEPS9_S9_NSD_9__find_if7functorIS9_EEEE10hipError_tPvRmT1_T2_T3_mT4_P12ihipStream_tbEUlT_E1_NS1_11comp_targetILNS1_3genE5ELNS1_11target_archE942ELNS1_3gpuE9ELNS1_3repE0EEENS1_30default_config_static_selectorELNS0_4arch9wavefront6targetE1EEEvS14_
    .private_segment_fixed_size: 0
    .sgpr_count:     4
    .sgpr_spill_count: 0
    .symbol:         _ZN7rocprim17ROCPRIM_400000_NS6detail17trampoline_kernelINS0_14default_configENS1_22reduce_config_selectorIN6thrust23THRUST_200600_302600_NS5tupleIblNS6_9null_typeES8_S8_S8_S8_S8_S8_S8_EEEEZNS1_11reduce_implILb1ES3_NS6_12zip_iteratorINS7_INS6_11hip_rocprim26transform_input_iterator_tIbNSD_35transform_pair_of_input_iterators_tIbNS6_6detail15normal_iteratorINS6_10device_ptrIKsEEEESL_NS6_8equal_toIsEEEENSG_9not_fun_tINSD_8identityEEEEENSD_19counting_iterator_tIlEES8_S8_S8_S8_S8_S8_S8_S8_EEEEPS9_S9_NSD_9__find_if7functorIS9_EEEE10hipError_tPvRmT1_T2_T3_mT4_P12ihipStream_tbEUlT_E1_NS1_11comp_targetILNS1_3genE5ELNS1_11target_archE942ELNS1_3gpuE9ELNS1_3repE0EEENS1_30default_config_static_selectorELNS0_4arch9wavefront6targetE1EEEvS14_.kd
    .uniform_work_group_size: 1
    .uses_dynamic_stack: false
    .vgpr_count:     0
    .vgpr_spill_count: 0
    .wavefront_size: 64
  - .args:
      - .offset:         0
        .size:           88
        .value_kind:     by_value
    .group_segment_fixed_size: 0
    .kernarg_segment_align: 8
    .kernarg_segment_size: 88
    .language:       OpenCL C
    .language_version:
      - 2
      - 0
    .max_flat_workgroup_size: 256
    .name:           _ZN7rocprim17ROCPRIM_400000_NS6detail17trampoline_kernelINS0_14default_configENS1_22reduce_config_selectorIN6thrust23THRUST_200600_302600_NS5tupleIblNS6_9null_typeES8_S8_S8_S8_S8_S8_S8_EEEEZNS1_11reduce_implILb1ES3_NS6_12zip_iteratorINS7_INS6_11hip_rocprim26transform_input_iterator_tIbNSD_35transform_pair_of_input_iterators_tIbNS6_6detail15normal_iteratorINS6_10device_ptrIKsEEEESL_NS6_8equal_toIsEEEENSG_9not_fun_tINSD_8identityEEEEENSD_19counting_iterator_tIlEES8_S8_S8_S8_S8_S8_S8_S8_EEEEPS9_S9_NSD_9__find_if7functorIS9_EEEE10hipError_tPvRmT1_T2_T3_mT4_P12ihipStream_tbEUlT_E1_NS1_11comp_targetILNS1_3genE4ELNS1_11target_archE910ELNS1_3gpuE8ELNS1_3repE0EEENS1_30default_config_static_selectorELNS0_4arch9wavefront6targetE1EEEvS14_
    .private_segment_fixed_size: 0
    .sgpr_count:     4
    .sgpr_spill_count: 0
    .symbol:         _ZN7rocprim17ROCPRIM_400000_NS6detail17trampoline_kernelINS0_14default_configENS1_22reduce_config_selectorIN6thrust23THRUST_200600_302600_NS5tupleIblNS6_9null_typeES8_S8_S8_S8_S8_S8_S8_EEEEZNS1_11reduce_implILb1ES3_NS6_12zip_iteratorINS7_INS6_11hip_rocprim26transform_input_iterator_tIbNSD_35transform_pair_of_input_iterators_tIbNS6_6detail15normal_iteratorINS6_10device_ptrIKsEEEESL_NS6_8equal_toIsEEEENSG_9not_fun_tINSD_8identityEEEEENSD_19counting_iterator_tIlEES8_S8_S8_S8_S8_S8_S8_S8_EEEEPS9_S9_NSD_9__find_if7functorIS9_EEEE10hipError_tPvRmT1_T2_T3_mT4_P12ihipStream_tbEUlT_E1_NS1_11comp_targetILNS1_3genE4ELNS1_11target_archE910ELNS1_3gpuE8ELNS1_3repE0EEENS1_30default_config_static_selectorELNS0_4arch9wavefront6targetE1EEEvS14_.kd
    .uniform_work_group_size: 1
    .uses_dynamic_stack: false
    .vgpr_count:     0
    .vgpr_spill_count: 0
    .wavefront_size: 64
  - .args:
      - .offset:         0
        .size:           88
        .value_kind:     by_value
    .group_segment_fixed_size: 0
    .kernarg_segment_align: 8
    .kernarg_segment_size: 88
    .language:       OpenCL C
    .language_version:
      - 2
      - 0
    .max_flat_workgroup_size: 128
    .name:           _ZN7rocprim17ROCPRIM_400000_NS6detail17trampoline_kernelINS0_14default_configENS1_22reduce_config_selectorIN6thrust23THRUST_200600_302600_NS5tupleIblNS6_9null_typeES8_S8_S8_S8_S8_S8_S8_EEEEZNS1_11reduce_implILb1ES3_NS6_12zip_iteratorINS7_INS6_11hip_rocprim26transform_input_iterator_tIbNSD_35transform_pair_of_input_iterators_tIbNS6_6detail15normal_iteratorINS6_10device_ptrIKsEEEESL_NS6_8equal_toIsEEEENSG_9not_fun_tINSD_8identityEEEEENSD_19counting_iterator_tIlEES8_S8_S8_S8_S8_S8_S8_S8_EEEEPS9_S9_NSD_9__find_if7functorIS9_EEEE10hipError_tPvRmT1_T2_T3_mT4_P12ihipStream_tbEUlT_E1_NS1_11comp_targetILNS1_3genE3ELNS1_11target_archE908ELNS1_3gpuE7ELNS1_3repE0EEENS1_30default_config_static_selectorELNS0_4arch9wavefront6targetE1EEEvS14_
    .private_segment_fixed_size: 0
    .sgpr_count:     4
    .sgpr_spill_count: 0
    .symbol:         _ZN7rocprim17ROCPRIM_400000_NS6detail17trampoline_kernelINS0_14default_configENS1_22reduce_config_selectorIN6thrust23THRUST_200600_302600_NS5tupleIblNS6_9null_typeES8_S8_S8_S8_S8_S8_S8_EEEEZNS1_11reduce_implILb1ES3_NS6_12zip_iteratorINS7_INS6_11hip_rocprim26transform_input_iterator_tIbNSD_35transform_pair_of_input_iterators_tIbNS6_6detail15normal_iteratorINS6_10device_ptrIKsEEEESL_NS6_8equal_toIsEEEENSG_9not_fun_tINSD_8identityEEEEENSD_19counting_iterator_tIlEES8_S8_S8_S8_S8_S8_S8_S8_EEEEPS9_S9_NSD_9__find_if7functorIS9_EEEE10hipError_tPvRmT1_T2_T3_mT4_P12ihipStream_tbEUlT_E1_NS1_11comp_targetILNS1_3genE3ELNS1_11target_archE908ELNS1_3gpuE7ELNS1_3repE0EEENS1_30default_config_static_selectorELNS0_4arch9wavefront6targetE1EEEvS14_.kd
    .uniform_work_group_size: 1
    .uses_dynamic_stack: false
    .vgpr_count:     0
    .vgpr_spill_count: 0
    .wavefront_size: 64
  - .args:
      - .offset:         0
        .size:           88
        .value_kind:     by_value
    .group_segment_fixed_size: 160
    .kernarg_segment_align: 8
    .kernarg_segment_size: 88
    .language:       OpenCL C
    .language_version:
      - 2
      - 0
    .max_flat_workgroup_size: 128
    .name:           _ZN7rocprim17ROCPRIM_400000_NS6detail17trampoline_kernelINS0_14default_configENS1_22reduce_config_selectorIN6thrust23THRUST_200600_302600_NS5tupleIblNS6_9null_typeES8_S8_S8_S8_S8_S8_S8_EEEEZNS1_11reduce_implILb1ES3_NS6_12zip_iteratorINS7_INS6_11hip_rocprim26transform_input_iterator_tIbNSD_35transform_pair_of_input_iterators_tIbNS6_6detail15normal_iteratorINS6_10device_ptrIKsEEEESL_NS6_8equal_toIsEEEENSG_9not_fun_tINSD_8identityEEEEENSD_19counting_iterator_tIlEES8_S8_S8_S8_S8_S8_S8_S8_EEEEPS9_S9_NSD_9__find_if7functorIS9_EEEE10hipError_tPvRmT1_T2_T3_mT4_P12ihipStream_tbEUlT_E1_NS1_11comp_targetILNS1_3genE2ELNS1_11target_archE906ELNS1_3gpuE6ELNS1_3repE0EEENS1_30default_config_static_selectorELNS0_4arch9wavefront6targetE1EEEvS14_
    .private_segment_fixed_size: 0
    .sgpr_count:     46
    .sgpr_spill_count: 0
    .symbol:         _ZN7rocprim17ROCPRIM_400000_NS6detail17trampoline_kernelINS0_14default_configENS1_22reduce_config_selectorIN6thrust23THRUST_200600_302600_NS5tupleIblNS6_9null_typeES8_S8_S8_S8_S8_S8_S8_EEEEZNS1_11reduce_implILb1ES3_NS6_12zip_iteratorINS7_INS6_11hip_rocprim26transform_input_iterator_tIbNSD_35transform_pair_of_input_iterators_tIbNS6_6detail15normal_iteratorINS6_10device_ptrIKsEEEESL_NS6_8equal_toIsEEEENSG_9not_fun_tINSD_8identityEEEEENSD_19counting_iterator_tIlEES8_S8_S8_S8_S8_S8_S8_S8_EEEEPS9_S9_NSD_9__find_if7functorIS9_EEEE10hipError_tPvRmT1_T2_T3_mT4_P12ihipStream_tbEUlT_E1_NS1_11comp_targetILNS1_3genE2ELNS1_11target_archE906ELNS1_3gpuE6ELNS1_3repE0EEENS1_30default_config_static_selectorELNS0_4arch9wavefront6targetE1EEEvS14_.kd
    .uniform_work_group_size: 1
    .uses_dynamic_stack: false
    .vgpr_count:     27
    .vgpr_spill_count: 0
    .wavefront_size: 64
  - .args:
      - .offset:         0
        .size:           88
        .value_kind:     by_value
    .group_segment_fixed_size: 0
    .kernarg_segment_align: 8
    .kernarg_segment_size: 88
    .language:       OpenCL C
    .language_version:
      - 2
      - 0
    .max_flat_workgroup_size: 256
    .name:           _ZN7rocprim17ROCPRIM_400000_NS6detail17trampoline_kernelINS0_14default_configENS1_22reduce_config_selectorIN6thrust23THRUST_200600_302600_NS5tupleIblNS6_9null_typeES8_S8_S8_S8_S8_S8_S8_EEEEZNS1_11reduce_implILb1ES3_NS6_12zip_iteratorINS7_INS6_11hip_rocprim26transform_input_iterator_tIbNSD_35transform_pair_of_input_iterators_tIbNS6_6detail15normal_iteratorINS6_10device_ptrIKsEEEESL_NS6_8equal_toIsEEEENSG_9not_fun_tINSD_8identityEEEEENSD_19counting_iterator_tIlEES8_S8_S8_S8_S8_S8_S8_S8_EEEEPS9_S9_NSD_9__find_if7functorIS9_EEEE10hipError_tPvRmT1_T2_T3_mT4_P12ihipStream_tbEUlT_E1_NS1_11comp_targetILNS1_3genE10ELNS1_11target_archE1201ELNS1_3gpuE5ELNS1_3repE0EEENS1_30default_config_static_selectorELNS0_4arch9wavefront6targetE1EEEvS14_
    .private_segment_fixed_size: 0
    .sgpr_count:     4
    .sgpr_spill_count: 0
    .symbol:         _ZN7rocprim17ROCPRIM_400000_NS6detail17trampoline_kernelINS0_14default_configENS1_22reduce_config_selectorIN6thrust23THRUST_200600_302600_NS5tupleIblNS6_9null_typeES8_S8_S8_S8_S8_S8_S8_EEEEZNS1_11reduce_implILb1ES3_NS6_12zip_iteratorINS7_INS6_11hip_rocprim26transform_input_iterator_tIbNSD_35transform_pair_of_input_iterators_tIbNS6_6detail15normal_iteratorINS6_10device_ptrIKsEEEESL_NS6_8equal_toIsEEEENSG_9not_fun_tINSD_8identityEEEEENSD_19counting_iterator_tIlEES8_S8_S8_S8_S8_S8_S8_S8_EEEEPS9_S9_NSD_9__find_if7functorIS9_EEEE10hipError_tPvRmT1_T2_T3_mT4_P12ihipStream_tbEUlT_E1_NS1_11comp_targetILNS1_3genE10ELNS1_11target_archE1201ELNS1_3gpuE5ELNS1_3repE0EEENS1_30default_config_static_selectorELNS0_4arch9wavefront6targetE1EEEvS14_.kd
    .uniform_work_group_size: 1
    .uses_dynamic_stack: false
    .vgpr_count:     0
    .vgpr_spill_count: 0
    .wavefront_size: 64
  - .args:
      - .offset:         0
        .size:           88
        .value_kind:     by_value
    .group_segment_fixed_size: 0
    .kernarg_segment_align: 8
    .kernarg_segment_size: 88
    .language:       OpenCL C
    .language_version:
      - 2
      - 0
    .max_flat_workgroup_size: 256
    .name:           _ZN7rocprim17ROCPRIM_400000_NS6detail17trampoline_kernelINS0_14default_configENS1_22reduce_config_selectorIN6thrust23THRUST_200600_302600_NS5tupleIblNS6_9null_typeES8_S8_S8_S8_S8_S8_S8_EEEEZNS1_11reduce_implILb1ES3_NS6_12zip_iteratorINS7_INS6_11hip_rocprim26transform_input_iterator_tIbNSD_35transform_pair_of_input_iterators_tIbNS6_6detail15normal_iteratorINS6_10device_ptrIKsEEEESL_NS6_8equal_toIsEEEENSG_9not_fun_tINSD_8identityEEEEENSD_19counting_iterator_tIlEES8_S8_S8_S8_S8_S8_S8_S8_EEEEPS9_S9_NSD_9__find_if7functorIS9_EEEE10hipError_tPvRmT1_T2_T3_mT4_P12ihipStream_tbEUlT_E1_NS1_11comp_targetILNS1_3genE10ELNS1_11target_archE1200ELNS1_3gpuE4ELNS1_3repE0EEENS1_30default_config_static_selectorELNS0_4arch9wavefront6targetE1EEEvS14_
    .private_segment_fixed_size: 0
    .sgpr_count:     4
    .sgpr_spill_count: 0
    .symbol:         _ZN7rocprim17ROCPRIM_400000_NS6detail17trampoline_kernelINS0_14default_configENS1_22reduce_config_selectorIN6thrust23THRUST_200600_302600_NS5tupleIblNS6_9null_typeES8_S8_S8_S8_S8_S8_S8_EEEEZNS1_11reduce_implILb1ES3_NS6_12zip_iteratorINS7_INS6_11hip_rocprim26transform_input_iterator_tIbNSD_35transform_pair_of_input_iterators_tIbNS6_6detail15normal_iteratorINS6_10device_ptrIKsEEEESL_NS6_8equal_toIsEEEENSG_9not_fun_tINSD_8identityEEEEENSD_19counting_iterator_tIlEES8_S8_S8_S8_S8_S8_S8_S8_EEEEPS9_S9_NSD_9__find_if7functorIS9_EEEE10hipError_tPvRmT1_T2_T3_mT4_P12ihipStream_tbEUlT_E1_NS1_11comp_targetILNS1_3genE10ELNS1_11target_archE1200ELNS1_3gpuE4ELNS1_3repE0EEENS1_30default_config_static_selectorELNS0_4arch9wavefront6targetE1EEEvS14_.kd
    .uniform_work_group_size: 1
    .uses_dynamic_stack: false
    .vgpr_count:     0
    .vgpr_spill_count: 0
    .wavefront_size: 64
  - .args:
      - .offset:         0
        .size:           88
        .value_kind:     by_value
    .group_segment_fixed_size: 0
    .kernarg_segment_align: 8
    .kernarg_segment_size: 88
    .language:       OpenCL C
    .language_version:
      - 2
      - 0
    .max_flat_workgroup_size: 256
    .name:           _ZN7rocprim17ROCPRIM_400000_NS6detail17trampoline_kernelINS0_14default_configENS1_22reduce_config_selectorIN6thrust23THRUST_200600_302600_NS5tupleIblNS6_9null_typeES8_S8_S8_S8_S8_S8_S8_EEEEZNS1_11reduce_implILb1ES3_NS6_12zip_iteratorINS7_INS6_11hip_rocprim26transform_input_iterator_tIbNSD_35transform_pair_of_input_iterators_tIbNS6_6detail15normal_iteratorINS6_10device_ptrIKsEEEESL_NS6_8equal_toIsEEEENSG_9not_fun_tINSD_8identityEEEEENSD_19counting_iterator_tIlEES8_S8_S8_S8_S8_S8_S8_S8_EEEEPS9_S9_NSD_9__find_if7functorIS9_EEEE10hipError_tPvRmT1_T2_T3_mT4_P12ihipStream_tbEUlT_E1_NS1_11comp_targetILNS1_3genE9ELNS1_11target_archE1100ELNS1_3gpuE3ELNS1_3repE0EEENS1_30default_config_static_selectorELNS0_4arch9wavefront6targetE1EEEvS14_
    .private_segment_fixed_size: 0
    .sgpr_count:     4
    .sgpr_spill_count: 0
    .symbol:         _ZN7rocprim17ROCPRIM_400000_NS6detail17trampoline_kernelINS0_14default_configENS1_22reduce_config_selectorIN6thrust23THRUST_200600_302600_NS5tupleIblNS6_9null_typeES8_S8_S8_S8_S8_S8_S8_EEEEZNS1_11reduce_implILb1ES3_NS6_12zip_iteratorINS7_INS6_11hip_rocprim26transform_input_iterator_tIbNSD_35transform_pair_of_input_iterators_tIbNS6_6detail15normal_iteratorINS6_10device_ptrIKsEEEESL_NS6_8equal_toIsEEEENSG_9not_fun_tINSD_8identityEEEEENSD_19counting_iterator_tIlEES8_S8_S8_S8_S8_S8_S8_S8_EEEEPS9_S9_NSD_9__find_if7functorIS9_EEEE10hipError_tPvRmT1_T2_T3_mT4_P12ihipStream_tbEUlT_E1_NS1_11comp_targetILNS1_3genE9ELNS1_11target_archE1100ELNS1_3gpuE3ELNS1_3repE0EEENS1_30default_config_static_selectorELNS0_4arch9wavefront6targetE1EEEvS14_.kd
    .uniform_work_group_size: 1
    .uses_dynamic_stack: false
    .vgpr_count:     0
    .vgpr_spill_count: 0
    .wavefront_size: 64
  - .args:
      - .offset:         0
        .size:           88
        .value_kind:     by_value
    .group_segment_fixed_size: 0
    .kernarg_segment_align: 8
    .kernarg_segment_size: 88
    .language:       OpenCL C
    .language_version:
      - 2
      - 0
    .max_flat_workgroup_size: 256
    .name:           _ZN7rocprim17ROCPRIM_400000_NS6detail17trampoline_kernelINS0_14default_configENS1_22reduce_config_selectorIN6thrust23THRUST_200600_302600_NS5tupleIblNS6_9null_typeES8_S8_S8_S8_S8_S8_S8_EEEEZNS1_11reduce_implILb1ES3_NS6_12zip_iteratorINS7_INS6_11hip_rocprim26transform_input_iterator_tIbNSD_35transform_pair_of_input_iterators_tIbNS6_6detail15normal_iteratorINS6_10device_ptrIKsEEEESL_NS6_8equal_toIsEEEENSG_9not_fun_tINSD_8identityEEEEENSD_19counting_iterator_tIlEES8_S8_S8_S8_S8_S8_S8_S8_EEEEPS9_S9_NSD_9__find_if7functorIS9_EEEE10hipError_tPvRmT1_T2_T3_mT4_P12ihipStream_tbEUlT_E1_NS1_11comp_targetILNS1_3genE8ELNS1_11target_archE1030ELNS1_3gpuE2ELNS1_3repE0EEENS1_30default_config_static_selectorELNS0_4arch9wavefront6targetE1EEEvS14_
    .private_segment_fixed_size: 0
    .sgpr_count:     4
    .sgpr_spill_count: 0
    .symbol:         _ZN7rocprim17ROCPRIM_400000_NS6detail17trampoline_kernelINS0_14default_configENS1_22reduce_config_selectorIN6thrust23THRUST_200600_302600_NS5tupleIblNS6_9null_typeES8_S8_S8_S8_S8_S8_S8_EEEEZNS1_11reduce_implILb1ES3_NS6_12zip_iteratorINS7_INS6_11hip_rocprim26transform_input_iterator_tIbNSD_35transform_pair_of_input_iterators_tIbNS6_6detail15normal_iteratorINS6_10device_ptrIKsEEEESL_NS6_8equal_toIsEEEENSG_9not_fun_tINSD_8identityEEEEENSD_19counting_iterator_tIlEES8_S8_S8_S8_S8_S8_S8_S8_EEEEPS9_S9_NSD_9__find_if7functorIS9_EEEE10hipError_tPvRmT1_T2_T3_mT4_P12ihipStream_tbEUlT_E1_NS1_11comp_targetILNS1_3genE8ELNS1_11target_archE1030ELNS1_3gpuE2ELNS1_3repE0EEENS1_30default_config_static_selectorELNS0_4arch9wavefront6targetE1EEEvS14_.kd
    .uniform_work_group_size: 1
    .uses_dynamic_stack: false
    .vgpr_count:     0
    .vgpr_spill_count: 0
    .wavefront_size: 64
  - .args:
      - .offset:         0
        .size:           56
        .value_kind:     by_value
    .group_segment_fixed_size: 0
    .kernarg_segment_align: 8
    .kernarg_segment_size: 56
    .language:       OpenCL C
    .language_version:
      - 2
      - 0
    .max_flat_workgroup_size: 128
    .name:           _ZN7rocprim17ROCPRIM_400000_NS6detail17trampoline_kernelINS0_14default_configENS1_35adjacent_difference_config_selectorILb0EdEEZNS1_24adjacent_difference_implIS3_Lb0ELb0EPKdPdN6thrust23THRUST_200600_302600_NS4plusIdEEEE10hipError_tPvRmT2_T3_mT4_P12ihipStream_tbEUlT_E_NS1_11comp_targetILNS1_3genE0ELNS1_11target_archE4294967295ELNS1_3gpuE0ELNS1_3repE0EEENS1_30default_config_static_selectorELNS0_4arch9wavefront6targetE1EEEvT1_
    .private_segment_fixed_size: 0
    .sgpr_count:     4
    .sgpr_spill_count: 0
    .symbol:         _ZN7rocprim17ROCPRIM_400000_NS6detail17trampoline_kernelINS0_14default_configENS1_35adjacent_difference_config_selectorILb0EdEEZNS1_24adjacent_difference_implIS3_Lb0ELb0EPKdPdN6thrust23THRUST_200600_302600_NS4plusIdEEEE10hipError_tPvRmT2_T3_mT4_P12ihipStream_tbEUlT_E_NS1_11comp_targetILNS1_3genE0ELNS1_11target_archE4294967295ELNS1_3gpuE0ELNS1_3repE0EEENS1_30default_config_static_selectorELNS0_4arch9wavefront6targetE1EEEvT1_.kd
    .uniform_work_group_size: 1
    .uses_dynamic_stack: false
    .vgpr_count:     0
    .vgpr_spill_count: 0
    .wavefront_size: 64
  - .args:
      - .offset:         0
        .size:           56
        .value_kind:     by_value
    .group_segment_fixed_size: 0
    .kernarg_segment_align: 8
    .kernarg_segment_size: 56
    .language:       OpenCL C
    .language_version:
      - 2
      - 0
    .max_flat_workgroup_size: 32
    .name:           _ZN7rocprim17ROCPRIM_400000_NS6detail17trampoline_kernelINS0_14default_configENS1_35adjacent_difference_config_selectorILb0EdEEZNS1_24adjacent_difference_implIS3_Lb0ELb0EPKdPdN6thrust23THRUST_200600_302600_NS4plusIdEEEE10hipError_tPvRmT2_T3_mT4_P12ihipStream_tbEUlT_E_NS1_11comp_targetILNS1_3genE10ELNS1_11target_archE1201ELNS1_3gpuE5ELNS1_3repE0EEENS1_30default_config_static_selectorELNS0_4arch9wavefront6targetE1EEEvT1_
    .private_segment_fixed_size: 0
    .sgpr_count:     4
    .sgpr_spill_count: 0
    .symbol:         _ZN7rocprim17ROCPRIM_400000_NS6detail17trampoline_kernelINS0_14default_configENS1_35adjacent_difference_config_selectorILb0EdEEZNS1_24adjacent_difference_implIS3_Lb0ELb0EPKdPdN6thrust23THRUST_200600_302600_NS4plusIdEEEE10hipError_tPvRmT2_T3_mT4_P12ihipStream_tbEUlT_E_NS1_11comp_targetILNS1_3genE10ELNS1_11target_archE1201ELNS1_3gpuE5ELNS1_3repE0EEENS1_30default_config_static_selectorELNS0_4arch9wavefront6targetE1EEEvT1_.kd
    .uniform_work_group_size: 1
    .uses_dynamic_stack: false
    .vgpr_count:     0
    .vgpr_spill_count: 0
    .wavefront_size: 64
  - .args:
      - .offset:         0
        .size:           56
        .value_kind:     by_value
    .group_segment_fixed_size: 0
    .kernarg_segment_align: 8
    .kernarg_segment_size: 56
    .language:       OpenCL C
    .language_version:
      - 2
      - 0
    .max_flat_workgroup_size: 64
    .name:           _ZN7rocprim17ROCPRIM_400000_NS6detail17trampoline_kernelINS0_14default_configENS1_35adjacent_difference_config_selectorILb0EdEEZNS1_24adjacent_difference_implIS3_Lb0ELb0EPKdPdN6thrust23THRUST_200600_302600_NS4plusIdEEEE10hipError_tPvRmT2_T3_mT4_P12ihipStream_tbEUlT_E_NS1_11comp_targetILNS1_3genE5ELNS1_11target_archE942ELNS1_3gpuE9ELNS1_3repE0EEENS1_30default_config_static_selectorELNS0_4arch9wavefront6targetE1EEEvT1_
    .private_segment_fixed_size: 0
    .sgpr_count:     4
    .sgpr_spill_count: 0
    .symbol:         _ZN7rocprim17ROCPRIM_400000_NS6detail17trampoline_kernelINS0_14default_configENS1_35adjacent_difference_config_selectorILb0EdEEZNS1_24adjacent_difference_implIS3_Lb0ELb0EPKdPdN6thrust23THRUST_200600_302600_NS4plusIdEEEE10hipError_tPvRmT2_T3_mT4_P12ihipStream_tbEUlT_E_NS1_11comp_targetILNS1_3genE5ELNS1_11target_archE942ELNS1_3gpuE9ELNS1_3repE0EEENS1_30default_config_static_selectorELNS0_4arch9wavefront6targetE1EEEvT1_.kd
    .uniform_work_group_size: 1
    .uses_dynamic_stack: false
    .vgpr_count:     0
    .vgpr_spill_count: 0
    .wavefront_size: 64
  - .args:
      - .offset:         0
        .size:           56
        .value_kind:     by_value
    .group_segment_fixed_size: 0
    .kernarg_segment_align: 8
    .kernarg_segment_size: 56
    .language:       OpenCL C
    .language_version:
      - 2
      - 0
    .max_flat_workgroup_size: 256
    .name:           _ZN7rocprim17ROCPRIM_400000_NS6detail17trampoline_kernelINS0_14default_configENS1_35adjacent_difference_config_selectorILb0EdEEZNS1_24adjacent_difference_implIS3_Lb0ELb0EPKdPdN6thrust23THRUST_200600_302600_NS4plusIdEEEE10hipError_tPvRmT2_T3_mT4_P12ihipStream_tbEUlT_E_NS1_11comp_targetILNS1_3genE4ELNS1_11target_archE910ELNS1_3gpuE8ELNS1_3repE0EEENS1_30default_config_static_selectorELNS0_4arch9wavefront6targetE1EEEvT1_
    .private_segment_fixed_size: 0
    .sgpr_count:     4
    .sgpr_spill_count: 0
    .symbol:         _ZN7rocprim17ROCPRIM_400000_NS6detail17trampoline_kernelINS0_14default_configENS1_35adjacent_difference_config_selectorILb0EdEEZNS1_24adjacent_difference_implIS3_Lb0ELb0EPKdPdN6thrust23THRUST_200600_302600_NS4plusIdEEEE10hipError_tPvRmT2_T3_mT4_P12ihipStream_tbEUlT_E_NS1_11comp_targetILNS1_3genE4ELNS1_11target_archE910ELNS1_3gpuE8ELNS1_3repE0EEENS1_30default_config_static_selectorELNS0_4arch9wavefront6targetE1EEEvT1_.kd
    .uniform_work_group_size: 1
    .uses_dynamic_stack: false
    .vgpr_count:     0
    .vgpr_spill_count: 0
    .wavefront_size: 64
  - .args:
      - .offset:         0
        .size:           56
        .value_kind:     by_value
    .group_segment_fixed_size: 0
    .kernarg_segment_align: 8
    .kernarg_segment_size: 56
    .language:       OpenCL C
    .language_version:
      - 2
      - 0
    .max_flat_workgroup_size: 128
    .name:           _ZN7rocprim17ROCPRIM_400000_NS6detail17trampoline_kernelINS0_14default_configENS1_35adjacent_difference_config_selectorILb0EdEEZNS1_24adjacent_difference_implIS3_Lb0ELb0EPKdPdN6thrust23THRUST_200600_302600_NS4plusIdEEEE10hipError_tPvRmT2_T3_mT4_P12ihipStream_tbEUlT_E_NS1_11comp_targetILNS1_3genE3ELNS1_11target_archE908ELNS1_3gpuE7ELNS1_3repE0EEENS1_30default_config_static_selectorELNS0_4arch9wavefront6targetE1EEEvT1_
    .private_segment_fixed_size: 0
    .sgpr_count:     4
    .sgpr_spill_count: 0
    .symbol:         _ZN7rocprim17ROCPRIM_400000_NS6detail17trampoline_kernelINS0_14default_configENS1_35adjacent_difference_config_selectorILb0EdEEZNS1_24adjacent_difference_implIS3_Lb0ELb0EPKdPdN6thrust23THRUST_200600_302600_NS4plusIdEEEE10hipError_tPvRmT2_T3_mT4_P12ihipStream_tbEUlT_E_NS1_11comp_targetILNS1_3genE3ELNS1_11target_archE908ELNS1_3gpuE7ELNS1_3repE0EEENS1_30default_config_static_selectorELNS0_4arch9wavefront6targetE1EEEvT1_.kd
    .uniform_work_group_size: 1
    .uses_dynamic_stack: false
    .vgpr_count:     0
    .vgpr_spill_count: 0
    .wavefront_size: 64
  - .args:
      - .offset:         0
        .size:           56
        .value_kind:     by_value
    .group_segment_fixed_size: 16896
    .kernarg_segment_align: 8
    .kernarg_segment_size: 56
    .language:       OpenCL C
    .language_version:
      - 2
      - 0
    .max_flat_workgroup_size: 1024
    .name:           _ZN7rocprim17ROCPRIM_400000_NS6detail17trampoline_kernelINS0_14default_configENS1_35adjacent_difference_config_selectorILb0EdEEZNS1_24adjacent_difference_implIS3_Lb0ELb0EPKdPdN6thrust23THRUST_200600_302600_NS4plusIdEEEE10hipError_tPvRmT2_T3_mT4_P12ihipStream_tbEUlT_E_NS1_11comp_targetILNS1_3genE2ELNS1_11target_archE906ELNS1_3gpuE6ELNS1_3repE0EEENS1_30default_config_static_selectorELNS0_4arch9wavefront6targetE1EEEvT1_
    .private_segment_fixed_size: 0
    .sgpr_count:     26
    .sgpr_spill_count: 0
    .symbol:         _ZN7rocprim17ROCPRIM_400000_NS6detail17trampoline_kernelINS0_14default_configENS1_35adjacent_difference_config_selectorILb0EdEEZNS1_24adjacent_difference_implIS3_Lb0ELb0EPKdPdN6thrust23THRUST_200600_302600_NS4plusIdEEEE10hipError_tPvRmT2_T3_mT4_P12ihipStream_tbEUlT_E_NS1_11comp_targetILNS1_3genE2ELNS1_11target_archE906ELNS1_3gpuE6ELNS1_3repE0EEENS1_30default_config_static_selectorELNS0_4arch9wavefront6targetE1EEEvT1_.kd
    .uniform_work_group_size: 1
    .uses_dynamic_stack: false
    .vgpr_count:     15
    .vgpr_spill_count: 0
    .wavefront_size: 64
  - .args:
      - .offset:         0
        .size:           56
        .value_kind:     by_value
    .group_segment_fixed_size: 0
    .kernarg_segment_align: 8
    .kernarg_segment_size: 56
    .language:       OpenCL C
    .language_version:
      - 2
      - 0
    .max_flat_workgroup_size: 1024
    .name:           _ZN7rocprim17ROCPRIM_400000_NS6detail17trampoline_kernelINS0_14default_configENS1_35adjacent_difference_config_selectorILb0EdEEZNS1_24adjacent_difference_implIS3_Lb0ELb0EPKdPdN6thrust23THRUST_200600_302600_NS4plusIdEEEE10hipError_tPvRmT2_T3_mT4_P12ihipStream_tbEUlT_E_NS1_11comp_targetILNS1_3genE9ELNS1_11target_archE1100ELNS1_3gpuE3ELNS1_3repE0EEENS1_30default_config_static_selectorELNS0_4arch9wavefront6targetE1EEEvT1_
    .private_segment_fixed_size: 0
    .sgpr_count:     4
    .sgpr_spill_count: 0
    .symbol:         _ZN7rocprim17ROCPRIM_400000_NS6detail17trampoline_kernelINS0_14default_configENS1_35adjacent_difference_config_selectorILb0EdEEZNS1_24adjacent_difference_implIS3_Lb0ELb0EPKdPdN6thrust23THRUST_200600_302600_NS4plusIdEEEE10hipError_tPvRmT2_T3_mT4_P12ihipStream_tbEUlT_E_NS1_11comp_targetILNS1_3genE9ELNS1_11target_archE1100ELNS1_3gpuE3ELNS1_3repE0EEENS1_30default_config_static_selectorELNS0_4arch9wavefront6targetE1EEEvT1_.kd
    .uniform_work_group_size: 1
    .uses_dynamic_stack: false
    .vgpr_count:     0
    .vgpr_spill_count: 0
    .wavefront_size: 64
  - .args:
      - .offset:         0
        .size:           56
        .value_kind:     by_value
    .group_segment_fixed_size: 0
    .kernarg_segment_align: 8
    .kernarg_segment_size: 56
    .language:       OpenCL C
    .language_version:
      - 2
      - 0
    .max_flat_workgroup_size: 1024
    .name:           _ZN7rocprim17ROCPRIM_400000_NS6detail17trampoline_kernelINS0_14default_configENS1_35adjacent_difference_config_selectorILb0EdEEZNS1_24adjacent_difference_implIS3_Lb0ELb0EPKdPdN6thrust23THRUST_200600_302600_NS4plusIdEEEE10hipError_tPvRmT2_T3_mT4_P12ihipStream_tbEUlT_E_NS1_11comp_targetILNS1_3genE8ELNS1_11target_archE1030ELNS1_3gpuE2ELNS1_3repE0EEENS1_30default_config_static_selectorELNS0_4arch9wavefront6targetE1EEEvT1_
    .private_segment_fixed_size: 0
    .sgpr_count:     4
    .sgpr_spill_count: 0
    .symbol:         _ZN7rocprim17ROCPRIM_400000_NS6detail17trampoline_kernelINS0_14default_configENS1_35adjacent_difference_config_selectorILb0EdEEZNS1_24adjacent_difference_implIS3_Lb0ELb0EPKdPdN6thrust23THRUST_200600_302600_NS4plusIdEEEE10hipError_tPvRmT2_T3_mT4_P12ihipStream_tbEUlT_E_NS1_11comp_targetILNS1_3genE8ELNS1_11target_archE1030ELNS1_3gpuE2ELNS1_3repE0EEENS1_30default_config_static_selectorELNS0_4arch9wavefront6targetE1EEEvT1_.kd
    .uniform_work_group_size: 1
    .uses_dynamic_stack: false
    .vgpr_count:     0
    .vgpr_spill_count: 0
    .wavefront_size: 64
  - .args:
      - .offset:         0
        .size:           56
        .value_kind:     by_value
    .group_segment_fixed_size: 0
    .kernarg_segment_align: 8
    .kernarg_segment_size: 56
    .language:       OpenCL C
    .language_version:
      - 2
      - 0
    .max_flat_workgroup_size: 128
    .name:           _ZN7rocprim17ROCPRIM_400000_NS6detail17trampoline_kernelINS0_14default_configENS1_25transform_config_selectorIdLb0EEEZNS1_14transform_implILb0ES3_S5_NS0_18transform_iteratorINS0_17counting_iteratorImlEEZNS1_24adjacent_difference_implIS3_Lb1ELb0EPKdPdN6thrust23THRUST_200600_302600_NS4plusIdEEEE10hipError_tPvRmT2_T3_mT4_P12ihipStream_tbEUlmE_dEESD_NS0_8identityIvEEEESI_SL_SM_mSN_SP_bEUlT_E_NS1_11comp_targetILNS1_3genE0ELNS1_11target_archE4294967295ELNS1_3gpuE0ELNS1_3repE0EEENS1_30default_config_static_selectorELNS0_4arch9wavefront6targetE1EEEvT1_
    .private_segment_fixed_size: 0
    .sgpr_count:     4
    .sgpr_spill_count: 0
    .symbol:         _ZN7rocprim17ROCPRIM_400000_NS6detail17trampoline_kernelINS0_14default_configENS1_25transform_config_selectorIdLb0EEEZNS1_14transform_implILb0ES3_S5_NS0_18transform_iteratorINS0_17counting_iteratorImlEEZNS1_24adjacent_difference_implIS3_Lb1ELb0EPKdPdN6thrust23THRUST_200600_302600_NS4plusIdEEEE10hipError_tPvRmT2_T3_mT4_P12ihipStream_tbEUlmE_dEESD_NS0_8identityIvEEEESI_SL_SM_mSN_SP_bEUlT_E_NS1_11comp_targetILNS1_3genE0ELNS1_11target_archE4294967295ELNS1_3gpuE0ELNS1_3repE0EEENS1_30default_config_static_selectorELNS0_4arch9wavefront6targetE1EEEvT1_.kd
    .uniform_work_group_size: 1
    .uses_dynamic_stack: false
    .vgpr_count:     0
    .vgpr_spill_count: 0
    .wavefront_size: 64
  - .args:
      - .offset:         0
        .size:           56
        .value_kind:     by_value
    .group_segment_fixed_size: 0
    .kernarg_segment_align: 8
    .kernarg_segment_size: 56
    .language:       OpenCL C
    .language_version:
      - 2
      - 0
    .max_flat_workgroup_size: 512
    .name:           _ZN7rocprim17ROCPRIM_400000_NS6detail17trampoline_kernelINS0_14default_configENS1_25transform_config_selectorIdLb0EEEZNS1_14transform_implILb0ES3_S5_NS0_18transform_iteratorINS0_17counting_iteratorImlEEZNS1_24adjacent_difference_implIS3_Lb1ELb0EPKdPdN6thrust23THRUST_200600_302600_NS4plusIdEEEE10hipError_tPvRmT2_T3_mT4_P12ihipStream_tbEUlmE_dEESD_NS0_8identityIvEEEESI_SL_SM_mSN_SP_bEUlT_E_NS1_11comp_targetILNS1_3genE5ELNS1_11target_archE942ELNS1_3gpuE9ELNS1_3repE0EEENS1_30default_config_static_selectorELNS0_4arch9wavefront6targetE1EEEvT1_
    .private_segment_fixed_size: 0
    .sgpr_count:     4
    .sgpr_spill_count: 0
    .symbol:         _ZN7rocprim17ROCPRIM_400000_NS6detail17trampoline_kernelINS0_14default_configENS1_25transform_config_selectorIdLb0EEEZNS1_14transform_implILb0ES3_S5_NS0_18transform_iteratorINS0_17counting_iteratorImlEEZNS1_24adjacent_difference_implIS3_Lb1ELb0EPKdPdN6thrust23THRUST_200600_302600_NS4plusIdEEEE10hipError_tPvRmT2_T3_mT4_P12ihipStream_tbEUlmE_dEESD_NS0_8identityIvEEEESI_SL_SM_mSN_SP_bEUlT_E_NS1_11comp_targetILNS1_3genE5ELNS1_11target_archE942ELNS1_3gpuE9ELNS1_3repE0EEENS1_30default_config_static_selectorELNS0_4arch9wavefront6targetE1EEEvT1_.kd
    .uniform_work_group_size: 1
    .uses_dynamic_stack: false
    .vgpr_count:     0
    .vgpr_spill_count: 0
    .wavefront_size: 64
  - .args:
      - .offset:         0
        .size:           56
        .value_kind:     by_value
    .group_segment_fixed_size: 0
    .kernarg_segment_align: 8
    .kernarg_segment_size: 56
    .language:       OpenCL C
    .language_version:
      - 2
      - 0
    .max_flat_workgroup_size: 256
    .name:           _ZN7rocprim17ROCPRIM_400000_NS6detail17trampoline_kernelINS0_14default_configENS1_25transform_config_selectorIdLb0EEEZNS1_14transform_implILb0ES3_S5_NS0_18transform_iteratorINS0_17counting_iteratorImlEEZNS1_24adjacent_difference_implIS3_Lb1ELb0EPKdPdN6thrust23THRUST_200600_302600_NS4plusIdEEEE10hipError_tPvRmT2_T3_mT4_P12ihipStream_tbEUlmE_dEESD_NS0_8identityIvEEEESI_SL_SM_mSN_SP_bEUlT_E_NS1_11comp_targetILNS1_3genE4ELNS1_11target_archE910ELNS1_3gpuE8ELNS1_3repE0EEENS1_30default_config_static_selectorELNS0_4arch9wavefront6targetE1EEEvT1_
    .private_segment_fixed_size: 0
    .sgpr_count:     4
    .sgpr_spill_count: 0
    .symbol:         _ZN7rocprim17ROCPRIM_400000_NS6detail17trampoline_kernelINS0_14default_configENS1_25transform_config_selectorIdLb0EEEZNS1_14transform_implILb0ES3_S5_NS0_18transform_iteratorINS0_17counting_iteratorImlEEZNS1_24adjacent_difference_implIS3_Lb1ELb0EPKdPdN6thrust23THRUST_200600_302600_NS4plusIdEEEE10hipError_tPvRmT2_T3_mT4_P12ihipStream_tbEUlmE_dEESD_NS0_8identityIvEEEESI_SL_SM_mSN_SP_bEUlT_E_NS1_11comp_targetILNS1_3genE4ELNS1_11target_archE910ELNS1_3gpuE8ELNS1_3repE0EEENS1_30default_config_static_selectorELNS0_4arch9wavefront6targetE1EEEvT1_.kd
    .uniform_work_group_size: 1
    .uses_dynamic_stack: false
    .vgpr_count:     0
    .vgpr_spill_count: 0
    .wavefront_size: 64
  - .args:
      - .offset:         0
        .size:           56
        .value_kind:     by_value
    .group_segment_fixed_size: 0
    .kernarg_segment_align: 8
    .kernarg_segment_size: 56
    .language:       OpenCL C
    .language_version:
      - 2
      - 0
    .max_flat_workgroup_size: 128
    .name:           _ZN7rocprim17ROCPRIM_400000_NS6detail17trampoline_kernelINS0_14default_configENS1_25transform_config_selectorIdLb0EEEZNS1_14transform_implILb0ES3_S5_NS0_18transform_iteratorINS0_17counting_iteratorImlEEZNS1_24adjacent_difference_implIS3_Lb1ELb0EPKdPdN6thrust23THRUST_200600_302600_NS4plusIdEEEE10hipError_tPvRmT2_T3_mT4_P12ihipStream_tbEUlmE_dEESD_NS0_8identityIvEEEESI_SL_SM_mSN_SP_bEUlT_E_NS1_11comp_targetILNS1_3genE3ELNS1_11target_archE908ELNS1_3gpuE7ELNS1_3repE0EEENS1_30default_config_static_selectorELNS0_4arch9wavefront6targetE1EEEvT1_
    .private_segment_fixed_size: 0
    .sgpr_count:     4
    .sgpr_spill_count: 0
    .symbol:         _ZN7rocprim17ROCPRIM_400000_NS6detail17trampoline_kernelINS0_14default_configENS1_25transform_config_selectorIdLb0EEEZNS1_14transform_implILb0ES3_S5_NS0_18transform_iteratorINS0_17counting_iteratorImlEEZNS1_24adjacent_difference_implIS3_Lb1ELb0EPKdPdN6thrust23THRUST_200600_302600_NS4plusIdEEEE10hipError_tPvRmT2_T3_mT4_P12ihipStream_tbEUlmE_dEESD_NS0_8identityIvEEEESI_SL_SM_mSN_SP_bEUlT_E_NS1_11comp_targetILNS1_3genE3ELNS1_11target_archE908ELNS1_3gpuE7ELNS1_3repE0EEENS1_30default_config_static_selectorELNS0_4arch9wavefront6targetE1EEEvT1_.kd
    .uniform_work_group_size: 1
    .uses_dynamic_stack: false
    .vgpr_count:     0
    .vgpr_spill_count: 0
    .wavefront_size: 64
  - .args:
      - .offset:         0
        .size:           56
        .value_kind:     by_value
      - .offset:         56
        .size:           4
        .value_kind:     hidden_block_count_x
      - .offset:         60
        .size:           4
        .value_kind:     hidden_block_count_y
      - .offset:         64
        .size:           4
        .value_kind:     hidden_block_count_z
      - .offset:         68
        .size:           2
        .value_kind:     hidden_group_size_x
      - .offset:         70
        .size:           2
        .value_kind:     hidden_group_size_y
      - .offset:         72
        .size:           2
        .value_kind:     hidden_group_size_z
      - .offset:         74
        .size:           2
        .value_kind:     hidden_remainder_x
      - .offset:         76
        .size:           2
        .value_kind:     hidden_remainder_y
      - .offset:         78
        .size:           2
        .value_kind:     hidden_remainder_z
      - .offset:         96
        .size:           8
        .value_kind:     hidden_global_offset_x
      - .offset:         104
        .size:           8
        .value_kind:     hidden_global_offset_y
      - .offset:         112
        .size:           8
        .value_kind:     hidden_global_offset_z
      - .offset:         120
        .size:           2
        .value_kind:     hidden_grid_dims
    .group_segment_fixed_size: 0
    .kernarg_segment_align: 8
    .kernarg_segment_size: 312
    .language:       OpenCL C
    .language_version:
      - 2
      - 0
    .max_flat_workgroup_size: 1024
    .name:           _ZN7rocprim17ROCPRIM_400000_NS6detail17trampoline_kernelINS0_14default_configENS1_25transform_config_selectorIdLb0EEEZNS1_14transform_implILb0ES3_S5_NS0_18transform_iteratorINS0_17counting_iteratorImlEEZNS1_24adjacent_difference_implIS3_Lb1ELb0EPKdPdN6thrust23THRUST_200600_302600_NS4plusIdEEEE10hipError_tPvRmT2_T3_mT4_P12ihipStream_tbEUlmE_dEESD_NS0_8identityIvEEEESI_SL_SM_mSN_SP_bEUlT_E_NS1_11comp_targetILNS1_3genE2ELNS1_11target_archE906ELNS1_3gpuE6ELNS1_3repE0EEENS1_30default_config_static_selectorELNS0_4arch9wavefront6targetE1EEEvT1_
    .private_segment_fixed_size: 0
    .sgpr_count:     16
    .sgpr_spill_count: 0
    .symbol:         _ZN7rocprim17ROCPRIM_400000_NS6detail17trampoline_kernelINS0_14default_configENS1_25transform_config_selectorIdLb0EEEZNS1_14transform_implILb0ES3_S5_NS0_18transform_iteratorINS0_17counting_iteratorImlEEZNS1_24adjacent_difference_implIS3_Lb1ELb0EPKdPdN6thrust23THRUST_200600_302600_NS4plusIdEEEE10hipError_tPvRmT2_T3_mT4_P12ihipStream_tbEUlmE_dEESD_NS0_8identityIvEEEESI_SL_SM_mSN_SP_bEUlT_E_NS1_11comp_targetILNS1_3genE2ELNS1_11target_archE906ELNS1_3gpuE6ELNS1_3repE0EEENS1_30default_config_static_selectorELNS0_4arch9wavefront6targetE1EEEvT1_.kd
    .uniform_work_group_size: 1
    .uses_dynamic_stack: false
    .vgpr_count:     5
    .vgpr_spill_count: 0
    .wavefront_size: 64
  - .args:
      - .offset:         0
        .size:           56
        .value_kind:     by_value
    .group_segment_fixed_size: 0
    .kernarg_segment_align: 8
    .kernarg_segment_size: 56
    .language:       OpenCL C
    .language_version:
      - 2
      - 0
    .max_flat_workgroup_size: 64
    .name:           _ZN7rocprim17ROCPRIM_400000_NS6detail17trampoline_kernelINS0_14default_configENS1_25transform_config_selectorIdLb0EEEZNS1_14transform_implILb0ES3_S5_NS0_18transform_iteratorINS0_17counting_iteratorImlEEZNS1_24adjacent_difference_implIS3_Lb1ELb0EPKdPdN6thrust23THRUST_200600_302600_NS4plusIdEEEE10hipError_tPvRmT2_T3_mT4_P12ihipStream_tbEUlmE_dEESD_NS0_8identityIvEEEESI_SL_SM_mSN_SP_bEUlT_E_NS1_11comp_targetILNS1_3genE10ELNS1_11target_archE1201ELNS1_3gpuE5ELNS1_3repE0EEENS1_30default_config_static_selectorELNS0_4arch9wavefront6targetE1EEEvT1_
    .private_segment_fixed_size: 0
    .sgpr_count:     4
    .sgpr_spill_count: 0
    .symbol:         _ZN7rocprim17ROCPRIM_400000_NS6detail17trampoline_kernelINS0_14default_configENS1_25transform_config_selectorIdLb0EEEZNS1_14transform_implILb0ES3_S5_NS0_18transform_iteratorINS0_17counting_iteratorImlEEZNS1_24adjacent_difference_implIS3_Lb1ELb0EPKdPdN6thrust23THRUST_200600_302600_NS4plusIdEEEE10hipError_tPvRmT2_T3_mT4_P12ihipStream_tbEUlmE_dEESD_NS0_8identityIvEEEESI_SL_SM_mSN_SP_bEUlT_E_NS1_11comp_targetILNS1_3genE10ELNS1_11target_archE1201ELNS1_3gpuE5ELNS1_3repE0EEENS1_30default_config_static_selectorELNS0_4arch9wavefront6targetE1EEEvT1_.kd
    .uniform_work_group_size: 1
    .uses_dynamic_stack: false
    .vgpr_count:     0
    .vgpr_spill_count: 0
    .wavefront_size: 64
  - .args:
      - .offset:         0
        .size:           56
        .value_kind:     by_value
    .group_segment_fixed_size: 0
    .kernarg_segment_align: 8
    .kernarg_segment_size: 56
    .language:       OpenCL C
    .language_version:
      - 2
      - 0
    .max_flat_workgroup_size: 512
    .name:           _ZN7rocprim17ROCPRIM_400000_NS6detail17trampoline_kernelINS0_14default_configENS1_25transform_config_selectorIdLb0EEEZNS1_14transform_implILb0ES3_S5_NS0_18transform_iteratorINS0_17counting_iteratorImlEEZNS1_24adjacent_difference_implIS3_Lb1ELb0EPKdPdN6thrust23THRUST_200600_302600_NS4plusIdEEEE10hipError_tPvRmT2_T3_mT4_P12ihipStream_tbEUlmE_dEESD_NS0_8identityIvEEEESI_SL_SM_mSN_SP_bEUlT_E_NS1_11comp_targetILNS1_3genE10ELNS1_11target_archE1200ELNS1_3gpuE4ELNS1_3repE0EEENS1_30default_config_static_selectorELNS0_4arch9wavefront6targetE1EEEvT1_
    .private_segment_fixed_size: 0
    .sgpr_count:     4
    .sgpr_spill_count: 0
    .symbol:         _ZN7rocprim17ROCPRIM_400000_NS6detail17trampoline_kernelINS0_14default_configENS1_25transform_config_selectorIdLb0EEEZNS1_14transform_implILb0ES3_S5_NS0_18transform_iteratorINS0_17counting_iteratorImlEEZNS1_24adjacent_difference_implIS3_Lb1ELb0EPKdPdN6thrust23THRUST_200600_302600_NS4plusIdEEEE10hipError_tPvRmT2_T3_mT4_P12ihipStream_tbEUlmE_dEESD_NS0_8identityIvEEEESI_SL_SM_mSN_SP_bEUlT_E_NS1_11comp_targetILNS1_3genE10ELNS1_11target_archE1200ELNS1_3gpuE4ELNS1_3repE0EEENS1_30default_config_static_selectorELNS0_4arch9wavefront6targetE1EEEvT1_.kd
    .uniform_work_group_size: 1
    .uses_dynamic_stack: false
    .vgpr_count:     0
    .vgpr_spill_count: 0
    .wavefront_size: 64
  - .args:
      - .offset:         0
        .size:           56
        .value_kind:     by_value
    .group_segment_fixed_size: 0
    .kernarg_segment_align: 8
    .kernarg_segment_size: 56
    .language:       OpenCL C
    .language_version:
      - 2
      - 0
    .max_flat_workgroup_size: 512
    .name:           _ZN7rocprim17ROCPRIM_400000_NS6detail17trampoline_kernelINS0_14default_configENS1_25transform_config_selectorIdLb0EEEZNS1_14transform_implILb0ES3_S5_NS0_18transform_iteratorINS0_17counting_iteratorImlEEZNS1_24adjacent_difference_implIS3_Lb1ELb0EPKdPdN6thrust23THRUST_200600_302600_NS4plusIdEEEE10hipError_tPvRmT2_T3_mT4_P12ihipStream_tbEUlmE_dEESD_NS0_8identityIvEEEESI_SL_SM_mSN_SP_bEUlT_E_NS1_11comp_targetILNS1_3genE9ELNS1_11target_archE1100ELNS1_3gpuE3ELNS1_3repE0EEENS1_30default_config_static_selectorELNS0_4arch9wavefront6targetE1EEEvT1_
    .private_segment_fixed_size: 0
    .sgpr_count:     4
    .sgpr_spill_count: 0
    .symbol:         _ZN7rocprim17ROCPRIM_400000_NS6detail17trampoline_kernelINS0_14default_configENS1_25transform_config_selectorIdLb0EEEZNS1_14transform_implILb0ES3_S5_NS0_18transform_iteratorINS0_17counting_iteratorImlEEZNS1_24adjacent_difference_implIS3_Lb1ELb0EPKdPdN6thrust23THRUST_200600_302600_NS4plusIdEEEE10hipError_tPvRmT2_T3_mT4_P12ihipStream_tbEUlmE_dEESD_NS0_8identityIvEEEESI_SL_SM_mSN_SP_bEUlT_E_NS1_11comp_targetILNS1_3genE9ELNS1_11target_archE1100ELNS1_3gpuE3ELNS1_3repE0EEENS1_30default_config_static_selectorELNS0_4arch9wavefront6targetE1EEEvT1_.kd
    .uniform_work_group_size: 1
    .uses_dynamic_stack: false
    .vgpr_count:     0
    .vgpr_spill_count: 0
    .wavefront_size: 64
  - .args:
      - .offset:         0
        .size:           56
        .value_kind:     by_value
    .group_segment_fixed_size: 0
    .kernarg_segment_align: 8
    .kernarg_segment_size: 56
    .language:       OpenCL C
    .language_version:
      - 2
      - 0
    .max_flat_workgroup_size: 512
    .name:           _ZN7rocprim17ROCPRIM_400000_NS6detail17trampoline_kernelINS0_14default_configENS1_25transform_config_selectorIdLb0EEEZNS1_14transform_implILb0ES3_S5_NS0_18transform_iteratorINS0_17counting_iteratorImlEEZNS1_24adjacent_difference_implIS3_Lb1ELb0EPKdPdN6thrust23THRUST_200600_302600_NS4plusIdEEEE10hipError_tPvRmT2_T3_mT4_P12ihipStream_tbEUlmE_dEESD_NS0_8identityIvEEEESI_SL_SM_mSN_SP_bEUlT_E_NS1_11comp_targetILNS1_3genE8ELNS1_11target_archE1030ELNS1_3gpuE2ELNS1_3repE0EEENS1_30default_config_static_selectorELNS0_4arch9wavefront6targetE1EEEvT1_
    .private_segment_fixed_size: 0
    .sgpr_count:     4
    .sgpr_spill_count: 0
    .symbol:         _ZN7rocprim17ROCPRIM_400000_NS6detail17trampoline_kernelINS0_14default_configENS1_25transform_config_selectorIdLb0EEEZNS1_14transform_implILb0ES3_S5_NS0_18transform_iteratorINS0_17counting_iteratorImlEEZNS1_24adjacent_difference_implIS3_Lb1ELb0EPKdPdN6thrust23THRUST_200600_302600_NS4plusIdEEEE10hipError_tPvRmT2_T3_mT4_P12ihipStream_tbEUlmE_dEESD_NS0_8identityIvEEEESI_SL_SM_mSN_SP_bEUlT_E_NS1_11comp_targetILNS1_3genE8ELNS1_11target_archE1030ELNS1_3gpuE2ELNS1_3repE0EEENS1_30default_config_static_selectorELNS0_4arch9wavefront6targetE1EEEvT1_.kd
    .uniform_work_group_size: 1
    .uses_dynamic_stack: false
    .vgpr_count:     0
    .vgpr_spill_count: 0
    .wavefront_size: 64
  - .args:
      - .offset:         0
        .size:           56
        .value_kind:     by_value
    .group_segment_fixed_size: 0
    .kernarg_segment_align: 8
    .kernarg_segment_size: 56
    .language:       OpenCL C
    .language_version:
      - 2
      - 0
    .max_flat_workgroup_size: 512
    .name:           _ZN7rocprim17ROCPRIM_400000_NS6detail17trampoline_kernelINS0_14default_configENS1_35adjacent_difference_config_selectorILb1EdEEZNS1_24adjacent_difference_implIS3_Lb1ELb0EPKdPdN6thrust23THRUST_200600_302600_NS4plusIdEEEE10hipError_tPvRmT2_T3_mT4_P12ihipStream_tbEUlT_E_NS1_11comp_targetILNS1_3genE0ELNS1_11target_archE4294967295ELNS1_3gpuE0ELNS1_3repE0EEENS1_30default_config_static_selectorELNS0_4arch9wavefront6targetE1EEEvT1_
    .private_segment_fixed_size: 0
    .sgpr_count:     4
    .sgpr_spill_count: 0
    .symbol:         _ZN7rocprim17ROCPRIM_400000_NS6detail17trampoline_kernelINS0_14default_configENS1_35adjacent_difference_config_selectorILb1EdEEZNS1_24adjacent_difference_implIS3_Lb1ELb0EPKdPdN6thrust23THRUST_200600_302600_NS4plusIdEEEE10hipError_tPvRmT2_T3_mT4_P12ihipStream_tbEUlT_E_NS1_11comp_targetILNS1_3genE0ELNS1_11target_archE4294967295ELNS1_3gpuE0ELNS1_3repE0EEENS1_30default_config_static_selectorELNS0_4arch9wavefront6targetE1EEEvT1_.kd
    .uniform_work_group_size: 1
    .uses_dynamic_stack: false
    .vgpr_count:     0
    .vgpr_spill_count: 0
    .wavefront_size: 64
  - .args:
      - .offset:         0
        .size:           56
        .value_kind:     by_value
    .group_segment_fixed_size: 0
    .kernarg_segment_align: 8
    .kernarg_segment_size: 56
    .language:       OpenCL C
    .language_version:
      - 2
      - 0
    .max_flat_workgroup_size: 256
    .name:           _ZN7rocprim17ROCPRIM_400000_NS6detail17trampoline_kernelINS0_14default_configENS1_35adjacent_difference_config_selectorILb1EdEEZNS1_24adjacent_difference_implIS3_Lb1ELb0EPKdPdN6thrust23THRUST_200600_302600_NS4plusIdEEEE10hipError_tPvRmT2_T3_mT4_P12ihipStream_tbEUlT_E_NS1_11comp_targetILNS1_3genE10ELNS1_11target_archE1201ELNS1_3gpuE5ELNS1_3repE0EEENS1_30default_config_static_selectorELNS0_4arch9wavefront6targetE1EEEvT1_
    .private_segment_fixed_size: 0
    .sgpr_count:     4
    .sgpr_spill_count: 0
    .symbol:         _ZN7rocprim17ROCPRIM_400000_NS6detail17trampoline_kernelINS0_14default_configENS1_35adjacent_difference_config_selectorILb1EdEEZNS1_24adjacent_difference_implIS3_Lb1ELb0EPKdPdN6thrust23THRUST_200600_302600_NS4plusIdEEEE10hipError_tPvRmT2_T3_mT4_P12ihipStream_tbEUlT_E_NS1_11comp_targetILNS1_3genE10ELNS1_11target_archE1201ELNS1_3gpuE5ELNS1_3repE0EEENS1_30default_config_static_selectorELNS0_4arch9wavefront6targetE1EEEvT1_.kd
    .uniform_work_group_size: 1
    .uses_dynamic_stack: false
    .vgpr_count:     0
    .vgpr_spill_count: 0
    .wavefront_size: 64
  - .args:
      - .offset:         0
        .size:           56
        .value_kind:     by_value
    .group_segment_fixed_size: 0
    .kernarg_segment_align: 8
    .kernarg_segment_size: 56
    .language:       OpenCL C
    .language_version:
      - 2
      - 0
    .max_flat_workgroup_size: 128
    .name:           _ZN7rocprim17ROCPRIM_400000_NS6detail17trampoline_kernelINS0_14default_configENS1_35adjacent_difference_config_selectorILb1EdEEZNS1_24adjacent_difference_implIS3_Lb1ELb0EPKdPdN6thrust23THRUST_200600_302600_NS4plusIdEEEE10hipError_tPvRmT2_T3_mT4_P12ihipStream_tbEUlT_E_NS1_11comp_targetILNS1_3genE5ELNS1_11target_archE942ELNS1_3gpuE9ELNS1_3repE0EEENS1_30default_config_static_selectorELNS0_4arch9wavefront6targetE1EEEvT1_
    .private_segment_fixed_size: 0
    .sgpr_count:     4
    .sgpr_spill_count: 0
    .symbol:         _ZN7rocprim17ROCPRIM_400000_NS6detail17trampoline_kernelINS0_14default_configENS1_35adjacent_difference_config_selectorILb1EdEEZNS1_24adjacent_difference_implIS3_Lb1ELb0EPKdPdN6thrust23THRUST_200600_302600_NS4plusIdEEEE10hipError_tPvRmT2_T3_mT4_P12ihipStream_tbEUlT_E_NS1_11comp_targetILNS1_3genE5ELNS1_11target_archE942ELNS1_3gpuE9ELNS1_3repE0EEENS1_30default_config_static_selectorELNS0_4arch9wavefront6targetE1EEEvT1_.kd
    .uniform_work_group_size: 1
    .uses_dynamic_stack: false
    .vgpr_count:     0
    .vgpr_spill_count: 0
    .wavefront_size: 64
  - .args:
      - .offset:         0
        .size:           56
        .value_kind:     by_value
    .group_segment_fixed_size: 0
    .kernarg_segment_align: 8
    .kernarg_segment_size: 56
    .language:       OpenCL C
    .language_version:
      - 2
      - 0
    .max_flat_workgroup_size: 512
    .name:           _ZN7rocprim17ROCPRIM_400000_NS6detail17trampoline_kernelINS0_14default_configENS1_35adjacent_difference_config_selectorILb1EdEEZNS1_24adjacent_difference_implIS3_Lb1ELb0EPKdPdN6thrust23THRUST_200600_302600_NS4plusIdEEEE10hipError_tPvRmT2_T3_mT4_P12ihipStream_tbEUlT_E_NS1_11comp_targetILNS1_3genE4ELNS1_11target_archE910ELNS1_3gpuE8ELNS1_3repE0EEENS1_30default_config_static_selectorELNS0_4arch9wavefront6targetE1EEEvT1_
    .private_segment_fixed_size: 0
    .sgpr_count:     4
    .sgpr_spill_count: 0
    .symbol:         _ZN7rocprim17ROCPRIM_400000_NS6detail17trampoline_kernelINS0_14default_configENS1_35adjacent_difference_config_selectorILb1EdEEZNS1_24adjacent_difference_implIS3_Lb1ELb0EPKdPdN6thrust23THRUST_200600_302600_NS4plusIdEEEE10hipError_tPvRmT2_T3_mT4_P12ihipStream_tbEUlT_E_NS1_11comp_targetILNS1_3genE4ELNS1_11target_archE910ELNS1_3gpuE8ELNS1_3repE0EEENS1_30default_config_static_selectorELNS0_4arch9wavefront6targetE1EEEvT1_.kd
    .uniform_work_group_size: 1
    .uses_dynamic_stack: false
    .vgpr_count:     0
    .vgpr_spill_count: 0
    .wavefront_size: 64
  - .args:
      - .offset:         0
        .size:           56
        .value_kind:     by_value
    .group_segment_fixed_size: 0
    .kernarg_segment_align: 8
    .kernarg_segment_size: 56
    .language:       OpenCL C
    .language_version:
      - 2
      - 0
    .max_flat_workgroup_size: 512
    .name:           _ZN7rocprim17ROCPRIM_400000_NS6detail17trampoline_kernelINS0_14default_configENS1_35adjacent_difference_config_selectorILb1EdEEZNS1_24adjacent_difference_implIS3_Lb1ELb0EPKdPdN6thrust23THRUST_200600_302600_NS4plusIdEEEE10hipError_tPvRmT2_T3_mT4_P12ihipStream_tbEUlT_E_NS1_11comp_targetILNS1_3genE3ELNS1_11target_archE908ELNS1_3gpuE7ELNS1_3repE0EEENS1_30default_config_static_selectorELNS0_4arch9wavefront6targetE1EEEvT1_
    .private_segment_fixed_size: 0
    .sgpr_count:     4
    .sgpr_spill_count: 0
    .symbol:         _ZN7rocprim17ROCPRIM_400000_NS6detail17trampoline_kernelINS0_14default_configENS1_35adjacent_difference_config_selectorILb1EdEEZNS1_24adjacent_difference_implIS3_Lb1ELb0EPKdPdN6thrust23THRUST_200600_302600_NS4plusIdEEEE10hipError_tPvRmT2_T3_mT4_P12ihipStream_tbEUlT_E_NS1_11comp_targetILNS1_3genE3ELNS1_11target_archE908ELNS1_3gpuE7ELNS1_3repE0EEENS1_30default_config_static_selectorELNS0_4arch9wavefront6targetE1EEEvT1_.kd
    .uniform_work_group_size: 1
    .uses_dynamic_stack: false
    .vgpr_count:     0
    .vgpr_spill_count: 0
    .wavefront_size: 64
  - .args:
      - .offset:         0
        .size:           56
        .value_kind:     by_value
    .group_segment_fixed_size: 11264
    .kernarg_segment_align: 8
    .kernarg_segment_size: 56
    .language:       OpenCL C
    .language_version:
      - 2
      - 0
    .max_flat_workgroup_size: 128
    .name:           _ZN7rocprim17ROCPRIM_400000_NS6detail17trampoline_kernelINS0_14default_configENS1_35adjacent_difference_config_selectorILb1EdEEZNS1_24adjacent_difference_implIS3_Lb1ELb0EPKdPdN6thrust23THRUST_200600_302600_NS4plusIdEEEE10hipError_tPvRmT2_T3_mT4_P12ihipStream_tbEUlT_E_NS1_11comp_targetILNS1_3genE2ELNS1_11target_archE906ELNS1_3gpuE6ELNS1_3repE0EEENS1_30default_config_static_selectorELNS0_4arch9wavefront6targetE1EEEvT1_
    .private_segment_fixed_size: 0
    .sgpr_count:     33
    .sgpr_spill_count: 0
    .symbol:         _ZN7rocprim17ROCPRIM_400000_NS6detail17trampoline_kernelINS0_14default_configENS1_35adjacent_difference_config_selectorILb1EdEEZNS1_24adjacent_difference_implIS3_Lb1ELb0EPKdPdN6thrust23THRUST_200600_302600_NS4plusIdEEEE10hipError_tPvRmT2_T3_mT4_P12ihipStream_tbEUlT_E_NS1_11comp_targetILNS1_3genE2ELNS1_11target_archE906ELNS1_3gpuE6ELNS1_3repE0EEENS1_30default_config_static_selectorELNS0_4arch9wavefront6targetE1EEEvT1_.kd
    .uniform_work_group_size: 1
    .uses_dynamic_stack: false
    .vgpr_count:     50
    .vgpr_spill_count: 0
    .wavefront_size: 64
  - .args:
      - .offset:         0
        .size:           56
        .value_kind:     by_value
    .group_segment_fixed_size: 0
    .kernarg_segment_align: 8
    .kernarg_segment_size: 56
    .language:       OpenCL C
    .language_version:
      - 2
      - 0
    .max_flat_workgroup_size: 128
    .name:           _ZN7rocprim17ROCPRIM_400000_NS6detail17trampoline_kernelINS0_14default_configENS1_35adjacent_difference_config_selectorILb1EdEEZNS1_24adjacent_difference_implIS3_Lb1ELb0EPKdPdN6thrust23THRUST_200600_302600_NS4plusIdEEEE10hipError_tPvRmT2_T3_mT4_P12ihipStream_tbEUlT_E_NS1_11comp_targetILNS1_3genE9ELNS1_11target_archE1100ELNS1_3gpuE3ELNS1_3repE0EEENS1_30default_config_static_selectorELNS0_4arch9wavefront6targetE1EEEvT1_
    .private_segment_fixed_size: 0
    .sgpr_count:     4
    .sgpr_spill_count: 0
    .symbol:         _ZN7rocprim17ROCPRIM_400000_NS6detail17trampoline_kernelINS0_14default_configENS1_35adjacent_difference_config_selectorILb1EdEEZNS1_24adjacent_difference_implIS3_Lb1ELb0EPKdPdN6thrust23THRUST_200600_302600_NS4plusIdEEEE10hipError_tPvRmT2_T3_mT4_P12ihipStream_tbEUlT_E_NS1_11comp_targetILNS1_3genE9ELNS1_11target_archE1100ELNS1_3gpuE3ELNS1_3repE0EEENS1_30default_config_static_selectorELNS0_4arch9wavefront6targetE1EEEvT1_.kd
    .uniform_work_group_size: 1
    .uses_dynamic_stack: false
    .vgpr_count:     0
    .vgpr_spill_count: 0
    .wavefront_size: 64
  - .args:
      - .offset:         0
        .size:           56
        .value_kind:     by_value
    .group_segment_fixed_size: 0
    .kernarg_segment_align: 8
    .kernarg_segment_size: 56
    .language:       OpenCL C
    .language_version:
      - 2
      - 0
    .max_flat_workgroup_size: 32
    .name:           _ZN7rocprim17ROCPRIM_400000_NS6detail17trampoline_kernelINS0_14default_configENS1_35adjacent_difference_config_selectorILb1EdEEZNS1_24adjacent_difference_implIS3_Lb1ELb0EPKdPdN6thrust23THRUST_200600_302600_NS4plusIdEEEE10hipError_tPvRmT2_T3_mT4_P12ihipStream_tbEUlT_E_NS1_11comp_targetILNS1_3genE8ELNS1_11target_archE1030ELNS1_3gpuE2ELNS1_3repE0EEENS1_30default_config_static_selectorELNS0_4arch9wavefront6targetE1EEEvT1_
    .private_segment_fixed_size: 0
    .sgpr_count:     4
    .sgpr_spill_count: 0
    .symbol:         _ZN7rocprim17ROCPRIM_400000_NS6detail17trampoline_kernelINS0_14default_configENS1_35adjacent_difference_config_selectorILb1EdEEZNS1_24adjacent_difference_implIS3_Lb1ELb0EPKdPdN6thrust23THRUST_200600_302600_NS4plusIdEEEE10hipError_tPvRmT2_T3_mT4_P12ihipStream_tbEUlT_E_NS1_11comp_targetILNS1_3genE8ELNS1_11target_archE1030ELNS1_3gpuE2ELNS1_3repE0EEENS1_30default_config_static_selectorELNS0_4arch9wavefront6targetE1EEEvT1_.kd
    .uniform_work_group_size: 1
    .uses_dynamic_stack: false
    .vgpr_count:     0
    .vgpr_spill_count: 0
    .wavefront_size: 64
  - .args:
      - .offset:         0
        .size:           56
        .value_kind:     by_value
    .group_segment_fixed_size: 0
    .kernarg_segment_align: 8
    .kernarg_segment_size: 56
    .language:       OpenCL C
    .language_version:
      - 2
      - 0
    .max_flat_workgroup_size: 128
    .name:           _ZN7rocprim17ROCPRIM_400000_NS6detail17trampoline_kernelINS0_14default_configENS1_35adjacent_difference_config_selectorILb0EfEEZNS1_24adjacent_difference_implIS3_Lb0ELb0EPKfPfN6thrust23THRUST_200600_302600_NS4plusIfEEEE10hipError_tPvRmT2_T3_mT4_P12ihipStream_tbEUlT_E_NS1_11comp_targetILNS1_3genE0ELNS1_11target_archE4294967295ELNS1_3gpuE0ELNS1_3repE0EEENS1_30default_config_static_selectorELNS0_4arch9wavefront6targetE1EEEvT1_
    .private_segment_fixed_size: 0
    .sgpr_count:     4
    .sgpr_spill_count: 0
    .symbol:         _ZN7rocprim17ROCPRIM_400000_NS6detail17trampoline_kernelINS0_14default_configENS1_35adjacent_difference_config_selectorILb0EfEEZNS1_24adjacent_difference_implIS3_Lb0ELb0EPKfPfN6thrust23THRUST_200600_302600_NS4plusIfEEEE10hipError_tPvRmT2_T3_mT4_P12ihipStream_tbEUlT_E_NS1_11comp_targetILNS1_3genE0ELNS1_11target_archE4294967295ELNS1_3gpuE0ELNS1_3repE0EEENS1_30default_config_static_selectorELNS0_4arch9wavefront6targetE1EEEvT1_.kd
    .uniform_work_group_size: 1
    .uses_dynamic_stack: false
    .vgpr_count:     0
    .vgpr_spill_count: 0
    .wavefront_size: 64
  - .args:
      - .offset:         0
        .size:           56
        .value_kind:     by_value
    .group_segment_fixed_size: 0
    .kernarg_segment_align: 8
    .kernarg_segment_size: 56
    .language:       OpenCL C
    .language_version:
      - 2
      - 0
    .max_flat_workgroup_size: 1024
    .name:           _ZN7rocprim17ROCPRIM_400000_NS6detail17trampoline_kernelINS0_14default_configENS1_35adjacent_difference_config_selectorILb0EfEEZNS1_24adjacent_difference_implIS3_Lb0ELb0EPKfPfN6thrust23THRUST_200600_302600_NS4plusIfEEEE10hipError_tPvRmT2_T3_mT4_P12ihipStream_tbEUlT_E_NS1_11comp_targetILNS1_3genE10ELNS1_11target_archE1201ELNS1_3gpuE5ELNS1_3repE0EEENS1_30default_config_static_selectorELNS0_4arch9wavefront6targetE1EEEvT1_
    .private_segment_fixed_size: 0
    .sgpr_count:     4
    .sgpr_spill_count: 0
    .symbol:         _ZN7rocprim17ROCPRIM_400000_NS6detail17trampoline_kernelINS0_14default_configENS1_35adjacent_difference_config_selectorILb0EfEEZNS1_24adjacent_difference_implIS3_Lb0ELb0EPKfPfN6thrust23THRUST_200600_302600_NS4plusIfEEEE10hipError_tPvRmT2_T3_mT4_P12ihipStream_tbEUlT_E_NS1_11comp_targetILNS1_3genE10ELNS1_11target_archE1201ELNS1_3gpuE5ELNS1_3repE0EEENS1_30default_config_static_selectorELNS0_4arch9wavefront6targetE1EEEvT1_.kd
    .uniform_work_group_size: 1
    .uses_dynamic_stack: false
    .vgpr_count:     0
    .vgpr_spill_count: 0
    .wavefront_size: 64
  - .args:
      - .offset:         0
        .size:           56
        .value_kind:     by_value
    .group_segment_fixed_size: 0
    .kernarg_segment_align: 8
    .kernarg_segment_size: 56
    .language:       OpenCL C
    .language_version:
      - 2
      - 0
    .max_flat_workgroup_size: 64
    .name:           _ZN7rocprim17ROCPRIM_400000_NS6detail17trampoline_kernelINS0_14default_configENS1_35adjacent_difference_config_selectorILb0EfEEZNS1_24adjacent_difference_implIS3_Lb0ELb0EPKfPfN6thrust23THRUST_200600_302600_NS4plusIfEEEE10hipError_tPvRmT2_T3_mT4_P12ihipStream_tbEUlT_E_NS1_11comp_targetILNS1_3genE5ELNS1_11target_archE942ELNS1_3gpuE9ELNS1_3repE0EEENS1_30default_config_static_selectorELNS0_4arch9wavefront6targetE1EEEvT1_
    .private_segment_fixed_size: 0
    .sgpr_count:     4
    .sgpr_spill_count: 0
    .symbol:         _ZN7rocprim17ROCPRIM_400000_NS6detail17trampoline_kernelINS0_14default_configENS1_35adjacent_difference_config_selectorILb0EfEEZNS1_24adjacent_difference_implIS3_Lb0ELb0EPKfPfN6thrust23THRUST_200600_302600_NS4plusIfEEEE10hipError_tPvRmT2_T3_mT4_P12ihipStream_tbEUlT_E_NS1_11comp_targetILNS1_3genE5ELNS1_11target_archE942ELNS1_3gpuE9ELNS1_3repE0EEENS1_30default_config_static_selectorELNS0_4arch9wavefront6targetE1EEEvT1_.kd
    .uniform_work_group_size: 1
    .uses_dynamic_stack: false
    .vgpr_count:     0
    .vgpr_spill_count: 0
    .wavefront_size: 64
  - .args:
      - .offset:         0
        .size:           56
        .value_kind:     by_value
    .group_segment_fixed_size: 0
    .kernarg_segment_align: 8
    .kernarg_segment_size: 56
    .language:       OpenCL C
    .language_version:
      - 2
      - 0
    .max_flat_workgroup_size: 512
    .name:           _ZN7rocprim17ROCPRIM_400000_NS6detail17trampoline_kernelINS0_14default_configENS1_35adjacent_difference_config_selectorILb0EfEEZNS1_24adjacent_difference_implIS3_Lb0ELb0EPKfPfN6thrust23THRUST_200600_302600_NS4plusIfEEEE10hipError_tPvRmT2_T3_mT4_P12ihipStream_tbEUlT_E_NS1_11comp_targetILNS1_3genE4ELNS1_11target_archE910ELNS1_3gpuE8ELNS1_3repE0EEENS1_30default_config_static_selectorELNS0_4arch9wavefront6targetE1EEEvT1_
    .private_segment_fixed_size: 0
    .sgpr_count:     4
    .sgpr_spill_count: 0
    .symbol:         _ZN7rocprim17ROCPRIM_400000_NS6detail17trampoline_kernelINS0_14default_configENS1_35adjacent_difference_config_selectorILb0EfEEZNS1_24adjacent_difference_implIS3_Lb0ELb0EPKfPfN6thrust23THRUST_200600_302600_NS4plusIfEEEE10hipError_tPvRmT2_T3_mT4_P12ihipStream_tbEUlT_E_NS1_11comp_targetILNS1_3genE4ELNS1_11target_archE910ELNS1_3gpuE8ELNS1_3repE0EEENS1_30default_config_static_selectorELNS0_4arch9wavefront6targetE1EEEvT1_.kd
    .uniform_work_group_size: 1
    .uses_dynamic_stack: false
    .vgpr_count:     0
    .vgpr_spill_count: 0
    .wavefront_size: 64
  - .args:
      - .offset:         0
        .size:           56
        .value_kind:     by_value
    .group_segment_fixed_size: 0
    .kernarg_segment_align: 8
    .kernarg_segment_size: 56
    .language:       OpenCL C
    .language_version:
      - 2
      - 0
    .max_flat_workgroup_size: 128
    .name:           _ZN7rocprim17ROCPRIM_400000_NS6detail17trampoline_kernelINS0_14default_configENS1_35adjacent_difference_config_selectorILb0EfEEZNS1_24adjacent_difference_implIS3_Lb0ELb0EPKfPfN6thrust23THRUST_200600_302600_NS4plusIfEEEE10hipError_tPvRmT2_T3_mT4_P12ihipStream_tbEUlT_E_NS1_11comp_targetILNS1_3genE3ELNS1_11target_archE908ELNS1_3gpuE7ELNS1_3repE0EEENS1_30default_config_static_selectorELNS0_4arch9wavefront6targetE1EEEvT1_
    .private_segment_fixed_size: 0
    .sgpr_count:     4
    .sgpr_spill_count: 0
    .symbol:         _ZN7rocprim17ROCPRIM_400000_NS6detail17trampoline_kernelINS0_14default_configENS1_35adjacent_difference_config_selectorILb0EfEEZNS1_24adjacent_difference_implIS3_Lb0ELb0EPKfPfN6thrust23THRUST_200600_302600_NS4plusIfEEEE10hipError_tPvRmT2_T3_mT4_P12ihipStream_tbEUlT_E_NS1_11comp_targetILNS1_3genE3ELNS1_11target_archE908ELNS1_3gpuE7ELNS1_3repE0EEENS1_30default_config_static_selectorELNS0_4arch9wavefront6targetE1EEEvT1_.kd
    .uniform_work_group_size: 1
    .uses_dynamic_stack: false
    .vgpr_count:     0
    .vgpr_spill_count: 0
    .wavefront_size: 64
  - .args:
      - .offset:         0
        .size:           56
        .value_kind:     by_value
    .group_segment_fixed_size: 20480
    .kernarg_segment_align: 8
    .kernarg_segment_size: 56
    .language:       OpenCL C
    .language_version:
      - 2
      - 0
    .max_flat_workgroup_size: 1024
    .name:           _ZN7rocprim17ROCPRIM_400000_NS6detail17trampoline_kernelINS0_14default_configENS1_35adjacent_difference_config_selectorILb0EfEEZNS1_24adjacent_difference_implIS3_Lb0ELb0EPKfPfN6thrust23THRUST_200600_302600_NS4plusIfEEEE10hipError_tPvRmT2_T3_mT4_P12ihipStream_tbEUlT_E_NS1_11comp_targetILNS1_3genE2ELNS1_11target_archE906ELNS1_3gpuE6ELNS1_3repE0EEENS1_30default_config_static_selectorELNS0_4arch9wavefront6targetE1EEEvT1_
    .private_segment_fixed_size: 0
    .sgpr_count:     27
    .sgpr_spill_count: 0
    .symbol:         _ZN7rocprim17ROCPRIM_400000_NS6detail17trampoline_kernelINS0_14default_configENS1_35adjacent_difference_config_selectorILb0EfEEZNS1_24adjacent_difference_implIS3_Lb0ELb0EPKfPfN6thrust23THRUST_200600_302600_NS4plusIfEEEE10hipError_tPvRmT2_T3_mT4_P12ihipStream_tbEUlT_E_NS1_11comp_targetILNS1_3genE2ELNS1_11target_archE906ELNS1_3gpuE6ELNS1_3repE0EEENS1_30default_config_static_selectorELNS0_4arch9wavefront6targetE1EEEvT1_.kd
    .uniform_work_group_size: 1
    .uses_dynamic_stack: false
    .vgpr_count:     17
    .vgpr_spill_count: 0
    .wavefront_size: 64
  - .args:
      - .offset:         0
        .size:           56
        .value_kind:     by_value
    .group_segment_fixed_size: 0
    .kernarg_segment_align: 8
    .kernarg_segment_size: 56
    .language:       OpenCL C
    .language_version:
      - 2
      - 0
    .max_flat_workgroup_size: 1024
    .name:           _ZN7rocprim17ROCPRIM_400000_NS6detail17trampoline_kernelINS0_14default_configENS1_35adjacent_difference_config_selectorILb0EfEEZNS1_24adjacent_difference_implIS3_Lb0ELb0EPKfPfN6thrust23THRUST_200600_302600_NS4plusIfEEEE10hipError_tPvRmT2_T3_mT4_P12ihipStream_tbEUlT_E_NS1_11comp_targetILNS1_3genE9ELNS1_11target_archE1100ELNS1_3gpuE3ELNS1_3repE0EEENS1_30default_config_static_selectorELNS0_4arch9wavefront6targetE1EEEvT1_
    .private_segment_fixed_size: 0
    .sgpr_count:     4
    .sgpr_spill_count: 0
    .symbol:         _ZN7rocprim17ROCPRIM_400000_NS6detail17trampoline_kernelINS0_14default_configENS1_35adjacent_difference_config_selectorILb0EfEEZNS1_24adjacent_difference_implIS3_Lb0ELb0EPKfPfN6thrust23THRUST_200600_302600_NS4plusIfEEEE10hipError_tPvRmT2_T3_mT4_P12ihipStream_tbEUlT_E_NS1_11comp_targetILNS1_3genE9ELNS1_11target_archE1100ELNS1_3gpuE3ELNS1_3repE0EEENS1_30default_config_static_selectorELNS0_4arch9wavefront6targetE1EEEvT1_.kd
    .uniform_work_group_size: 1
    .uses_dynamic_stack: false
    .vgpr_count:     0
    .vgpr_spill_count: 0
    .wavefront_size: 64
  - .args:
      - .offset:         0
        .size:           56
        .value_kind:     by_value
    .group_segment_fixed_size: 0
    .kernarg_segment_align: 8
    .kernarg_segment_size: 56
    .language:       OpenCL C
    .language_version:
      - 2
      - 0
    .max_flat_workgroup_size: 1024
    .name:           _ZN7rocprim17ROCPRIM_400000_NS6detail17trampoline_kernelINS0_14default_configENS1_35adjacent_difference_config_selectorILb0EfEEZNS1_24adjacent_difference_implIS3_Lb0ELb0EPKfPfN6thrust23THRUST_200600_302600_NS4plusIfEEEE10hipError_tPvRmT2_T3_mT4_P12ihipStream_tbEUlT_E_NS1_11comp_targetILNS1_3genE8ELNS1_11target_archE1030ELNS1_3gpuE2ELNS1_3repE0EEENS1_30default_config_static_selectorELNS0_4arch9wavefront6targetE1EEEvT1_
    .private_segment_fixed_size: 0
    .sgpr_count:     4
    .sgpr_spill_count: 0
    .symbol:         _ZN7rocprim17ROCPRIM_400000_NS6detail17trampoline_kernelINS0_14default_configENS1_35adjacent_difference_config_selectorILb0EfEEZNS1_24adjacent_difference_implIS3_Lb0ELb0EPKfPfN6thrust23THRUST_200600_302600_NS4plusIfEEEE10hipError_tPvRmT2_T3_mT4_P12ihipStream_tbEUlT_E_NS1_11comp_targetILNS1_3genE8ELNS1_11target_archE1030ELNS1_3gpuE2ELNS1_3repE0EEENS1_30default_config_static_selectorELNS0_4arch9wavefront6targetE1EEEvT1_.kd
    .uniform_work_group_size: 1
    .uses_dynamic_stack: false
    .vgpr_count:     0
    .vgpr_spill_count: 0
    .wavefront_size: 64
  - .args:
      - .offset:         0
        .size:           56
        .value_kind:     by_value
    .group_segment_fixed_size: 0
    .kernarg_segment_align: 8
    .kernarg_segment_size: 56
    .language:       OpenCL C
    .language_version:
      - 2
      - 0
    .max_flat_workgroup_size: 128
    .name:           _ZN7rocprim17ROCPRIM_400000_NS6detail17trampoline_kernelINS0_14default_configENS1_25transform_config_selectorIfLb0EEEZNS1_14transform_implILb0ES3_S5_NS0_18transform_iteratorINS0_17counting_iteratorImlEEZNS1_24adjacent_difference_implIS3_Lb1ELb0EPKfPfN6thrust23THRUST_200600_302600_NS4plusIfEEEE10hipError_tPvRmT2_T3_mT4_P12ihipStream_tbEUlmE_fEESD_NS0_8identityIvEEEESI_SL_SM_mSN_SP_bEUlT_E_NS1_11comp_targetILNS1_3genE0ELNS1_11target_archE4294967295ELNS1_3gpuE0ELNS1_3repE0EEENS1_30default_config_static_selectorELNS0_4arch9wavefront6targetE1EEEvT1_
    .private_segment_fixed_size: 0
    .sgpr_count:     4
    .sgpr_spill_count: 0
    .symbol:         _ZN7rocprim17ROCPRIM_400000_NS6detail17trampoline_kernelINS0_14default_configENS1_25transform_config_selectorIfLb0EEEZNS1_14transform_implILb0ES3_S5_NS0_18transform_iteratorINS0_17counting_iteratorImlEEZNS1_24adjacent_difference_implIS3_Lb1ELb0EPKfPfN6thrust23THRUST_200600_302600_NS4plusIfEEEE10hipError_tPvRmT2_T3_mT4_P12ihipStream_tbEUlmE_fEESD_NS0_8identityIvEEEESI_SL_SM_mSN_SP_bEUlT_E_NS1_11comp_targetILNS1_3genE0ELNS1_11target_archE4294967295ELNS1_3gpuE0ELNS1_3repE0EEENS1_30default_config_static_selectorELNS0_4arch9wavefront6targetE1EEEvT1_.kd
    .uniform_work_group_size: 1
    .uses_dynamic_stack: false
    .vgpr_count:     0
    .vgpr_spill_count: 0
    .wavefront_size: 64
  - .args:
      - .offset:         0
        .size:           56
        .value_kind:     by_value
    .group_segment_fixed_size: 0
    .kernarg_segment_align: 8
    .kernarg_segment_size: 56
    .language:       OpenCL C
    .language_version:
      - 2
      - 0
    .max_flat_workgroup_size: 256
    .name:           _ZN7rocprim17ROCPRIM_400000_NS6detail17trampoline_kernelINS0_14default_configENS1_25transform_config_selectorIfLb0EEEZNS1_14transform_implILb0ES3_S5_NS0_18transform_iteratorINS0_17counting_iteratorImlEEZNS1_24adjacent_difference_implIS3_Lb1ELb0EPKfPfN6thrust23THRUST_200600_302600_NS4plusIfEEEE10hipError_tPvRmT2_T3_mT4_P12ihipStream_tbEUlmE_fEESD_NS0_8identityIvEEEESI_SL_SM_mSN_SP_bEUlT_E_NS1_11comp_targetILNS1_3genE5ELNS1_11target_archE942ELNS1_3gpuE9ELNS1_3repE0EEENS1_30default_config_static_selectorELNS0_4arch9wavefront6targetE1EEEvT1_
    .private_segment_fixed_size: 0
    .sgpr_count:     4
    .sgpr_spill_count: 0
    .symbol:         _ZN7rocprim17ROCPRIM_400000_NS6detail17trampoline_kernelINS0_14default_configENS1_25transform_config_selectorIfLb0EEEZNS1_14transform_implILb0ES3_S5_NS0_18transform_iteratorINS0_17counting_iteratorImlEEZNS1_24adjacent_difference_implIS3_Lb1ELb0EPKfPfN6thrust23THRUST_200600_302600_NS4plusIfEEEE10hipError_tPvRmT2_T3_mT4_P12ihipStream_tbEUlmE_fEESD_NS0_8identityIvEEEESI_SL_SM_mSN_SP_bEUlT_E_NS1_11comp_targetILNS1_3genE5ELNS1_11target_archE942ELNS1_3gpuE9ELNS1_3repE0EEENS1_30default_config_static_selectorELNS0_4arch9wavefront6targetE1EEEvT1_.kd
    .uniform_work_group_size: 1
    .uses_dynamic_stack: false
    .vgpr_count:     0
    .vgpr_spill_count: 0
    .wavefront_size: 64
  - .args:
      - .offset:         0
        .size:           56
        .value_kind:     by_value
    .group_segment_fixed_size: 0
    .kernarg_segment_align: 8
    .kernarg_segment_size: 56
    .language:       OpenCL C
    .language_version:
      - 2
      - 0
    .max_flat_workgroup_size: 1024
    .name:           _ZN7rocprim17ROCPRIM_400000_NS6detail17trampoline_kernelINS0_14default_configENS1_25transform_config_selectorIfLb0EEEZNS1_14transform_implILb0ES3_S5_NS0_18transform_iteratorINS0_17counting_iteratorImlEEZNS1_24adjacent_difference_implIS3_Lb1ELb0EPKfPfN6thrust23THRUST_200600_302600_NS4plusIfEEEE10hipError_tPvRmT2_T3_mT4_P12ihipStream_tbEUlmE_fEESD_NS0_8identityIvEEEESI_SL_SM_mSN_SP_bEUlT_E_NS1_11comp_targetILNS1_3genE4ELNS1_11target_archE910ELNS1_3gpuE8ELNS1_3repE0EEENS1_30default_config_static_selectorELNS0_4arch9wavefront6targetE1EEEvT1_
    .private_segment_fixed_size: 0
    .sgpr_count:     4
    .sgpr_spill_count: 0
    .symbol:         _ZN7rocprim17ROCPRIM_400000_NS6detail17trampoline_kernelINS0_14default_configENS1_25transform_config_selectorIfLb0EEEZNS1_14transform_implILb0ES3_S5_NS0_18transform_iteratorINS0_17counting_iteratorImlEEZNS1_24adjacent_difference_implIS3_Lb1ELb0EPKfPfN6thrust23THRUST_200600_302600_NS4plusIfEEEE10hipError_tPvRmT2_T3_mT4_P12ihipStream_tbEUlmE_fEESD_NS0_8identityIvEEEESI_SL_SM_mSN_SP_bEUlT_E_NS1_11comp_targetILNS1_3genE4ELNS1_11target_archE910ELNS1_3gpuE8ELNS1_3repE0EEENS1_30default_config_static_selectorELNS0_4arch9wavefront6targetE1EEEvT1_.kd
    .uniform_work_group_size: 1
    .uses_dynamic_stack: false
    .vgpr_count:     0
    .vgpr_spill_count: 0
    .wavefront_size: 64
  - .args:
      - .offset:         0
        .size:           56
        .value_kind:     by_value
    .group_segment_fixed_size: 0
    .kernarg_segment_align: 8
    .kernarg_segment_size: 56
    .language:       OpenCL C
    .language_version:
      - 2
      - 0
    .max_flat_workgroup_size: 128
    .name:           _ZN7rocprim17ROCPRIM_400000_NS6detail17trampoline_kernelINS0_14default_configENS1_25transform_config_selectorIfLb0EEEZNS1_14transform_implILb0ES3_S5_NS0_18transform_iteratorINS0_17counting_iteratorImlEEZNS1_24adjacent_difference_implIS3_Lb1ELb0EPKfPfN6thrust23THRUST_200600_302600_NS4plusIfEEEE10hipError_tPvRmT2_T3_mT4_P12ihipStream_tbEUlmE_fEESD_NS0_8identityIvEEEESI_SL_SM_mSN_SP_bEUlT_E_NS1_11comp_targetILNS1_3genE3ELNS1_11target_archE908ELNS1_3gpuE7ELNS1_3repE0EEENS1_30default_config_static_selectorELNS0_4arch9wavefront6targetE1EEEvT1_
    .private_segment_fixed_size: 0
    .sgpr_count:     4
    .sgpr_spill_count: 0
    .symbol:         _ZN7rocprim17ROCPRIM_400000_NS6detail17trampoline_kernelINS0_14default_configENS1_25transform_config_selectorIfLb0EEEZNS1_14transform_implILb0ES3_S5_NS0_18transform_iteratorINS0_17counting_iteratorImlEEZNS1_24adjacent_difference_implIS3_Lb1ELb0EPKfPfN6thrust23THRUST_200600_302600_NS4plusIfEEEE10hipError_tPvRmT2_T3_mT4_P12ihipStream_tbEUlmE_fEESD_NS0_8identityIvEEEESI_SL_SM_mSN_SP_bEUlT_E_NS1_11comp_targetILNS1_3genE3ELNS1_11target_archE908ELNS1_3gpuE7ELNS1_3repE0EEENS1_30default_config_static_selectorELNS0_4arch9wavefront6targetE1EEEvT1_.kd
    .uniform_work_group_size: 1
    .uses_dynamic_stack: false
    .vgpr_count:     0
    .vgpr_spill_count: 0
    .wavefront_size: 64
  - .args:
      - .offset:         0
        .size:           56
        .value_kind:     by_value
      - .offset:         56
        .size:           4
        .value_kind:     hidden_block_count_x
      - .offset:         60
        .size:           4
        .value_kind:     hidden_block_count_y
      - .offset:         64
        .size:           4
        .value_kind:     hidden_block_count_z
      - .offset:         68
        .size:           2
        .value_kind:     hidden_group_size_x
      - .offset:         70
        .size:           2
        .value_kind:     hidden_group_size_y
      - .offset:         72
        .size:           2
        .value_kind:     hidden_group_size_z
      - .offset:         74
        .size:           2
        .value_kind:     hidden_remainder_x
      - .offset:         76
        .size:           2
        .value_kind:     hidden_remainder_y
      - .offset:         78
        .size:           2
        .value_kind:     hidden_remainder_z
      - .offset:         96
        .size:           8
        .value_kind:     hidden_global_offset_x
      - .offset:         104
        .size:           8
        .value_kind:     hidden_global_offset_y
      - .offset:         112
        .size:           8
        .value_kind:     hidden_global_offset_z
      - .offset:         120
        .size:           2
        .value_kind:     hidden_grid_dims
    .group_segment_fixed_size: 0
    .kernarg_segment_align: 8
    .kernarg_segment_size: 312
    .language:       OpenCL C
    .language_version:
      - 2
      - 0
    .max_flat_workgroup_size: 1024
    .name:           _ZN7rocprim17ROCPRIM_400000_NS6detail17trampoline_kernelINS0_14default_configENS1_25transform_config_selectorIfLb0EEEZNS1_14transform_implILb0ES3_S5_NS0_18transform_iteratorINS0_17counting_iteratorImlEEZNS1_24adjacent_difference_implIS3_Lb1ELb0EPKfPfN6thrust23THRUST_200600_302600_NS4plusIfEEEE10hipError_tPvRmT2_T3_mT4_P12ihipStream_tbEUlmE_fEESD_NS0_8identityIvEEEESI_SL_SM_mSN_SP_bEUlT_E_NS1_11comp_targetILNS1_3genE2ELNS1_11target_archE906ELNS1_3gpuE6ELNS1_3repE0EEENS1_30default_config_static_selectorELNS0_4arch9wavefront6targetE1EEEvT1_
    .private_segment_fixed_size: 0
    .sgpr_count:     22
    .sgpr_spill_count: 0
    .symbol:         _ZN7rocprim17ROCPRIM_400000_NS6detail17trampoline_kernelINS0_14default_configENS1_25transform_config_selectorIfLb0EEEZNS1_14transform_implILb0ES3_S5_NS0_18transform_iteratorINS0_17counting_iteratorImlEEZNS1_24adjacent_difference_implIS3_Lb1ELb0EPKfPfN6thrust23THRUST_200600_302600_NS4plusIfEEEE10hipError_tPvRmT2_T3_mT4_P12ihipStream_tbEUlmE_fEESD_NS0_8identityIvEEEESI_SL_SM_mSN_SP_bEUlT_E_NS1_11comp_targetILNS1_3genE2ELNS1_11target_archE906ELNS1_3gpuE6ELNS1_3repE0EEENS1_30default_config_static_selectorELNS0_4arch9wavefront6targetE1EEEvT1_.kd
    .uniform_work_group_size: 1
    .uses_dynamic_stack: false
    .vgpr_count:     7
    .vgpr_spill_count: 0
    .wavefront_size: 64
  - .args:
      - .offset:         0
        .size:           56
        .value_kind:     by_value
    .group_segment_fixed_size: 0
    .kernarg_segment_align: 8
    .kernarg_segment_size: 56
    .language:       OpenCL C
    .language_version:
      - 2
      - 0
    .max_flat_workgroup_size: 512
    .name:           _ZN7rocprim17ROCPRIM_400000_NS6detail17trampoline_kernelINS0_14default_configENS1_25transform_config_selectorIfLb0EEEZNS1_14transform_implILb0ES3_S5_NS0_18transform_iteratorINS0_17counting_iteratorImlEEZNS1_24adjacent_difference_implIS3_Lb1ELb0EPKfPfN6thrust23THRUST_200600_302600_NS4plusIfEEEE10hipError_tPvRmT2_T3_mT4_P12ihipStream_tbEUlmE_fEESD_NS0_8identityIvEEEESI_SL_SM_mSN_SP_bEUlT_E_NS1_11comp_targetILNS1_3genE10ELNS1_11target_archE1201ELNS1_3gpuE5ELNS1_3repE0EEENS1_30default_config_static_selectorELNS0_4arch9wavefront6targetE1EEEvT1_
    .private_segment_fixed_size: 0
    .sgpr_count:     4
    .sgpr_spill_count: 0
    .symbol:         _ZN7rocprim17ROCPRIM_400000_NS6detail17trampoline_kernelINS0_14default_configENS1_25transform_config_selectorIfLb0EEEZNS1_14transform_implILb0ES3_S5_NS0_18transform_iteratorINS0_17counting_iteratorImlEEZNS1_24adjacent_difference_implIS3_Lb1ELb0EPKfPfN6thrust23THRUST_200600_302600_NS4plusIfEEEE10hipError_tPvRmT2_T3_mT4_P12ihipStream_tbEUlmE_fEESD_NS0_8identityIvEEEESI_SL_SM_mSN_SP_bEUlT_E_NS1_11comp_targetILNS1_3genE10ELNS1_11target_archE1201ELNS1_3gpuE5ELNS1_3repE0EEENS1_30default_config_static_selectorELNS0_4arch9wavefront6targetE1EEEvT1_.kd
    .uniform_work_group_size: 1
    .uses_dynamic_stack: false
    .vgpr_count:     0
    .vgpr_spill_count: 0
    .wavefront_size: 64
  - .args:
      - .offset:         0
        .size:           56
        .value_kind:     by_value
    .group_segment_fixed_size: 0
    .kernarg_segment_align: 8
    .kernarg_segment_size: 56
    .language:       OpenCL C
    .language_version:
      - 2
      - 0
    .max_flat_workgroup_size: 512
    .name:           _ZN7rocprim17ROCPRIM_400000_NS6detail17trampoline_kernelINS0_14default_configENS1_25transform_config_selectorIfLb0EEEZNS1_14transform_implILb0ES3_S5_NS0_18transform_iteratorINS0_17counting_iteratorImlEEZNS1_24adjacent_difference_implIS3_Lb1ELb0EPKfPfN6thrust23THRUST_200600_302600_NS4plusIfEEEE10hipError_tPvRmT2_T3_mT4_P12ihipStream_tbEUlmE_fEESD_NS0_8identityIvEEEESI_SL_SM_mSN_SP_bEUlT_E_NS1_11comp_targetILNS1_3genE10ELNS1_11target_archE1200ELNS1_3gpuE4ELNS1_3repE0EEENS1_30default_config_static_selectorELNS0_4arch9wavefront6targetE1EEEvT1_
    .private_segment_fixed_size: 0
    .sgpr_count:     4
    .sgpr_spill_count: 0
    .symbol:         _ZN7rocprim17ROCPRIM_400000_NS6detail17trampoline_kernelINS0_14default_configENS1_25transform_config_selectorIfLb0EEEZNS1_14transform_implILb0ES3_S5_NS0_18transform_iteratorINS0_17counting_iteratorImlEEZNS1_24adjacent_difference_implIS3_Lb1ELb0EPKfPfN6thrust23THRUST_200600_302600_NS4plusIfEEEE10hipError_tPvRmT2_T3_mT4_P12ihipStream_tbEUlmE_fEESD_NS0_8identityIvEEEESI_SL_SM_mSN_SP_bEUlT_E_NS1_11comp_targetILNS1_3genE10ELNS1_11target_archE1200ELNS1_3gpuE4ELNS1_3repE0EEENS1_30default_config_static_selectorELNS0_4arch9wavefront6targetE1EEEvT1_.kd
    .uniform_work_group_size: 1
    .uses_dynamic_stack: false
    .vgpr_count:     0
    .vgpr_spill_count: 0
    .wavefront_size: 64
  - .args:
      - .offset:         0
        .size:           56
        .value_kind:     by_value
    .group_segment_fixed_size: 0
    .kernarg_segment_align: 8
    .kernarg_segment_size: 56
    .language:       OpenCL C
    .language_version:
      - 2
      - 0
    .max_flat_workgroup_size: 1024
    .name:           _ZN7rocprim17ROCPRIM_400000_NS6detail17trampoline_kernelINS0_14default_configENS1_25transform_config_selectorIfLb0EEEZNS1_14transform_implILb0ES3_S5_NS0_18transform_iteratorINS0_17counting_iteratorImlEEZNS1_24adjacent_difference_implIS3_Lb1ELb0EPKfPfN6thrust23THRUST_200600_302600_NS4plusIfEEEE10hipError_tPvRmT2_T3_mT4_P12ihipStream_tbEUlmE_fEESD_NS0_8identityIvEEEESI_SL_SM_mSN_SP_bEUlT_E_NS1_11comp_targetILNS1_3genE9ELNS1_11target_archE1100ELNS1_3gpuE3ELNS1_3repE0EEENS1_30default_config_static_selectorELNS0_4arch9wavefront6targetE1EEEvT1_
    .private_segment_fixed_size: 0
    .sgpr_count:     4
    .sgpr_spill_count: 0
    .symbol:         _ZN7rocprim17ROCPRIM_400000_NS6detail17trampoline_kernelINS0_14default_configENS1_25transform_config_selectorIfLb0EEEZNS1_14transform_implILb0ES3_S5_NS0_18transform_iteratorINS0_17counting_iteratorImlEEZNS1_24adjacent_difference_implIS3_Lb1ELb0EPKfPfN6thrust23THRUST_200600_302600_NS4plusIfEEEE10hipError_tPvRmT2_T3_mT4_P12ihipStream_tbEUlmE_fEESD_NS0_8identityIvEEEESI_SL_SM_mSN_SP_bEUlT_E_NS1_11comp_targetILNS1_3genE9ELNS1_11target_archE1100ELNS1_3gpuE3ELNS1_3repE0EEENS1_30default_config_static_selectorELNS0_4arch9wavefront6targetE1EEEvT1_.kd
    .uniform_work_group_size: 1
    .uses_dynamic_stack: false
    .vgpr_count:     0
    .vgpr_spill_count: 0
    .wavefront_size: 64
  - .args:
      - .offset:         0
        .size:           56
        .value_kind:     by_value
    .group_segment_fixed_size: 0
    .kernarg_segment_align: 8
    .kernarg_segment_size: 56
    .language:       OpenCL C
    .language_version:
      - 2
      - 0
    .max_flat_workgroup_size: 256
    .name:           _ZN7rocprim17ROCPRIM_400000_NS6detail17trampoline_kernelINS0_14default_configENS1_25transform_config_selectorIfLb0EEEZNS1_14transform_implILb0ES3_S5_NS0_18transform_iteratorINS0_17counting_iteratorImlEEZNS1_24adjacent_difference_implIS3_Lb1ELb0EPKfPfN6thrust23THRUST_200600_302600_NS4plusIfEEEE10hipError_tPvRmT2_T3_mT4_P12ihipStream_tbEUlmE_fEESD_NS0_8identityIvEEEESI_SL_SM_mSN_SP_bEUlT_E_NS1_11comp_targetILNS1_3genE8ELNS1_11target_archE1030ELNS1_3gpuE2ELNS1_3repE0EEENS1_30default_config_static_selectorELNS0_4arch9wavefront6targetE1EEEvT1_
    .private_segment_fixed_size: 0
    .sgpr_count:     4
    .sgpr_spill_count: 0
    .symbol:         _ZN7rocprim17ROCPRIM_400000_NS6detail17trampoline_kernelINS0_14default_configENS1_25transform_config_selectorIfLb0EEEZNS1_14transform_implILb0ES3_S5_NS0_18transform_iteratorINS0_17counting_iteratorImlEEZNS1_24adjacent_difference_implIS3_Lb1ELb0EPKfPfN6thrust23THRUST_200600_302600_NS4plusIfEEEE10hipError_tPvRmT2_T3_mT4_P12ihipStream_tbEUlmE_fEESD_NS0_8identityIvEEEESI_SL_SM_mSN_SP_bEUlT_E_NS1_11comp_targetILNS1_3genE8ELNS1_11target_archE1030ELNS1_3gpuE2ELNS1_3repE0EEENS1_30default_config_static_selectorELNS0_4arch9wavefront6targetE1EEEvT1_.kd
    .uniform_work_group_size: 1
    .uses_dynamic_stack: false
    .vgpr_count:     0
    .vgpr_spill_count: 0
    .wavefront_size: 64
  - .args:
      - .offset:         0
        .size:           56
        .value_kind:     by_value
    .group_segment_fixed_size: 0
    .kernarg_segment_align: 8
    .kernarg_segment_size: 56
    .language:       OpenCL C
    .language_version:
      - 2
      - 0
    .max_flat_workgroup_size: 1024
    .name:           _ZN7rocprim17ROCPRIM_400000_NS6detail17trampoline_kernelINS0_14default_configENS1_35adjacent_difference_config_selectorILb1EfEEZNS1_24adjacent_difference_implIS3_Lb1ELb0EPKfPfN6thrust23THRUST_200600_302600_NS4plusIfEEEE10hipError_tPvRmT2_T3_mT4_P12ihipStream_tbEUlT_E_NS1_11comp_targetILNS1_3genE0ELNS1_11target_archE4294967295ELNS1_3gpuE0ELNS1_3repE0EEENS1_30default_config_static_selectorELNS0_4arch9wavefront6targetE1EEEvT1_
    .private_segment_fixed_size: 0
    .sgpr_count:     4
    .sgpr_spill_count: 0
    .symbol:         _ZN7rocprim17ROCPRIM_400000_NS6detail17trampoline_kernelINS0_14default_configENS1_35adjacent_difference_config_selectorILb1EfEEZNS1_24adjacent_difference_implIS3_Lb1ELb0EPKfPfN6thrust23THRUST_200600_302600_NS4plusIfEEEE10hipError_tPvRmT2_T3_mT4_P12ihipStream_tbEUlT_E_NS1_11comp_targetILNS1_3genE0ELNS1_11target_archE4294967295ELNS1_3gpuE0ELNS1_3repE0EEENS1_30default_config_static_selectorELNS0_4arch9wavefront6targetE1EEEvT1_.kd
    .uniform_work_group_size: 1
    .uses_dynamic_stack: false
    .vgpr_count:     0
    .vgpr_spill_count: 0
    .wavefront_size: 64
  - .args:
      - .offset:         0
        .size:           56
        .value_kind:     by_value
    .group_segment_fixed_size: 0
    .kernarg_segment_align: 8
    .kernarg_segment_size: 56
    .language:       OpenCL C
    .language_version:
      - 2
      - 0
    .max_flat_workgroup_size: 128
    .name:           _ZN7rocprim17ROCPRIM_400000_NS6detail17trampoline_kernelINS0_14default_configENS1_35adjacent_difference_config_selectorILb1EfEEZNS1_24adjacent_difference_implIS3_Lb1ELb0EPKfPfN6thrust23THRUST_200600_302600_NS4plusIfEEEE10hipError_tPvRmT2_T3_mT4_P12ihipStream_tbEUlT_E_NS1_11comp_targetILNS1_3genE10ELNS1_11target_archE1201ELNS1_3gpuE5ELNS1_3repE0EEENS1_30default_config_static_selectorELNS0_4arch9wavefront6targetE1EEEvT1_
    .private_segment_fixed_size: 0
    .sgpr_count:     4
    .sgpr_spill_count: 0
    .symbol:         _ZN7rocprim17ROCPRIM_400000_NS6detail17trampoline_kernelINS0_14default_configENS1_35adjacent_difference_config_selectorILb1EfEEZNS1_24adjacent_difference_implIS3_Lb1ELb0EPKfPfN6thrust23THRUST_200600_302600_NS4plusIfEEEE10hipError_tPvRmT2_T3_mT4_P12ihipStream_tbEUlT_E_NS1_11comp_targetILNS1_3genE10ELNS1_11target_archE1201ELNS1_3gpuE5ELNS1_3repE0EEENS1_30default_config_static_selectorELNS0_4arch9wavefront6targetE1EEEvT1_.kd
    .uniform_work_group_size: 1
    .uses_dynamic_stack: false
    .vgpr_count:     0
    .vgpr_spill_count: 0
    .wavefront_size: 64
  - .args:
      - .offset:         0
        .size:           56
        .value_kind:     by_value
    .group_segment_fixed_size: 0
    .kernarg_segment_align: 8
    .kernarg_segment_size: 56
    .language:       OpenCL C
    .language_version:
      - 2
      - 0
    .max_flat_workgroup_size: 256
    .name:           _ZN7rocprim17ROCPRIM_400000_NS6detail17trampoline_kernelINS0_14default_configENS1_35adjacent_difference_config_selectorILb1EfEEZNS1_24adjacent_difference_implIS3_Lb1ELb0EPKfPfN6thrust23THRUST_200600_302600_NS4plusIfEEEE10hipError_tPvRmT2_T3_mT4_P12ihipStream_tbEUlT_E_NS1_11comp_targetILNS1_3genE5ELNS1_11target_archE942ELNS1_3gpuE9ELNS1_3repE0EEENS1_30default_config_static_selectorELNS0_4arch9wavefront6targetE1EEEvT1_
    .private_segment_fixed_size: 0
    .sgpr_count:     4
    .sgpr_spill_count: 0
    .symbol:         _ZN7rocprim17ROCPRIM_400000_NS6detail17trampoline_kernelINS0_14default_configENS1_35adjacent_difference_config_selectorILb1EfEEZNS1_24adjacent_difference_implIS3_Lb1ELb0EPKfPfN6thrust23THRUST_200600_302600_NS4plusIfEEEE10hipError_tPvRmT2_T3_mT4_P12ihipStream_tbEUlT_E_NS1_11comp_targetILNS1_3genE5ELNS1_11target_archE942ELNS1_3gpuE9ELNS1_3repE0EEENS1_30default_config_static_selectorELNS0_4arch9wavefront6targetE1EEEvT1_.kd
    .uniform_work_group_size: 1
    .uses_dynamic_stack: false
    .vgpr_count:     0
    .vgpr_spill_count: 0
    .wavefront_size: 64
  - .args:
      - .offset:         0
        .size:           56
        .value_kind:     by_value
    .group_segment_fixed_size: 0
    .kernarg_segment_align: 8
    .kernarg_segment_size: 56
    .language:       OpenCL C
    .language_version:
      - 2
      - 0
    .max_flat_workgroup_size: 512
    .name:           _ZN7rocprim17ROCPRIM_400000_NS6detail17trampoline_kernelINS0_14default_configENS1_35adjacent_difference_config_selectorILb1EfEEZNS1_24adjacent_difference_implIS3_Lb1ELb0EPKfPfN6thrust23THRUST_200600_302600_NS4plusIfEEEE10hipError_tPvRmT2_T3_mT4_P12ihipStream_tbEUlT_E_NS1_11comp_targetILNS1_3genE4ELNS1_11target_archE910ELNS1_3gpuE8ELNS1_3repE0EEENS1_30default_config_static_selectorELNS0_4arch9wavefront6targetE1EEEvT1_
    .private_segment_fixed_size: 0
    .sgpr_count:     4
    .sgpr_spill_count: 0
    .symbol:         _ZN7rocprim17ROCPRIM_400000_NS6detail17trampoline_kernelINS0_14default_configENS1_35adjacent_difference_config_selectorILb1EfEEZNS1_24adjacent_difference_implIS3_Lb1ELb0EPKfPfN6thrust23THRUST_200600_302600_NS4plusIfEEEE10hipError_tPvRmT2_T3_mT4_P12ihipStream_tbEUlT_E_NS1_11comp_targetILNS1_3genE4ELNS1_11target_archE910ELNS1_3gpuE8ELNS1_3repE0EEENS1_30default_config_static_selectorELNS0_4arch9wavefront6targetE1EEEvT1_.kd
    .uniform_work_group_size: 1
    .uses_dynamic_stack: false
    .vgpr_count:     0
    .vgpr_spill_count: 0
    .wavefront_size: 64
  - .args:
      - .offset:         0
        .size:           56
        .value_kind:     by_value
    .group_segment_fixed_size: 0
    .kernarg_segment_align: 8
    .kernarg_segment_size: 56
    .language:       OpenCL C
    .language_version:
      - 2
      - 0
    .max_flat_workgroup_size: 1024
    .name:           _ZN7rocprim17ROCPRIM_400000_NS6detail17trampoline_kernelINS0_14default_configENS1_35adjacent_difference_config_selectorILb1EfEEZNS1_24adjacent_difference_implIS3_Lb1ELb0EPKfPfN6thrust23THRUST_200600_302600_NS4plusIfEEEE10hipError_tPvRmT2_T3_mT4_P12ihipStream_tbEUlT_E_NS1_11comp_targetILNS1_3genE3ELNS1_11target_archE908ELNS1_3gpuE7ELNS1_3repE0EEENS1_30default_config_static_selectorELNS0_4arch9wavefront6targetE1EEEvT1_
    .private_segment_fixed_size: 0
    .sgpr_count:     4
    .sgpr_spill_count: 0
    .symbol:         _ZN7rocprim17ROCPRIM_400000_NS6detail17trampoline_kernelINS0_14default_configENS1_35adjacent_difference_config_selectorILb1EfEEZNS1_24adjacent_difference_implIS3_Lb1ELb0EPKfPfN6thrust23THRUST_200600_302600_NS4plusIfEEEE10hipError_tPvRmT2_T3_mT4_P12ihipStream_tbEUlT_E_NS1_11comp_targetILNS1_3genE3ELNS1_11target_archE908ELNS1_3gpuE7ELNS1_3repE0EEENS1_30default_config_static_selectorELNS0_4arch9wavefront6targetE1EEEvT1_.kd
    .uniform_work_group_size: 1
    .uses_dynamic_stack: false
    .vgpr_count:     0
    .vgpr_spill_count: 0
    .wavefront_size: 64
  - .args:
      - .offset:         0
        .size:           56
        .value_kind:     by_value
    .group_segment_fixed_size: 11264
    .kernarg_segment_align: 8
    .kernarg_segment_size: 56
    .language:       OpenCL C
    .language_version:
      - 2
      - 0
    .max_flat_workgroup_size: 256
    .name:           _ZN7rocprim17ROCPRIM_400000_NS6detail17trampoline_kernelINS0_14default_configENS1_35adjacent_difference_config_selectorILb1EfEEZNS1_24adjacent_difference_implIS3_Lb1ELb0EPKfPfN6thrust23THRUST_200600_302600_NS4plusIfEEEE10hipError_tPvRmT2_T3_mT4_P12ihipStream_tbEUlT_E_NS1_11comp_targetILNS1_3genE2ELNS1_11target_archE906ELNS1_3gpuE6ELNS1_3repE0EEENS1_30default_config_static_selectorELNS0_4arch9wavefront6targetE1EEEvT1_
    .private_segment_fixed_size: 0
    .sgpr_count:     36
    .sgpr_spill_count: 0
    .symbol:         _ZN7rocprim17ROCPRIM_400000_NS6detail17trampoline_kernelINS0_14default_configENS1_35adjacent_difference_config_selectorILb1EfEEZNS1_24adjacent_difference_implIS3_Lb1ELb0EPKfPfN6thrust23THRUST_200600_302600_NS4plusIfEEEE10hipError_tPvRmT2_T3_mT4_P12ihipStream_tbEUlT_E_NS1_11comp_targetILNS1_3genE2ELNS1_11target_archE906ELNS1_3gpuE6ELNS1_3repE0EEENS1_30default_config_static_selectorELNS0_4arch9wavefront6targetE1EEEvT1_.kd
    .uniform_work_group_size: 1
    .uses_dynamic_stack: false
    .vgpr_count:     27
    .vgpr_spill_count: 0
    .wavefront_size: 64
  - .args:
      - .offset:         0
        .size:           56
        .value_kind:     by_value
    .group_segment_fixed_size: 0
    .kernarg_segment_align: 8
    .kernarg_segment_size: 56
    .language:       OpenCL C
    .language_version:
      - 2
      - 0
    .max_flat_workgroup_size: 128
    .name:           _ZN7rocprim17ROCPRIM_400000_NS6detail17trampoline_kernelINS0_14default_configENS1_35adjacent_difference_config_selectorILb1EfEEZNS1_24adjacent_difference_implIS3_Lb1ELb0EPKfPfN6thrust23THRUST_200600_302600_NS4plusIfEEEE10hipError_tPvRmT2_T3_mT4_P12ihipStream_tbEUlT_E_NS1_11comp_targetILNS1_3genE9ELNS1_11target_archE1100ELNS1_3gpuE3ELNS1_3repE0EEENS1_30default_config_static_selectorELNS0_4arch9wavefront6targetE1EEEvT1_
    .private_segment_fixed_size: 0
    .sgpr_count:     4
    .sgpr_spill_count: 0
    .symbol:         _ZN7rocprim17ROCPRIM_400000_NS6detail17trampoline_kernelINS0_14default_configENS1_35adjacent_difference_config_selectorILb1EfEEZNS1_24adjacent_difference_implIS3_Lb1ELb0EPKfPfN6thrust23THRUST_200600_302600_NS4plusIfEEEE10hipError_tPvRmT2_T3_mT4_P12ihipStream_tbEUlT_E_NS1_11comp_targetILNS1_3genE9ELNS1_11target_archE1100ELNS1_3gpuE3ELNS1_3repE0EEENS1_30default_config_static_selectorELNS0_4arch9wavefront6targetE1EEEvT1_.kd
    .uniform_work_group_size: 1
    .uses_dynamic_stack: false
    .vgpr_count:     0
    .vgpr_spill_count: 0
    .wavefront_size: 64
  - .args:
      - .offset:         0
        .size:           56
        .value_kind:     by_value
    .group_segment_fixed_size: 0
    .kernarg_segment_align: 8
    .kernarg_segment_size: 56
    .language:       OpenCL C
    .language_version:
      - 2
      - 0
    .max_flat_workgroup_size: 32
    .name:           _ZN7rocprim17ROCPRIM_400000_NS6detail17trampoline_kernelINS0_14default_configENS1_35adjacent_difference_config_selectorILb1EfEEZNS1_24adjacent_difference_implIS3_Lb1ELb0EPKfPfN6thrust23THRUST_200600_302600_NS4plusIfEEEE10hipError_tPvRmT2_T3_mT4_P12ihipStream_tbEUlT_E_NS1_11comp_targetILNS1_3genE8ELNS1_11target_archE1030ELNS1_3gpuE2ELNS1_3repE0EEENS1_30default_config_static_selectorELNS0_4arch9wavefront6targetE1EEEvT1_
    .private_segment_fixed_size: 0
    .sgpr_count:     4
    .sgpr_spill_count: 0
    .symbol:         _ZN7rocprim17ROCPRIM_400000_NS6detail17trampoline_kernelINS0_14default_configENS1_35adjacent_difference_config_selectorILb1EfEEZNS1_24adjacent_difference_implIS3_Lb1ELb0EPKfPfN6thrust23THRUST_200600_302600_NS4plusIfEEEE10hipError_tPvRmT2_T3_mT4_P12ihipStream_tbEUlT_E_NS1_11comp_targetILNS1_3genE8ELNS1_11target_archE1030ELNS1_3gpuE2ELNS1_3repE0EEENS1_30default_config_static_selectorELNS0_4arch9wavefront6targetE1EEEvT1_.kd
    .uniform_work_group_size: 1
    .uses_dynamic_stack: false
    .vgpr_count:     0
    .vgpr_spill_count: 0
    .wavefront_size: 64
  - .args:
      - .offset:         0
        .size:           56
        .value_kind:     by_value
    .group_segment_fixed_size: 0
    .kernarg_segment_align: 8
    .kernarg_segment_size: 56
    .language:       OpenCL C
    .language_version:
      - 2
      - 0
    .max_flat_workgroup_size: 128
    .name:           _ZN7rocprim17ROCPRIM_400000_NS6detail17trampoline_kernelINS0_14default_configENS1_35adjacent_difference_config_selectorILb0EyEEZNS1_24adjacent_difference_implIS3_Lb0ELb0EPKyPyN6thrust23THRUST_200600_302600_NS4plusIyEEEE10hipError_tPvRmT2_T3_mT4_P12ihipStream_tbEUlT_E_NS1_11comp_targetILNS1_3genE0ELNS1_11target_archE4294967295ELNS1_3gpuE0ELNS1_3repE0EEENS1_30default_config_static_selectorELNS0_4arch9wavefront6targetE1EEEvT1_
    .private_segment_fixed_size: 0
    .sgpr_count:     4
    .sgpr_spill_count: 0
    .symbol:         _ZN7rocprim17ROCPRIM_400000_NS6detail17trampoline_kernelINS0_14default_configENS1_35adjacent_difference_config_selectorILb0EyEEZNS1_24adjacent_difference_implIS3_Lb0ELb0EPKyPyN6thrust23THRUST_200600_302600_NS4plusIyEEEE10hipError_tPvRmT2_T3_mT4_P12ihipStream_tbEUlT_E_NS1_11comp_targetILNS1_3genE0ELNS1_11target_archE4294967295ELNS1_3gpuE0ELNS1_3repE0EEENS1_30default_config_static_selectorELNS0_4arch9wavefront6targetE1EEEvT1_.kd
    .uniform_work_group_size: 1
    .uses_dynamic_stack: false
    .vgpr_count:     0
    .vgpr_spill_count: 0
    .wavefront_size: 64
  - .args:
      - .offset:         0
        .size:           56
        .value_kind:     by_value
    .group_segment_fixed_size: 0
    .kernarg_segment_align: 8
    .kernarg_segment_size: 56
    .language:       OpenCL C
    .language_version:
      - 2
      - 0
    .max_flat_workgroup_size: 128
    .name:           _ZN7rocprim17ROCPRIM_400000_NS6detail17trampoline_kernelINS0_14default_configENS1_35adjacent_difference_config_selectorILb0EyEEZNS1_24adjacent_difference_implIS3_Lb0ELb0EPKyPyN6thrust23THRUST_200600_302600_NS4plusIyEEEE10hipError_tPvRmT2_T3_mT4_P12ihipStream_tbEUlT_E_NS1_11comp_targetILNS1_3genE10ELNS1_11target_archE1201ELNS1_3gpuE5ELNS1_3repE0EEENS1_30default_config_static_selectorELNS0_4arch9wavefront6targetE1EEEvT1_
    .private_segment_fixed_size: 0
    .sgpr_count:     4
    .sgpr_spill_count: 0
    .symbol:         _ZN7rocprim17ROCPRIM_400000_NS6detail17trampoline_kernelINS0_14default_configENS1_35adjacent_difference_config_selectorILb0EyEEZNS1_24adjacent_difference_implIS3_Lb0ELb0EPKyPyN6thrust23THRUST_200600_302600_NS4plusIyEEEE10hipError_tPvRmT2_T3_mT4_P12ihipStream_tbEUlT_E_NS1_11comp_targetILNS1_3genE10ELNS1_11target_archE1201ELNS1_3gpuE5ELNS1_3repE0EEENS1_30default_config_static_selectorELNS0_4arch9wavefront6targetE1EEEvT1_.kd
    .uniform_work_group_size: 1
    .uses_dynamic_stack: false
    .vgpr_count:     0
    .vgpr_spill_count: 0
    .wavefront_size: 64
  - .args:
      - .offset:         0
        .size:           56
        .value_kind:     by_value
    .group_segment_fixed_size: 0
    .kernarg_segment_align: 8
    .kernarg_segment_size: 56
    .language:       OpenCL C
    .language_version:
      - 2
      - 0
    .max_flat_workgroup_size: 64
    .name:           _ZN7rocprim17ROCPRIM_400000_NS6detail17trampoline_kernelINS0_14default_configENS1_35adjacent_difference_config_selectorILb0EyEEZNS1_24adjacent_difference_implIS3_Lb0ELb0EPKyPyN6thrust23THRUST_200600_302600_NS4plusIyEEEE10hipError_tPvRmT2_T3_mT4_P12ihipStream_tbEUlT_E_NS1_11comp_targetILNS1_3genE5ELNS1_11target_archE942ELNS1_3gpuE9ELNS1_3repE0EEENS1_30default_config_static_selectorELNS0_4arch9wavefront6targetE1EEEvT1_
    .private_segment_fixed_size: 0
    .sgpr_count:     4
    .sgpr_spill_count: 0
    .symbol:         _ZN7rocprim17ROCPRIM_400000_NS6detail17trampoline_kernelINS0_14default_configENS1_35adjacent_difference_config_selectorILb0EyEEZNS1_24adjacent_difference_implIS3_Lb0ELb0EPKyPyN6thrust23THRUST_200600_302600_NS4plusIyEEEE10hipError_tPvRmT2_T3_mT4_P12ihipStream_tbEUlT_E_NS1_11comp_targetILNS1_3genE5ELNS1_11target_archE942ELNS1_3gpuE9ELNS1_3repE0EEENS1_30default_config_static_selectorELNS0_4arch9wavefront6targetE1EEEvT1_.kd
    .uniform_work_group_size: 1
    .uses_dynamic_stack: false
    .vgpr_count:     0
    .vgpr_spill_count: 0
    .wavefront_size: 64
  - .args:
      - .offset:         0
        .size:           56
        .value_kind:     by_value
    .group_segment_fixed_size: 0
    .kernarg_segment_align: 8
    .kernarg_segment_size: 56
    .language:       OpenCL C
    .language_version:
      - 2
      - 0
    .max_flat_workgroup_size: 256
    .name:           _ZN7rocprim17ROCPRIM_400000_NS6detail17trampoline_kernelINS0_14default_configENS1_35adjacent_difference_config_selectorILb0EyEEZNS1_24adjacent_difference_implIS3_Lb0ELb0EPKyPyN6thrust23THRUST_200600_302600_NS4plusIyEEEE10hipError_tPvRmT2_T3_mT4_P12ihipStream_tbEUlT_E_NS1_11comp_targetILNS1_3genE4ELNS1_11target_archE910ELNS1_3gpuE8ELNS1_3repE0EEENS1_30default_config_static_selectorELNS0_4arch9wavefront6targetE1EEEvT1_
    .private_segment_fixed_size: 0
    .sgpr_count:     4
    .sgpr_spill_count: 0
    .symbol:         _ZN7rocprim17ROCPRIM_400000_NS6detail17trampoline_kernelINS0_14default_configENS1_35adjacent_difference_config_selectorILb0EyEEZNS1_24adjacent_difference_implIS3_Lb0ELb0EPKyPyN6thrust23THRUST_200600_302600_NS4plusIyEEEE10hipError_tPvRmT2_T3_mT4_P12ihipStream_tbEUlT_E_NS1_11comp_targetILNS1_3genE4ELNS1_11target_archE910ELNS1_3gpuE8ELNS1_3repE0EEENS1_30default_config_static_selectorELNS0_4arch9wavefront6targetE1EEEvT1_.kd
    .uniform_work_group_size: 1
    .uses_dynamic_stack: false
    .vgpr_count:     0
    .vgpr_spill_count: 0
    .wavefront_size: 64
  - .args:
      - .offset:         0
        .size:           56
        .value_kind:     by_value
    .group_segment_fixed_size: 0
    .kernarg_segment_align: 8
    .kernarg_segment_size: 56
    .language:       OpenCL C
    .language_version:
      - 2
      - 0
    .max_flat_workgroup_size: 128
    .name:           _ZN7rocprim17ROCPRIM_400000_NS6detail17trampoline_kernelINS0_14default_configENS1_35adjacent_difference_config_selectorILb0EyEEZNS1_24adjacent_difference_implIS3_Lb0ELb0EPKyPyN6thrust23THRUST_200600_302600_NS4plusIyEEEE10hipError_tPvRmT2_T3_mT4_P12ihipStream_tbEUlT_E_NS1_11comp_targetILNS1_3genE3ELNS1_11target_archE908ELNS1_3gpuE7ELNS1_3repE0EEENS1_30default_config_static_selectorELNS0_4arch9wavefront6targetE1EEEvT1_
    .private_segment_fixed_size: 0
    .sgpr_count:     4
    .sgpr_spill_count: 0
    .symbol:         _ZN7rocprim17ROCPRIM_400000_NS6detail17trampoline_kernelINS0_14default_configENS1_35adjacent_difference_config_selectorILb0EyEEZNS1_24adjacent_difference_implIS3_Lb0ELb0EPKyPyN6thrust23THRUST_200600_302600_NS4plusIyEEEE10hipError_tPvRmT2_T3_mT4_P12ihipStream_tbEUlT_E_NS1_11comp_targetILNS1_3genE3ELNS1_11target_archE908ELNS1_3gpuE7ELNS1_3repE0EEENS1_30default_config_static_selectorELNS0_4arch9wavefront6targetE1EEEvT1_.kd
    .uniform_work_group_size: 1
    .uses_dynamic_stack: false
    .vgpr_count:     0
    .vgpr_spill_count: 0
    .wavefront_size: 64
  - .args:
      - .offset:         0
        .size:           56
        .value_kind:     by_value
    .group_segment_fixed_size: 2112
    .kernarg_segment_align: 8
    .kernarg_segment_size: 56
    .language:       OpenCL C
    .language_version:
      - 2
      - 0
    .max_flat_workgroup_size: 128
    .name:           _ZN7rocprim17ROCPRIM_400000_NS6detail17trampoline_kernelINS0_14default_configENS1_35adjacent_difference_config_selectorILb0EyEEZNS1_24adjacent_difference_implIS3_Lb0ELb0EPKyPyN6thrust23THRUST_200600_302600_NS4plusIyEEEE10hipError_tPvRmT2_T3_mT4_P12ihipStream_tbEUlT_E_NS1_11comp_targetILNS1_3genE2ELNS1_11target_archE906ELNS1_3gpuE6ELNS1_3repE0EEENS1_30default_config_static_selectorELNS0_4arch9wavefront6targetE1EEEvT1_
    .private_segment_fixed_size: 0
    .sgpr_count:     26
    .sgpr_spill_count: 0
    .symbol:         _ZN7rocprim17ROCPRIM_400000_NS6detail17trampoline_kernelINS0_14default_configENS1_35adjacent_difference_config_selectorILb0EyEEZNS1_24adjacent_difference_implIS3_Lb0ELb0EPKyPyN6thrust23THRUST_200600_302600_NS4plusIyEEEE10hipError_tPvRmT2_T3_mT4_P12ihipStream_tbEUlT_E_NS1_11comp_targetILNS1_3genE2ELNS1_11target_archE906ELNS1_3gpuE6ELNS1_3repE0EEENS1_30default_config_static_selectorELNS0_4arch9wavefront6targetE1EEEvT1_.kd
    .uniform_work_group_size: 1
    .uses_dynamic_stack: false
    .vgpr_count:     15
    .vgpr_spill_count: 0
    .wavefront_size: 64
  - .args:
      - .offset:         0
        .size:           56
        .value_kind:     by_value
    .group_segment_fixed_size: 0
    .kernarg_segment_align: 8
    .kernarg_segment_size: 56
    .language:       OpenCL C
    .language_version:
      - 2
      - 0
    .max_flat_workgroup_size: 512
    .name:           _ZN7rocprim17ROCPRIM_400000_NS6detail17trampoline_kernelINS0_14default_configENS1_35adjacent_difference_config_selectorILb0EyEEZNS1_24adjacent_difference_implIS3_Lb0ELb0EPKyPyN6thrust23THRUST_200600_302600_NS4plusIyEEEE10hipError_tPvRmT2_T3_mT4_P12ihipStream_tbEUlT_E_NS1_11comp_targetILNS1_3genE9ELNS1_11target_archE1100ELNS1_3gpuE3ELNS1_3repE0EEENS1_30default_config_static_selectorELNS0_4arch9wavefront6targetE1EEEvT1_
    .private_segment_fixed_size: 0
    .sgpr_count:     4
    .sgpr_spill_count: 0
    .symbol:         _ZN7rocprim17ROCPRIM_400000_NS6detail17trampoline_kernelINS0_14default_configENS1_35adjacent_difference_config_selectorILb0EyEEZNS1_24adjacent_difference_implIS3_Lb0ELb0EPKyPyN6thrust23THRUST_200600_302600_NS4plusIyEEEE10hipError_tPvRmT2_T3_mT4_P12ihipStream_tbEUlT_E_NS1_11comp_targetILNS1_3genE9ELNS1_11target_archE1100ELNS1_3gpuE3ELNS1_3repE0EEENS1_30default_config_static_selectorELNS0_4arch9wavefront6targetE1EEEvT1_.kd
    .uniform_work_group_size: 1
    .uses_dynamic_stack: false
    .vgpr_count:     0
    .vgpr_spill_count: 0
    .wavefront_size: 64
  - .args:
      - .offset:         0
        .size:           56
        .value_kind:     by_value
    .group_segment_fixed_size: 0
    .kernarg_segment_align: 8
    .kernarg_segment_size: 56
    .language:       OpenCL C
    .language_version:
      - 2
      - 0
    .max_flat_workgroup_size: 1024
    .name:           _ZN7rocprim17ROCPRIM_400000_NS6detail17trampoline_kernelINS0_14default_configENS1_35adjacent_difference_config_selectorILb0EyEEZNS1_24adjacent_difference_implIS3_Lb0ELb0EPKyPyN6thrust23THRUST_200600_302600_NS4plusIyEEEE10hipError_tPvRmT2_T3_mT4_P12ihipStream_tbEUlT_E_NS1_11comp_targetILNS1_3genE8ELNS1_11target_archE1030ELNS1_3gpuE2ELNS1_3repE0EEENS1_30default_config_static_selectorELNS0_4arch9wavefront6targetE1EEEvT1_
    .private_segment_fixed_size: 0
    .sgpr_count:     4
    .sgpr_spill_count: 0
    .symbol:         _ZN7rocprim17ROCPRIM_400000_NS6detail17trampoline_kernelINS0_14default_configENS1_35adjacent_difference_config_selectorILb0EyEEZNS1_24adjacent_difference_implIS3_Lb0ELb0EPKyPyN6thrust23THRUST_200600_302600_NS4plusIyEEEE10hipError_tPvRmT2_T3_mT4_P12ihipStream_tbEUlT_E_NS1_11comp_targetILNS1_3genE8ELNS1_11target_archE1030ELNS1_3gpuE2ELNS1_3repE0EEENS1_30default_config_static_selectorELNS0_4arch9wavefront6targetE1EEEvT1_.kd
    .uniform_work_group_size: 1
    .uses_dynamic_stack: false
    .vgpr_count:     0
    .vgpr_spill_count: 0
    .wavefront_size: 64
  - .args:
      - .offset:         0
        .size:           56
        .value_kind:     by_value
    .group_segment_fixed_size: 0
    .kernarg_segment_align: 8
    .kernarg_segment_size: 56
    .language:       OpenCL C
    .language_version:
      - 2
      - 0
    .max_flat_workgroup_size: 128
    .name:           _ZN7rocprim17ROCPRIM_400000_NS6detail17trampoline_kernelINS0_14default_configENS1_25transform_config_selectorIyLb0EEEZNS1_14transform_implILb0ES3_S5_NS0_18transform_iteratorINS0_17counting_iteratorImlEEZNS1_24adjacent_difference_implIS3_Lb1ELb0EPKyPyN6thrust23THRUST_200600_302600_NS4plusIyEEEE10hipError_tPvRmT2_T3_mT4_P12ihipStream_tbEUlmE_yEESD_NS0_8identityIvEEEESI_SL_SM_mSN_SP_bEUlT_E_NS1_11comp_targetILNS1_3genE0ELNS1_11target_archE4294967295ELNS1_3gpuE0ELNS1_3repE0EEENS1_30default_config_static_selectorELNS0_4arch9wavefront6targetE1EEEvT1_
    .private_segment_fixed_size: 0
    .sgpr_count:     4
    .sgpr_spill_count: 0
    .symbol:         _ZN7rocprim17ROCPRIM_400000_NS6detail17trampoline_kernelINS0_14default_configENS1_25transform_config_selectorIyLb0EEEZNS1_14transform_implILb0ES3_S5_NS0_18transform_iteratorINS0_17counting_iteratorImlEEZNS1_24adjacent_difference_implIS3_Lb1ELb0EPKyPyN6thrust23THRUST_200600_302600_NS4plusIyEEEE10hipError_tPvRmT2_T3_mT4_P12ihipStream_tbEUlmE_yEESD_NS0_8identityIvEEEESI_SL_SM_mSN_SP_bEUlT_E_NS1_11comp_targetILNS1_3genE0ELNS1_11target_archE4294967295ELNS1_3gpuE0ELNS1_3repE0EEENS1_30default_config_static_selectorELNS0_4arch9wavefront6targetE1EEEvT1_.kd
    .uniform_work_group_size: 1
    .uses_dynamic_stack: false
    .vgpr_count:     0
    .vgpr_spill_count: 0
    .wavefront_size: 64
  - .args:
      - .offset:         0
        .size:           56
        .value_kind:     by_value
    .group_segment_fixed_size: 0
    .kernarg_segment_align: 8
    .kernarg_segment_size: 56
    .language:       OpenCL C
    .language_version:
      - 2
      - 0
    .max_flat_workgroup_size: 512
    .name:           _ZN7rocprim17ROCPRIM_400000_NS6detail17trampoline_kernelINS0_14default_configENS1_25transform_config_selectorIyLb0EEEZNS1_14transform_implILb0ES3_S5_NS0_18transform_iteratorINS0_17counting_iteratorImlEEZNS1_24adjacent_difference_implIS3_Lb1ELb0EPKyPyN6thrust23THRUST_200600_302600_NS4plusIyEEEE10hipError_tPvRmT2_T3_mT4_P12ihipStream_tbEUlmE_yEESD_NS0_8identityIvEEEESI_SL_SM_mSN_SP_bEUlT_E_NS1_11comp_targetILNS1_3genE5ELNS1_11target_archE942ELNS1_3gpuE9ELNS1_3repE0EEENS1_30default_config_static_selectorELNS0_4arch9wavefront6targetE1EEEvT1_
    .private_segment_fixed_size: 0
    .sgpr_count:     4
    .sgpr_spill_count: 0
    .symbol:         _ZN7rocprim17ROCPRIM_400000_NS6detail17trampoline_kernelINS0_14default_configENS1_25transform_config_selectorIyLb0EEEZNS1_14transform_implILb0ES3_S5_NS0_18transform_iteratorINS0_17counting_iteratorImlEEZNS1_24adjacent_difference_implIS3_Lb1ELb0EPKyPyN6thrust23THRUST_200600_302600_NS4plusIyEEEE10hipError_tPvRmT2_T3_mT4_P12ihipStream_tbEUlmE_yEESD_NS0_8identityIvEEEESI_SL_SM_mSN_SP_bEUlT_E_NS1_11comp_targetILNS1_3genE5ELNS1_11target_archE942ELNS1_3gpuE9ELNS1_3repE0EEENS1_30default_config_static_selectorELNS0_4arch9wavefront6targetE1EEEvT1_.kd
    .uniform_work_group_size: 1
    .uses_dynamic_stack: false
    .vgpr_count:     0
    .vgpr_spill_count: 0
    .wavefront_size: 64
  - .args:
      - .offset:         0
        .size:           56
        .value_kind:     by_value
    .group_segment_fixed_size: 0
    .kernarg_segment_align: 8
    .kernarg_segment_size: 56
    .language:       OpenCL C
    .language_version:
      - 2
      - 0
    .max_flat_workgroup_size: 256
    .name:           _ZN7rocprim17ROCPRIM_400000_NS6detail17trampoline_kernelINS0_14default_configENS1_25transform_config_selectorIyLb0EEEZNS1_14transform_implILb0ES3_S5_NS0_18transform_iteratorINS0_17counting_iteratorImlEEZNS1_24adjacent_difference_implIS3_Lb1ELb0EPKyPyN6thrust23THRUST_200600_302600_NS4plusIyEEEE10hipError_tPvRmT2_T3_mT4_P12ihipStream_tbEUlmE_yEESD_NS0_8identityIvEEEESI_SL_SM_mSN_SP_bEUlT_E_NS1_11comp_targetILNS1_3genE4ELNS1_11target_archE910ELNS1_3gpuE8ELNS1_3repE0EEENS1_30default_config_static_selectorELNS0_4arch9wavefront6targetE1EEEvT1_
    .private_segment_fixed_size: 0
    .sgpr_count:     4
    .sgpr_spill_count: 0
    .symbol:         _ZN7rocprim17ROCPRIM_400000_NS6detail17trampoline_kernelINS0_14default_configENS1_25transform_config_selectorIyLb0EEEZNS1_14transform_implILb0ES3_S5_NS0_18transform_iteratorINS0_17counting_iteratorImlEEZNS1_24adjacent_difference_implIS3_Lb1ELb0EPKyPyN6thrust23THRUST_200600_302600_NS4plusIyEEEE10hipError_tPvRmT2_T3_mT4_P12ihipStream_tbEUlmE_yEESD_NS0_8identityIvEEEESI_SL_SM_mSN_SP_bEUlT_E_NS1_11comp_targetILNS1_3genE4ELNS1_11target_archE910ELNS1_3gpuE8ELNS1_3repE0EEENS1_30default_config_static_selectorELNS0_4arch9wavefront6targetE1EEEvT1_.kd
    .uniform_work_group_size: 1
    .uses_dynamic_stack: false
    .vgpr_count:     0
    .vgpr_spill_count: 0
    .wavefront_size: 64
  - .args:
      - .offset:         0
        .size:           56
        .value_kind:     by_value
    .group_segment_fixed_size: 0
    .kernarg_segment_align: 8
    .kernarg_segment_size: 56
    .language:       OpenCL C
    .language_version:
      - 2
      - 0
    .max_flat_workgroup_size: 128
    .name:           _ZN7rocprim17ROCPRIM_400000_NS6detail17trampoline_kernelINS0_14default_configENS1_25transform_config_selectorIyLb0EEEZNS1_14transform_implILb0ES3_S5_NS0_18transform_iteratorINS0_17counting_iteratorImlEEZNS1_24adjacent_difference_implIS3_Lb1ELb0EPKyPyN6thrust23THRUST_200600_302600_NS4plusIyEEEE10hipError_tPvRmT2_T3_mT4_P12ihipStream_tbEUlmE_yEESD_NS0_8identityIvEEEESI_SL_SM_mSN_SP_bEUlT_E_NS1_11comp_targetILNS1_3genE3ELNS1_11target_archE908ELNS1_3gpuE7ELNS1_3repE0EEENS1_30default_config_static_selectorELNS0_4arch9wavefront6targetE1EEEvT1_
    .private_segment_fixed_size: 0
    .sgpr_count:     4
    .sgpr_spill_count: 0
    .symbol:         _ZN7rocprim17ROCPRIM_400000_NS6detail17trampoline_kernelINS0_14default_configENS1_25transform_config_selectorIyLb0EEEZNS1_14transform_implILb0ES3_S5_NS0_18transform_iteratorINS0_17counting_iteratorImlEEZNS1_24adjacent_difference_implIS3_Lb1ELb0EPKyPyN6thrust23THRUST_200600_302600_NS4plusIyEEEE10hipError_tPvRmT2_T3_mT4_P12ihipStream_tbEUlmE_yEESD_NS0_8identityIvEEEESI_SL_SM_mSN_SP_bEUlT_E_NS1_11comp_targetILNS1_3genE3ELNS1_11target_archE908ELNS1_3gpuE7ELNS1_3repE0EEENS1_30default_config_static_selectorELNS0_4arch9wavefront6targetE1EEEvT1_.kd
    .uniform_work_group_size: 1
    .uses_dynamic_stack: false
    .vgpr_count:     0
    .vgpr_spill_count: 0
    .wavefront_size: 64
  - .args:
      - .offset:         0
        .size:           56
        .value_kind:     by_value
      - .offset:         56
        .size:           4
        .value_kind:     hidden_block_count_x
      - .offset:         60
        .size:           4
        .value_kind:     hidden_block_count_y
      - .offset:         64
        .size:           4
        .value_kind:     hidden_block_count_z
      - .offset:         68
        .size:           2
        .value_kind:     hidden_group_size_x
      - .offset:         70
        .size:           2
        .value_kind:     hidden_group_size_y
      - .offset:         72
        .size:           2
        .value_kind:     hidden_group_size_z
      - .offset:         74
        .size:           2
        .value_kind:     hidden_remainder_x
      - .offset:         76
        .size:           2
        .value_kind:     hidden_remainder_y
      - .offset:         78
        .size:           2
        .value_kind:     hidden_remainder_z
      - .offset:         96
        .size:           8
        .value_kind:     hidden_global_offset_x
      - .offset:         104
        .size:           8
        .value_kind:     hidden_global_offset_y
      - .offset:         112
        .size:           8
        .value_kind:     hidden_global_offset_z
      - .offset:         120
        .size:           2
        .value_kind:     hidden_grid_dims
    .group_segment_fixed_size: 0
    .kernarg_segment_align: 8
    .kernarg_segment_size: 312
    .language:       OpenCL C
    .language_version:
      - 2
      - 0
    .max_flat_workgroup_size: 512
    .name:           _ZN7rocprim17ROCPRIM_400000_NS6detail17trampoline_kernelINS0_14default_configENS1_25transform_config_selectorIyLb0EEEZNS1_14transform_implILb0ES3_S5_NS0_18transform_iteratorINS0_17counting_iteratorImlEEZNS1_24adjacent_difference_implIS3_Lb1ELb0EPKyPyN6thrust23THRUST_200600_302600_NS4plusIyEEEE10hipError_tPvRmT2_T3_mT4_P12ihipStream_tbEUlmE_yEESD_NS0_8identityIvEEEESI_SL_SM_mSN_SP_bEUlT_E_NS1_11comp_targetILNS1_3genE2ELNS1_11target_archE906ELNS1_3gpuE6ELNS1_3repE0EEENS1_30default_config_static_selectorELNS0_4arch9wavefront6targetE1EEEvT1_
    .private_segment_fixed_size: 0
    .sgpr_count:     16
    .sgpr_spill_count: 0
    .symbol:         _ZN7rocprim17ROCPRIM_400000_NS6detail17trampoline_kernelINS0_14default_configENS1_25transform_config_selectorIyLb0EEEZNS1_14transform_implILb0ES3_S5_NS0_18transform_iteratorINS0_17counting_iteratorImlEEZNS1_24adjacent_difference_implIS3_Lb1ELb0EPKyPyN6thrust23THRUST_200600_302600_NS4plusIyEEEE10hipError_tPvRmT2_T3_mT4_P12ihipStream_tbEUlmE_yEESD_NS0_8identityIvEEEESI_SL_SM_mSN_SP_bEUlT_E_NS1_11comp_targetILNS1_3genE2ELNS1_11target_archE906ELNS1_3gpuE6ELNS1_3repE0EEENS1_30default_config_static_selectorELNS0_4arch9wavefront6targetE1EEEvT1_.kd
    .uniform_work_group_size: 1
    .uses_dynamic_stack: false
    .vgpr_count:     5
    .vgpr_spill_count: 0
    .wavefront_size: 64
  - .args:
      - .offset:         0
        .size:           56
        .value_kind:     by_value
    .group_segment_fixed_size: 0
    .kernarg_segment_align: 8
    .kernarg_segment_size: 56
    .language:       OpenCL C
    .language_version:
      - 2
      - 0
    .max_flat_workgroup_size: 1024
    .name:           _ZN7rocprim17ROCPRIM_400000_NS6detail17trampoline_kernelINS0_14default_configENS1_25transform_config_selectorIyLb0EEEZNS1_14transform_implILb0ES3_S5_NS0_18transform_iteratorINS0_17counting_iteratorImlEEZNS1_24adjacent_difference_implIS3_Lb1ELb0EPKyPyN6thrust23THRUST_200600_302600_NS4plusIyEEEE10hipError_tPvRmT2_T3_mT4_P12ihipStream_tbEUlmE_yEESD_NS0_8identityIvEEEESI_SL_SM_mSN_SP_bEUlT_E_NS1_11comp_targetILNS1_3genE10ELNS1_11target_archE1201ELNS1_3gpuE5ELNS1_3repE0EEENS1_30default_config_static_selectorELNS0_4arch9wavefront6targetE1EEEvT1_
    .private_segment_fixed_size: 0
    .sgpr_count:     4
    .sgpr_spill_count: 0
    .symbol:         _ZN7rocprim17ROCPRIM_400000_NS6detail17trampoline_kernelINS0_14default_configENS1_25transform_config_selectorIyLb0EEEZNS1_14transform_implILb0ES3_S5_NS0_18transform_iteratorINS0_17counting_iteratorImlEEZNS1_24adjacent_difference_implIS3_Lb1ELb0EPKyPyN6thrust23THRUST_200600_302600_NS4plusIyEEEE10hipError_tPvRmT2_T3_mT4_P12ihipStream_tbEUlmE_yEESD_NS0_8identityIvEEEESI_SL_SM_mSN_SP_bEUlT_E_NS1_11comp_targetILNS1_3genE10ELNS1_11target_archE1201ELNS1_3gpuE5ELNS1_3repE0EEENS1_30default_config_static_selectorELNS0_4arch9wavefront6targetE1EEEvT1_.kd
    .uniform_work_group_size: 1
    .uses_dynamic_stack: false
    .vgpr_count:     0
    .vgpr_spill_count: 0
    .wavefront_size: 64
  - .args:
      - .offset:         0
        .size:           56
        .value_kind:     by_value
    .group_segment_fixed_size: 0
    .kernarg_segment_align: 8
    .kernarg_segment_size: 56
    .language:       OpenCL C
    .language_version:
      - 2
      - 0
    .max_flat_workgroup_size: 512
    .name:           _ZN7rocprim17ROCPRIM_400000_NS6detail17trampoline_kernelINS0_14default_configENS1_25transform_config_selectorIyLb0EEEZNS1_14transform_implILb0ES3_S5_NS0_18transform_iteratorINS0_17counting_iteratorImlEEZNS1_24adjacent_difference_implIS3_Lb1ELb0EPKyPyN6thrust23THRUST_200600_302600_NS4plusIyEEEE10hipError_tPvRmT2_T3_mT4_P12ihipStream_tbEUlmE_yEESD_NS0_8identityIvEEEESI_SL_SM_mSN_SP_bEUlT_E_NS1_11comp_targetILNS1_3genE10ELNS1_11target_archE1200ELNS1_3gpuE4ELNS1_3repE0EEENS1_30default_config_static_selectorELNS0_4arch9wavefront6targetE1EEEvT1_
    .private_segment_fixed_size: 0
    .sgpr_count:     4
    .sgpr_spill_count: 0
    .symbol:         _ZN7rocprim17ROCPRIM_400000_NS6detail17trampoline_kernelINS0_14default_configENS1_25transform_config_selectorIyLb0EEEZNS1_14transform_implILb0ES3_S5_NS0_18transform_iteratorINS0_17counting_iteratorImlEEZNS1_24adjacent_difference_implIS3_Lb1ELb0EPKyPyN6thrust23THRUST_200600_302600_NS4plusIyEEEE10hipError_tPvRmT2_T3_mT4_P12ihipStream_tbEUlmE_yEESD_NS0_8identityIvEEEESI_SL_SM_mSN_SP_bEUlT_E_NS1_11comp_targetILNS1_3genE10ELNS1_11target_archE1200ELNS1_3gpuE4ELNS1_3repE0EEENS1_30default_config_static_selectorELNS0_4arch9wavefront6targetE1EEEvT1_.kd
    .uniform_work_group_size: 1
    .uses_dynamic_stack: false
    .vgpr_count:     0
    .vgpr_spill_count: 0
    .wavefront_size: 64
  - .args:
      - .offset:         0
        .size:           56
        .value_kind:     by_value
    .group_segment_fixed_size: 0
    .kernarg_segment_align: 8
    .kernarg_segment_size: 56
    .language:       OpenCL C
    .language_version:
      - 2
      - 0
    .max_flat_workgroup_size: 512
    .name:           _ZN7rocprim17ROCPRIM_400000_NS6detail17trampoline_kernelINS0_14default_configENS1_25transform_config_selectorIyLb0EEEZNS1_14transform_implILb0ES3_S5_NS0_18transform_iteratorINS0_17counting_iteratorImlEEZNS1_24adjacent_difference_implIS3_Lb1ELb0EPKyPyN6thrust23THRUST_200600_302600_NS4plusIyEEEE10hipError_tPvRmT2_T3_mT4_P12ihipStream_tbEUlmE_yEESD_NS0_8identityIvEEEESI_SL_SM_mSN_SP_bEUlT_E_NS1_11comp_targetILNS1_3genE9ELNS1_11target_archE1100ELNS1_3gpuE3ELNS1_3repE0EEENS1_30default_config_static_selectorELNS0_4arch9wavefront6targetE1EEEvT1_
    .private_segment_fixed_size: 0
    .sgpr_count:     4
    .sgpr_spill_count: 0
    .symbol:         _ZN7rocprim17ROCPRIM_400000_NS6detail17trampoline_kernelINS0_14default_configENS1_25transform_config_selectorIyLb0EEEZNS1_14transform_implILb0ES3_S5_NS0_18transform_iteratorINS0_17counting_iteratorImlEEZNS1_24adjacent_difference_implIS3_Lb1ELb0EPKyPyN6thrust23THRUST_200600_302600_NS4plusIyEEEE10hipError_tPvRmT2_T3_mT4_P12ihipStream_tbEUlmE_yEESD_NS0_8identityIvEEEESI_SL_SM_mSN_SP_bEUlT_E_NS1_11comp_targetILNS1_3genE9ELNS1_11target_archE1100ELNS1_3gpuE3ELNS1_3repE0EEENS1_30default_config_static_selectorELNS0_4arch9wavefront6targetE1EEEvT1_.kd
    .uniform_work_group_size: 1
    .uses_dynamic_stack: false
    .vgpr_count:     0
    .vgpr_spill_count: 0
    .wavefront_size: 64
  - .args:
      - .offset:         0
        .size:           56
        .value_kind:     by_value
    .group_segment_fixed_size: 0
    .kernarg_segment_align: 8
    .kernarg_segment_size: 56
    .language:       OpenCL C
    .language_version:
      - 2
      - 0
    .max_flat_workgroup_size: 512
    .name:           _ZN7rocprim17ROCPRIM_400000_NS6detail17trampoline_kernelINS0_14default_configENS1_25transform_config_selectorIyLb0EEEZNS1_14transform_implILb0ES3_S5_NS0_18transform_iteratorINS0_17counting_iteratorImlEEZNS1_24adjacent_difference_implIS3_Lb1ELb0EPKyPyN6thrust23THRUST_200600_302600_NS4plusIyEEEE10hipError_tPvRmT2_T3_mT4_P12ihipStream_tbEUlmE_yEESD_NS0_8identityIvEEEESI_SL_SM_mSN_SP_bEUlT_E_NS1_11comp_targetILNS1_3genE8ELNS1_11target_archE1030ELNS1_3gpuE2ELNS1_3repE0EEENS1_30default_config_static_selectorELNS0_4arch9wavefront6targetE1EEEvT1_
    .private_segment_fixed_size: 0
    .sgpr_count:     4
    .sgpr_spill_count: 0
    .symbol:         _ZN7rocprim17ROCPRIM_400000_NS6detail17trampoline_kernelINS0_14default_configENS1_25transform_config_selectorIyLb0EEEZNS1_14transform_implILb0ES3_S5_NS0_18transform_iteratorINS0_17counting_iteratorImlEEZNS1_24adjacent_difference_implIS3_Lb1ELb0EPKyPyN6thrust23THRUST_200600_302600_NS4plusIyEEEE10hipError_tPvRmT2_T3_mT4_P12ihipStream_tbEUlmE_yEESD_NS0_8identityIvEEEESI_SL_SM_mSN_SP_bEUlT_E_NS1_11comp_targetILNS1_3genE8ELNS1_11target_archE1030ELNS1_3gpuE2ELNS1_3repE0EEENS1_30default_config_static_selectorELNS0_4arch9wavefront6targetE1EEEvT1_.kd
    .uniform_work_group_size: 1
    .uses_dynamic_stack: false
    .vgpr_count:     0
    .vgpr_spill_count: 0
    .wavefront_size: 64
  - .args:
      - .offset:         0
        .size:           56
        .value_kind:     by_value
    .group_segment_fixed_size: 0
    .kernarg_segment_align: 8
    .kernarg_segment_size: 56
    .language:       OpenCL C
    .language_version:
      - 2
      - 0
    .max_flat_workgroup_size: 512
    .name:           _ZN7rocprim17ROCPRIM_400000_NS6detail17trampoline_kernelINS0_14default_configENS1_35adjacent_difference_config_selectorILb1EyEEZNS1_24adjacent_difference_implIS3_Lb1ELb0EPKyPyN6thrust23THRUST_200600_302600_NS4plusIyEEEE10hipError_tPvRmT2_T3_mT4_P12ihipStream_tbEUlT_E_NS1_11comp_targetILNS1_3genE0ELNS1_11target_archE4294967295ELNS1_3gpuE0ELNS1_3repE0EEENS1_30default_config_static_selectorELNS0_4arch9wavefront6targetE1EEEvT1_
    .private_segment_fixed_size: 0
    .sgpr_count:     4
    .sgpr_spill_count: 0
    .symbol:         _ZN7rocprim17ROCPRIM_400000_NS6detail17trampoline_kernelINS0_14default_configENS1_35adjacent_difference_config_selectorILb1EyEEZNS1_24adjacent_difference_implIS3_Lb1ELb0EPKyPyN6thrust23THRUST_200600_302600_NS4plusIyEEEE10hipError_tPvRmT2_T3_mT4_P12ihipStream_tbEUlT_E_NS1_11comp_targetILNS1_3genE0ELNS1_11target_archE4294967295ELNS1_3gpuE0ELNS1_3repE0EEENS1_30default_config_static_selectorELNS0_4arch9wavefront6targetE1EEEvT1_.kd
    .uniform_work_group_size: 1
    .uses_dynamic_stack: false
    .vgpr_count:     0
    .vgpr_spill_count: 0
    .wavefront_size: 64
  - .args:
      - .offset:         0
        .size:           56
        .value_kind:     by_value
    .group_segment_fixed_size: 0
    .kernarg_segment_align: 8
    .kernarg_segment_size: 56
    .language:       OpenCL C
    .language_version:
      - 2
      - 0
    .max_flat_workgroup_size: 32
    .name:           _ZN7rocprim17ROCPRIM_400000_NS6detail17trampoline_kernelINS0_14default_configENS1_35adjacent_difference_config_selectorILb1EyEEZNS1_24adjacent_difference_implIS3_Lb1ELb0EPKyPyN6thrust23THRUST_200600_302600_NS4plusIyEEEE10hipError_tPvRmT2_T3_mT4_P12ihipStream_tbEUlT_E_NS1_11comp_targetILNS1_3genE10ELNS1_11target_archE1201ELNS1_3gpuE5ELNS1_3repE0EEENS1_30default_config_static_selectorELNS0_4arch9wavefront6targetE1EEEvT1_
    .private_segment_fixed_size: 0
    .sgpr_count:     4
    .sgpr_spill_count: 0
    .symbol:         _ZN7rocprim17ROCPRIM_400000_NS6detail17trampoline_kernelINS0_14default_configENS1_35adjacent_difference_config_selectorILb1EyEEZNS1_24adjacent_difference_implIS3_Lb1ELb0EPKyPyN6thrust23THRUST_200600_302600_NS4plusIyEEEE10hipError_tPvRmT2_T3_mT4_P12ihipStream_tbEUlT_E_NS1_11comp_targetILNS1_3genE10ELNS1_11target_archE1201ELNS1_3gpuE5ELNS1_3repE0EEENS1_30default_config_static_selectorELNS0_4arch9wavefront6targetE1EEEvT1_.kd
    .uniform_work_group_size: 1
    .uses_dynamic_stack: false
    .vgpr_count:     0
    .vgpr_spill_count: 0
    .wavefront_size: 64
  - .args:
      - .offset:         0
        .size:           56
        .value_kind:     by_value
    .group_segment_fixed_size: 0
    .kernarg_segment_align: 8
    .kernarg_segment_size: 56
    .language:       OpenCL C
    .language_version:
      - 2
      - 0
    .max_flat_workgroup_size: 256
    .name:           _ZN7rocprim17ROCPRIM_400000_NS6detail17trampoline_kernelINS0_14default_configENS1_35adjacent_difference_config_selectorILb1EyEEZNS1_24adjacent_difference_implIS3_Lb1ELb0EPKyPyN6thrust23THRUST_200600_302600_NS4plusIyEEEE10hipError_tPvRmT2_T3_mT4_P12ihipStream_tbEUlT_E_NS1_11comp_targetILNS1_3genE5ELNS1_11target_archE942ELNS1_3gpuE9ELNS1_3repE0EEENS1_30default_config_static_selectorELNS0_4arch9wavefront6targetE1EEEvT1_
    .private_segment_fixed_size: 0
    .sgpr_count:     4
    .sgpr_spill_count: 0
    .symbol:         _ZN7rocprim17ROCPRIM_400000_NS6detail17trampoline_kernelINS0_14default_configENS1_35adjacent_difference_config_selectorILb1EyEEZNS1_24adjacent_difference_implIS3_Lb1ELb0EPKyPyN6thrust23THRUST_200600_302600_NS4plusIyEEEE10hipError_tPvRmT2_T3_mT4_P12ihipStream_tbEUlT_E_NS1_11comp_targetILNS1_3genE5ELNS1_11target_archE942ELNS1_3gpuE9ELNS1_3repE0EEENS1_30default_config_static_selectorELNS0_4arch9wavefront6targetE1EEEvT1_.kd
    .uniform_work_group_size: 1
    .uses_dynamic_stack: false
    .vgpr_count:     0
    .vgpr_spill_count: 0
    .wavefront_size: 64
  - .args:
      - .offset:         0
        .size:           56
        .value_kind:     by_value
    .group_segment_fixed_size: 0
    .kernarg_segment_align: 8
    .kernarg_segment_size: 56
    .language:       OpenCL C
    .language_version:
      - 2
      - 0
    .max_flat_workgroup_size: 512
    .name:           _ZN7rocprim17ROCPRIM_400000_NS6detail17trampoline_kernelINS0_14default_configENS1_35adjacent_difference_config_selectorILb1EyEEZNS1_24adjacent_difference_implIS3_Lb1ELb0EPKyPyN6thrust23THRUST_200600_302600_NS4plusIyEEEE10hipError_tPvRmT2_T3_mT4_P12ihipStream_tbEUlT_E_NS1_11comp_targetILNS1_3genE4ELNS1_11target_archE910ELNS1_3gpuE8ELNS1_3repE0EEENS1_30default_config_static_selectorELNS0_4arch9wavefront6targetE1EEEvT1_
    .private_segment_fixed_size: 0
    .sgpr_count:     4
    .sgpr_spill_count: 0
    .symbol:         _ZN7rocprim17ROCPRIM_400000_NS6detail17trampoline_kernelINS0_14default_configENS1_35adjacent_difference_config_selectorILb1EyEEZNS1_24adjacent_difference_implIS3_Lb1ELb0EPKyPyN6thrust23THRUST_200600_302600_NS4plusIyEEEE10hipError_tPvRmT2_T3_mT4_P12ihipStream_tbEUlT_E_NS1_11comp_targetILNS1_3genE4ELNS1_11target_archE910ELNS1_3gpuE8ELNS1_3repE0EEENS1_30default_config_static_selectorELNS0_4arch9wavefront6targetE1EEEvT1_.kd
    .uniform_work_group_size: 1
    .uses_dynamic_stack: false
    .vgpr_count:     0
    .vgpr_spill_count: 0
    .wavefront_size: 64
  - .args:
      - .offset:         0
        .size:           56
        .value_kind:     by_value
    .group_segment_fixed_size: 0
    .kernarg_segment_align: 8
    .kernarg_segment_size: 56
    .language:       OpenCL C
    .language_version:
      - 2
      - 0
    .max_flat_workgroup_size: 512
    .name:           _ZN7rocprim17ROCPRIM_400000_NS6detail17trampoline_kernelINS0_14default_configENS1_35adjacent_difference_config_selectorILb1EyEEZNS1_24adjacent_difference_implIS3_Lb1ELb0EPKyPyN6thrust23THRUST_200600_302600_NS4plusIyEEEE10hipError_tPvRmT2_T3_mT4_P12ihipStream_tbEUlT_E_NS1_11comp_targetILNS1_3genE3ELNS1_11target_archE908ELNS1_3gpuE7ELNS1_3repE0EEENS1_30default_config_static_selectorELNS0_4arch9wavefront6targetE1EEEvT1_
    .private_segment_fixed_size: 0
    .sgpr_count:     4
    .sgpr_spill_count: 0
    .symbol:         _ZN7rocprim17ROCPRIM_400000_NS6detail17trampoline_kernelINS0_14default_configENS1_35adjacent_difference_config_selectorILb1EyEEZNS1_24adjacent_difference_implIS3_Lb1ELb0EPKyPyN6thrust23THRUST_200600_302600_NS4plusIyEEEE10hipError_tPvRmT2_T3_mT4_P12ihipStream_tbEUlT_E_NS1_11comp_targetILNS1_3genE3ELNS1_11target_archE908ELNS1_3gpuE7ELNS1_3repE0EEENS1_30default_config_static_selectorELNS0_4arch9wavefront6targetE1EEEvT1_.kd
    .uniform_work_group_size: 1
    .uses_dynamic_stack: false
    .vgpr_count:     0
    .vgpr_spill_count: 0
    .wavefront_size: 64
  - .args:
      - .offset:         0
        .size:           56
        .value_kind:     by_value
    .group_segment_fixed_size: 11264
    .kernarg_segment_align: 8
    .kernarg_segment_size: 56
    .language:       OpenCL C
    .language_version:
      - 2
      - 0
    .max_flat_workgroup_size: 128
    .name:           _ZN7rocprim17ROCPRIM_400000_NS6detail17trampoline_kernelINS0_14default_configENS1_35adjacent_difference_config_selectorILb1EyEEZNS1_24adjacent_difference_implIS3_Lb1ELb0EPKyPyN6thrust23THRUST_200600_302600_NS4plusIyEEEE10hipError_tPvRmT2_T3_mT4_P12ihipStream_tbEUlT_E_NS1_11comp_targetILNS1_3genE2ELNS1_11target_archE906ELNS1_3gpuE6ELNS1_3repE0EEENS1_30default_config_static_selectorELNS0_4arch9wavefront6targetE1EEEvT1_
    .private_segment_fixed_size: 0
    .sgpr_count:     33
    .sgpr_spill_count: 0
    .symbol:         _ZN7rocprim17ROCPRIM_400000_NS6detail17trampoline_kernelINS0_14default_configENS1_35adjacent_difference_config_selectorILb1EyEEZNS1_24adjacent_difference_implIS3_Lb1ELb0EPKyPyN6thrust23THRUST_200600_302600_NS4plusIyEEEE10hipError_tPvRmT2_T3_mT4_P12ihipStream_tbEUlT_E_NS1_11comp_targetILNS1_3genE2ELNS1_11target_archE906ELNS1_3gpuE6ELNS1_3repE0EEENS1_30default_config_static_selectorELNS0_4arch9wavefront6targetE1EEEvT1_.kd
    .uniform_work_group_size: 1
    .uses_dynamic_stack: false
    .vgpr_count:     48
    .vgpr_spill_count: 0
    .wavefront_size: 64
  - .args:
      - .offset:         0
        .size:           56
        .value_kind:     by_value
    .group_segment_fixed_size: 0
    .kernarg_segment_align: 8
    .kernarg_segment_size: 56
    .language:       OpenCL C
    .language_version:
      - 2
      - 0
    .max_flat_workgroup_size: 128
    .name:           _ZN7rocprim17ROCPRIM_400000_NS6detail17trampoline_kernelINS0_14default_configENS1_35adjacent_difference_config_selectorILb1EyEEZNS1_24adjacent_difference_implIS3_Lb1ELb0EPKyPyN6thrust23THRUST_200600_302600_NS4plusIyEEEE10hipError_tPvRmT2_T3_mT4_P12ihipStream_tbEUlT_E_NS1_11comp_targetILNS1_3genE9ELNS1_11target_archE1100ELNS1_3gpuE3ELNS1_3repE0EEENS1_30default_config_static_selectorELNS0_4arch9wavefront6targetE1EEEvT1_
    .private_segment_fixed_size: 0
    .sgpr_count:     4
    .sgpr_spill_count: 0
    .symbol:         _ZN7rocprim17ROCPRIM_400000_NS6detail17trampoline_kernelINS0_14default_configENS1_35adjacent_difference_config_selectorILb1EyEEZNS1_24adjacent_difference_implIS3_Lb1ELb0EPKyPyN6thrust23THRUST_200600_302600_NS4plusIyEEEE10hipError_tPvRmT2_T3_mT4_P12ihipStream_tbEUlT_E_NS1_11comp_targetILNS1_3genE9ELNS1_11target_archE1100ELNS1_3gpuE3ELNS1_3repE0EEENS1_30default_config_static_selectorELNS0_4arch9wavefront6targetE1EEEvT1_.kd
    .uniform_work_group_size: 1
    .uses_dynamic_stack: false
    .vgpr_count:     0
    .vgpr_spill_count: 0
    .wavefront_size: 64
  - .args:
      - .offset:         0
        .size:           56
        .value_kind:     by_value
    .group_segment_fixed_size: 0
    .kernarg_segment_align: 8
    .kernarg_segment_size: 56
    .language:       OpenCL C
    .language_version:
      - 2
      - 0
    .max_flat_workgroup_size: 32
    .name:           _ZN7rocprim17ROCPRIM_400000_NS6detail17trampoline_kernelINS0_14default_configENS1_35adjacent_difference_config_selectorILb1EyEEZNS1_24adjacent_difference_implIS3_Lb1ELb0EPKyPyN6thrust23THRUST_200600_302600_NS4plusIyEEEE10hipError_tPvRmT2_T3_mT4_P12ihipStream_tbEUlT_E_NS1_11comp_targetILNS1_3genE8ELNS1_11target_archE1030ELNS1_3gpuE2ELNS1_3repE0EEENS1_30default_config_static_selectorELNS0_4arch9wavefront6targetE1EEEvT1_
    .private_segment_fixed_size: 0
    .sgpr_count:     4
    .sgpr_spill_count: 0
    .symbol:         _ZN7rocprim17ROCPRIM_400000_NS6detail17trampoline_kernelINS0_14default_configENS1_35adjacent_difference_config_selectorILb1EyEEZNS1_24adjacent_difference_implIS3_Lb1ELb0EPKyPyN6thrust23THRUST_200600_302600_NS4plusIyEEEE10hipError_tPvRmT2_T3_mT4_P12ihipStream_tbEUlT_E_NS1_11comp_targetILNS1_3genE8ELNS1_11target_archE1030ELNS1_3gpuE2ELNS1_3repE0EEENS1_30default_config_static_selectorELNS0_4arch9wavefront6targetE1EEEvT1_.kd
    .uniform_work_group_size: 1
    .uses_dynamic_stack: false
    .vgpr_count:     0
    .vgpr_spill_count: 0
    .wavefront_size: 64
  - .args:
      - .offset:         0
        .size:           56
        .value_kind:     by_value
    .group_segment_fixed_size: 0
    .kernarg_segment_align: 8
    .kernarg_segment_size: 56
    .language:       OpenCL C
    .language_version:
      - 2
      - 0
    .max_flat_workgroup_size: 128
    .name:           _ZN7rocprim17ROCPRIM_400000_NS6detail17trampoline_kernelINS0_14default_configENS1_35adjacent_difference_config_selectorILb0EjEEZNS1_24adjacent_difference_implIS3_Lb0ELb0EPKjPjN6thrust23THRUST_200600_302600_NS4plusIjEEEE10hipError_tPvRmT2_T3_mT4_P12ihipStream_tbEUlT_E_NS1_11comp_targetILNS1_3genE0ELNS1_11target_archE4294967295ELNS1_3gpuE0ELNS1_3repE0EEENS1_30default_config_static_selectorELNS0_4arch9wavefront6targetE1EEEvT1_
    .private_segment_fixed_size: 0
    .sgpr_count:     4
    .sgpr_spill_count: 0
    .symbol:         _ZN7rocprim17ROCPRIM_400000_NS6detail17trampoline_kernelINS0_14default_configENS1_35adjacent_difference_config_selectorILb0EjEEZNS1_24adjacent_difference_implIS3_Lb0ELb0EPKjPjN6thrust23THRUST_200600_302600_NS4plusIjEEEE10hipError_tPvRmT2_T3_mT4_P12ihipStream_tbEUlT_E_NS1_11comp_targetILNS1_3genE0ELNS1_11target_archE4294967295ELNS1_3gpuE0ELNS1_3repE0EEENS1_30default_config_static_selectorELNS0_4arch9wavefront6targetE1EEEvT1_.kd
    .uniform_work_group_size: 1
    .uses_dynamic_stack: false
    .vgpr_count:     0
    .vgpr_spill_count: 0
    .wavefront_size: 64
  - .args:
      - .offset:         0
        .size:           56
        .value_kind:     by_value
    .group_segment_fixed_size: 0
    .kernarg_segment_align: 8
    .kernarg_segment_size: 56
    .language:       OpenCL C
    .language_version:
      - 2
      - 0
    .max_flat_workgroup_size: 128
    .name:           _ZN7rocprim17ROCPRIM_400000_NS6detail17trampoline_kernelINS0_14default_configENS1_35adjacent_difference_config_selectorILb0EjEEZNS1_24adjacent_difference_implIS3_Lb0ELb0EPKjPjN6thrust23THRUST_200600_302600_NS4plusIjEEEE10hipError_tPvRmT2_T3_mT4_P12ihipStream_tbEUlT_E_NS1_11comp_targetILNS1_3genE10ELNS1_11target_archE1201ELNS1_3gpuE5ELNS1_3repE0EEENS1_30default_config_static_selectorELNS0_4arch9wavefront6targetE1EEEvT1_
    .private_segment_fixed_size: 0
    .sgpr_count:     4
    .sgpr_spill_count: 0
    .symbol:         _ZN7rocprim17ROCPRIM_400000_NS6detail17trampoline_kernelINS0_14default_configENS1_35adjacent_difference_config_selectorILb0EjEEZNS1_24adjacent_difference_implIS3_Lb0ELb0EPKjPjN6thrust23THRUST_200600_302600_NS4plusIjEEEE10hipError_tPvRmT2_T3_mT4_P12ihipStream_tbEUlT_E_NS1_11comp_targetILNS1_3genE10ELNS1_11target_archE1201ELNS1_3gpuE5ELNS1_3repE0EEENS1_30default_config_static_selectorELNS0_4arch9wavefront6targetE1EEEvT1_.kd
    .uniform_work_group_size: 1
    .uses_dynamic_stack: false
    .vgpr_count:     0
    .vgpr_spill_count: 0
    .wavefront_size: 64
  - .args:
      - .offset:         0
        .size:           56
        .value_kind:     by_value
    .group_segment_fixed_size: 0
    .kernarg_segment_align: 8
    .kernarg_segment_size: 56
    .language:       OpenCL C
    .language_version:
      - 2
      - 0
    .max_flat_workgroup_size: 64
    .name:           _ZN7rocprim17ROCPRIM_400000_NS6detail17trampoline_kernelINS0_14default_configENS1_35adjacent_difference_config_selectorILb0EjEEZNS1_24adjacent_difference_implIS3_Lb0ELb0EPKjPjN6thrust23THRUST_200600_302600_NS4plusIjEEEE10hipError_tPvRmT2_T3_mT4_P12ihipStream_tbEUlT_E_NS1_11comp_targetILNS1_3genE5ELNS1_11target_archE942ELNS1_3gpuE9ELNS1_3repE0EEENS1_30default_config_static_selectorELNS0_4arch9wavefront6targetE1EEEvT1_
    .private_segment_fixed_size: 0
    .sgpr_count:     4
    .sgpr_spill_count: 0
    .symbol:         _ZN7rocprim17ROCPRIM_400000_NS6detail17trampoline_kernelINS0_14default_configENS1_35adjacent_difference_config_selectorILb0EjEEZNS1_24adjacent_difference_implIS3_Lb0ELb0EPKjPjN6thrust23THRUST_200600_302600_NS4plusIjEEEE10hipError_tPvRmT2_T3_mT4_P12ihipStream_tbEUlT_E_NS1_11comp_targetILNS1_3genE5ELNS1_11target_archE942ELNS1_3gpuE9ELNS1_3repE0EEENS1_30default_config_static_selectorELNS0_4arch9wavefront6targetE1EEEvT1_.kd
    .uniform_work_group_size: 1
    .uses_dynamic_stack: false
    .vgpr_count:     0
    .vgpr_spill_count: 0
    .wavefront_size: 64
  - .args:
      - .offset:         0
        .size:           56
        .value_kind:     by_value
    .group_segment_fixed_size: 0
    .kernarg_segment_align: 8
    .kernarg_segment_size: 56
    .language:       OpenCL C
    .language_version:
      - 2
      - 0
    .max_flat_workgroup_size: 512
    .name:           _ZN7rocprim17ROCPRIM_400000_NS6detail17trampoline_kernelINS0_14default_configENS1_35adjacent_difference_config_selectorILb0EjEEZNS1_24adjacent_difference_implIS3_Lb0ELb0EPKjPjN6thrust23THRUST_200600_302600_NS4plusIjEEEE10hipError_tPvRmT2_T3_mT4_P12ihipStream_tbEUlT_E_NS1_11comp_targetILNS1_3genE4ELNS1_11target_archE910ELNS1_3gpuE8ELNS1_3repE0EEENS1_30default_config_static_selectorELNS0_4arch9wavefront6targetE1EEEvT1_
    .private_segment_fixed_size: 0
    .sgpr_count:     4
    .sgpr_spill_count: 0
    .symbol:         _ZN7rocprim17ROCPRIM_400000_NS6detail17trampoline_kernelINS0_14default_configENS1_35adjacent_difference_config_selectorILb0EjEEZNS1_24adjacent_difference_implIS3_Lb0ELb0EPKjPjN6thrust23THRUST_200600_302600_NS4plusIjEEEE10hipError_tPvRmT2_T3_mT4_P12ihipStream_tbEUlT_E_NS1_11comp_targetILNS1_3genE4ELNS1_11target_archE910ELNS1_3gpuE8ELNS1_3repE0EEENS1_30default_config_static_selectorELNS0_4arch9wavefront6targetE1EEEvT1_.kd
    .uniform_work_group_size: 1
    .uses_dynamic_stack: false
    .vgpr_count:     0
    .vgpr_spill_count: 0
    .wavefront_size: 64
  - .args:
      - .offset:         0
        .size:           56
        .value_kind:     by_value
    .group_segment_fixed_size: 0
    .kernarg_segment_align: 8
    .kernarg_segment_size: 56
    .language:       OpenCL C
    .language_version:
      - 2
      - 0
    .max_flat_workgroup_size: 128
    .name:           _ZN7rocprim17ROCPRIM_400000_NS6detail17trampoline_kernelINS0_14default_configENS1_35adjacent_difference_config_selectorILb0EjEEZNS1_24adjacent_difference_implIS3_Lb0ELb0EPKjPjN6thrust23THRUST_200600_302600_NS4plusIjEEEE10hipError_tPvRmT2_T3_mT4_P12ihipStream_tbEUlT_E_NS1_11comp_targetILNS1_3genE3ELNS1_11target_archE908ELNS1_3gpuE7ELNS1_3repE0EEENS1_30default_config_static_selectorELNS0_4arch9wavefront6targetE1EEEvT1_
    .private_segment_fixed_size: 0
    .sgpr_count:     4
    .sgpr_spill_count: 0
    .symbol:         _ZN7rocprim17ROCPRIM_400000_NS6detail17trampoline_kernelINS0_14default_configENS1_35adjacent_difference_config_selectorILb0EjEEZNS1_24adjacent_difference_implIS3_Lb0ELb0EPKjPjN6thrust23THRUST_200600_302600_NS4plusIjEEEE10hipError_tPvRmT2_T3_mT4_P12ihipStream_tbEUlT_E_NS1_11comp_targetILNS1_3genE3ELNS1_11target_archE908ELNS1_3gpuE7ELNS1_3repE0EEENS1_30default_config_static_selectorELNS0_4arch9wavefront6targetE1EEEvT1_.kd
    .uniform_work_group_size: 1
    .uses_dynamic_stack: false
    .vgpr_count:     0
    .vgpr_spill_count: 0
    .wavefront_size: 64
  - .args:
      - .offset:         0
        .size:           56
        .value_kind:     by_value
    .group_segment_fixed_size: 20480
    .kernarg_segment_align: 8
    .kernarg_segment_size: 56
    .language:       OpenCL C
    .language_version:
      - 2
      - 0
    .max_flat_workgroup_size: 1024
    .name:           _ZN7rocprim17ROCPRIM_400000_NS6detail17trampoline_kernelINS0_14default_configENS1_35adjacent_difference_config_selectorILb0EjEEZNS1_24adjacent_difference_implIS3_Lb0ELb0EPKjPjN6thrust23THRUST_200600_302600_NS4plusIjEEEE10hipError_tPvRmT2_T3_mT4_P12ihipStream_tbEUlT_E_NS1_11comp_targetILNS1_3genE2ELNS1_11target_archE906ELNS1_3gpuE6ELNS1_3repE0EEENS1_30default_config_static_selectorELNS0_4arch9wavefront6targetE1EEEvT1_
    .private_segment_fixed_size: 0
    .sgpr_count:     27
    .sgpr_spill_count: 0
    .symbol:         _ZN7rocprim17ROCPRIM_400000_NS6detail17trampoline_kernelINS0_14default_configENS1_35adjacent_difference_config_selectorILb0EjEEZNS1_24adjacent_difference_implIS3_Lb0ELb0EPKjPjN6thrust23THRUST_200600_302600_NS4plusIjEEEE10hipError_tPvRmT2_T3_mT4_P12ihipStream_tbEUlT_E_NS1_11comp_targetILNS1_3genE2ELNS1_11target_archE906ELNS1_3gpuE6ELNS1_3repE0EEENS1_30default_config_static_selectorELNS0_4arch9wavefront6targetE1EEEvT1_.kd
    .uniform_work_group_size: 1
    .uses_dynamic_stack: false
    .vgpr_count:     17
    .vgpr_spill_count: 0
    .wavefront_size: 64
  - .args:
      - .offset:         0
        .size:           56
        .value_kind:     by_value
    .group_segment_fixed_size: 0
    .kernarg_segment_align: 8
    .kernarg_segment_size: 56
    .language:       OpenCL C
    .language_version:
      - 2
      - 0
    .max_flat_workgroup_size: 1024
    .name:           _ZN7rocprim17ROCPRIM_400000_NS6detail17trampoline_kernelINS0_14default_configENS1_35adjacent_difference_config_selectorILb0EjEEZNS1_24adjacent_difference_implIS3_Lb0ELb0EPKjPjN6thrust23THRUST_200600_302600_NS4plusIjEEEE10hipError_tPvRmT2_T3_mT4_P12ihipStream_tbEUlT_E_NS1_11comp_targetILNS1_3genE9ELNS1_11target_archE1100ELNS1_3gpuE3ELNS1_3repE0EEENS1_30default_config_static_selectorELNS0_4arch9wavefront6targetE1EEEvT1_
    .private_segment_fixed_size: 0
    .sgpr_count:     4
    .sgpr_spill_count: 0
    .symbol:         _ZN7rocprim17ROCPRIM_400000_NS6detail17trampoline_kernelINS0_14default_configENS1_35adjacent_difference_config_selectorILb0EjEEZNS1_24adjacent_difference_implIS3_Lb0ELb0EPKjPjN6thrust23THRUST_200600_302600_NS4plusIjEEEE10hipError_tPvRmT2_T3_mT4_P12ihipStream_tbEUlT_E_NS1_11comp_targetILNS1_3genE9ELNS1_11target_archE1100ELNS1_3gpuE3ELNS1_3repE0EEENS1_30default_config_static_selectorELNS0_4arch9wavefront6targetE1EEEvT1_.kd
    .uniform_work_group_size: 1
    .uses_dynamic_stack: false
    .vgpr_count:     0
    .vgpr_spill_count: 0
    .wavefront_size: 64
  - .args:
      - .offset:         0
        .size:           56
        .value_kind:     by_value
    .group_segment_fixed_size: 0
    .kernarg_segment_align: 8
    .kernarg_segment_size: 56
    .language:       OpenCL C
    .language_version:
      - 2
      - 0
    .max_flat_workgroup_size: 1024
    .name:           _ZN7rocprim17ROCPRIM_400000_NS6detail17trampoline_kernelINS0_14default_configENS1_35adjacent_difference_config_selectorILb0EjEEZNS1_24adjacent_difference_implIS3_Lb0ELb0EPKjPjN6thrust23THRUST_200600_302600_NS4plusIjEEEE10hipError_tPvRmT2_T3_mT4_P12ihipStream_tbEUlT_E_NS1_11comp_targetILNS1_3genE8ELNS1_11target_archE1030ELNS1_3gpuE2ELNS1_3repE0EEENS1_30default_config_static_selectorELNS0_4arch9wavefront6targetE1EEEvT1_
    .private_segment_fixed_size: 0
    .sgpr_count:     4
    .sgpr_spill_count: 0
    .symbol:         _ZN7rocprim17ROCPRIM_400000_NS6detail17trampoline_kernelINS0_14default_configENS1_35adjacent_difference_config_selectorILb0EjEEZNS1_24adjacent_difference_implIS3_Lb0ELb0EPKjPjN6thrust23THRUST_200600_302600_NS4plusIjEEEE10hipError_tPvRmT2_T3_mT4_P12ihipStream_tbEUlT_E_NS1_11comp_targetILNS1_3genE8ELNS1_11target_archE1030ELNS1_3gpuE2ELNS1_3repE0EEENS1_30default_config_static_selectorELNS0_4arch9wavefront6targetE1EEEvT1_.kd
    .uniform_work_group_size: 1
    .uses_dynamic_stack: false
    .vgpr_count:     0
    .vgpr_spill_count: 0
    .wavefront_size: 64
  - .args:
      - .offset:         0
        .size:           56
        .value_kind:     by_value
    .group_segment_fixed_size: 0
    .kernarg_segment_align: 8
    .kernarg_segment_size: 56
    .language:       OpenCL C
    .language_version:
      - 2
      - 0
    .max_flat_workgroup_size: 128
    .name:           _ZN7rocprim17ROCPRIM_400000_NS6detail17trampoline_kernelINS0_14default_configENS1_25transform_config_selectorIjLb0EEEZNS1_14transform_implILb0ES3_S5_NS0_18transform_iteratorINS0_17counting_iteratorImlEEZNS1_24adjacent_difference_implIS3_Lb1ELb0EPKjPjN6thrust23THRUST_200600_302600_NS4plusIjEEEE10hipError_tPvRmT2_T3_mT4_P12ihipStream_tbEUlmE_jEESD_NS0_8identityIvEEEESI_SL_SM_mSN_SP_bEUlT_E_NS1_11comp_targetILNS1_3genE0ELNS1_11target_archE4294967295ELNS1_3gpuE0ELNS1_3repE0EEENS1_30default_config_static_selectorELNS0_4arch9wavefront6targetE1EEEvT1_
    .private_segment_fixed_size: 0
    .sgpr_count:     4
    .sgpr_spill_count: 0
    .symbol:         _ZN7rocprim17ROCPRIM_400000_NS6detail17trampoline_kernelINS0_14default_configENS1_25transform_config_selectorIjLb0EEEZNS1_14transform_implILb0ES3_S5_NS0_18transform_iteratorINS0_17counting_iteratorImlEEZNS1_24adjacent_difference_implIS3_Lb1ELb0EPKjPjN6thrust23THRUST_200600_302600_NS4plusIjEEEE10hipError_tPvRmT2_T3_mT4_P12ihipStream_tbEUlmE_jEESD_NS0_8identityIvEEEESI_SL_SM_mSN_SP_bEUlT_E_NS1_11comp_targetILNS1_3genE0ELNS1_11target_archE4294967295ELNS1_3gpuE0ELNS1_3repE0EEENS1_30default_config_static_selectorELNS0_4arch9wavefront6targetE1EEEvT1_.kd
    .uniform_work_group_size: 1
    .uses_dynamic_stack: false
    .vgpr_count:     0
    .vgpr_spill_count: 0
    .wavefront_size: 64
  - .args:
      - .offset:         0
        .size:           56
        .value_kind:     by_value
    .group_segment_fixed_size: 0
    .kernarg_segment_align: 8
    .kernarg_segment_size: 56
    .language:       OpenCL C
    .language_version:
      - 2
      - 0
    .max_flat_workgroup_size: 512
    .name:           _ZN7rocprim17ROCPRIM_400000_NS6detail17trampoline_kernelINS0_14default_configENS1_25transform_config_selectorIjLb0EEEZNS1_14transform_implILb0ES3_S5_NS0_18transform_iteratorINS0_17counting_iteratorImlEEZNS1_24adjacent_difference_implIS3_Lb1ELb0EPKjPjN6thrust23THRUST_200600_302600_NS4plusIjEEEE10hipError_tPvRmT2_T3_mT4_P12ihipStream_tbEUlmE_jEESD_NS0_8identityIvEEEESI_SL_SM_mSN_SP_bEUlT_E_NS1_11comp_targetILNS1_3genE5ELNS1_11target_archE942ELNS1_3gpuE9ELNS1_3repE0EEENS1_30default_config_static_selectorELNS0_4arch9wavefront6targetE1EEEvT1_
    .private_segment_fixed_size: 0
    .sgpr_count:     4
    .sgpr_spill_count: 0
    .symbol:         _ZN7rocprim17ROCPRIM_400000_NS6detail17trampoline_kernelINS0_14default_configENS1_25transform_config_selectorIjLb0EEEZNS1_14transform_implILb0ES3_S5_NS0_18transform_iteratorINS0_17counting_iteratorImlEEZNS1_24adjacent_difference_implIS3_Lb1ELb0EPKjPjN6thrust23THRUST_200600_302600_NS4plusIjEEEE10hipError_tPvRmT2_T3_mT4_P12ihipStream_tbEUlmE_jEESD_NS0_8identityIvEEEESI_SL_SM_mSN_SP_bEUlT_E_NS1_11comp_targetILNS1_3genE5ELNS1_11target_archE942ELNS1_3gpuE9ELNS1_3repE0EEENS1_30default_config_static_selectorELNS0_4arch9wavefront6targetE1EEEvT1_.kd
    .uniform_work_group_size: 1
    .uses_dynamic_stack: false
    .vgpr_count:     0
    .vgpr_spill_count: 0
    .wavefront_size: 64
  - .args:
      - .offset:         0
        .size:           56
        .value_kind:     by_value
    .group_segment_fixed_size: 0
    .kernarg_segment_align: 8
    .kernarg_segment_size: 56
    .language:       OpenCL C
    .language_version:
      - 2
      - 0
    .max_flat_workgroup_size: 1024
    .name:           _ZN7rocprim17ROCPRIM_400000_NS6detail17trampoline_kernelINS0_14default_configENS1_25transform_config_selectorIjLb0EEEZNS1_14transform_implILb0ES3_S5_NS0_18transform_iteratorINS0_17counting_iteratorImlEEZNS1_24adjacent_difference_implIS3_Lb1ELb0EPKjPjN6thrust23THRUST_200600_302600_NS4plusIjEEEE10hipError_tPvRmT2_T3_mT4_P12ihipStream_tbEUlmE_jEESD_NS0_8identityIvEEEESI_SL_SM_mSN_SP_bEUlT_E_NS1_11comp_targetILNS1_3genE4ELNS1_11target_archE910ELNS1_3gpuE8ELNS1_3repE0EEENS1_30default_config_static_selectorELNS0_4arch9wavefront6targetE1EEEvT1_
    .private_segment_fixed_size: 0
    .sgpr_count:     4
    .sgpr_spill_count: 0
    .symbol:         _ZN7rocprim17ROCPRIM_400000_NS6detail17trampoline_kernelINS0_14default_configENS1_25transform_config_selectorIjLb0EEEZNS1_14transform_implILb0ES3_S5_NS0_18transform_iteratorINS0_17counting_iteratorImlEEZNS1_24adjacent_difference_implIS3_Lb1ELb0EPKjPjN6thrust23THRUST_200600_302600_NS4plusIjEEEE10hipError_tPvRmT2_T3_mT4_P12ihipStream_tbEUlmE_jEESD_NS0_8identityIvEEEESI_SL_SM_mSN_SP_bEUlT_E_NS1_11comp_targetILNS1_3genE4ELNS1_11target_archE910ELNS1_3gpuE8ELNS1_3repE0EEENS1_30default_config_static_selectorELNS0_4arch9wavefront6targetE1EEEvT1_.kd
    .uniform_work_group_size: 1
    .uses_dynamic_stack: false
    .vgpr_count:     0
    .vgpr_spill_count: 0
    .wavefront_size: 64
  - .args:
      - .offset:         0
        .size:           56
        .value_kind:     by_value
    .group_segment_fixed_size: 0
    .kernarg_segment_align: 8
    .kernarg_segment_size: 56
    .language:       OpenCL C
    .language_version:
      - 2
      - 0
    .max_flat_workgroup_size: 128
    .name:           _ZN7rocprim17ROCPRIM_400000_NS6detail17trampoline_kernelINS0_14default_configENS1_25transform_config_selectorIjLb0EEEZNS1_14transform_implILb0ES3_S5_NS0_18transform_iteratorINS0_17counting_iteratorImlEEZNS1_24adjacent_difference_implIS3_Lb1ELb0EPKjPjN6thrust23THRUST_200600_302600_NS4plusIjEEEE10hipError_tPvRmT2_T3_mT4_P12ihipStream_tbEUlmE_jEESD_NS0_8identityIvEEEESI_SL_SM_mSN_SP_bEUlT_E_NS1_11comp_targetILNS1_3genE3ELNS1_11target_archE908ELNS1_3gpuE7ELNS1_3repE0EEENS1_30default_config_static_selectorELNS0_4arch9wavefront6targetE1EEEvT1_
    .private_segment_fixed_size: 0
    .sgpr_count:     4
    .sgpr_spill_count: 0
    .symbol:         _ZN7rocprim17ROCPRIM_400000_NS6detail17trampoline_kernelINS0_14default_configENS1_25transform_config_selectorIjLb0EEEZNS1_14transform_implILb0ES3_S5_NS0_18transform_iteratorINS0_17counting_iteratorImlEEZNS1_24adjacent_difference_implIS3_Lb1ELb0EPKjPjN6thrust23THRUST_200600_302600_NS4plusIjEEEE10hipError_tPvRmT2_T3_mT4_P12ihipStream_tbEUlmE_jEESD_NS0_8identityIvEEEESI_SL_SM_mSN_SP_bEUlT_E_NS1_11comp_targetILNS1_3genE3ELNS1_11target_archE908ELNS1_3gpuE7ELNS1_3repE0EEENS1_30default_config_static_selectorELNS0_4arch9wavefront6targetE1EEEvT1_.kd
    .uniform_work_group_size: 1
    .uses_dynamic_stack: false
    .vgpr_count:     0
    .vgpr_spill_count: 0
    .wavefront_size: 64
  - .args:
      - .offset:         0
        .size:           56
        .value_kind:     by_value
      - .offset:         56
        .size:           4
        .value_kind:     hidden_block_count_x
      - .offset:         60
        .size:           4
        .value_kind:     hidden_block_count_y
      - .offset:         64
        .size:           4
        .value_kind:     hidden_block_count_z
      - .offset:         68
        .size:           2
        .value_kind:     hidden_group_size_x
      - .offset:         70
        .size:           2
        .value_kind:     hidden_group_size_y
      - .offset:         72
        .size:           2
        .value_kind:     hidden_group_size_z
      - .offset:         74
        .size:           2
        .value_kind:     hidden_remainder_x
      - .offset:         76
        .size:           2
        .value_kind:     hidden_remainder_y
      - .offset:         78
        .size:           2
        .value_kind:     hidden_remainder_z
      - .offset:         96
        .size:           8
        .value_kind:     hidden_global_offset_x
      - .offset:         104
        .size:           8
        .value_kind:     hidden_global_offset_y
      - .offset:         112
        .size:           8
        .value_kind:     hidden_global_offset_z
      - .offset:         120
        .size:           2
        .value_kind:     hidden_grid_dims
    .group_segment_fixed_size: 0
    .kernarg_segment_align: 8
    .kernarg_segment_size: 312
    .language:       OpenCL C
    .language_version:
      - 2
      - 0
    .max_flat_workgroup_size: 1024
    .name:           _ZN7rocprim17ROCPRIM_400000_NS6detail17trampoline_kernelINS0_14default_configENS1_25transform_config_selectorIjLb0EEEZNS1_14transform_implILb0ES3_S5_NS0_18transform_iteratorINS0_17counting_iteratorImlEEZNS1_24adjacent_difference_implIS3_Lb1ELb0EPKjPjN6thrust23THRUST_200600_302600_NS4plusIjEEEE10hipError_tPvRmT2_T3_mT4_P12ihipStream_tbEUlmE_jEESD_NS0_8identityIvEEEESI_SL_SM_mSN_SP_bEUlT_E_NS1_11comp_targetILNS1_3genE2ELNS1_11target_archE906ELNS1_3gpuE6ELNS1_3repE0EEENS1_30default_config_static_selectorELNS0_4arch9wavefront6targetE1EEEvT1_
    .private_segment_fixed_size: 0
    .sgpr_count:     22
    .sgpr_spill_count: 0
    .symbol:         _ZN7rocprim17ROCPRIM_400000_NS6detail17trampoline_kernelINS0_14default_configENS1_25transform_config_selectorIjLb0EEEZNS1_14transform_implILb0ES3_S5_NS0_18transform_iteratorINS0_17counting_iteratorImlEEZNS1_24adjacent_difference_implIS3_Lb1ELb0EPKjPjN6thrust23THRUST_200600_302600_NS4plusIjEEEE10hipError_tPvRmT2_T3_mT4_P12ihipStream_tbEUlmE_jEESD_NS0_8identityIvEEEESI_SL_SM_mSN_SP_bEUlT_E_NS1_11comp_targetILNS1_3genE2ELNS1_11target_archE906ELNS1_3gpuE6ELNS1_3repE0EEENS1_30default_config_static_selectorELNS0_4arch9wavefront6targetE1EEEvT1_.kd
    .uniform_work_group_size: 1
    .uses_dynamic_stack: false
    .vgpr_count:     7
    .vgpr_spill_count: 0
    .wavefront_size: 64
  - .args:
      - .offset:         0
        .size:           56
        .value_kind:     by_value
    .group_segment_fixed_size: 0
    .kernarg_segment_align: 8
    .kernarg_segment_size: 56
    .language:       OpenCL C
    .language_version:
      - 2
      - 0
    .max_flat_workgroup_size: 1024
    .name:           _ZN7rocprim17ROCPRIM_400000_NS6detail17trampoline_kernelINS0_14default_configENS1_25transform_config_selectorIjLb0EEEZNS1_14transform_implILb0ES3_S5_NS0_18transform_iteratorINS0_17counting_iteratorImlEEZNS1_24adjacent_difference_implIS3_Lb1ELb0EPKjPjN6thrust23THRUST_200600_302600_NS4plusIjEEEE10hipError_tPvRmT2_T3_mT4_P12ihipStream_tbEUlmE_jEESD_NS0_8identityIvEEEESI_SL_SM_mSN_SP_bEUlT_E_NS1_11comp_targetILNS1_3genE10ELNS1_11target_archE1201ELNS1_3gpuE5ELNS1_3repE0EEENS1_30default_config_static_selectorELNS0_4arch9wavefront6targetE1EEEvT1_
    .private_segment_fixed_size: 0
    .sgpr_count:     4
    .sgpr_spill_count: 0
    .symbol:         _ZN7rocprim17ROCPRIM_400000_NS6detail17trampoline_kernelINS0_14default_configENS1_25transform_config_selectorIjLb0EEEZNS1_14transform_implILb0ES3_S5_NS0_18transform_iteratorINS0_17counting_iteratorImlEEZNS1_24adjacent_difference_implIS3_Lb1ELb0EPKjPjN6thrust23THRUST_200600_302600_NS4plusIjEEEE10hipError_tPvRmT2_T3_mT4_P12ihipStream_tbEUlmE_jEESD_NS0_8identityIvEEEESI_SL_SM_mSN_SP_bEUlT_E_NS1_11comp_targetILNS1_3genE10ELNS1_11target_archE1201ELNS1_3gpuE5ELNS1_3repE0EEENS1_30default_config_static_selectorELNS0_4arch9wavefront6targetE1EEEvT1_.kd
    .uniform_work_group_size: 1
    .uses_dynamic_stack: false
    .vgpr_count:     0
    .vgpr_spill_count: 0
    .wavefront_size: 64
  - .args:
      - .offset:         0
        .size:           56
        .value_kind:     by_value
    .group_segment_fixed_size: 0
    .kernarg_segment_align: 8
    .kernarg_segment_size: 56
    .language:       OpenCL C
    .language_version:
      - 2
      - 0
    .max_flat_workgroup_size: 512
    .name:           _ZN7rocprim17ROCPRIM_400000_NS6detail17trampoline_kernelINS0_14default_configENS1_25transform_config_selectorIjLb0EEEZNS1_14transform_implILb0ES3_S5_NS0_18transform_iteratorINS0_17counting_iteratorImlEEZNS1_24adjacent_difference_implIS3_Lb1ELb0EPKjPjN6thrust23THRUST_200600_302600_NS4plusIjEEEE10hipError_tPvRmT2_T3_mT4_P12ihipStream_tbEUlmE_jEESD_NS0_8identityIvEEEESI_SL_SM_mSN_SP_bEUlT_E_NS1_11comp_targetILNS1_3genE10ELNS1_11target_archE1200ELNS1_3gpuE4ELNS1_3repE0EEENS1_30default_config_static_selectorELNS0_4arch9wavefront6targetE1EEEvT1_
    .private_segment_fixed_size: 0
    .sgpr_count:     4
    .sgpr_spill_count: 0
    .symbol:         _ZN7rocprim17ROCPRIM_400000_NS6detail17trampoline_kernelINS0_14default_configENS1_25transform_config_selectorIjLb0EEEZNS1_14transform_implILb0ES3_S5_NS0_18transform_iteratorINS0_17counting_iteratorImlEEZNS1_24adjacent_difference_implIS3_Lb1ELb0EPKjPjN6thrust23THRUST_200600_302600_NS4plusIjEEEE10hipError_tPvRmT2_T3_mT4_P12ihipStream_tbEUlmE_jEESD_NS0_8identityIvEEEESI_SL_SM_mSN_SP_bEUlT_E_NS1_11comp_targetILNS1_3genE10ELNS1_11target_archE1200ELNS1_3gpuE4ELNS1_3repE0EEENS1_30default_config_static_selectorELNS0_4arch9wavefront6targetE1EEEvT1_.kd
    .uniform_work_group_size: 1
    .uses_dynamic_stack: false
    .vgpr_count:     0
    .vgpr_spill_count: 0
    .wavefront_size: 64
  - .args:
      - .offset:         0
        .size:           56
        .value_kind:     by_value
    .group_segment_fixed_size: 0
    .kernarg_segment_align: 8
    .kernarg_segment_size: 56
    .language:       OpenCL C
    .language_version:
      - 2
      - 0
    .max_flat_workgroup_size: 64
    .name:           _ZN7rocprim17ROCPRIM_400000_NS6detail17trampoline_kernelINS0_14default_configENS1_25transform_config_selectorIjLb0EEEZNS1_14transform_implILb0ES3_S5_NS0_18transform_iteratorINS0_17counting_iteratorImlEEZNS1_24adjacent_difference_implIS3_Lb1ELb0EPKjPjN6thrust23THRUST_200600_302600_NS4plusIjEEEE10hipError_tPvRmT2_T3_mT4_P12ihipStream_tbEUlmE_jEESD_NS0_8identityIvEEEESI_SL_SM_mSN_SP_bEUlT_E_NS1_11comp_targetILNS1_3genE9ELNS1_11target_archE1100ELNS1_3gpuE3ELNS1_3repE0EEENS1_30default_config_static_selectorELNS0_4arch9wavefront6targetE1EEEvT1_
    .private_segment_fixed_size: 0
    .sgpr_count:     4
    .sgpr_spill_count: 0
    .symbol:         _ZN7rocprim17ROCPRIM_400000_NS6detail17trampoline_kernelINS0_14default_configENS1_25transform_config_selectorIjLb0EEEZNS1_14transform_implILb0ES3_S5_NS0_18transform_iteratorINS0_17counting_iteratorImlEEZNS1_24adjacent_difference_implIS3_Lb1ELb0EPKjPjN6thrust23THRUST_200600_302600_NS4plusIjEEEE10hipError_tPvRmT2_T3_mT4_P12ihipStream_tbEUlmE_jEESD_NS0_8identityIvEEEESI_SL_SM_mSN_SP_bEUlT_E_NS1_11comp_targetILNS1_3genE9ELNS1_11target_archE1100ELNS1_3gpuE3ELNS1_3repE0EEENS1_30default_config_static_selectorELNS0_4arch9wavefront6targetE1EEEvT1_.kd
    .uniform_work_group_size: 1
    .uses_dynamic_stack: false
    .vgpr_count:     0
    .vgpr_spill_count: 0
    .wavefront_size: 64
  - .args:
      - .offset:         0
        .size:           56
        .value_kind:     by_value
    .group_segment_fixed_size: 0
    .kernarg_segment_align: 8
    .kernarg_segment_size: 56
    .language:       OpenCL C
    .language_version:
      - 2
      - 0
    .max_flat_workgroup_size: 256
    .name:           _ZN7rocprim17ROCPRIM_400000_NS6detail17trampoline_kernelINS0_14default_configENS1_25transform_config_selectorIjLb0EEEZNS1_14transform_implILb0ES3_S5_NS0_18transform_iteratorINS0_17counting_iteratorImlEEZNS1_24adjacent_difference_implIS3_Lb1ELb0EPKjPjN6thrust23THRUST_200600_302600_NS4plusIjEEEE10hipError_tPvRmT2_T3_mT4_P12ihipStream_tbEUlmE_jEESD_NS0_8identityIvEEEESI_SL_SM_mSN_SP_bEUlT_E_NS1_11comp_targetILNS1_3genE8ELNS1_11target_archE1030ELNS1_3gpuE2ELNS1_3repE0EEENS1_30default_config_static_selectorELNS0_4arch9wavefront6targetE1EEEvT1_
    .private_segment_fixed_size: 0
    .sgpr_count:     4
    .sgpr_spill_count: 0
    .symbol:         _ZN7rocprim17ROCPRIM_400000_NS6detail17trampoline_kernelINS0_14default_configENS1_25transform_config_selectorIjLb0EEEZNS1_14transform_implILb0ES3_S5_NS0_18transform_iteratorINS0_17counting_iteratorImlEEZNS1_24adjacent_difference_implIS3_Lb1ELb0EPKjPjN6thrust23THRUST_200600_302600_NS4plusIjEEEE10hipError_tPvRmT2_T3_mT4_P12ihipStream_tbEUlmE_jEESD_NS0_8identityIvEEEESI_SL_SM_mSN_SP_bEUlT_E_NS1_11comp_targetILNS1_3genE8ELNS1_11target_archE1030ELNS1_3gpuE2ELNS1_3repE0EEENS1_30default_config_static_selectorELNS0_4arch9wavefront6targetE1EEEvT1_.kd
    .uniform_work_group_size: 1
    .uses_dynamic_stack: false
    .vgpr_count:     0
    .vgpr_spill_count: 0
    .wavefront_size: 64
  - .args:
      - .offset:         0
        .size:           56
        .value_kind:     by_value
    .group_segment_fixed_size: 0
    .kernarg_segment_align: 8
    .kernarg_segment_size: 56
    .language:       OpenCL C
    .language_version:
      - 2
      - 0
    .max_flat_workgroup_size: 1024
    .name:           _ZN7rocprim17ROCPRIM_400000_NS6detail17trampoline_kernelINS0_14default_configENS1_35adjacent_difference_config_selectorILb1EjEEZNS1_24adjacent_difference_implIS3_Lb1ELb0EPKjPjN6thrust23THRUST_200600_302600_NS4plusIjEEEE10hipError_tPvRmT2_T3_mT4_P12ihipStream_tbEUlT_E_NS1_11comp_targetILNS1_3genE0ELNS1_11target_archE4294967295ELNS1_3gpuE0ELNS1_3repE0EEENS1_30default_config_static_selectorELNS0_4arch9wavefront6targetE1EEEvT1_
    .private_segment_fixed_size: 0
    .sgpr_count:     4
    .sgpr_spill_count: 0
    .symbol:         _ZN7rocprim17ROCPRIM_400000_NS6detail17trampoline_kernelINS0_14default_configENS1_35adjacent_difference_config_selectorILb1EjEEZNS1_24adjacent_difference_implIS3_Lb1ELb0EPKjPjN6thrust23THRUST_200600_302600_NS4plusIjEEEE10hipError_tPvRmT2_T3_mT4_P12ihipStream_tbEUlT_E_NS1_11comp_targetILNS1_3genE0ELNS1_11target_archE4294967295ELNS1_3gpuE0ELNS1_3repE0EEENS1_30default_config_static_selectorELNS0_4arch9wavefront6targetE1EEEvT1_.kd
    .uniform_work_group_size: 1
    .uses_dynamic_stack: false
    .vgpr_count:     0
    .vgpr_spill_count: 0
    .wavefront_size: 64
  - .args:
      - .offset:         0
        .size:           56
        .value_kind:     by_value
    .group_segment_fixed_size: 0
    .kernarg_segment_align: 8
    .kernarg_segment_size: 56
    .language:       OpenCL C
    .language_version:
      - 2
      - 0
    .max_flat_workgroup_size: 32
    .name:           _ZN7rocprim17ROCPRIM_400000_NS6detail17trampoline_kernelINS0_14default_configENS1_35adjacent_difference_config_selectorILb1EjEEZNS1_24adjacent_difference_implIS3_Lb1ELb0EPKjPjN6thrust23THRUST_200600_302600_NS4plusIjEEEE10hipError_tPvRmT2_T3_mT4_P12ihipStream_tbEUlT_E_NS1_11comp_targetILNS1_3genE10ELNS1_11target_archE1201ELNS1_3gpuE5ELNS1_3repE0EEENS1_30default_config_static_selectorELNS0_4arch9wavefront6targetE1EEEvT1_
    .private_segment_fixed_size: 0
    .sgpr_count:     4
    .sgpr_spill_count: 0
    .symbol:         _ZN7rocprim17ROCPRIM_400000_NS6detail17trampoline_kernelINS0_14default_configENS1_35adjacent_difference_config_selectorILb1EjEEZNS1_24adjacent_difference_implIS3_Lb1ELb0EPKjPjN6thrust23THRUST_200600_302600_NS4plusIjEEEE10hipError_tPvRmT2_T3_mT4_P12ihipStream_tbEUlT_E_NS1_11comp_targetILNS1_3genE10ELNS1_11target_archE1201ELNS1_3gpuE5ELNS1_3repE0EEENS1_30default_config_static_selectorELNS0_4arch9wavefront6targetE1EEEvT1_.kd
    .uniform_work_group_size: 1
    .uses_dynamic_stack: false
    .vgpr_count:     0
    .vgpr_spill_count: 0
    .wavefront_size: 64
  - .args:
      - .offset:         0
        .size:           56
        .value_kind:     by_value
    .group_segment_fixed_size: 0
    .kernarg_segment_align: 8
    .kernarg_segment_size: 56
    .language:       OpenCL C
    .language_version:
      - 2
      - 0
    .max_flat_workgroup_size: 512
    .name:           _ZN7rocprim17ROCPRIM_400000_NS6detail17trampoline_kernelINS0_14default_configENS1_35adjacent_difference_config_selectorILb1EjEEZNS1_24adjacent_difference_implIS3_Lb1ELb0EPKjPjN6thrust23THRUST_200600_302600_NS4plusIjEEEE10hipError_tPvRmT2_T3_mT4_P12ihipStream_tbEUlT_E_NS1_11comp_targetILNS1_3genE5ELNS1_11target_archE942ELNS1_3gpuE9ELNS1_3repE0EEENS1_30default_config_static_selectorELNS0_4arch9wavefront6targetE1EEEvT1_
    .private_segment_fixed_size: 0
    .sgpr_count:     4
    .sgpr_spill_count: 0
    .symbol:         _ZN7rocprim17ROCPRIM_400000_NS6detail17trampoline_kernelINS0_14default_configENS1_35adjacent_difference_config_selectorILb1EjEEZNS1_24adjacent_difference_implIS3_Lb1ELb0EPKjPjN6thrust23THRUST_200600_302600_NS4plusIjEEEE10hipError_tPvRmT2_T3_mT4_P12ihipStream_tbEUlT_E_NS1_11comp_targetILNS1_3genE5ELNS1_11target_archE942ELNS1_3gpuE9ELNS1_3repE0EEENS1_30default_config_static_selectorELNS0_4arch9wavefront6targetE1EEEvT1_.kd
    .uniform_work_group_size: 1
    .uses_dynamic_stack: false
    .vgpr_count:     0
    .vgpr_spill_count: 0
    .wavefront_size: 64
  - .args:
      - .offset:         0
        .size:           56
        .value_kind:     by_value
    .group_segment_fixed_size: 0
    .kernarg_segment_align: 8
    .kernarg_segment_size: 56
    .language:       OpenCL C
    .language_version:
      - 2
      - 0
    .max_flat_workgroup_size: 512
    .name:           _ZN7rocprim17ROCPRIM_400000_NS6detail17trampoline_kernelINS0_14default_configENS1_35adjacent_difference_config_selectorILb1EjEEZNS1_24adjacent_difference_implIS3_Lb1ELb0EPKjPjN6thrust23THRUST_200600_302600_NS4plusIjEEEE10hipError_tPvRmT2_T3_mT4_P12ihipStream_tbEUlT_E_NS1_11comp_targetILNS1_3genE4ELNS1_11target_archE910ELNS1_3gpuE8ELNS1_3repE0EEENS1_30default_config_static_selectorELNS0_4arch9wavefront6targetE1EEEvT1_
    .private_segment_fixed_size: 0
    .sgpr_count:     4
    .sgpr_spill_count: 0
    .symbol:         _ZN7rocprim17ROCPRIM_400000_NS6detail17trampoline_kernelINS0_14default_configENS1_35adjacent_difference_config_selectorILb1EjEEZNS1_24adjacent_difference_implIS3_Lb1ELb0EPKjPjN6thrust23THRUST_200600_302600_NS4plusIjEEEE10hipError_tPvRmT2_T3_mT4_P12ihipStream_tbEUlT_E_NS1_11comp_targetILNS1_3genE4ELNS1_11target_archE910ELNS1_3gpuE8ELNS1_3repE0EEENS1_30default_config_static_selectorELNS0_4arch9wavefront6targetE1EEEvT1_.kd
    .uniform_work_group_size: 1
    .uses_dynamic_stack: false
    .vgpr_count:     0
    .vgpr_spill_count: 0
    .wavefront_size: 64
  - .args:
      - .offset:         0
        .size:           56
        .value_kind:     by_value
    .group_segment_fixed_size: 0
    .kernarg_segment_align: 8
    .kernarg_segment_size: 56
    .language:       OpenCL C
    .language_version:
      - 2
      - 0
    .max_flat_workgroup_size: 1024
    .name:           _ZN7rocprim17ROCPRIM_400000_NS6detail17trampoline_kernelINS0_14default_configENS1_35adjacent_difference_config_selectorILb1EjEEZNS1_24adjacent_difference_implIS3_Lb1ELb0EPKjPjN6thrust23THRUST_200600_302600_NS4plusIjEEEE10hipError_tPvRmT2_T3_mT4_P12ihipStream_tbEUlT_E_NS1_11comp_targetILNS1_3genE3ELNS1_11target_archE908ELNS1_3gpuE7ELNS1_3repE0EEENS1_30default_config_static_selectorELNS0_4arch9wavefront6targetE1EEEvT1_
    .private_segment_fixed_size: 0
    .sgpr_count:     4
    .sgpr_spill_count: 0
    .symbol:         _ZN7rocprim17ROCPRIM_400000_NS6detail17trampoline_kernelINS0_14default_configENS1_35adjacent_difference_config_selectorILb1EjEEZNS1_24adjacent_difference_implIS3_Lb1ELb0EPKjPjN6thrust23THRUST_200600_302600_NS4plusIjEEEE10hipError_tPvRmT2_T3_mT4_P12ihipStream_tbEUlT_E_NS1_11comp_targetILNS1_3genE3ELNS1_11target_archE908ELNS1_3gpuE7ELNS1_3repE0EEENS1_30default_config_static_selectorELNS0_4arch9wavefront6targetE1EEEvT1_.kd
    .uniform_work_group_size: 1
    .uses_dynamic_stack: false
    .vgpr_count:     0
    .vgpr_spill_count: 0
    .wavefront_size: 64
  - .args:
      - .offset:         0
        .size:           56
        .value_kind:     by_value
    .group_segment_fixed_size: 11264
    .kernarg_segment_align: 8
    .kernarg_segment_size: 56
    .language:       OpenCL C
    .language_version:
      - 2
      - 0
    .max_flat_workgroup_size: 256
    .name:           _ZN7rocprim17ROCPRIM_400000_NS6detail17trampoline_kernelINS0_14default_configENS1_35adjacent_difference_config_selectorILb1EjEEZNS1_24adjacent_difference_implIS3_Lb1ELb0EPKjPjN6thrust23THRUST_200600_302600_NS4plusIjEEEE10hipError_tPvRmT2_T3_mT4_P12ihipStream_tbEUlT_E_NS1_11comp_targetILNS1_3genE2ELNS1_11target_archE906ELNS1_3gpuE6ELNS1_3repE0EEENS1_30default_config_static_selectorELNS0_4arch9wavefront6targetE1EEEvT1_
    .private_segment_fixed_size: 0
    .sgpr_count:     33
    .sgpr_spill_count: 0
    .symbol:         _ZN7rocprim17ROCPRIM_400000_NS6detail17trampoline_kernelINS0_14default_configENS1_35adjacent_difference_config_selectorILb1EjEEZNS1_24adjacent_difference_implIS3_Lb1ELb0EPKjPjN6thrust23THRUST_200600_302600_NS4plusIjEEEE10hipError_tPvRmT2_T3_mT4_P12ihipStream_tbEUlT_E_NS1_11comp_targetILNS1_3genE2ELNS1_11target_archE906ELNS1_3gpuE6ELNS1_3repE0EEENS1_30default_config_static_selectorELNS0_4arch9wavefront6targetE1EEEvT1_.kd
    .uniform_work_group_size: 1
    .uses_dynamic_stack: false
    .vgpr_count:     27
    .vgpr_spill_count: 0
    .wavefront_size: 64
  - .args:
      - .offset:         0
        .size:           56
        .value_kind:     by_value
    .group_segment_fixed_size: 0
    .kernarg_segment_align: 8
    .kernarg_segment_size: 56
    .language:       OpenCL C
    .language_version:
      - 2
      - 0
    .max_flat_workgroup_size: 128
    .name:           _ZN7rocprim17ROCPRIM_400000_NS6detail17trampoline_kernelINS0_14default_configENS1_35adjacent_difference_config_selectorILb1EjEEZNS1_24adjacent_difference_implIS3_Lb1ELb0EPKjPjN6thrust23THRUST_200600_302600_NS4plusIjEEEE10hipError_tPvRmT2_T3_mT4_P12ihipStream_tbEUlT_E_NS1_11comp_targetILNS1_3genE9ELNS1_11target_archE1100ELNS1_3gpuE3ELNS1_3repE0EEENS1_30default_config_static_selectorELNS0_4arch9wavefront6targetE1EEEvT1_
    .private_segment_fixed_size: 0
    .sgpr_count:     4
    .sgpr_spill_count: 0
    .symbol:         _ZN7rocprim17ROCPRIM_400000_NS6detail17trampoline_kernelINS0_14default_configENS1_35adjacent_difference_config_selectorILb1EjEEZNS1_24adjacent_difference_implIS3_Lb1ELb0EPKjPjN6thrust23THRUST_200600_302600_NS4plusIjEEEE10hipError_tPvRmT2_T3_mT4_P12ihipStream_tbEUlT_E_NS1_11comp_targetILNS1_3genE9ELNS1_11target_archE1100ELNS1_3gpuE3ELNS1_3repE0EEENS1_30default_config_static_selectorELNS0_4arch9wavefront6targetE1EEEvT1_.kd
    .uniform_work_group_size: 1
    .uses_dynamic_stack: false
    .vgpr_count:     0
    .vgpr_spill_count: 0
    .wavefront_size: 64
  - .args:
      - .offset:         0
        .size:           56
        .value_kind:     by_value
    .group_segment_fixed_size: 0
    .kernarg_segment_align: 8
    .kernarg_segment_size: 56
    .language:       OpenCL C
    .language_version:
      - 2
      - 0
    .max_flat_workgroup_size: 32
    .name:           _ZN7rocprim17ROCPRIM_400000_NS6detail17trampoline_kernelINS0_14default_configENS1_35adjacent_difference_config_selectorILb1EjEEZNS1_24adjacent_difference_implIS3_Lb1ELb0EPKjPjN6thrust23THRUST_200600_302600_NS4plusIjEEEE10hipError_tPvRmT2_T3_mT4_P12ihipStream_tbEUlT_E_NS1_11comp_targetILNS1_3genE8ELNS1_11target_archE1030ELNS1_3gpuE2ELNS1_3repE0EEENS1_30default_config_static_selectorELNS0_4arch9wavefront6targetE1EEEvT1_
    .private_segment_fixed_size: 0
    .sgpr_count:     4
    .sgpr_spill_count: 0
    .symbol:         _ZN7rocprim17ROCPRIM_400000_NS6detail17trampoline_kernelINS0_14default_configENS1_35adjacent_difference_config_selectorILb1EjEEZNS1_24adjacent_difference_implIS3_Lb1ELb0EPKjPjN6thrust23THRUST_200600_302600_NS4plusIjEEEE10hipError_tPvRmT2_T3_mT4_P12ihipStream_tbEUlT_E_NS1_11comp_targetILNS1_3genE8ELNS1_11target_archE1030ELNS1_3gpuE2ELNS1_3repE0EEENS1_30default_config_static_selectorELNS0_4arch9wavefront6targetE1EEEvT1_.kd
    .uniform_work_group_size: 1
    .uses_dynamic_stack: false
    .vgpr_count:     0
    .vgpr_spill_count: 0
    .wavefront_size: 64
  - .args:
      - .offset:         0
        .size:           56
        .value_kind:     by_value
    .group_segment_fixed_size: 0
    .kernarg_segment_align: 8
    .kernarg_segment_size: 56
    .language:       OpenCL C
    .language_version:
      - 2
      - 0
    .max_flat_workgroup_size: 64
    .name:           _ZN7rocprim17ROCPRIM_400000_NS6detail17trampoline_kernelINS0_14default_configENS1_35adjacent_difference_config_selectorILb0EtEEZNS1_24adjacent_difference_implIS3_Lb0ELb0EPKtPtN6thrust23THRUST_200600_302600_NS4plusItEEEE10hipError_tPvRmT2_T3_mT4_P12ihipStream_tbEUlT_E_NS1_11comp_targetILNS1_3genE0ELNS1_11target_archE4294967295ELNS1_3gpuE0ELNS1_3repE0EEENS1_30default_config_static_selectorELNS0_4arch9wavefront6targetE1EEEvT1_
    .private_segment_fixed_size: 0
    .sgpr_count:     4
    .sgpr_spill_count: 0
    .symbol:         _ZN7rocprim17ROCPRIM_400000_NS6detail17trampoline_kernelINS0_14default_configENS1_35adjacent_difference_config_selectorILb0EtEEZNS1_24adjacent_difference_implIS3_Lb0ELb0EPKtPtN6thrust23THRUST_200600_302600_NS4plusItEEEE10hipError_tPvRmT2_T3_mT4_P12ihipStream_tbEUlT_E_NS1_11comp_targetILNS1_3genE0ELNS1_11target_archE4294967295ELNS1_3gpuE0ELNS1_3repE0EEENS1_30default_config_static_selectorELNS0_4arch9wavefront6targetE1EEEvT1_.kd
    .uniform_work_group_size: 1
    .uses_dynamic_stack: false
    .vgpr_count:     0
    .vgpr_spill_count: 0
    .wavefront_size: 64
  - .args:
      - .offset:         0
        .size:           56
        .value_kind:     by_value
    .group_segment_fixed_size: 0
    .kernarg_segment_align: 8
    .kernarg_segment_size: 56
    .language:       OpenCL C
    .language_version:
      - 2
      - 0
    .max_flat_workgroup_size: 128
    .name:           _ZN7rocprim17ROCPRIM_400000_NS6detail17trampoline_kernelINS0_14default_configENS1_35adjacent_difference_config_selectorILb0EtEEZNS1_24adjacent_difference_implIS3_Lb0ELb0EPKtPtN6thrust23THRUST_200600_302600_NS4plusItEEEE10hipError_tPvRmT2_T3_mT4_P12ihipStream_tbEUlT_E_NS1_11comp_targetILNS1_3genE10ELNS1_11target_archE1201ELNS1_3gpuE5ELNS1_3repE0EEENS1_30default_config_static_selectorELNS0_4arch9wavefront6targetE1EEEvT1_
    .private_segment_fixed_size: 0
    .sgpr_count:     4
    .sgpr_spill_count: 0
    .symbol:         _ZN7rocprim17ROCPRIM_400000_NS6detail17trampoline_kernelINS0_14default_configENS1_35adjacent_difference_config_selectorILb0EtEEZNS1_24adjacent_difference_implIS3_Lb0ELb0EPKtPtN6thrust23THRUST_200600_302600_NS4plusItEEEE10hipError_tPvRmT2_T3_mT4_P12ihipStream_tbEUlT_E_NS1_11comp_targetILNS1_3genE10ELNS1_11target_archE1201ELNS1_3gpuE5ELNS1_3repE0EEENS1_30default_config_static_selectorELNS0_4arch9wavefront6targetE1EEEvT1_.kd
    .uniform_work_group_size: 1
    .uses_dynamic_stack: false
    .vgpr_count:     0
    .vgpr_spill_count: 0
    .wavefront_size: 64
  - .args:
      - .offset:         0
        .size:           56
        .value_kind:     by_value
    .group_segment_fixed_size: 0
    .kernarg_segment_align: 8
    .kernarg_segment_size: 56
    .language:       OpenCL C
    .language_version:
      - 2
      - 0
    .max_flat_workgroup_size: 256
    .name:           _ZN7rocprim17ROCPRIM_400000_NS6detail17trampoline_kernelINS0_14default_configENS1_35adjacent_difference_config_selectorILb0EtEEZNS1_24adjacent_difference_implIS3_Lb0ELb0EPKtPtN6thrust23THRUST_200600_302600_NS4plusItEEEE10hipError_tPvRmT2_T3_mT4_P12ihipStream_tbEUlT_E_NS1_11comp_targetILNS1_3genE5ELNS1_11target_archE942ELNS1_3gpuE9ELNS1_3repE0EEENS1_30default_config_static_selectorELNS0_4arch9wavefront6targetE1EEEvT1_
    .private_segment_fixed_size: 0
    .sgpr_count:     4
    .sgpr_spill_count: 0
    .symbol:         _ZN7rocprim17ROCPRIM_400000_NS6detail17trampoline_kernelINS0_14default_configENS1_35adjacent_difference_config_selectorILb0EtEEZNS1_24adjacent_difference_implIS3_Lb0ELb0EPKtPtN6thrust23THRUST_200600_302600_NS4plusItEEEE10hipError_tPvRmT2_T3_mT4_P12ihipStream_tbEUlT_E_NS1_11comp_targetILNS1_3genE5ELNS1_11target_archE942ELNS1_3gpuE9ELNS1_3repE0EEENS1_30default_config_static_selectorELNS0_4arch9wavefront6targetE1EEEvT1_.kd
    .uniform_work_group_size: 1
    .uses_dynamic_stack: false
    .vgpr_count:     0
    .vgpr_spill_count: 0
    .wavefront_size: 64
  - .args:
      - .offset:         0
        .size:           56
        .value_kind:     by_value
    .group_segment_fixed_size: 0
    .kernarg_segment_align: 8
    .kernarg_segment_size: 56
    .language:       OpenCL C
    .language_version:
      - 2
      - 0
    .max_flat_workgroup_size: 64
    .name:           _ZN7rocprim17ROCPRIM_400000_NS6detail17trampoline_kernelINS0_14default_configENS1_35adjacent_difference_config_selectorILb0EtEEZNS1_24adjacent_difference_implIS3_Lb0ELb0EPKtPtN6thrust23THRUST_200600_302600_NS4plusItEEEE10hipError_tPvRmT2_T3_mT4_P12ihipStream_tbEUlT_E_NS1_11comp_targetILNS1_3genE4ELNS1_11target_archE910ELNS1_3gpuE8ELNS1_3repE0EEENS1_30default_config_static_selectorELNS0_4arch9wavefront6targetE1EEEvT1_
    .private_segment_fixed_size: 0
    .sgpr_count:     4
    .sgpr_spill_count: 0
    .symbol:         _ZN7rocprim17ROCPRIM_400000_NS6detail17trampoline_kernelINS0_14default_configENS1_35adjacent_difference_config_selectorILb0EtEEZNS1_24adjacent_difference_implIS3_Lb0ELb0EPKtPtN6thrust23THRUST_200600_302600_NS4plusItEEEE10hipError_tPvRmT2_T3_mT4_P12ihipStream_tbEUlT_E_NS1_11comp_targetILNS1_3genE4ELNS1_11target_archE910ELNS1_3gpuE8ELNS1_3repE0EEENS1_30default_config_static_selectorELNS0_4arch9wavefront6targetE1EEEvT1_.kd
    .uniform_work_group_size: 1
    .uses_dynamic_stack: false
    .vgpr_count:     0
    .vgpr_spill_count: 0
    .wavefront_size: 64
  - .args:
      - .offset:         0
        .size:           56
        .value_kind:     by_value
    .group_segment_fixed_size: 0
    .kernarg_segment_align: 8
    .kernarg_segment_size: 56
    .language:       OpenCL C
    .language_version:
      - 2
      - 0
    .max_flat_workgroup_size: 64
    .name:           _ZN7rocprim17ROCPRIM_400000_NS6detail17trampoline_kernelINS0_14default_configENS1_35adjacent_difference_config_selectorILb0EtEEZNS1_24adjacent_difference_implIS3_Lb0ELb0EPKtPtN6thrust23THRUST_200600_302600_NS4plusItEEEE10hipError_tPvRmT2_T3_mT4_P12ihipStream_tbEUlT_E_NS1_11comp_targetILNS1_3genE3ELNS1_11target_archE908ELNS1_3gpuE7ELNS1_3repE0EEENS1_30default_config_static_selectorELNS0_4arch9wavefront6targetE1EEEvT1_
    .private_segment_fixed_size: 0
    .sgpr_count:     4
    .sgpr_spill_count: 0
    .symbol:         _ZN7rocprim17ROCPRIM_400000_NS6detail17trampoline_kernelINS0_14default_configENS1_35adjacent_difference_config_selectorILb0EtEEZNS1_24adjacent_difference_implIS3_Lb0ELb0EPKtPtN6thrust23THRUST_200600_302600_NS4plusItEEEE10hipError_tPvRmT2_T3_mT4_P12ihipStream_tbEUlT_E_NS1_11comp_targetILNS1_3genE3ELNS1_11target_archE908ELNS1_3gpuE7ELNS1_3repE0EEENS1_30default_config_static_selectorELNS0_4arch9wavefront6targetE1EEEvT1_.kd
    .uniform_work_group_size: 1
    .uses_dynamic_stack: false
    .vgpr_count:     0
    .vgpr_spill_count: 0
    .wavefront_size: 64
  - .args:
      - .offset:         0
        .size:           56
        .value_kind:     by_value
    .group_segment_fixed_size: 896
    .kernarg_segment_align: 8
    .kernarg_segment_size: 56
    .language:       OpenCL C
    .language_version:
      - 2
      - 0
    .max_flat_workgroup_size: 64
    .name:           _ZN7rocprim17ROCPRIM_400000_NS6detail17trampoline_kernelINS0_14default_configENS1_35adjacent_difference_config_selectorILb0EtEEZNS1_24adjacent_difference_implIS3_Lb0ELb0EPKtPtN6thrust23THRUST_200600_302600_NS4plusItEEEE10hipError_tPvRmT2_T3_mT4_P12ihipStream_tbEUlT_E_NS1_11comp_targetILNS1_3genE2ELNS1_11target_archE906ELNS1_3gpuE6ELNS1_3repE0EEENS1_30default_config_static_selectorELNS0_4arch9wavefront6targetE1EEEvT1_
    .private_segment_fixed_size: 0
    .sgpr_count:     27
    .sgpr_spill_count: 0
    .symbol:         _ZN7rocprim17ROCPRIM_400000_NS6detail17trampoline_kernelINS0_14default_configENS1_35adjacent_difference_config_selectorILb0EtEEZNS1_24adjacent_difference_implIS3_Lb0ELb0EPKtPtN6thrust23THRUST_200600_302600_NS4plusItEEEE10hipError_tPvRmT2_T3_mT4_P12ihipStream_tbEUlT_E_NS1_11comp_targetILNS1_3genE2ELNS1_11target_archE906ELNS1_3gpuE6ELNS1_3repE0EEENS1_30default_config_static_selectorELNS0_4arch9wavefront6targetE1EEEvT1_.kd
    .uniform_work_group_size: 1
    .uses_dynamic_stack: false
    .vgpr_count:     18
    .vgpr_spill_count: 0
    .wavefront_size: 64
  - .args:
      - .offset:         0
        .size:           56
        .value_kind:     by_value
    .group_segment_fixed_size: 0
    .kernarg_segment_align: 8
    .kernarg_segment_size: 56
    .language:       OpenCL C
    .language_version:
      - 2
      - 0
    .max_flat_workgroup_size: 64
    .name:           _ZN7rocprim17ROCPRIM_400000_NS6detail17trampoline_kernelINS0_14default_configENS1_35adjacent_difference_config_selectorILb0EtEEZNS1_24adjacent_difference_implIS3_Lb0ELb0EPKtPtN6thrust23THRUST_200600_302600_NS4plusItEEEE10hipError_tPvRmT2_T3_mT4_P12ihipStream_tbEUlT_E_NS1_11comp_targetILNS1_3genE9ELNS1_11target_archE1100ELNS1_3gpuE3ELNS1_3repE0EEENS1_30default_config_static_selectorELNS0_4arch9wavefront6targetE1EEEvT1_
    .private_segment_fixed_size: 0
    .sgpr_count:     4
    .sgpr_spill_count: 0
    .symbol:         _ZN7rocprim17ROCPRIM_400000_NS6detail17trampoline_kernelINS0_14default_configENS1_35adjacent_difference_config_selectorILb0EtEEZNS1_24adjacent_difference_implIS3_Lb0ELb0EPKtPtN6thrust23THRUST_200600_302600_NS4plusItEEEE10hipError_tPvRmT2_T3_mT4_P12ihipStream_tbEUlT_E_NS1_11comp_targetILNS1_3genE9ELNS1_11target_archE1100ELNS1_3gpuE3ELNS1_3repE0EEENS1_30default_config_static_selectorELNS0_4arch9wavefront6targetE1EEEvT1_.kd
    .uniform_work_group_size: 1
    .uses_dynamic_stack: false
    .vgpr_count:     0
    .vgpr_spill_count: 0
    .wavefront_size: 64
  - .args:
      - .offset:         0
        .size:           56
        .value_kind:     by_value
    .group_segment_fixed_size: 0
    .kernarg_segment_align: 8
    .kernarg_segment_size: 56
    .language:       OpenCL C
    .language_version:
      - 2
      - 0
    .max_flat_workgroup_size: 1024
    .name:           _ZN7rocprim17ROCPRIM_400000_NS6detail17trampoline_kernelINS0_14default_configENS1_35adjacent_difference_config_selectorILb0EtEEZNS1_24adjacent_difference_implIS3_Lb0ELb0EPKtPtN6thrust23THRUST_200600_302600_NS4plusItEEEE10hipError_tPvRmT2_T3_mT4_P12ihipStream_tbEUlT_E_NS1_11comp_targetILNS1_3genE8ELNS1_11target_archE1030ELNS1_3gpuE2ELNS1_3repE0EEENS1_30default_config_static_selectorELNS0_4arch9wavefront6targetE1EEEvT1_
    .private_segment_fixed_size: 0
    .sgpr_count:     4
    .sgpr_spill_count: 0
    .symbol:         _ZN7rocprim17ROCPRIM_400000_NS6detail17trampoline_kernelINS0_14default_configENS1_35adjacent_difference_config_selectorILb0EtEEZNS1_24adjacent_difference_implIS3_Lb0ELb0EPKtPtN6thrust23THRUST_200600_302600_NS4plusItEEEE10hipError_tPvRmT2_T3_mT4_P12ihipStream_tbEUlT_E_NS1_11comp_targetILNS1_3genE8ELNS1_11target_archE1030ELNS1_3gpuE2ELNS1_3repE0EEENS1_30default_config_static_selectorELNS0_4arch9wavefront6targetE1EEEvT1_.kd
    .uniform_work_group_size: 1
    .uses_dynamic_stack: false
    .vgpr_count:     0
    .vgpr_spill_count: 0
    .wavefront_size: 64
  - .args:
      - .offset:         0
        .size:           56
        .value_kind:     by_value
    .group_segment_fixed_size: 0
    .kernarg_segment_align: 8
    .kernarg_segment_size: 56
    .language:       OpenCL C
    .language_version:
      - 2
      - 0
    .max_flat_workgroup_size: 128
    .name:           _ZN7rocprim17ROCPRIM_400000_NS6detail17trampoline_kernelINS0_14default_configENS1_25transform_config_selectorItLb0EEEZNS1_14transform_implILb0ES3_S5_NS0_18transform_iteratorINS0_17counting_iteratorImlEEZNS1_24adjacent_difference_implIS3_Lb1ELb0EPKtPtN6thrust23THRUST_200600_302600_NS4plusItEEEE10hipError_tPvRmT2_T3_mT4_P12ihipStream_tbEUlmE_tEESD_NS0_8identityIvEEEESI_SL_SM_mSN_SP_bEUlT_E_NS1_11comp_targetILNS1_3genE0ELNS1_11target_archE4294967295ELNS1_3gpuE0ELNS1_3repE0EEENS1_30default_config_static_selectorELNS0_4arch9wavefront6targetE1EEEvT1_
    .private_segment_fixed_size: 0
    .sgpr_count:     4
    .sgpr_spill_count: 0
    .symbol:         _ZN7rocprim17ROCPRIM_400000_NS6detail17trampoline_kernelINS0_14default_configENS1_25transform_config_selectorItLb0EEEZNS1_14transform_implILb0ES3_S5_NS0_18transform_iteratorINS0_17counting_iteratorImlEEZNS1_24adjacent_difference_implIS3_Lb1ELb0EPKtPtN6thrust23THRUST_200600_302600_NS4plusItEEEE10hipError_tPvRmT2_T3_mT4_P12ihipStream_tbEUlmE_tEESD_NS0_8identityIvEEEESI_SL_SM_mSN_SP_bEUlT_E_NS1_11comp_targetILNS1_3genE0ELNS1_11target_archE4294967295ELNS1_3gpuE0ELNS1_3repE0EEENS1_30default_config_static_selectorELNS0_4arch9wavefront6targetE1EEEvT1_.kd
    .uniform_work_group_size: 1
    .uses_dynamic_stack: false
    .vgpr_count:     0
    .vgpr_spill_count: 0
    .wavefront_size: 64
  - .args:
      - .offset:         0
        .size:           56
        .value_kind:     by_value
    .group_segment_fixed_size: 0
    .kernarg_segment_align: 8
    .kernarg_segment_size: 56
    .language:       OpenCL C
    .language_version:
      - 2
      - 0
    .max_flat_workgroup_size: 256
    .name:           _ZN7rocprim17ROCPRIM_400000_NS6detail17trampoline_kernelINS0_14default_configENS1_25transform_config_selectorItLb0EEEZNS1_14transform_implILb0ES3_S5_NS0_18transform_iteratorINS0_17counting_iteratorImlEEZNS1_24adjacent_difference_implIS3_Lb1ELb0EPKtPtN6thrust23THRUST_200600_302600_NS4plusItEEEE10hipError_tPvRmT2_T3_mT4_P12ihipStream_tbEUlmE_tEESD_NS0_8identityIvEEEESI_SL_SM_mSN_SP_bEUlT_E_NS1_11comp_targetILNS1_3genE5ELNS1_11target_archE942ELNS1_3gpuE9ELNS1_3repE0EEENS1_30default_config_static_selectorELNS0_4arch9wavefront6targetE1EEEvT1_
    .private_segment_fixed_size: 0
    .sgpr_count:     4
    .sgpr_spill_count: 0
    .symbol:         _ZN7rocprim17ROCPRIM_400000_NS6detail17trampoline_kernelINS0_14default_configENS1_25transform_config_selectorItLb0EEEZNS1_14transform_implILb0ES3_S5_NS0_18transform_iteratorINS0_17counting_iteratorImlEEZNS1_24adjacent_difference_implIS3_Lb1ELb0EPKtPtN6thrust23THRUST_200600_302600_NS4plusItEEEE10hipError_tPvRmT2_T3_mT4_P12ihipStream_tbEUlmE_tEESD_NS0_8identityIvEEEESI_SL_SM_mSN_SP_bEUlT_E_NS1_11comp_targetILNS1_3genE5ELNS1_11target_archE942ELNS1_3gpuE9ELNS1_3repE0EEENS1_30default_config_static_selectorELNS0_4arch9wavefront6targetE1EEEvT1_.kd
    .uniform_work_group_size: 1
    .uses_dynamic_stack: false
    .vgpr_count:     0
    .vgpr_spill_count: 0
    .wavefront_size: 64
  - .args:
      - .offset:         0
        .size:           56
        .value_kind:     by_value
    .group_segment_fixed_size: 0
    .kernarg_segment_align: 8
    .kernarg_segment_size: 56
    .language:       OpenCL C
    .language_version:
      - 2
      - 0
    .max_flat_workgroup_size: 64
    .name:           _ZN7rocprim17ROCPRIM_400000_NS6detail17trampoline_kernelINS0_14default_configENS1_25transform_config_selectorItLb0EEEZNS1_14transform_implILb0ES3_S5_NS0_18transform_iteratorINS0_17counting_iteratorImlEEZNS1_24adjacent_difference_implIS3_Lb1ELb0EPKtPtN6thrust23THRUST_200600_302600_NS4plusItEEEE10hipError_tPvRmT2_T3_mT4_P12ihipStream_tbEUlmE_tEESD_NS0_8identityIvEEEESI_SL_SM_mSN_SP_bEUlT_E_NS1_11comp_targetILNS1_3genE4ELNS1_11target_archE910ELNS1_3gpuE8ELNS1_3repE0EEENS1_30default_config_static_selectorELNS0_4arch9wavefront6targetE1EEEvT1_
    .private_segment_fixed_size: 0
    .sgpr_count:     4
    .sgpr_spill_count: 0
    .symbol:         _ZN7rocprim17ROCPRIM_400000_NS6detail17trampoline_kernelINS0_14default_configENS1_25transform_config_selectorItLb0EEEZNS1_14transform_implILb0ES3_S5_NS0_18transform_iteratorINS0_17counting_iteratorImlEEZNS1_24adjacent_difference_implIS3_Lb1ELb0EPKtPtN6thrust23THRUST_200600_302600_NS4plusItEEEE10hipError_tPvRmT2_T3_mT4_P12ihipStream_tbEUlmE_tEESD_NS0_8identityIvEEEESI_SL_SM_mSN_SP_bEUlT_E_NS1_11comp_targetILNS1_3genE4ELNS1_11target_archE910ELNS1_3gpuE8ELNS1_3repE0EEENS1_30default_config_static_selectorELNS0_4arch9wavefront6targetE1EEEvT1_.kd
    .uniform_work_group_size: 1
    .uses_dynamic_stack: false
    .vgpr_count:     0
    .vgpr_spill_count: 0
    .wavefront_size: 64
  - .args:
      - .offset:         0
        .size:           56
        .value_kind:     by_value
    .group_segment_fixed_size: 0
    .kernarg_segment_align: 8
    .kernarg_segment_size: 56
    .language:       OpenCL C
    .language_version:
      - 2
      - 0
    .max_flat_workgroup_size: 128
    .name:           _ZN7rocprim17ROCPRIM_400000_NS6detail17trampoline_kernelINS0_14default_configENS1_25transform_config_selectorItLb0EEEZNS1_14transform_implILb0ES3_S5_NS0_18transform_iteratorINS0_17counting_iteratorImlEEZNS1_24adjacent_difference_implIS3_Lb1ELb0EPKtPtN6thrust23THRUST_200600_302600_NS4plusItEEEE10hipError_tPvRmT2_T3_mT4_P12ihipStream_tbEUlmE_tEESD_NS0_8identityIvEEEESI_SL_SM_mSN_SP_bEUlT_E_NS1_11comp_targetILNS1_3genE3ELNS1_11target_archE908ELNS1_3gpuE7ELNS1_3repE0EEENS1_30default_config_static_selectorELNS0_4arch9wavefront6targetE1EEEvT1_
    .private_segment_fixed_size: 0
    .sgpr_count:     4
    .sgpr_spill_count: 0
    .symbol:         _ZN7rocprim17ROCPRIM_400000_NS6detail17trampoline_kernelINS0_14default_configENS1_25transform_config_selectorItLb0EEEZNS1_14transform_implILb0ES3_S5_NS0_18transform_iteratorINS0_17counting_iteratorImlEEZNS1_24adjacent_difference_implIS3_Lb1ELb0EPKtPtN6thrust23THRUST_200600_302600_NS4plusItEEEE10hipError_tPvRmT2_T3_mT4_P12ihipStream_tbEUlmE_tEESD_NS0_8identityIvEEEESI_SL_SM_mSN_SP_bEUlT_E_NS1_11comp_targetILNS1_3genE3ELNS1_11target_archE908ELNS1_3gpuE7ELNS1_3repE0EEENS1_30default_config_static_selectorELNS0_4arch9wavefront6targetE1EEEvT1_.kd
    .uniform_work_group_size: 1
    .uses_dynamic_stack: false
    .vgpr_count:     0
    .vgpr_spill_count: 0
    .wavefront_size: 64
  - .args:
      - .offset:         0
        .size:           56
        .value_kind:     by_value
      - .offset:         56
        .size:           4
        .value_kind:     hidden_block_count_x
      - .offset:         60
        .size:           4
        .value_kind:     hidden_block_count_y
      - .offset:         64
        .size:           4
        .value_kind:     hidden_block_count_z
      - .offset:         68
        .size:           2
        .value_kind:     hidden_group_size_x
      - .offset:         70
        .size:           2
        .value_kind:     hidden_group_size_y
      - .offset:         72
        .size:           2
        .value_kind:     hidden_group_size_z
      - .offset:         74
        .size:           2
        .value_kind:     hidden_remainder_x
      - .offset:         76
        .size:           2
        .value_kind:     hidden_remainder_y
      - .offset:         78
        .size:           2
        .value_kind:     hidden_remainder_z
      - .offset:         96
        .size:           8
        .value_kind:     hidden_global_offset_x
      - .offset:         104
        .size:           8
        .value_kind:     hidden_global_offset_y
      - .offset:         112
        .size:           8
        .value_kind:     hidden_global_offset_z
      - .offset:         120
        .size:           2
        .value_kind:     hidden_grid_dims
    .group_segment_fixed_size: 0
    .kernarg_segment_align: 8
    .kernarg_segment_size: 312
    .language:       OpenCL C
    .language_version:
      - 2
      - 0
    .max_flat_workgroup_size: 512
    .name:           _ZN7rocprim17ROCPRIM_400000_NS6detail17trampoline_kernelINS0_14default_configENS1_25transform_config_selectorItLb0EEEZNS1_14transform_implILb0ES3_S5_NS0_18transform_iteratorINS0_17counting_iteratorImlEEZNS1_24adjacent_difference_implIS3_Lb1ELb0EPKtPtN6thrust23THRUST_200600_302600_NS4plusItEEEE10hipError_tPvRmT2_T3_mT4_P12ihipStream_tbEUlmE_tEESD_NS0_8identityIvEEEESI_SL_SM_mSN_SP_bEUlT_E_NS1_11comp_targetILNS1_3genE2ELNS1_11target_archE906ELNS1_3gpuE6ELNS1_3repE0EEENS1_30default_config_static_selectorELNS0_4arch9wavefront6targetE1EEEvT1_
    .private_segment_fixed_size: 0
    .sgpr_count:     26
    .sgpr_spill_count: 0
    .symbol:         _ZN7rocprim17ROCPRIM_400000_NS6detail17trampoline_kernelINS0_14default_configENS1_25transform_config_selectorItLb0EEEZNS1_14transform_implILb0ES3_S5_NS0_18transform_iteratorINS0_17counting_iteratorImlEEZNS1_24adjacent_difference_implIS3_Lb1ELb0EPKtPtN6thrust23THRUST_200600_302600_NS4plusItEEEE10hipError_tPvRmT2_T3_mT4_P12ihipStream_tbEUlmE_tEESD_NS0_8identityIvEEEESI_SL_SM_mSN_SP_bEUlT_E_NS1_11comp_targetILNS1_3genE2ELNS1_11target_archE906ELNS1_3gpuE6ELNS1_3repE0EEENS1_30default_config_static_selectorELNS0_4arch9wavefront6targetE1EEEvT1_.kd
    .uniform_work_group_size: 1
    .uses_dynamic_stack: false
    .vgpr_count:     12
    .vgpr_spill_count: 0
    .wavefront_size: 64
  - .args:
      - .offset:         0
        .size:           56
        .value_kind:     by_value
    .group_segment_fixed_size: 0
    .kernarg_segment_align: 8
    .kernarg_segment_size: 56
    .language:       OpenCL C
    .language_version:
      - 2
      - 0
    .max_flat_workgroup_size: 1024
    .name:           _ZN7rocprim17ROCPRIM_400000_NS6detail17trampoline_kernelINS0_14default_configENS1_25transform_config_selectorItLb0EEEZNS1_14transform_implILb0ES3_S5_NS0_18transform_iteratorINS0_17counting_iteratorImlEEZNS1_24adjacent_difference_implIS3_Lb1ELb0EPKtPtN6thrust23THRUST_200600_302600_NS4plusItEEEE10hipError_tPvRmT2_T3_mT4_P12ihipStream_tbEUlmE_tEESD_NS0_8identityIvEEEESI_SL_SM_mSN_SP_bEUlT_E_NS1_11comp_targetILNS1_3genE10ELNS1_11target_archE1201ELNS1_3gpuE5ELNS1_3repE0EEENS1_30default_config_static_selectorELNS0_4arch9wavefront6targetE1EEEvT1_
    .private_segment_fixed_size: 0
    .sgpr_count:     4
    .sgpr_spill_count: 0
    .symbol:         _ZN7rocprim17ROCPRIM_400000_NS6detail17trampoline_kernelINS0_14default_configENS1_25transform_config_selectorItLb0EEEZNS1_14transform_implILb0ES3_S5_NS0_18transform_iteratorINS0_17counting_iteratorImlEEZNS1_24adjacent_difference_implIS3_Lb1ELb0EPKtPtN6thrust23THRUST_200600_302600_NS4plusItEEEE10hipError_tPvRmT2_T3_mT4_P12ihipStream_tbEUlmE_tEESD_NS0_8identityIvEEEESI_SL_SM_mSN_SP_bEUlT_E_NS1_11comp_targetILNS1_3genE10ELNS1_11target_archE1201ELNS1_3gpuE5ELNS1_3repE0EEENS1_30default_config_static_selectorELNS0_4arch9wavefront6targetE1EEEvT1_.kd
    .uniform_work_group_size: 1
    .uses_dynamic_stack: false
    .vgpr_count:     0
    .vgpr_spill_count: 0
    .wavefront_size: 64
  - .args:
      - .offset:         0
        .size:           56
        .value_kind:     by_value
    .group_segment_fixed_size: 0
    .kernarg_segment_align: 8
    .kernarg_segment_size: 56
    .language:       OpenCL C
    .language_version:
      - 2
      - 0
    .max_flat_workgroup_size: 512
    .name:           _ZN7rocprim17ROCPRIM_400000_NS6detail17trampoline_kernelINS0_14default_configENS1_25transform_config_selectorItLb0EEEZNS1_14transform_implILb0ES3_S5_NS0_18transform_iteratorINS0_17counting_iteratorImlEEZNS1_24adjacent_difference_implIS3_Lb1ELb0EPKtPtN6thrust23THRUST_200600_302600_NS4plusItEEEE10hipError_tPvRmT2_T3_mT4_P12ihipStream_tbEUlmE_tEESD_NS0_8identityIvEEEESI_SL_SM_mSN_SP_bEUlT_E_NS1_11comp_targetILNS1_3genE10ELNS1_11target_archE1200ELNS1_3gpuE4ELNS1_3repE0EEENS1_30default_config_static_selectorELNS0_4arch9wavefront6targetE1EEEvT1_
    .private_segment_fixed_size: 0
    .sgpr_count:     4
    .sgpr_spill_count: 0
    .symbol:         _ZN7rocprim17ROCPRIM_400000_NS6detail17trampoline_kernelINS0_14default_configENS1_25transform_config_selectorItLb0EEEZNS1_14transform_implILb0ES3_S5_NS0_18transform_iteratorINS0_17counting_iteratorImlEEZNS1_24adjacent_difference_implIS3_Lb1ELb0EPKtPtN6thrust23THRUST_200600_302600_NS4plusItEEEE10hipError_tPvRmT2_T3_mT4_P12ihipStream_tbEUlmE_tEESD_NS0_8identityIvEEEESI_SL_SM_mSN_SP_bEUlT_E_NS1_11comp_targetILNS1_3genE10ELNS1_11target_archE1200ELNS1_3gpuE4ELNS1_3repE0EEENS1_30default_config_static_selectorELNS0_4arch9wavefront6targetE1EEEvT1_.kd
    .uniform_work_group_size: 1
    .uses_dynamic_stack: false
    .vgpr_count:     0
    .vgpr_spill_count: 0
    .wavefront_size: 64
  - .args:
      - .offset:         0
        .size:           56
        .value_kind:     by_value
    .group_segment_fixed_size: 0
    .kernarg_segment_align: 8
    .kernarg_segment_size: 56
    .language:       OpenCL C
    .language_version:
      - 2
      - 0
    .max_flat_workgroup_size: 1024
    .name:           _ZN7rocprim17ROCPRIM_400000_NS6detail17trampoline_kernelINS0_14default_configENS1_25transform_config_selectorItLb0EEEZNS1_14transform_implILb0ES3_S5_NS0_18transform_iteratorINS0_17counting_iteratorImlEEZNS1_24adjacent_difference_implIS3_Lb1ELb0EPKtPtN6thrust23THRUST_200600_302600_NS4plusItEEEE10hipError_tPvRmT2_T3_mT4_P12ihipStream_tbEUlmE_tEESD_NS0_8identityIvEEEESI_SL_SM_mSN_SP_bEUlT_E_NS1_11comp_targetILNS1_3genE9ELNS1_11target_archE1100ELNS1_3gpuE3ELNS1_3repE0EEENS1_30default_config_static_selectorELNS0_4arch9wavefront6targetE1EEEvT1_
    .private_segment_fixed_size: 0
    .sgpr_count:     4
    .sgpr_spill_count: 0
    .symbol:         _ZN7rocprim17ROCPRIM_400000_NS6detail17trampoline_kernelINS0_14default_configENS1_25transform_config_selectorItLb0EEEZNS1_14transform_implILb0ES3_S5_NS0_18transform_iteratorINS0_17counting_iteratorImlEEZNS1_24adjacent_difference_implIS3_Lb1ELb0EPKtPtN6thrust23THRUST_200600_302600_NS4plusItEEEE10hipError_tPvRmT2_T3_mT4_P12ihipStream_tbEUlmE_tEESD_NS0_8identityIvEEEESI_SL_SM_mSN_SP_bEUlT_E_NS1_11comp_targetILNS1_3genE9ELNS1_11target_archE1100ELNS1_3gpuE3ELNS1_3repE0EEENS1_30default_config_static_selectorELNS0_4arch9wavefront6targetE1EEEvT1_.kd
    .uniform_work_group_size: 1
    .uses_dynamic_stack: false
    .vgpr_count:     0
    .vgpr_spill_count: 0
    .wavefront_size: 64
  - .args:
      - .offset:         0
        .size:           56
        .value_kind:     by_value
    .group_segment_fixed_size: 0
    .kernarg_segment_align: 8
    .kernarg_segment_size: 56
    .language:       OpenCL C
    .language_version:
      - 2
      - 0
    .max_flat_workgroup_size: 1024
    .name:           _ZN7rocprim17ROCPRIM_400000_NS6detail17trampoline_kernelINS0_14default_configENS1_25transform_config_selectorItLb0EEEZNS1_14transform_implILb0ES3_S5_NS0_18transform_iteratorINS0_17counting_iteratorImlEEZNS1_24adjacent_difference_implIS3_Lb1ELb0EPKtPtN6thrust23THRUST_200600_302600_NS4plusItEEEE10hipError_tPvRmT2_T3_mT4_P12ihipStream_tbEUlmE_tEESD_NS0_8identityIvEEEESI_SL_SM_mSN_SP_bEUlT_E_NS1_11comp_targetILNS1_3genE8ELNS1_11target_archE1030ELNS1_3gpuE2ELNS1_3repE0EEENS1_30default_config_static_selectorELNS0_4arch9wavefront6targetE1EEEvT1_
    .private_segment_fixed_size: 0
    .sgpr_count:     4
    .sgpr_spill_count: 0
    .symbol:         _ZN7rocprim17ROCPRIM_400000_NS6detail17trampoline_kernelINS0_14default_configENS1_25transform_config_selectorItLb0EEEZNS1_14transform_implILb0ES3_S5_NS0_18transform_iteratorINS0_17counting_iteratorImlEEZNS1_24adjacent_difference_implIS3_Lb1ELb0EPKtPtN6thrust23THRUST_200600_302600_NS4plusItEEEE10hipError_tPvRmT2_T3_mT4_P12ihipStream_tbEUlmE_tEESD_NS0_8identityIvEEEESI_SL_SM_mSN_SP_bEUlT_E_NS1_11comp_targetILNS1_3genE8ELNS1_11target_archE1030ELNS1_3gpuE2ELNS1_3repE0EEENS1_30default_config_static_selectorELNS0_4arch9wavefront6targetE1EEEvT1_.kd
    .uniform_work_group_size: 1
    .uses_dynamic_stack: false
    .vgpr_count:     0
    .vgpr_spill_count: 0
    .wavefront_size: 64
  - .args:
      - .offset:         0
        .size:           56
        .value_kind:     by_value
    .group_segment_fixed_size: 0
    .kernarg_segment_align: 8
    .kernarg_segment_size: 56
    .language:       OpenCL C
    .language_version:
      - 2
      - 0
    .max_flat_workgroup_size: 32
    .name:           _ZN7rocprim17ROCPRIM_400000_NS6detail17trampoline_kernelINS0_14default_configENS1_35adjacent_difference_config_selectorILb1EtEEZNS1_24adjacent_difference_implIS3_Lb1ELb0EPKtPtN6thrust23THRUST_200600_302600_NS4plusItEEEE10hipError_tPvRmT2_T3_mT4_P12ihipStream_tbEUlT_E_NS1_11comp_targetILNS1_3genE0ELNS1_11target_archE4294967295ELNS1_3gpuE0ELNS1_3repE0EEENS1_30default_config_static_selectorELNS0_4arch9wavefront6targetE1EEEvT1_
    .private_segment_fixed_size: 0
    .sgpr_count:     4
    .sgpr_spill_count: 0
    .symbol:         _ZN7rocprim17ROCPRIM_400000_NS6detail17trampoline_kernelINS0_14default_configENS1_35adjacent_difference_config_selectorILb1EtEEZNS1_24adjacent_difference_implIS3_Lb1ELb0EPKtPtN6thrust23THRUST_200600_302600_NS4plusItEEEE10hipError_tPvRmT2_T3_mT4_P12ihipStream_tbEUlT_E_NS1_11comp_targetILNS1_3genE0ELNS1_11target_archE4294967295ELNS1_3gpuE0ELNS1_3repE0EEENS1_30default_config_static_selectorELNS0_4arch9wavefront6targetE1EEEvT1_.kd
    .uniform_work_group_size: 1
    .uses_dynamic_stack: false
    .vgpr_count:     0
    .vgpr_spill_count: 0
    .wavefront_size: 64
  - .args:
      - .offset:         0
        .size:           56
        .value_kind:     by_value
    .group_segment_fixed_size: 0
    .kernarg_segment_align: 8
    .kernarg_segment_size: 56
    .language:       OpenCL C
    .language_version:
      - 2
      - 0
    .max_flat_workgroup_size: 512
    .name:           _ZN7rocprim17ROCPRIM_400000_NS6detail17trampoline_kernelINS0_14default_configENS1_35adjacent_difference_config_selectorILb1EtEEZNS1_24adjacent_difference_implIS3_Lb1ELb0EPKtPtN6thrust23THRUST_200600_302600_NS4plusItEEEE10hipError_tPvRmT2_T3_mT4_P12ihipStream_tbEUlT_E_NS1_11comp_targetILNS1_3genE10ELNS1_11target_archE1201ELNS1_3gpuE5ELNS1_3repE0EEENS1_30default_config_static_selectorELNS0_4arch9wavefront6targetE1EEEvT1_
    .private_segment_fixed_size: 0
    .sgpr_count:     4
    .sgpr_spill_count: 0
    .symbol:         _ZN7rocprim17ROCPRIM_400000_NS6detail17trampoline_kernelINS0_14default_configENS1_35adjacent_difference_config_selectorILb1EtEEZNS1_24adjacent_difference_implIS3_Lb1ELb0EPKtPtN6thrust23THRUST_200600_302600_NS4plusItEEEE10hipError_tPvRmT2_T3_mT4_P12ihipStream_tbEUlT_E_NS1_11comp_targetILNS1_3genE10ELNS1_11target_archE1201ELNS1_3gpuE5ELNS1_3repE0EEENS1_30default_config_static_selectorELNS0_4arch9wavefront6targetE1EEEvT1_.kd
    .uniform_work_group_size: 1
    .uses_dynamic_stack: false
    .vgpr_count:     0
    .vgpr_spill_count: 0
    .wavefront_size: 64
  - .args:
      - .offset:         0
        .size:           56
        .value_kind:     by_value
    .group_segment_fixed_size: 0
    .kernarg_segment_align: 8
    .kernarg_segment_size: 56
    .language:       OpenCL C
    .language_version:
      - 2
      - 0
    .max_flat_workgroup_size: 64
    .name:           _ZN7rocprim17ROCPRIM_400000_NS6detail17trampoline_kernelINS0_14default_configENS1_35adjacent_difference_config_selectorILb1EtEEZNS1_24adjacent_difference_implIS3_Lb1ELb0EPKtPtN6thrust23THRUST_200600_302600_NS4plusItEEEE10hipError_tPvRmT2_T3_mT4_P12ihipStream_tbEUlT_E_NS1_11comp_targetILNS1_3genE5ELNS1_11target_archE942ELNS1_3gpuE9ELNS1_3repE0EEENS1_30default_config_static_selectorELNS0_4arch9wavefront6targetE1EEEvT1_
    .private_segment_fixed_size: 0
    .sgpr_count:     4
    .sgpr_spill_count: 0
    .symbol:         _ZN7rocprim17ROCPRIM_400000_NS6detail17trampoline_kernelINS0_14default_configENS1_35adjacent_difference_config_selectorILb1EtEEZNS1_24adjacent_difference_implIS3_Lb1ELb0EPKtPtN6thrust23THRUST_200600_302600_NS4plusItEEEE10hipError_tPvRmT2_T3_mT4_P12ihipStream_tbEUlT_E_NS1_11comp_targetILNS1_3genE5ELNS1_11target_archE942ELNS1_3gpuE9ELNS1_3repE0EEENS1_30default_config_static_selectorELNS0_4arch9wavefront6targetE1EEEvT1_.kd
    .uniform_work_group_size: 1
    .uses_dynamic_stack: false
    .vgpr_count:     0
    .vgpr_spill_count: 0
    .wavefront_size: 64
  - .args:
      - .offset:         0
        .size:           56
        .value_kind:     by_value
    .group_segment_fixed_size: 0
    .kernarg_segment_align: 8
    .kernarg_segment_size: 56
    .language:       OpenCL C
    .language_version:
      - 2
      - 0
    .max_flat_workgroup_size: 64
    .name:           _ZN7rocprim17ROCPRIM_400000_NS6detail17trampoline_kernelINS0_14default_configENS1_35adjacent_difference_config_selectorILb1EtEEZNS1_24adjacent_difference_implIS3_Lb1ELb0EPKtPtN6thrust23THRUST_200600_302600_NS4plusItEEEE10hipError_tPvRmT2_T3_mT4_P12ihipStream_tbEUlT_E_NS1_11comp_targetILNS1_3genE4ELNS1_11target_archE910ELNS1_3gpuE8ELNS1_3repE0EEENS1_30default_config_static_selectorELNS0_4arch9wavefront6targetE1EEEvT1_
    .private_segment_fixed_size: 0
    .sgpr_count:     4
    .sgpr_spill_count: 0
    .symbol:         _ZN7rocprim17ROCPRIM_400000_NS6detail17trampoline_kernelINS0_14default_configENS1_35adjacent_difference_config_selectorILb1EtEEZNS1_24adjacent_difference_implIS3_Lb1ELb0EPKtPtN6thrust23THRUST_200600_302600_NS4plusItEEEE10hipError_tPvRmT2_T3_mT4_P12ihipStream_tbEUlT_E_NS1_11comp_targetILNS1_3genE4ELNS1_11target_archE910ELNS1_3gpuE8ELNS1_3repE0EEENS1_30default_config_static_selectorELNS0_4arch9wavefront6targetE1EEEvT1_.kd
    .uniform_work_group_size: 1
    .uses_dynamic_stack: false
    .vgpr_count:     0
    .vgpr_spill_count: 0
    .wavefront_size: 64
  - .args:
      - .offset:         0
        .size:           56
        .value_kind:     by_value
    .group_segment_fixed_size: 0
    .kernarg_segment_align: 8
    .kernarg_segment_size: 56
    .language:       OpenCL C
    .language_version:
      - 2
      - 0
    .max_flat_workgroup_size: 32
    .name:           _ZN7rocprim17ROCPRIM_400000_NS6detail17trampoline_kernelINS0_14default_configENS1_35adjacent_difference_config_selectorILb1EtEEZNS1_24adjacent_difference_implIS3_Lb1ELb0EPKtPtN6thrust23THRUST_200600_302600_NS4plusItEEEE10hipError_tPvRmT2_T3_mT4_P12ihipStream_tbEUlT_E_NS1_11comp_targetILNS1_3genE3ELNS1_11target_archE908ELNS1_3gpuE7ELNS1_3repE0EEENS1_30default_config_static_selectorELNS0_4arch9wavefront6targetE1EEEvT1_
    .private_segment_fixed_size: 0
    .sgpr_count:     4
    .sgpr_spill_count: 0
    .symbol:         _ZN7rocprim17ROCPRIM_400000_NS6detail17trampoline_kernelINS0_14default_configENS1_35adjacent_difference_config_selectorILb1EtEEZNS1_24adjacent_difference_implIS3_Lb1ELb0EPKtPtN6thrust23THRUST_200600_302600_NS4plusItEEEE10hipError_tPvRmT2_T3_mT4_P12ihipStream_tbEUlT_E_NS1_11comp_targetILNS1_3genE3ELNS1_11target_archE908ELNS1_3gpuE7ELNS1_3repE0EEENS1_30default_config_static_selectorELNS0_4arch9wavefront6targetE1EEEvT1_.kd
    .uniform_work_group_size: 1
    .uses_dynamic_stack: false
    .vgpr_count:     0
    .vgpr_spill_count: 0
    .wavefront_size: 64
  - .args:
      - .offset:         0
        .size:           56
        .value_kind:     by_value
    .group_segment_fixed_size: 2176
    .kernarg_segment_align: 8
    .kernarg_segment_size: 56
    .language:       OpenCL C
    .language_version:
      - 2
      - 0
    .max_flat_workgroup_size: 64
    .name:           _ZN7rocprim17ROCPRIM_400000_NS6detail17trampoline_kernelINS0_14default_configENS1_35adjacent_difference_config_selectorILb1EtEEZNS1_24adjacent_difference_implIS3_Lb1ELb0EPKtPtN6thrust23THRUST_200600_302600_NS4plusItEEEE10hipError_tPvRmT2_T3_mT4_P12ihipStream_tbEUlT_E_NS1_11comp_targetILNS1_3genE2ELNS1_11target_archE906ELNS1_3gpuE6ELNS1_3repE0EEENS1_30default_config_static_selectorELNS0_4arch9wavefront6targetE1EEEvT1_
    .private_segment_fixed_size: 0
    .sgpr_count:     33
    .sgpr_spill_count: 0
    .symbol:         _ZN7rocprim17ROCPRIM_400000_NS6detail17trampoline_kernelINS0_14default_configENS1_35adjacent_difference_config_selectorILb1EtEEZNS1_24adjacent_difference_implIS3_Lb1ELb0EPKtPtN6thrust23THRUST_200600_302600_NS4plusItEEEE10hipError_tPvRmT2_T3_mT4_P12ihipStream_tbEUlT_E_NS1_11comp_targetILNS1_3genE2ELNS1_11target_archE906ELNS1_3gpuE6ELNS1_3repE0EEENS1_30default_config_static_selectorELNS0_4arch9wavefront6targetE1EEEvT1_.kd
    .uniform_work_group_size: 1
    .uses_dynamic_stack: false
    .vgpr_count:     33
    .vgpr_spill_count: 0
    .wavefront_size: 64
  - .args:
      - .offset:         0
        .size:           56
        .value_kind:     by_value
    .group_segment_fixed_size: 0
    .kernarg_segment_align: 8
    .kernarg_segment_size: 56
    .language:       OpenCL C
    .language_version:
      - 2
      - 0
    .max_flat_workgroup_size: 128
    .name:           _ZN7rocprim17ROCPRIM_400000_NS6detail17trampoline_kernelINS0_14default_configENS1_35adjacent_difference_config_selectorILb1EtEEZNS1_24adjacent_difference_implIS3_Lb1ELb0EPKtPtN6thrust23THRUST_200600_302600_NS4plusItEEEE10hipError_tPvRmT2_T3_mT4_P12ihipStream_tbEUlT_E_NS1_11comp_targetILNS1_3genE9ELNS1_11target_archE1100ELNS1_3gpuE3ELNS1_3repE0EEENS1_30default_config_static_selectorELNS0_4arch9wavefront6targetE1EEEvT1_
    .private_segment_fixed_size: 0
    .sgpr_count:     4
    .sgpr_spill_count: 0
    .symbol:         _ZN7rocprim17ROCPRIM_400000_NS6detail17trampoline_kernelINS0_14default_configENS1_35adjacent_difference_config_selectorILb1EtEEZNS1_24adjacent_difference_implIS3_Lb1ELb0EPKtPtN6thrust23THRUST_200600_302600_NS4plusItEEEE10hipError_tPvRmT2_T3_mT4_P12ihipStream_tbEUlT_E_NS1_11comp_targetILNS1_3genE9ELNS1_11target_archE1100ELNS1_3gpuE3ELNS1_3repE0EEENS1_30default_config_static_selectorELNS0_4arch9wavefront6targetE1EEEvT1_.kd
    .uniform_work_group_size: 1
    .uses_dynamic_stack: false
    .vgpr_count:     0
    .vgpr_spill_count: 0
    .wavefront_size: 64
  - .args:
      - .offset:         0
        .size:           56
        .value_kind:     by_value
    .group_segment_fixed_size: 0
    .kernarg_segment_align: 8
    .kernarg_segment_size: 56
    .language:       OpenCL C
    .language_version:
      - 2
      - 0
    .max_flat_workgroup_size: 512
    .name:           _ZN7rocprim17ROCPRIM_400000_NS6detail17trampoline_kernelINS0_14default_configENS1_35adjacent_difference_config_selectorILb1EtEEZNS1_24adjacent_difference_implIS3_Lb1ELb0EPKtPtN6thrust23THRUST_200600_302600_NS4plusItEEEE10hipError_tPvRmT2_T3_mT4_P12ihipStream_tbEUlT_E_NS1_11comp_targetILNS1_3genE8ELNS1_11target_archE1030ELNS1_3gpuE2ELNS1_3repE0EEENS1_30default_config_static_selectorELNS0_4arch9wavefront6targetE1EEEvT1_
    .private_segment_fixed_size: 0
    .sgpr_count:     4
    .sgpr_spill_count: 0
    .symbol:         _ZN7rocprim17ROCPRIM_400000_NS6detail17trampoline_kernelINS0_14default_configENS1_35adjacent_difference_config_selectorILb1EtEEZNS1_24adjacent_difference_implIS3_Lb1ELb0EPKtPtN6thrust23THRUST_200600_302600_NS4plusItEEEE10hipError_tPvRmT2_T3_mT4_P12ihipStream_tbEUlT_E_NS1_11comp_targetILNS1_3genE8ELNS1_11target_archE1030ELNS1_3gpuE2ELNS1_3repE0EEENS1_30default_config_static_selectorELNS0_4arch9wavefront6targetE1EEEvT1_.kd
    .uniform_work_group_size: 1
    .uses_dynamic_stack: false
    .vgpr_count:     0
    .vgpr_spill_count: 0
    .wavefront_size: 64
  - .args:
      - .offset:         0
        .size:           56
        .value_kind:     by_value
    .group_segment_fixed_size: 0
    .kernarg_segment_align: 8
    .kernarg_segment_size: 56
    .language:       OpenCL C
    .language_version:
      - 2
      - 0
    .max_flat_workgroup_size: 128
    .name:           _ZN7rocprim17ROCPRIM_400000_NS6detail17trampoline_kernelINS0_14default_configENS1_35adjacent_difference_config_selectorILb0ExEEZNS1_24adjacent_difference_implIS3_Lb0ELb0EPKxPxN6thrust23THRUST_200600_302600_NS4plusIxEEEE10hipError_tPvRmT2_T3_mT4_P12ihipStream_tbEUlT_E_NS1_11comp_targetILNS1_3genE0ELNS1_11target_archE4294967295ELNS1_3gpuE0ELNS1_3repE0EEENS1_30default_config_static_selectorELNS0_4arch9wavefront6targetE1EEEvT1_
    .private_segment_fixed_size: 0
    .sgpr_count:     4
    .sgpr_spill_count: 0
    .symbol:         _ZN7rocprim17ROCPRIM_400000_NS6detail17trampoline_kernelINS0_14default_configENS1_35adjacent_difference_config_selectorILb0ExEEZNS1_24adjacent_difference_implIS3_Lb0ELb0EPKxPxN6thrust23THRUST_200600_302600_NS4plusIxEEEE10hipError_tPvRmT2_T3_mT4_P12ihipStream_tbEUlT_E_NS1_11comp_targetILNS1_3genE0ELNS1_11target_archE4294967295ELNS1_3gpuE0ELNS1_3repE0EEENS1_30default_config_static_selectorELNS0_4arch9wavefront6targetE1EEEvT1_.kd
    .uniform_work_group_size: 1
    .uses_dynamic_stack: false
    .vgpr_count:     0
    .vgpr_spill_count: 0
    .wavefront_size: 64
  - .args:
      - .offset:         0
        .size:           56
        .value_kind:     by_value
    .group_segment_fixed_size: 0
    .kernarg_segment_align: 8
    .kernarg_segment_size: 56
    .language:       OpenCL C
    .language_version:
      - 2
      - 0
    .max_flat_workgroup_size: 128
    .name:           _ZN7rocprim17ROCPRIM_400000_NS6detail17trampoline_kernelINS0_14default_configENS1_35adjacent_difference_config_selectorILb0ExEEZNS1_24adjacent_difference_implIS3_Lb0ELb0EPKxPxN6thrust23THRUST_200600_302600_NS4plusIxEEEE10hipError_tPvRmT2_T3_mT4_P12ihipStream_tbEUlT_E_NS1_11comp_targetILNS1_3genE10ELNS1_11target_archE1201ELNS1_3gpuE5ELNS1_3repE0EEENS1_30default_config_static_selectorELNS0_4arch9wavefront6targetE1EEEvT1_
    .private_segment_fixed_size: 0
    .sgpr_count:     4
    .sgpr_spill_count: 0
    .symbol:         _ZN7rocprim17ROCPRIM_400000_NS6detail17trampoline_kernelINS0_14default_configENS1_35adjacent_difference_config_selectorILb0ExEEZNS1_24adjacent_difference_implIS3_Lb0ELb0EPKxPxN6thrust23THRUST_200600_302600_NS4plusIxEEEE10hipError_tPvRmT2_T3_mT4_P12ihipStream_tbEUlT_E_NS1_11comp_targetILNS1_3genE10ELNS1_11target_archE1201ELNS1_3gpuE5ELNS1_3repE0EEENS1_30default_config_static_selectorELNS0_4arch9wavefront6targetE1EEEvT1_.kd
    .uniform_work_group_size: 1
    .uses_dynamic_stack: false
    .vgpr_count:     0
    .vgpr_spill_count: 0
    .wavefront_size: 64
  - .args:
      - .offset:         0
        .size:           56
        .value_kind:     by_value
    .group_segment_fixed_size: 0
    .kernarg_segment_align: 8
    .kernarg_segment_size: 56
    .language:       OpenCL C
    .language_version:
      - 2
      - 0
    .max_flat_workgroup_size: 64
    .name:           _ZN7rocprim17ROCPRIM_400000_NS6detail17trampoline_kernelINS0_14default_configENS1_35adjacent_difference_config_selectorILb0ExEEZNS1_24adjacent_difference_implIS3_Lb0ELb0EPKxPxN6thrust23THRUST_200600_302600_NS4plusIxEEEE10hipError_tPvRmT2_T3_mT4_P12ihipStream_tbEUlT_E_NS1_11comp_targetILNS1_3genE5ELNS1_11target_archE942ELNS1_3gpuE9ELNS1_3repE0EEENS1_30default_config_static_selectorELNS0_4arch9wavefront6targetE1EEEvT1_
    .private_segment_fixed_size: 0
    .sgpr_count:     4
    .sgpr_spill_count: 0
    .symbol:         _ZN7rocprim17ROCPRIM_400000_NS6detail17trampoline_kernelINS0_14default_configENS1_35adjacent_difference_config_selectorILb0ExEEZNS1_24adjacent_difference_implIS3_Lb0ELb0EPKxPxN6thrust23THRUST_200600_302600_NS4plusIxEEEE10hipError_tPvRmT2_T3_mT4_P12ihipStream_tbEUlT_E_NS1_11comp_targetILNS1_3genE5ELNS1_11target_archE942ELNS1_3gpuE9ELNS1_3repE0EEENS1_30default_config_static_selectorELNS0_4arch9wavefront6targetE1EEEvT1_.kd
    .uniform_work_group_size: 1
    .uses_dynamic_stack: false
    .vgpr_count:     0
    .vgpr_spill_count: 0
    .wavefront_size: 64
  - .args:
      - .offset:         0
        .size:           56
        .value_kind:     by_value
    .group_segment_fixed_size: 0
    .kernarg_segment_align: 8
    .kernarg_segment_size: 56
    .language:       OpenCL C
    .language_version:
      - 2
      - 0
    .max_flat_workgroup_size: 256
    .name:           _ZN7rocprim17ROCPRIM_400000_NS6detail17trampoline_kernelINS0_14default_configENS1_35adjacent_difference_config_selectorILb0ExEEZNS1_24adjacent_difference_implIS3_Lb0ELb0EPKxPxN6thrust23THRUST_200600_302600_NS4plusIxEEEE10hipError_tPvRmT2_T3_mT4_P12ihipStream_tbEUlT_E_NS1_11comp_targetILNS1_3genE4ELNS1_11target_archE910ELNS1_3gpuE8ELNS1_3repE0EEENS1_30default_config_static_selectorELNS0_4arch9wavefront6targetE1EEEvT1_
    .private_segment_fixed_size: 0
    .sgpr_count:     4
    .sgpr_spill_count: 0
    .symbol:         _ZN7rocprim17ROCPRIM_400000_NS6detail17trampoline_kernelINS0_14default_configENS1_35adjacent_difference_config_selectorILb0ExEEZNS1_24adjacent_difference_implIS3_Lb0ELb0EPKxPxN6thrust23THRUST_200600_302600_NS4plusIxEEEE10hipError_tPvRmT2_T3_mT4_P12ihipStream_tbEUlT_E_NS1_11comp_targetILNS1_3genE4ELNS1_11target_archE910ELNS1_3gpuE8ELNS1_3repE0EEENS1_30default_config_static_selectorELNS0_4arch9wavefront6targetE1EEEvT1_.kd
    .uniform_work_group_size: 1
    .uses_dynamic_stack: false
    .vgpr_count:     0
    .vgpr_spill_count: 0
    .wavefront_size: 64
  - .args:
      - .offset:         0
        .size:           56
        .value_kind:     by_value
    .group_segment_fixed_size: 0
    .kernarg_segment_align: 8
    .kernarg_segment_size: 56
    .language:       OpenCL C
    .language_version:
      - 2
      - 0
    .max_flat_workgroup_size: 128
    .name:           _ZN7rocprim17ROCPRIM_400000_NS6detail17trampoline_kernelINS0_14default_configENS1_35adjacent_difference_config_selectorILb0ExEEZNS1_24adjacent_difference_implIS3_Lb0ELb0EPKxPxN6thrust23THRUST_200600_302600_NS4plusIxEEEE10hipError_tPvRmT2_T3_mT4_P12ihipStream_tbEUlT_E_NS1_11comp_targetILNS1_3genE3ELNS1_11target_archE908ELNS1_3gpuE7ELNS1_3repE0EEENS1_30default_config_static_selectorELNS0_4arch9wavefront6targetE1EEEvT1_
    .private_segment_fixed_size: 0
    .sgpr_count:     4
    .sgpr_spill_count: 0
    .symbol:         _ZN7rocprim17ROCPRIM_400000_NS6detail17trampoline_kernelINS0_14default_configENS1_35adjacent_difference_config_selectorILb0ExEEZNS1_24adjacent_difference_implIS3_Lb0ELb0EPKxPxN6thrust23THRUST_200600_302600_NS4plusIxEEEE10hipError_tPvRmT2_T3_mT4_P12ihipStream_tbEUlT_E_NS1_11comp_targetILNS1_3genE3ELNS1_11target_archE908ELNS1_3gpuE7ELNS1_3repE0EEENS1_30default_config_static_selectorELNS0_4arch9wavefront6targetE1EEEvT1_.kd
    .uniform_work_group_size: 1
    .uses_dynamic_stack: false
    .vgpr_count:     0
    .vgpr_spill_count: 0
    .wavefront_size: 64
  - .args:
      - .offset:         0
        .size:           56
        .value_kind:     by_value
    .group_segment_fixed_size: 2112
    .kernarg_segment_align: 8
    .kernarg_segment_size: 56
    .language:       OpenCL C
    .language_version:
      - 2
      - 0
    .max_flat_workgroup_size: 128
    .name:           _ZN7rocprim17ROCPRIM_400000_NS6detail17trampoline_kernelINS0_14default_configENS1_35adjacent_difference_config_selectorILb0ExEEZNS1_24adjacent_difference_implIS3_Lb0ELb0EPKxPxN6thrust23THRUST_200600_302600_NS4plusIxEEEE10hipError_tPvRmT2_T3_mT4_P12ihipStream_tbEUlT_E_NS1_11comp_targetILNS1_3genE2ELNS1_11target_archE906ELNS1_3gpuE6ELNS1_3repE0EEENS1_30default_config_static_selectorELNS0_4arch9wavefront6targetE1EEEvT1_
    .private_segment_fixed_size: 0
    .sgpr_count:     26
    .sgpr_spill_count: 0
    .symbol:         _ZN7rocprim17ROCPRIM_400000_NS6detail17trampoline_kernelINS0_14default_configENS1_35adjacent_difference_config_selectorILb0ExEEZNS1_24adjacent_difference_implIS3_Lb0ELb0EPKxPxN6thrust23THRUST_200600_302600_NS4plusIxEEEE10hipError_tPvRmT2_T3_mT4_P12ihipStream_tbEUlT_E_NS1_11comp_targetILNS1_3genE2ELNS1_11target_archE906ELNS1_3gpuE6ELNS1_3repE0EEENS1_30default_config_static_selectorELNS0_4arch9wavefront6targetE1EEEvT1_.kd
    .uniform_work_group_size: 1
    .uses_dynamic_stack: false
    .vgpr_count:     15
    .vgpr_spill_count: 0
    .wavefront_size: 64
  - .args:
      - .offset:         0
        .size:           56
        .value_kind:     by_value
    .group_segment_fixed_size: 0
    .kernarg_segment_align: 8
    .kernarg_segment_size: 56
    .language:       OpenCL C
    .language_version:
      - 2
      - 0
    .max_flat_workgroup_size: 512
    .name:           _ZN7rocprim17ROCPRIM_400000_NS6detail17trampoline_kernelINS0_14default_configENS1_35adjacent_difference_config_selectorILb0ExEEZNS1_24adjacent_difference_implIS3_Lb0ELb0EPKxPxN6thrust23THRUST_200600_302600_NS4plusIxEEEE10hipError_tPvRmT2_T3_mT4_P12ihipStream_tbEUlT_E_NS1_11comp_targetILNS1_3genE9ELNS1_11target_archE1100ELNS1_3gpuE3ELNS1_3repE0EEENS1_30default_config_static_selectorELNS0_4arch9wavefront6targetE1EEEvT1_
    .private_segment_fixed_size: 0
    .sgpr_count:     4
    .sgpr_spill_count: 0
    .symbol:         _ZN7rocprim17ROCPRIM_400000_NS6detail17trampoline_kernelINS0_14default_configENS1_35adjacent_difference_config_selectorILb0ExEEZNS1_24adjacent_difference_implIS3_Lb0ELb0EPKxPxN6thrust23THRUST_200600_302600_NS4plusIxEEEE10hipError_tPvRmT2_T3_mT4_P12ihipStream_tbEUlT_E_NS1_11comp_targetILNS1_3genE9ELNS1_11target_archE1100ELNS1_3gpuE3ELNS1_3repE0EEENS1_30default_config_static_selectorELNS0_4arch9wavefront6targetE1EEEvT1_.kd
    .uniform_work_group_size: 1
    .uses_dynamic_stack: false
    .vgpr_count:     0
    .vgpr_spill_count: 0
    .wavefront_size: 64
  - .args:
      - .offset:         0
        .size:           56
        .value_kind:     by_value
    .group_segment_fixed_size: 0
    .kernarg_segment_align: 8
    .kernarg_segment_size: 56
    .language:       OpenCL C
    .language_version:
      - 2
      - 0
    .max_flat_workgroup_size: 1024
    .name:           _ZN7rocprim17ROCPRIM_400000_NS6detail17trampoline_kernelINS0_14default_configENS1_35adjacent_difference_config_selectorILb0ExEEZNS1_24adjacent_difference_implIS3_Lb0ELb0EPKxPxN6thrust23THRUST_200600_302600_NS4plusIxEEEE10hipError_tPvRmT2_T3_mT4_P12ihipStream_tbEUlT_E_NS1_11comp_targetILNS1_3genE8ELNS1_11target_archE1030ELNS1_3gpuE2ELNS1_3repE0EEENS1_30default_config_static_selectorELNS0_4arch9wavefront6targetE1EEEvT1_
    .private_segment_fixed_size: 0
    .sgpr_count:     4
    .sgpr_spill_count: 0
    .symbol:         _ZN7rocprim17ROCPRIM_400000_NS6detail17trampoline_kernelINS0_14default_configENS1_35adjacent_difference_config_selectorILb0ExEEZNS1_24adjacent_difference_implIS3_Lb0ELb0EPKxPxN6thrust23THRUST_200600_302600_NS4plusIxEEEE10hipError_tPvRmT2_T3_mT4_P12ihipStream_tbEUlT_E_NS1_11comp_targetILNS1_3genE8ELNS1_11target_archE1030ELNS1_3gpuE2ELNS1_3repE0EEENS1_30default_config_static_selectorELNS0_4arch9wavefront6targetE1EEEvT1_.kd
    .uniform_work_group_size: 1
    .uses_dynamic_stack: false
    .vgpr_count:     0
    .vgpr_spill_count: 0
    .wavefront_size: 64
  - .args:
      - .offset:         0
        .size:           56
        .value_kind:     by_value
    .group_segment_fixed_size: 0
    .kernarg_segment_align: 8
    .kernarg_segment_size: 56
    .language:       OpenCL C
    .language_version:
      - 2
      - 0
    .max_flat_workgroup_size: 128
    .name:           _ZN7rocprim17ROCPRIM_400000_NS6detail17trampoline_kernelINS0_14default_configENS1_25transform_config_selectorIxLb0EEEZNS1_14transform_implILb0ES3_S5_NS0_18transform_iteratorINS0_17counting_iteratorImlEEZNS1_24adjacent_difference_implIS3_Lb1ELb0EPKxPxN6thrust23THRUST_200600_302600_NS4plusIxEEEE10hipError_tPvRmT2_T3_mT4_P12ihipStream_tbEUlmE_xEESD_NS0_8identityIvEEEESI_SL_SM_mSN_SP_bEUlT_E_NS1_11comp_targetILNS1_3genE0ELNS1_11target_archE4294967295ELNS1_3gpuE0ELNS1_3repE0EEENS1_30default_config_static_selectorELNS0_4arch9wavefront6targetE1EEEvT1_
    .private_segment_fixed_size: 0
    .sgpr_count:     4
    .sgpr_spill_count: 0
    .symbol:         _ZN7rocprim17ROCPRIM_400000_NS6detail17trampoline_kernelINS0_14default_configENS1_25transform_config_selectorIxLb0EEEZNS1_14transform_implILb0ES3_S5_NS0_18transform_iteratorINS0_17counting_iteratorImlEEZNS1_24adjacent_difference_implIS3_Lb1ELb0EPKxPxN6thrust23THRUST_200600_302600_NS4plusIxEEEE10hipError_tPvRmT2_T3_mT4_P12ihipStream_tbEUlmE_xEESD_NS0_8identityIvEEEESI_SL_SM_mSN_SP_bEUlT_E_NS1_11comp_targetILNS1_3genE0ELNS1_11target_archE4294967295ELNS1_3gpuE0ELNS1_3repE0EEENS1_30default_config_static_selectorELNS0_4arch9wavefront6targetE1EEEvT1_.kd
    .uniform_work_group_size: 1
    .uses_dynamic_stack: false
    .vgpr_count:     0
    .vgpr_spill_count: 0
    .wavefront_size: 64
  - .args:
      - .offset:         0
        .size:           56
        .value_kind:     by_value
    .group_segment_fixed_size: 0
    .kernarg_segment_align: 8
    .kernarg_segment_size: 56
    .language:       OpenCL C
    .language_version:
      - 2
      - 0
    .max_flat_workgroup_size: 512
    .name:           _ZN7rocprim17ROCPRIM_400000_NS6detail17trampoline_kernelINS0_14default_configENS1_25transform_config_selectorIxLb0EEEZNS1_14transform_implILb0ES3_S5_NS0_18transform_iteratorINS0_17counting_iteratorImlEEZNS1_24adjacent_difference_implIS3_Lb1ELb0EPKxPxN6thrust23THRUST_200600_302600_NS4plusIxEEEE10hipError_tPvRmT2_T3_mT4_P12ihipStream_tbEUlmE_xEESD_NS0_8identityIvEEEESI_SL_SM_mSN_SP_bEUlT_E_NS1_11comp_targetILNS1_3genE5ELNS1_11target_archE942ELNS1_3gpuE9ELNS1_3repE0EEENS1_30default_config_static_selectorELNS0_4arch9wavefront6targetE1EEEvT1_
    .private_segment_fixed_size: 0
    .sgpr_count:     4
    .sgpr_spill_count: 0
    .symbol:         _ZN7rocprim17ROCPRIM_400000_NS6detail17trampoline_kernelINS0_14default_configENS1_25transform_config_selectorIxLb0EEEZNS1_14transform_implILb0ES3_S5_NS0_18transform_iteratorINS0_17counting_iteratorImlEEZNS1_24adjacent_difference_implIS3_Lb1ELb0EPKxPxN6thrust23THRUST_200600_302600_NS4plusIxEEEE10hipError_tPvRmT2_T3_mT4_P12ihipStream_tbEUlmE_xEESD_NS0_8identityIvEEEESI_SL_SM_mSN_SP_bEUlT_E_NS1_11comp_targetILNS1_3genE5ELNS1_11target_archE942ELNS1_3gpuE9ELNS1_3repE0EEENS1_30default_config_static_selectorELNS0_4arch9wavefront6targetE1EEEvT1_.kd
    .uniform_work_group_size: 1
    .uses_dynamic_stack: false
    .vgpr_count:     0
    .vgpr_spill_count: 0
    .wavefront_size: 64
  - .args:
      - .offset:         0
        .size:           56
        .value_kind:     by_value
    .group_segment_fixed_size: 0
    .kernarg_segment_align: 8
    .kernarg_segment_size: 56
    .language:       OpenCL C
    .language_version:
      - 2
      - 0
    .max_flat_workgroup_size: 256
    .name:           _ZN7rocprim17ROCPRIM_400000_NS6detail17trampoline_kernelINS0_14default_configENS1_25transform_config_selectorIxLb0EEEZNS1_14transform_implILb0ES3_S5_NS0_18transform_iteratorINS0_17counting_iteratorImlEEZNS1_24adjacent_difference_implIS3_Lb1ELb0EPKxPxN6thrust23THRUST_200600_302600_NS4plusIxEEEE10hipError_tPvRmT2_T3_mT4_P12ihipStream_tbEUlmE_xEESD_NS0_8identityIvEEEESI_SL_SM_mSN_SP_bEUlT_E_NS1_11comp_targetILNS1_3genE4ELNS1_11target_archE910ELNS1_3gpuE8ELNS1_3repE0EEENS1_30default_config_static_selectorELNS0_4arch9wavefront6targetE1EEEvT1_
    .private_segment_fixed_size: 0
    .sgpr_count:     4
    .sgpr_spill_count: 0
    .symbol:         _ZN7rocprim17ROCPRIM_400000_NS6detail17trampoline_kernelINS0_14default_configENS1_25transform_config_selectorIxLb0EEEZNS1_14transform_implILb0ES3_S5_NS0_18transform_iteratorINS0_17counting_iteratorImlEEZNS1_24adjacent_difference_implIS3_Lb1ELb0EPKxPxN6thrust23THRUST_200600_302600_NS4plusIxEEEE10hipError_tPvRmT2_T3_mT4_P12ihipStream_tbEUlmE_xEESD_NS0_8identityIvEEEESI_SL_SM_mSN_SP_bEUlT_E_NS1_11comp_targetILNS1_3genE4ELNS1_11target_archE910ELNS1_3gpuE8ELNS1_3repE0EEENS1_30default_config_static_selectorELNS0_4arch9wavefront6targetE1EEEvT1_.kd
    .uniform_work_group_size: 1
    .uses_dynamic_stack: false
    .vgpr_count:     0
    .vgpr_spill_count: 0
    .wavefront_size: 64
  - .args:
      - .offset:         0
        .size:           56
        .value_kind:     by_value
    .group_segment_fixed_size: 0
    .kernarg_segment_align: 8
    .kernarg_segment_size: 56
    .language:       OpenCL C
    .language_version:
      - 2
      - 0
    .max_flat_workgroup_size: 128
    .name:           _ZN7rocprim17ROCPRIM_400000_NS6detail17trampoline_kernelINS0_14default_configENS1_25transform_config_selectorIxLb0EEEZNS1_14transform_implILb0ES3_S5_NS0_18transform_iteratorINS0_17counting_iteratorImlEEZNS1_24adjacent_difference_implIS3_Lb1ELb0EPKxPxN6thrust23THRUST_200600_302600_NS4plusIxEEEE10hipError_tPvRmT2_T3_mT4_P12ihipStream_tbEUlmE_xEESD_NS0_8identityIvEEEESI_SL_SM_mSN_SP_bEUlT_E_NS1_11comp_targetILNS1_3genE3ELNS1_11target_archE908ELNS1_3gpuE7ELNS1_3repE0EEENS1_30default_config_static_selectorELNS0_4arch9wavefront6targetE1EEEvT1_
    .private_segment_fixed_size: 0
    .sgpr_count:     4
    .sgpr_spill_count: 0
    .symbol:         _ZN7rocprim17ROCPRIM_400000_NS6detail17trampoline_kernelINS0_14default_configENS1_25transform_config_selectorIxLb0EEEZNS1_14transform_implILb0ES3_S5_NS0_18transform_iteratorINS0_17counting_iteratorImlEEZNS1_24adjacent_difference_implIS3_Lb1ELb0EPKxPxN6thrust23THRUST_200600_302600_NS4plusIxEEEE10hipError_tPvRmT2_T3_mT4_P12ihipStream_tbEUlmE_xEESD_NS0_8identityIvEEEESI_SL_SM_mSN_SP_bEUlT_E_NS1_11comp_targetILNS1_3genE3ELNS1_11target_archE908ELNS1_3gpuE7ELNS1_3repE0EEENS1_30default_config_static_selectorELNS0_4arch9wavefront6targetE1EEEvT1_.kd
    .uniform_work_group_size: 1
    .uses_dynamic_stack: false
    .vgpr_count:     0
    .vgpr_spill_count: 0
    .wavefront_size: 64
  - .args:
      - .offset:         0
        .size:           56
        .value_kind:     by_value
      - .offset:         56
        .size:           4
        .value_kind:     hidden_block_count_x
      - .offset:         60
        .size:           4
        .value_kind:     hidden_block_count_y
      - .offset:         64
        .size:           4
        .value_kind:     hidden_block_count_z
      - .offset:         68
        .size:           2
        .value_kind:     hidden_group_size_x
      - .offset:         70
        .size:           2
        .value_kind:     hidden_group_size_y
      - .offset:         72
        .size:           2
        .value_kind:     hidden_group_size_z
      - .offset:         74
        .size:           2
        .value_kind:     hidden_remainder_x
      - .offset:         76
        .size:           2
        .value_kind:     hidden_remainder_y
      - .offset:         78
        .size:           2
        .value_kind:     hidden_remainder_z
      - .offset:         96
        .size:           8
        .value_kind:     hidden_global_offset_x
      - .offset:         104
        .size:           8
        .value_kind:     hidden_global_offset_y
      - .offset:         112
        .size:           8
        .value_kind:     hidden_global_offset_z
      - .offset:         120
        .size:           2
        .value_kind:     hidden_grid_dims
    .group_segment_fixed_size: 0
    .kernarg_segment_align: 8
    .kernarg_segment_size: 312
    .language:       OpenCL C
    .language_version:
      - 2
      - 0
    .max_flat_workgroup_size: 512
    .name:           _ZN7rocprim17ROCPRIM_400000_NS6detail17trampoline_kernelINS0_14default_configENS1_25transform_config_selectorIxLb0EEEZNS1_14transform_implILb0ES3_S5_NS0_18transform_iteratorINS0_17counting_iteratorImlEEZNS1_24adjacent_difference_implIS3_Lb1ELb0EPKxPxN6thrust23THRUST_200600_302600_NS4plusIxEEEE10hipError_tPvRmT2_T3_mT4_P12ihipStream_tbEUlmE_xEESD_NS0_8identityIvEEEESI_SL_SM_mSN_SP_bEUlT_E_NS1_11comp_targetILNS1_3genE2ELNS1_11target_archE906ELNS1_3gpuE6ELNS1_3repE0EEENS1_30default_config_static_selectorELNS0_4arch9wavefront6targetE1EEEvT1_
    .private_segment_fixed_size: 0
    .sgpr_count:     16
    .sgpr_spill_count: 0
    .symbol:         _ZN7rocprim17ROCPRIM_400000_NS6detail17trampoline_kernelINS0_14default_configENS1_25transform_config_selectorIxLb0EEEZNS1_14transform_implILb0ES3_S5_NS0_18transform_iteratorINS0_17counting_iteratorImlEEZNS1_24adjacent_difference_implIS3_Lb1ELb0EPKxPxN6thrust23THRUST_200600_302600_NS4plusIxEEEE10hipError_tPvRmT2_T3_mT4_P12ihipStream_tbEUlmE_xEESD_NS0_8identityIvEEEESI_SL_SM_mSN_SP_bEUlT_E_NS1_11comp_targetILNS1_3genE2ELNS1_11target_archE906ELNS1_3gpuE6ELNS1_3repE0EEENS1_30default_config_static_selectorELNS0_4arch9wavefront6targetE1EEEvT1_.kd
    .uniform_work_group_size: 1
    .uses_dynamic_stack: false
    .vgpr_count:     5
    .vgpr_spill_count: 0
    .wavefront_size: 64
  - .args:
      - .offset:         0
        .size:           56
        .value_kind:     by_value
    .group_segment_fixed_size: 0
    .kernarg_segment_align: 8
    .kernarg_segment_size: 56
    .language:       OpenCL C
    .language_version:
      - 2
      - 0
    .max_flat_workgroup_size: 1024
    .name:           _ZN7rocprim17ROCPRIM_400000_NS6detail17trampoline_kernelINS0_14default_configENS1_25transform_config_selectorIxLb0EEEZNS1_14transform_implILb0ES3_S5_NS0_18transform_iteratorINS0_17counting_iteratorImlEEZNS1_24adjacent_difference_implIS3_Lb1ELb0EPKxPxN6thrust23THRUST_200600_302600_NS4plusIxEEEE10hipError_tPvRmT2_T3_mT4_P12ihipStream_tbEUlmE_xEESD_NS0_8identityIvEEEESI_SL_SM_mSN_SP_bEUlT_E_NS1_11comp_targetILNS1_3genE10ELNS1_11target_archE1201ELNS1_3gpuE5ELNS1_3repE0EEENS1_30default_config_static_selectorELNS0_4arch9wavefront6targetE1EEEvT1_
    .private_segment_fixed_size: 0
    .sgpr_count:     4
    .sgpr_spill_count: 0
    .symbol:         _ZN7rocprim17ROCPRIM_400000_NS6detail17trampoline_kernelINS0_14default_configENS1_25transform_config_selectorIxLb0EEEZNS1_14transform_implILb0ES3_S5_NS0_18transform_iteratorINS0_17counting_iteratorImlEEZNS1_24adjacent_difference_implIS3_Lb1ELb0EPKxPxN6thrust23THRUST_200600_302600_NS4plusIxEEEE10hipError_tPvRmT2_T3_mT4_P12ihipStream_tbEUlmE_xEESD_NS0_8identityIvEEEESI_SL_SM_mSN_SP_bEUlT_E_NS1_11comp_targetILNS1_3genE10ELNS1_11target_archE1201ELNS1_3gpuE5ELNS1_3repE0EEENS1_30default_config_static_selectorELNS0_4arch9wavefront6targetE1EEEvT1_.kd
    .uniform_work_group_size: 1
    .uses_dynamic_stack: false
    .vgpr_count:     0
    .vgpr_spill_count: 0
    .wavefront_size: 64
  - .args:
      - .offset:         0
        .size:           56
        .value_kind:     by_value
    .group_segment_fixed_size: 0
    .kernarg_segment_align: 8
    .kernarg_segment_size: 56
    .language:       OpenCL C
    .language_version:
      - 2
      - 0
    .max_flat_workgroup_size: 512
    .name:           _ZN7rocprim17ROCPRIM_400000_NS6detail17trampoline_kernelINS0_14default_configENS1_25transform_config_selectorIxLb0EEEZNS1_14transform_implILb0ES3_S5_NS0_18transform_iteratorINS0_17counting_iteratorImlEEZNS1_24adjacent_difference_implIS3_Lb1ELb0EPKxPxN6thrust23THRUST_200600_302600_NS4plusIxEEEE10hipError_tPvRmT2_T3_mT4_P12ihipStream_tbEUlmE_xEESD_NS0_8identityIvEEEESI_SL_SM_mSN_SP_bEUlT_E_NS1_11comp_targetILNS1_3genE10ELNS1_11target_archE1200ELNS1_3gpuE4ELNS1_3repE0EEENS1_30default_config_static_selectorELNS0_4arch9wavefront6targetE1EEEvT1_
    .private_segment_fixed_size: 0
    .sgpr_count:     4
    .sgpr_spill_count: 0
    .symbol:         _ZN7rocprim17ROCPRIM_400000_NS6detail17trampoline_kernelINS0_14default_configENS1_25transform_config_selectorIxLb0EEEZNS1_14transform_implILb0ES3_S5_NS0_18transform_iteratorINS0_17counting_iteratorImlEEZNS1_24adjacent_difference_implIS3_Lb1ELb0EPKxPxN6thrust23THRUST_200600_302600_NS4plusIxEEEE10hipError_tPvRmT2_T3_mT4_P12ihipStream_tbEUlmE_xEESD_NS0_8identityIvEEEESI_SL_SM_mSN_SP_bEUlT_E_NS1_11comp_targetILNS1_3genE10ELNS1_11target_archE1200ELNS1_3gpuE4ELNS1_3repE0EEENS1_30default_config_static_selectorELNS0_4arch9wavefront6targetE1EEEvT1_.kd
    .uniform_work_group_size: 1
    .uses_dynamic_stack: false
    .vgpr_count:     0
    .vgpr_spill_count: 0
    .wavefront_size: 64
  - .args:
      - .offset:         0
        .size:           56
        .value_kind:     by_value
    .group_segment_fixed_size: 0
    .kernarg_segment_align: 8
    .kernarg_segment_size: 56
    .language:       OpenCL C
    .language_version:
      - 2
      - 0
    .max_flat_workgroup_size: 512
    .name:           _ZN7rocprim17ROCPRIM_400000_NS6detail17trampoline_kernelINS0_14default_configENS1_25transform_config_selectorIxLb0EEEZNS1_14transform_implILb0ES3_S5_NS0_18transform_iteratorINS0_17counting_iteratorImlEEZNS1_24adjacent_difference_implIS3_Lb1ELb0EPKxPxN6thrust23THRUST_200600_302600_NS4plusIxEEEE10hipError_tPvRmT2_T3_mT4_P12ihipStream_tbEUlmE_xEESD_NS0_8identityIvEEEESI_SL_SM_mSN_SP_bEUlT_E_NS1_11comp_targetILNS1_3genE9ELNS1_11target_archE1100ELNS1_3gpuE3ELNS1_3repE0EEENS1_30default_config_static_selectorELNS0_4arch9wavefront6targetE1EEEvT1_
    .private_segment_fixed_size: 0
    .sgpr_count:     4
    .sgpr_spill_count: 0
    .symbol:         _ZN7rocprim17ROCPRIM_400000_NS6detail17trampoline_kernelINS0_14default_configENS1_25transform_config_selectorIxLb0EEEZNS1_14transform_implILb0ES3_S5_NS0_18transform_iteratorINS0_17counting_iteratorImlEEZNS1_24adjacent_difference_implIS3_Lb1ELb0EPKxPxN6thrust23THRUST_200600_302600_NS4plusIxEEEE10hipError_tPvRmT2_T3_mT4_P12ihipStream_tbEUlmE_xEESD_NS0_8identityIvEEEESI_SL_SM_mSN_SP_bEUlT_E_NS1_11comp_targetILNS1_3genE9ELNS1_11target_archE1100ELNS1_3gpuE3ELNS1_3repE0EEENS1_30default_config_static_selectorELNS0_4arch9wavefront6targetE1EEEvT1_.kd
    .uniform_work_group_size: 1
    .uses_dynamic_stack: false
    .vgpr_count:     0
    .vgpr_spill_count: 0
    .wavefront_size: 64
  - .args:
      - .offset:         0
        .size:           56
        .value_kind:     by_value
    .group_segment_fixed_size: 0
    .kernarg_segment_align: 8
    .kernarg_segment_size: 56
    .language:       OpenCL C
    .language_version:
      - 2
      - 0
    .max_flat_workgroup_size: 512
    .name:           _ZN7rocprim17ROCPRIM_400000_NS6detail17trampoline_kernelINS0_14default_configENS1_25transform_config_selectorIxLb0EEEZNS1_14transform_implILb0ES3_S5_NS0_18transform_iteratorINS0_17counting_iteratorImlEEZNS1_24adjacent_difference_implIS3_Lb1ELb0EPKxPxN6thrust23THRUST_200600_302600_NS4plusIxEEEE10hipError_tPvRmT2_T3_mT4_P12ihipStream_tbEUlmE_xEESD_NS0_8identityIvEEEESI_SL_SM_mSN_SP_bEUlT_E_NS1_11comp_targetILNS1_3genE8ELNS1_11target_archE1030ELNS1_3gpuE2ELNS1_3repE0EEENS1_30default_config_static_selectorELNS0_4arch9wavefront6targetE1EEEvT1_
    .private_segment_fixed_size: 0
    .sgpr_count:     4
    .sgpr_spill_count: 0
    .symbol:         _ZN7rocprim17ROCPRIM_400000_NS6detail17trampoline_kernelINS0_14default_configENS1_25transform_config_selectorIxLb0EEEZNS1_14transform_implILb0ES3_S5_NS0_18transform_iteratorINS0_17counting_iteratorImlEEZNS1_24adjacent_difference_implIS3_Lb1ELb0EPKxPxN6thrust23THRUST_200600_302600_NS4plusIxEEEE10hipError_tPvRmT2_T3_mT4_P12ihipStream_tbEUlmE_xEESD_NS0_8identityIvEEEESI_SL_SM_mSN_SP_bEUlT_E_NS1_11comp_targetILNS1_3genE8ELNS1_11target_archE1030ELNS1_3gpuE2ELNS1_3repE0EEENS1_30default_config_static_selectorELNS0_4arch9wavefront6targetE1EEEvT1_.kd
    .uniform_work_group_size: 1
    .uses_dynamic_stack: false
    .vgpr_count:     0
    .vgpr_spill_count: 0
    .wavefront_size: 64
  - .args:
      - .offset:         0
        .size:           56
        .value_kind:     by_value
    .group_segment_fixed_size: 0
    .kernarg_segment_align: 8
    .kernarg_segment_size: 56
    .language:       OpenCL C
    .language_version:
      - 2
      - 0
    .max_flat_workgroup_size: 512
    .name:           _ZN7rocprim17ROCPRIM_400000_NS6detail17trampoline_kernelINS0_14default_configENS1_35adjacent_difference_config_selectorILb1ExEEZNS1_24adjacent_difference_implIS3_Lb1ELb0EPKxPxN6thrust23THRUST_200600_302600_NS4plusIxEEEE10hipError_tPvRmT2_T3_mT4_P12ihipStream_tbEUlT_E_NS1_11comp_targetILNS1_3genE0ELNS1_11target_archE4294967295ELNS1_3gpuE0ELNS1_3repE0EEENS1_30default_config_static_selectorELNS0_4arch9wavefront6targetE1EEEvT1_
    .private_segment_fixed_size: 0
    .sgpr_count:     4
    .sgpr_spill_count: 0
    .symbol:         _ZN7rocprim17ROCPRIM_400000_NS6detail17trampoline_kernelINS0_14default_configENS1_35adjacent_difference_config_selectorILb1ExEEZNS1_24adjacent_difference_implIS3_Lb1ELb0EPKxPxN6thrust23THRUST_200600_302600_NS4plusIxEEEE10hipError_tPvRmT2_T3_mT4_P12ihipStream_tbEUlT_E_NS1_11comp_targetILNS1_3genE0ELNS1_11target_archE4294967295ELNS1_3gpuE0ELNS1_3repE0EEENS1_30default_config_static_selectorELNS0_4arch9wavefront6targetE1EEEvT1_.kd
    .uniform_work_group_size: 1
    .uses_dynamic_stack: false
    .vgpr_count:     0
    .vgpr_spill_count: 0
    .wavefront_size: 64
  - .args:
      - .offset:         0
        .size:           56
        .value_kind:     by_value
    .group_segment_fixed_size: 0
    .kernarg_segment_align: 8
    .kernarg_segment_size: 56
    .language:       OpenCL C
    .language_version:
      - 2
      - 0
    .max_flat_workgroup_size: 32
    .name:           _ZN7rocprim17ROCPRIM_400000_NS6detail17trampoline_kernelINS0_14default_configENS1_35adjacent_difference_config_selectorILb1ExEEZNS1_24adjacent_difference_implIS3_Lb1ELb0EPKxPxN6thrust23THRUST_200600_302600_NS4plusIxEEEE10hipError_tPvRmT2_T3_mT4_P12ihipStream_tbEUlT_E_NS1_11comp_targetILNS1_3genE10ELNS1_11target_archE1201ELNS1_3gpuE5ELNS1_3repE0EEENS1_30default_config_static_selectorELNS0_4arch9wavefront6targetE1EEEvT1_
    .private_segment_fixed_size: 0
    .sgpr_count:     4
    .sgpr_spill_count: 0
    .symbol:         _ZN7rocprim17ROCPRIM_400000_NS6detail17trampoline_kernelINS0_14default_configENS1_35adjacent_difference_config_selectorILb1ExEEZNS1_24adjacent_difference_implIS3_Lb1ELb0EPKxPxN6thrust23THRUST_200600_302600_NS4plusIxEEEE10hipError_tPvRmT2_T3_mT4_P12ihipStream_tbEUlT_E_NS1_11comp_targetILNS1_3genE10ELNS1_11target_archE1201ELNS1_3gpuE5ELNS1_3repE0EEENS1_30default_config_static_selectorELNS0_4arch9wavefront6targetE1EEEvT1_.kd
    .uniform_work_group_size: 1
    .uses_dynamic_stack: false
    .vgpr_count:     0
    .vgpr_spill_count: 0
    .wavefront_size: 64
  - .args:
      - .offset:         0
        .size:           56
        .value_kind:     by_value
    .group_segment_fixed_size: 0
    .kernarg_segment_align: 8
    .kernarg_segment_size: 56
    .language:       OpenCL C
    .language_version:
      - 2
      - 0
    .max_flat_workgroup_size: 256
    .name:           _ZN7rocprim17ROCPRIM_400000_NS6detail17trampoline_kernelINS0_14default_configENS1_35adjacent_difference_config_selectorILb1ExEEZNS1_24adjacent_difference_implIS3_Lb1ELb0EPKxPxN6thrust23THRUST_200600_302600_NS4plusIxEEEE10hipError_tPvRmT2_T3_mT4_P12ihipStream_tbEUlT_E_NS1_11comp_targetILNS1_3genE5ELNS1_11target_archE942ELNS1_3gpuE9ELNS1_3repE0EEENS1_30default_config_static_selectorELNS0_4arch9wavefront6targetE1EEEvT1_
    .private_segment_fixed_size: 0
    .sgpr_count:     4
    .sgpr_spill_count: 0
    .symbol:         _ZN7rocprim17ROCPRIM_400000_NS6detail17trampoline_kernelINS0_14default_configENS1_35adjacent_difference_config_selectorILb1ExEEZNS1_24adjacent_difference_implIS3_Lb1ELb0EPKxPxN6thrust23THRUST_200600_302600_NS4plusIxEEEE10hipError_tPvRmT2_T3_mT4_P12ihipStream_tbEUlT_E_NS1_11comp_targetILNS1_3genE5ELNS1_11target_archE942ELNS1_3gpuE9ELNS1_3repE0EEENS1_30default_config_static_selectorELNS0_4arch9wavefront6targetE1EEEvT1_.kd
    .uniform_work_group_size: 1
    .uses_dynamic_stack: false
    .vgpr_count:     0
    .vgpr_spill_count: 0
    .wavefront_size: 64
  - .args:
      - .offset:         0
        .size:           56
        .value_kind:     by_value
    .group_segment_fixed_size: 0
    .kernarg_segment_align: 8
    .kernarg_segment_size: 56
    .language:       OpenCL C
    .language_version:
      - 2
      - 0
    .max_flat_workgroup_size: 512
    .name:           _ZN7rocprim17ROCPRIM_400000_NS6detail17trampoline_kernelINS0_14default_configENS1_35adjacent_difference_config_selectorILb1ExEEZNS1_24adjacent_difference_implIS3_Lb1ELb0EPKxPxN6thrust23THRUST_200600_302600_NS4plusIxEEEE10hipError_tPvRmT2_T3_mT4_P12ihipStream_tbEUlT_E_NS1_11comp_targetILNS1_3genE4ELNS1_11target_archE910ELNS1_3gpuE8ELNS1_3repE0EEENS1_30default_config_static_selectorELNS0_4arch9wavefront6targetE1EEEvT1_
    .private_segment_fixed_size: 0
    .sgpr_count:     4
    .sgpr_spill_count: 0
    .symbol:         _ZN7rocprim17ROCPRIM_400000_NS6detail17trampoline_kernelINS0_14default_configENS1_35adjacent_difference_config_selectorILb1ExEEZNS1_24adjacent_difference_implIS3_Lb1ELb0EPKxPxN6thrust23THRUST_200600_302600_NS4plusIxEEEE10hipError_tPvRmT2_T3_mT4_P12ihipStream_tbEUlT_E_NS1_11comp_targetILNS1_3genE4ELNS1_11target_archE910ELNS1_3gpuE8ELNS1_3repE0EEENS1_30default_config_static_selectorELNS0_4arch9wavefront6targetE1EEEvT1_.kd
    .uniform_work_group_size: 1
    .uses_dynamic_stack: false
    .vgpr_count:     0
    .vgpr_spill_count: 0
    .wavefront_size: 64
  - .args:
      - .offset:         0
        .size:           56
        .value_kind:     by_value
    .group_segment_fixed_size: 0
    .kernarg_segment_align: 8
    .kernarg_segment_size: 56
    .language:       OpenCL C
    .language_version:
      - 2
      - 0
    .max_flat_workgroup_size: 512
    .name:           _ZN7rocprim17ROCPRIM_400000_NS6detail17trampoline_kernelINS0_14default_configENS1_35adjacent_difference_config_selectorILb1ExEEZNS1_24adjacent_difference_implIS3_Lb1ELb0EPKxPxN6thrust23THRUST_200600_302600_NS4plusIxEEEE10hipError_tPvRmT2_T3_mT4_P12ihipStream_tbEUlT_E_NS1_11comp_targetILNS1_3genE3ELNS1_11target_archE908ELNS1_3gpuE7ELNS1_3repE0EEENS1_30default_config_static_selectorELNS0_4arch9wavefront6targetE1EEEvT1_
    .private_segment_fixed_size: 0
    .sgpr_count:     4
    .sgpr_spill_count: 0
    .symbol:         _ZN7rocprim17ROCPRIM_400000_NS6detail17trampoline_kernelINS0_14default_configENS1_35adjacent_difference_config_selectorILb1ExEEZNS1_24adjacent_difference_implIS3_Lb1ELb0EPKxPxN6thrust23THRUST_200600_302600_NS4plusIxEEEE10hipError_tPvRmT2_T3_mT4_P12ihipStream_tbEUlT_E_NS1_11comp_targetILNS1_3genE3ELNS1_11target_archE908ELNS1_3gpuE7ELNS1_3repE0EEENS1_30default_config_static_selectorELNS0_4arch9wavefront6targetE1EEEvT1_.kd
    .uniform_work_group_size: 1
    .uses_dynamic_stack: false
    .vgpr_count:     0
    .vgpr_spill_count: 0
    .wavefront_size: 64
  - .args:
      - .offset:         0
        .size:           56
        .value_kind:     by_value
    .group_segment_fixed_size: 11264
    .kernarg_segment_align: 8
    .kernarg_segment_size: 56
    .language:       OpenCL C
    .language_version:
      - 2
      - 0
    .max_flat_workgroup_size: 128
    .name:           _ZN7rocprim17ROCPRIM_400000_NS6detail17trampoline_kernelINS0_14default_configENS1_35adjacent_difference_config_selectorILb1ExEEZNS1_24adjacent_difference_implIS3_Lb1ELb0EPKxPxN6thrust23THRUST_200600_302600_NS4plusIxEEEE10hipError_tPvRmT2_T3_mT4_P12ihipStream_tbEUlT_E_NS1_11comp_targetILNS1_3genE2ELNS1_11target_archE906ELNS1_3gpuE6ELNS1_3repE0EEENS1_30default_config_static_selectorELNS0_4arch9wavefront6targetE1EEEvT1_
    .private_segment_fixed_size: 0
    .sgpr_count:     33
    .sgpr_spill_count: 0
    .symbol:         _ZN7rocprim17ROCPRIM_400000_NS6detail17trampoline_kernelINS0_14default_configENS1_35adjacent_difference_config_selectorILb1ExEEZNS1_24adjacent_difference_implIS3_Lb1ELb0EPKxPxN6thrust23THRUST_200600_302600_NS4plusIxEEEE10hipError_tPvRmT2_T3_mT4_P12ihipStream_tbEUlT_E_NS1_11comp_targetILNS1_3genE2ELNS1_11target_archE906ELNS1_3gpuE6ELNS1_3repE0EEENS1_30default_config_static_selectorELNS0_4arch9wavefront6targetE1EEEvT1_.kd
    .uniform_work_group_size: 1
    .uses_dynamic_stack: false
    .vgpr_count:     48
    .vgpr_spill_count: 0
    .wavefront_size: 64
  - .args:
      - .offset:         0
        .size:           56
        .value_kind:     by_value
    .group_segment_fixed_size: 0
    .kernarg_segment_align: 8
    .kernarg_segment_size: 56
    .language:       OpenCL C
    .language_version:
      - 2
      - 0
    .max_flat_workgroup_size: 128
    .name:           _ZN7rocprim17ROCPRIM_400000_NS6detail17trampoline_kernelINS0_14default_configENS1_35adjacent_difference_config_selectorILb1ExEEZNS1_24adjacent_difference_implIS3_Lb1ELb0EPKxPxN6thrust23THRUST_200600_302600_NS4plusIxEEEE10hipError_tPvRmT2_T3_mT4_P12ihipStream_tbEUlT_E_NS1_11comp_targetILNS1_3genE9ELNS1_11target_archE1100ELNS1_3gpuE3ELNS1_3repE0EEENS1_30default_config_static_selectorELNS0_4arch9wavefront6targetE1EEEvT1_
    .private_segment_fixed_size: 0
    .sgpr_count:     4
    .sgpr_spill_count: 0
    .symbol:         _ZN7rocprim17ROCPRIM_400000_NS6detail17trampoline_kernelINS0_14default_configENS1_35adjacent_difference_config_selectorILb1ExEEZNS1_24adjacent_difference_implIS3_Lb1ELb0EPKxPxN6thrust23THRUST_200600_302600_NS4plusIxEEEE10hipError_tPvRmT2_T3_mT4_P12ihipStream_tbEUlT_E_NS1_11comp_targetILNS1_3genE9ELNS1_11target_archE1100ELNS1_3gpuE3ELNS1_3repE0EEENS1_30default_config_static_selectorELNS0_4arch9wavefront6targetE1EEEvT1_.kd
    .uniform_work_group_size: 1
    .uses_dynamic_stack: false
    .vgpr_count:     0
    .vgpr_spill_count: 0
    .wavefront_size: 64
  - .args:
      - .offset:         0
        .size:           56
        .value_kind:     by_value
    .group_segment_fixed_size: 0
    .kernarg_segment_align: 8
    .kernarg_segment_size: 56
    .language:       OpenCL C
    .language_version:
      - 2
      - 0
    .max_flat_workgroup_size: 32
    .name:           _ZN7rocprim17ROCPRIM_400000_NS6detail17trampoline_kernelINS0_14default_configENS1_35adjacent_difference_config_selectorILb1ExEEZNS1_24adjacent_difference_implIS3_Lb1ELb0EPKxPxN6thrust23THRUST_200600_302600_NS4plusIxEEEE10hipError_tPvRmT2_T3_mT4_P12ihipStream_tbEUlT_E_NS1_11comp_targetILNS1_3genE8ELNS1_11target_archE1030ELNS1_3gpuE2ELNS1_3repE0EEENS1_30default_config_static_selectorELNS0_4arch9wavefront6targetE1EEEvT1_
    .private_segment_fixed_size: 0
    .sgpr_count:     4
    .sgpr_spill_count: 0
    .symbol:         _ZN7rocprim17ROCPRIM_400000_NS6detail17trampoline_kernelINS0_14default_configENS1_35adjacent_difference_config_selectorILb1ExEEZNS1_24adjacent_difference_implIS3_Lb1ELb0EPKxPxN6thrust23THRUST_200600_302600_NS4plusIxEEEE10hipError_tPvRmT2_T3_mT4_P12ihipStream_tbEUlT_E_NS1_11comp_targetILNS1_3genE8ELNS1_11target_archE1030ELNS1_3gpuE2ELNS1_3repE0EEENS1_30default_config_static_selectorELNS0_4arch9wavefront6targetE1EEEvT1_.kd
    .uniform_work_group_size: 1
    .uses_dynamic_stack: false
    .vgpr_count:     0
    .vgpr_spill_count: 0
    .wavefront_size: 64
  - .args:
      - .offset:         0
        .size:           56
        .value_kind:     by_value
    .group_segment_fixed_size: 0
    .kernarg_segment_align: 8
    .kernarg_segment_size: 56
    .language:       OpenCL C
    .language_version:
      - 2
      - 0
    .max_flat_workgroup_size: 128
    .name:           _ZN7rocprim17ROCPRIM_400000_NS6detail17trampoline_kernelINS0_14default_configENS1_35adjacent_difference_config_selectorILb0EiEEZNS1_24adjacent_difference_implIS3_Lb0ELb0EPKiPiN6thrust23THRUST_200600_302600_NS4plusIiEEEE10hipError_tPvRmT2_T3_mT4_P12ihipStream_tbEUlT_E_NS1_11comp_targetILNS1_3genE0ELNS1_11target_archE4294967295ELNS1_3gpuE0ELNS1_3repE0EEENS1_30default_config_static_selectorELNS0_4arch9wavefront6targetE1EEEvT1_
    .private_segment_fixed_size: 0
    .sgpr_count:     4
    .sgpr_spill_count: 0
    .symbol:         _ZN7rocprim17ROCPRIM_400000_NS6detail17trampoline_kernelINS0_14default_configENS1_35adjacent_difference_config_selectorILb0EiEEZNS1_24adjacent_difference_implIS3_Lb0ELb0EPKiPiN6thrust23THRUST_200600_302600_NS4plusIiEEEE10hipError_tPvRmT2_T3_mT4_P12ihipStream_tbEUlT_E_NS1_11comp_targetILNS1_3genE0ELNS1_11target_archE4294967295ELNS1_3gpuE0ELNS1_3repE0EEENS1_30default_config_static_selectorELNS0_4arch9wavefront6targetE1EEEvT1_.kd
    .uniform_work_group_size: 1
    .uses_dynamic_stack: false
    .vgpr_count:     0
    .vgpr_spill_count: 0
    .wavefront_size: 64
  - .args:
      - .offset:         0
        .size:           56
        .value_kind:     by_value
    .group_segment_fixed_size: 0
    .kernarg_segment_align: 8
    .kernarg_segment_size: 56
    .language:       OpenCL C
    .language_version:
      - 2
      - 0
    .max_flat_workgroup_size: 128
    .name:           _ZN7rocprim17ROCPRIM_400000_NS6detail17trampoline_kernelINS0_14default_configENS1_35adjacent_difference_config_selectorILb0EiEEZNS1_24adjacent_difference_implIS3_Lb0ELb0EPKiPiN6thrust23THRUST_200600_302600_NS4plusIiEEEE10hipError_tPvRmT2_T3_mT4_P12ihipStream_tbEUlT_E_NS1_11comp_targetILNS1_3genE10ELNS1_11target_archE1201ELNS1_3gpuE5ELNS1_3repE0EEENS1_30default_config_static_selectorELNS0_4arch9wavefront6targetE1EEEvT1_
    .private_segment_fixed_size: 0
    .sgpr_count:     4
    .sgpr_spill_count: 0
    .symbol:         _ZN7rocprim17ROCPRIM_400000_NS6detail17trampoline_kernelINS0_14default_configENS1_35adjacent_difference_config_selectorILb0EiEEZNS1_24adjacent_difference_implIS3_Lb0ELb0EPKiPiN6thrust23THRUST_200600_302600_NS4plusIiEEEE10hipError_tPvRmT2_T3_mT4_P12ihipStream_tbEUlT_E_NS1_11comp_targetILNS1_3genE10ELNS1_11target_archE1201ELNS1_3gpuE5ELNS1_3repE0EEENS1_30default_config_static_selectorELNS0_4arch9wavefront6targetE1EEEvT1_.kd
    .uniform_work_group_size: 1
    .uses_dynamic_stack: false
    .vgpr_count:     0
    .vgpr_spill_count: 0
    .wavefront_size: 64
  - .args:
      - .offset:         0
        .size:           56
        .value_kind:     by_value
    .group_segment_fixed_size: 0
    .kernarg_segment_align: 8
    .kernarg_segment_size: 56
    .language:       OpenCL C
    .language_version:
      - 2
      - 0
    .max_flat_workgroup_size: 64
    .name:           _ZN7rocprim17ROCPRIM_400000_NS6detail17trampoline_kernelINS0_14default_configENS1_35adjacent_difference_config_selectorILb0EiEEZNS1_24adjacent_difference_implIS3_Lb0ELb0EPKiPiN6thrust23THRUST_200600_302600_NS4plusIiEEEE10hipError_tPvRmT2_T3_mT4_P12ihipStream_tbEUlT_E_NS1_11comp_targetILNS1_3genE5ELNS1_11target_archE942ELNS1_3gpuE9ELNS1_3repE0EEENS1_30default_config_static_selectorELNS0_4arch9wavefront6targetE1EEEvT1_
    .private_segment_fixed_size: 0
    .sgpr_count:     4
    .sgpr_spill_count: 0
    .symbol:         _ZN7rocprim17ROCPRIM_400000_NS6detail17trampoline_kernelINS0_14default_configENS1_35adjacent_difference_config_selectorILb0EiEEZNS1_24adjacent_difference_implIS3_Lb0ELb0EPKiPiN6thrust23THRUST_200600_302600_NS4plusIiEEEE10hipError_tPvRmT2_T3_mT4_P12ihipStream_tbEUlT_E_NS1_11comp_targetILNS1_3genE5ELNS1_11target_archE942ELNS1_3gpuE9ELNS1_3repE0EEENS1_30default_config_static_selectorELNS0_4arch9wavefront6targetE1EEEvT1_.kd
    .uniform_work_group_size: 1
    .uses_dynamic_stack: false
    .vgpr_count:     0
    .vgpr_spill_count: 0
    .wavefront_size: 64
  - .args:
      - .offset:         0
        .size:           56
        .value_kind:     by_value
    .group_segment_fixed_size: 0
    .kernarg_segment_align: 8
    .kernarg_segment_size: 56
    .language:       OpenCL C
    .language_version:
      - 2
      - 0
    .max_flat_workgroup_size: 512
    .name:           _ZN7rocprim17ROCPRIM_400000_NS6detail17trampoline_kernelINS0_14default_configENS1_35adjacent_difference_config_selectorILb0EiEEZNS1_24adjacent_difference_implIS3_Lb0ELb0EPKiPiN6thrust23THRUST_200600_302600_NS4plusIiEEEE10hipError_tPvRmT2_T3_mT4_P12ihipStream_tbEUlT_E_NS1_11comp_targetILNS1_3genE4ELNS1_11target_archE910ELNS1_3gpuE8ELNS1_3repE0EEENS1_30default_config_static_selectorELNS0_4arch9wavefront6targetE1EEEvT1_
    .private_segment_fixed_size: 0
    .sgpr_count:     4
    .sgpr_spill_count: 0
    .symbol:         _ZN7rocprim17ROCPRIM_400000_NS6detail17trampoline_kernelINS0_14default_configENS1_35adjacent_difference_config_selectorILb0EiEEZNS1_24adjacent_difference_implIS3_Lb0ELb0EPKiPiN6thrust23THRUST_200600_302600_NS4plusIiEEEE10hipError_tPvRmT2_T3_mT4_P12ihipStream_tbEUlT_E_NS1_11comp_targetILNS1_3genE4ELNS1_11target_archE910ELNS1_3gpuE8ELNS1_3repE0EEENS1_30default_config_static_selectorELNS0_4arch9wavefront6targetE1EEEvT1_.kd
    .uniform_work_group_size: 1
    .uses_dynamic_stack: false
    .vgpr_count:     0
    .vgpr_spill_count: 0
    .wavefront_size: 64
  - .args:
      - .offset:         0
        .size:           56
        .value_kind:     by_value
    .group_segment_fixed_size: 0
    .kernarg_segment_align: 8
    .kernarg_segment_size: 56
    .language:       OpenCL C
    .language_version:
      - 2
      - 0
    .max_flat_workgroup_size: 128
    .name:           _ZN7rocprim17ROCPRIM_400000_NS6detail17trampoline_kernelINS0_14default_configENS1_35adjacent_difference_config_selectorILb0EiEEZNS1_24adjacent_difference_implIS3_Lb0ELb0EPKiPiN6thrust23THRUST_200600_302600_NS4plusIiEEEE10hipError_tPvRmT2_T3_mT4_P12ihipStream_tbEUlT_E_NS1_11comp_targetILNS1_3genE3ELNS1_11target_archE908ELNS1_3gpuE7ELNS1_3repE0EEENS1_30default_config_static_selectorELNS0_4arch9wavefront6targetE1EEEvT1_
    .private_segment_fixed_size: 0
    .sgpr_count:     4
    .sgpr_spill_count: 0
    .symbol:         _ZN7rocprim17ROCPRIM_400000_NS6detail17trampoline_kernelINS0_14default_configENS1_35adjacent_difference_config_selectorILb0EiEEZNS1_24adjacent_difference_implIS3_Lb0ELb0EPKiPiN6thrust23THRUST_200600_302600_NS4plusIiEEEE10hipError_tPvRmT2_T3_mT4_P12ihipStream_tbEUlT_E_NS1_11comp_targetILNS1_3genE3ELNS1_11target_archE908ELNS1_3gpuE7ELNS1_3repE0EEENS1_30default_config_static_selectorELNS0_4arch9wavefront6targetE1EEEvT1_.kd
    .uniform_work_group_size: 1
    .uses_dynamic_stack: false
    .vgpr_count:     0
    .vgpr_spill_count: 0
    .wavefront_size: 64
  - .args:
      - .offset:         0
        .size:           56
        .value_kind:     by_value
    .group_segment_fixed_size: 20480
    .kernarg_segment_align: 8
    .kernarg_segment_size: 56
    .language:       OpenCL C
    .language_version:
      - 2
      - 0
    .max_flat_workgroup_size: 1024
    .name:           _ZN7rocprim17ROCPRIM_400000_NS6detail17trampoline_kernelINS0_14default_configENS1_35adjacent_difference_config_selectorILb0EiEEZNS1_24adjacent_difference_implIS3_Lb0ELb0EPKiPiN6thrust23THRUST_200600_302600_NS4plusIiEEEE10hipError_tPvRmT2_T3_mT4_P12ihipStream_tbEUlT_E_NS1_11comp_targetILNS1_3genE2ELNS1_11target_archE906ELNS1_3gpuE6ELNS1_3repE0EEENS1_30default_config_static_selectorELNS0_4arch9wavefront6targetE1EEEvT1_
    .private_segment_fixed_size: 0
    .sgpr_count:     27
    .sgpr_spill_count: 0
    .symbol:         _ZN7rocprim17ROCPRIM_400000_NS6detail17trampoline_kernelINS0_14default_configENS1_35adjacent_difference_config_selectorILb0EiEEZNS1_24adjacent_difference_implIS3_Lb0ELb0EPKiPiN6thrust23THRUST_200600_302600_NS4plusIiEEEE10hipError_tPvRmT2_T3_mT4_P12ihipStream_tbEUlT_E_NS1_11comp_targetILNS1_3genE2ELNS1_11target_archE906ELNS1_3gpuE6ELNS1_3repE0EEENS1_30default_config_static_selectorELNS0_4arch9wavefront6targetE1EEEvT1_.kd
    .uniform_work_group_size: 1
    .uses_dynamic_stack: false
    .vgpr_count:     17
    .vgpr_spill_count: 0
    .wavefront_size: 64
  - .args:
      - .offset:         0
        .size:           56
        .value_kind:     by_value
    .group_segment_fixed_size: 0
    .kernarg_segment_align: 8
    .kernarg_segment_size: 56
    .language:       OpenCL C
    .language_version:
      - 2
      - 0
    .max_flat_workgroup_size: 1024
    .name:           _ZN7rocprim17ROCPRIM_400000_NS6detail17trampoline_kernelINS0_14default_configENS1_35adjacent_difference_config_selectorILb0EiEEZNS1_24adjacent_difference_implIS3_Lb0ELb0EPKiPiN6thrust23THRUST_200600_302600_NS4plusIiEEEE10hipError_tPvRmT2_T3_mT4_P12ihipStream_tbEUlT_E_NS1_11comp_targetILNS1_3genE9ELNS1_11target_archE1100ELNS1_3gpuE3ELNS1_3repE0EEENS1_30default_config_static_selectorELNS0_4arch9wavefront6targetE1EEEvT1_
    .private_segment_fixed_size: 0
    .sgpr_count:     4
    .sgpr_spill_count: 0
    .symbol:         _ZN7rocprim17ROCPRIM_400000_NS6detail17trampoline_kernelINS0_14default_configENS1_35adjacent_difference_config_selectorILb0EiEEZNS1_24adjacent_difference_implIS3_Lb0ELb0EPKiPiN6thrust23THRUST_200600_302600_NS4plusIiEEEE10hipError_tPvRmT2_T3_mT4_P12ihipStream_tbEUlT_E_NS1_11comp_targetILNS1_3genE9ELNS1_11target_archE1100ELNS1_3gpuE3ELNS1_3repE0EEENS1_30default_config_static_selectorELNS0_4arch9wavefront6targetE1EEEvT1_.kd
    .uniform_work_group_size: 1
    .uses_dynamic_stack: false
    .vgpr_count:     0
    .vgpr_spill_count: 0
    .wavefront_size: 64
  - .args:
      - .offset:         0
        .size:           56
        .value_kind:     by_value
    .group_segment_fixed_size: 0
    .kernarg_segment_align: 8
    .kernarg_segment_size: 56
    .language:       OpenCL C
    .language_version:
      - 2
      - 0
    .max_flat_workgroup_size: 1024
    .name:           _ZN7rocprim17ROCPRIM_400000_NS6detail17trampoline_kernelINS0_14default_configENS1_35adjacent_difference_config_selectorILb0EiEEZNS1_24adjacent_difference_implIS3_Lb0ELb0EPKiPiN6thrust23THRUST_200600_302600_NS4plusIiEEEE10hipError_tPvRmT2_T3_mT4_P12ihipStream_tbEUlT_E_NS1_11comp_targetILNS1_3genE8ELNS1_11target_archE1030ELNS1_3gpuE2ELNS1_3repE0EEENS1_30default_config_static_selectorELNS0_4arch9wavefront6targetE1EEEvT1_
    .private_segment_fixed_size: 0
    .sgpr_count:     4
    .sgpr_spill_count: 0
    .symbol:         _ZN7rocprim17ROCPRIM_400000_NS6detail17trampoline_kernelINS0_14default_configENS1_35adjacent_difference_config_selectorILb0EiEEZNS1_24adjacent_difference_implIS3_Lb0ELb0EPKiPiN6thrust23THRUST_200600_302600_NS4plusIiEEEE10hipError_tPvRmT2_T3_mT4_P12ihipStream_tbEUlT_E_NS1_11comp_targetILNS1_3genE8ELNS1_11target_archE1030ELNS1_3gpuE2ELNS1_3repE0EEENS1_30default_config_static_selectorELNS0_4arch9wavefront6targetE1EEEvT1_.kd
    .uniform_work_group_size: 1
    .uses_dynamic_stack: false
    .vgpr_count:     0
    .vgpr_spill_count: 0
    .wavefront_size: 64
  - .args:
      - .offset:         0
        .size:           56
        .value_kind:     by_value
    .group_segment_fixed_size: 0
    .kernarg_segment_align: 8
    .kernarg_segment_size: 56
    .language:       OpenCL C
    .language_version:
      - 2
      - 0
    .max_flat_workgroup_size: 128
    .name:           _ZN7rocprim17ROCPRIM_400000_NS6detail17trampoline_kernelINS0_14default_configENS1_25transform_config_selectorIiLb0EEEZNS1_14transform_implILb0ES3_S5_NS0_18transform_iteratorINS0_17counting_iteratorImlEEZNS1_24adjacent_difference_implIS3_Lb1ELb0EPKiPiN6thrust23THRUST_200600_302600_NS4plusIiEEEE10hipError_tPvRmT2_T3_mT4_P12ihipStream_tbEUlmE_iEESD_NS0_8identityIvEEEESI_SL_SM_mSN_SP_bEUlT_E_NS1_11comp_targetILNS1_3genE0ELNS1_11target_archE4294967295ELNS1_3gpuE0ELNS1_3repE0EEENS1_30default_config_static_selectorELNS0_4arch9wavefront6targetE1EEEvT1_
    .private_segment_fixed_size: 0
    .sgpr_count:     4
    .sgpr_spill_count: 0
    .symbol:         _ZN7rocprim17ROCPRIM_400000_NS6detail17trampoline_kernelINS0_14default_configENS1_25transform_config_selectorIiLb0EEEZNS1_14transform_implILb0ES3_S5_NS0_18transform_iteratorINS0_17counting_iteratorImlEEZNS1_24adjacent_difference_implIS3_Lb1ELb0EPKiPiN6thrust23THRUST_200600_302600_NS4plusIiEEEE10hipError_tPvRmT2_T3_mT4_P12ihipStream_tbEUlmE_iEESD_NS0_8identityIvEEEESI_SL_SM_mSN_SP_bEUlT_E_NS1_11comp_targetILNS1_3genE0ELNS1_11target_archE4294967295ELNS1_3gpuE0ELNS1_3repE0EEENS1_30default_config_static_selectorELNS0_4arch9wavefront6targetE1EEEvT1_.kd
    .uniform_work_group_size: 1
    .uses_dynamic_stack: false
    .vgpr_count:     0
    .vgpr_spill_count: 0
    .wavefront_size: 64
  - .args:
      - .offset:         0
        .size:           56
        .value_kind:     by_value
    .group_segment_fixed_size: 0
    .kernarg_segment_align: 8
    .kernarg_segment_size: 56
    .language:       OpenCL C
    .language_version:
      - 2
      - 0
    .max_flat_workgroup_size: 512
    .name:           _ZN7rocprim17ROCPRIM_400000_NS6detail17trampoline_kernelINS0_14default_configENS1_25transform_config_selectorIiLb0EEEZNS1_14transform_implILb0ES3_S5_NS0_18transform_iteratorINS0_17counting_iteratorImlEEZNS1_24adjacent_difference_implIS3_Lb1ELb0EPKiPiN6thrust23THRUST_200600_302600_NS4plusIiEEEE10hipError_tPvRmT2_T3_mT4_P12ihipStream_tbEUlmE_iEESD_NS0_8identityIvEEEESI_SL_SM_mSN_SP_bEUlT_E_NS1_11comp_targetILNS1_3genE5ELNS1_11target_archE942ELNS1_3gpuE9ELNS1_3repE0EEENS1_30default_config_static_selectorELNS0_4arch9wavefront6targetE1EEEvT1_
    .private_segment_fixed_size: 0
    .sgpr_count:     4
    .sgpr_spill_count: 0
    .symbol:         _ZN7rocprim17ROCPRIM_400000_NS6detail17trampoline_kernelINS0_14default_configENS1_25transform_config_selectorIiLb0EEEZNS1_14transform_implILb0ES3_S5_NS0_18transform_iteratorINS0_17counting_iteratorImlEEZNS1_24adjacent_difference_implIS3_Lb1ELb0EPKiPiN6thrust23THRUST_200600_302600_NS4plusIiEEEE10hipError_tPvRmT2_T3_mT4_P12ihipStream_tbEUlmE_iEESD_NS0_8identityIvEEEESI_SL_SM_mSN_SP_bEUlT_E_NS1_11comp_targetILNS1_3genE5ELNS1_11target_archE942ELNS1_3gpuE9ELNS1_3repE0EEENS1_30default_config_static_selectorELNS0_4arch9wavefront6targetE1EEEvT1_.kd
    .uniform_work_group_size: 1
    .uses_dynamic_stack: false
    .vgpr_count:     0
    .vgpr_spill_count: 0
    .wavefront_size: 64
  - .args:
      - .offset:         0
        .size:           56
        .value_kind:     by_value
    .group_segment_fixed_size: 0
    .kernarg_segment_align: 8
    .kernarg_segment_size: 56
    .language:       OpenCL C
    .language_version:
      - 2
      - 0
    .max_flat_workgroup_size: 1024
    .name:           _ZN7rocprim17ROCPRIM_400000_NS6detail17trampoline_kernelINS0_14default_configENS1_25transform_config_selectorIiLb0EEEZNS1_14transform_implILb0ES3_S5_NS0_18transform_iteratorINS0_17counting_iteratorImlEEZNS1_24adjacent_difference_implIS3_Lb1ELb0EPKiPiN6thrust23THRUST_200600_302600_NS4plusIiEEEE10hipError_tPvRmT2_T3_mT4_P12ihipStream_tbEUlmE_iEESD_NS0_8identityIvEEEESI_SL_SM_mSN_SP_bEUlT_E_NS1_11comp_targetILNS1_3genE4ELNS1_11target_archE910ELNS1_3gpuE8ELNS1_3repE0EEENS1_30default_config_static_selectorELNS0_4arch9wavefront6targetE1EEEvT1_
    .private_segment_fixed_size: 0
    .sgpr_count:     4
    .sgpr_spill_count: 0
    .symbol:         _ZN7rocprim17ROCPRIM_400000_NS6detail17trampoline_kernelINS0_14default_configENS1_25transform_config_selectorIiLb0EEEZNS1_14transform_implILb0ES3_S5_NS0_18transform_iteratorINS0_17counting_iteratorImlEEZNS1_24adjacent_difference_implIS3_Lb1ELb0EPKiPiN6thrust23THRUST_200600_302600_NS4plusIiEEEE10hipError_tPvRmT2_T3_mT4_P12ihipStream_tbEUlmE_iEESD_NS0_8identityIvEEEESI_SL_SM_mSN_SP_bEUlT_E_NS1_11comp_targetILNS1_3genE4ELNS1_11target_archE910ELNS1_3gpuE8ELNS1_3repE0EEENS1_30default_config_static_selectorELNS0_4arch9wavefront6targetE1EEEvT1_.kd
    .uniform_work_group_size: 1
    .uses_dynamic_stack: false
    .vgpr_count:     0
    .vgpr_spill_count: 0
    .wavefront_size: 64
  - .args:
      - .offset:         0
        .size:           56
        .value_kind:     by_value
    .group_segment_fixed_size: 0
    .kernarg_segment_align: 8
    .kernarg_segment_size: 56
    .language:       OpenCL C
    .language_version:
      - 2
      - 0
    .max_flat_workgroup_size: 128
    .name:           _ZN7rocprim17ROCPRIM_400000_NS6detail17trampoline_kernelINS0_14default_configENS1_25transform_config_selectorIiLb0EEEZNS1_14transform_implILb0ES3_S5_NS0_18transform_iteratorINS0_17counting_iteratorImlEEZNS1_24adjacent_difference_implIS3_Lb1ELb0EPKiPiN6thrust23THRUST_200600_302600_NS4plusIiEEEE10hipError_tPvRmT2_T3_mT4_P12ihipStream_tbEUlmE_iEESD_NS0_8identityIvEEEESI_SL_SM_mSN_SP_bEUlT_E_NS1_11comp_targetILNS1_3genE3ELNS1_11target_archE908ELNS1_3gpuE7ELNS1_3repE0EEENS1_30default_config_static_selectorELNS0_4arch9wavefront6targetE1EEEvT1_
    .private_segment_fixed_size: 0
    .sgpr_count:     4
    .sgpr_spill_count: 0
    .symbol:         _ZN7rocprim17ROCPRIM_400000_NS6detail17trampoline_kernelINS0_14default_configENS1_25transform_config_selectorIiLb0EEEZNS1_14transform_implILb0ES3_S5_NS0_18transform_iteratorINS0_17counting_iteratorImlEEZNS1_24adjacent_difference_implIS3_Lb1ELb0EPKiPiN6thrust23THRUST_200600_302600_NS4plusIiEEEE10hipError_tPvRmT2_T3_mT4_P12ihipStream_tbEUlmE_iEESD_NS0_8identityIvEEEESI_SL_SM_mSN_SP_bEUlT_E_NS1_11comp_targetILNS1_3genE3ELNS1_11target_archE908ELNS1_3gpuE7ELNS1_3repE0EEENS1_30default_config_static_selectorELNS0_4arch9wavefront6targetE1EEEvT1_.kd
    .uniform_work_group_size: 1
    .uses_dynamic_stack: false
    .vgpr_count:     0
    .vgpr_spill_count: 0
    .wavefront_size: 64
  - .args:
      - .offset:         0
        .size:           56
        .value_kind:     by_value
      - .offset:         56
        .size:           4
        .value_kind:     hidden_block_count_x
      - .offset:         60
        .size:           4
        .value_kind:     hidden_block_count_y
      - .offset:         64
        .size:           4
        .value_kind:     hidden_block_count_z
      - .offset:         68
        .size:           2
        .value_kind:     hidden_group_size_x
      - .offset:         70
        .size:           2
        .value_kind:     hidden_group_size_y
      - .offset:         72
        .size:           2
        .value_kind:     hidden_group_size_z
      - .offset:         74
        .size:           2
        .value_kind:     hidden_remainder_x
      - .offset:         76
        .size:           2
        .value_kind:     hidden_remainder_y
      - .offset:         78
        .size:           2
        .value_kind:     hidden_remainder_z
      - .offset:         96
        .size:           8
        .value_kind:     hidden_global_offset_x
      - .offset:         104
        .size:           8
        .value_kind:     hidden_global_offset_y
      - .offset:         112
        .size:           8
        .value_kind:     hidden_global_offset_z
      - .offset:         120
        .size:           2
        .value_kind:     hidden_grid_dims
    .group_segment_fixed_size: 0
    .kernarg_segment_align: 8
    .kernarg_segment_size: 312
    .language:       OpenCL C
    .language_version:
      - 2
      - 0
    .max_flat_workgroup_size: 1024
    .name:           _ZN7rocprim17ROCPRIM_400000_NS6detail17trampoline_kernelINS0_14default_configENS1_25transform_config_selectorIiLb0EEEZNS1_14transform_implILb0ES3_S5_NS0_18transform_iteratorINS0_17counting_iteratorImlEEZNS1_24adjacent_difference_implIS3_Lb1ELb0EPKiPiN6thrust23THRUST_200600_302600_NS4plusIiEEEE10hipError_tPvRmT2_T3_mT4_P12ihipStream_tbEUlmE_iEESD_NS0_8identityIvEEEESI_SL_SM_mSN_SP_bEUlT_E_NS1_11comp_targetILNS1_3genE2ELNS1_11target_archE906ELNS1_3gpuE6ELNS1_3repE0EEENS1_30default_config_static_selectorELNS0_4arch9wavefront6targetE1EEEvT1_
    .private_segment_fixed_size: 0
    .sgpr_count:     22
    .sgpr_spill_count: 0
    .symbol:         _ZN7rocprim17ROCPRIM_400000_NS6detail17trampoline_kernelINS0_14default_configENS1_25transform_config_selectorIiLb0EEEZNS1_14transform_implILb0ES3_S5_NS0_18transform_iteratorINS0_17counting_iteratorImlEEZNS1_24adjacent_difference_implIS3_Lb1ELb0EPKiPiN6thrust23THRUST_200600_302600_NS4plusIiEEEE10hipError_tPvRmT2_T3_mT4_P12ihipStream_tbEUlmE_iEESD_NS0_8identityIvEEEESI_SL_SM_mSN_SP_bEUlT_E_NS1_11comp_targetILNS1_3genE2ELNS1_11target_archE906ELNS1_3gpuE6ELNS1_3repE0EEENS1_30default_config_static_selectorELNS0_4arch9wavefront6targetE1EEEvT1_.kd
    .uniform_work_group_size: 1
    .uses_dynamic_stack: false
    .vgpr_count:     7
    .vgpr_spill_count: 0
    .wavefront_size: 64
  - .args:
      - .offset:         0
        .size:           56
        .value_kind:     by_value
    .group_segment_fixed_size: 0
    .kernarg_segment_align: 8
    .kernarg_segment_size: 56
    .language:       OpenCL C
    .language_version:
      - 2
      - 0
    .max_flat_workgroup_size: 1024
    .name:           _ZN7rocprim17ROCPRIM_400000_NS6detail17trampoline_kernelINS0_14default_configENS1_25transform_config_selectorIiLb0EEEZNS1_14transform_implILb0ES3_S5_NS0_18transform_iteratorINS0_17counting_iteratorImlEEZNS1_24adjacent_difference_implIS3_Lb1ELb0EPKiPiN6thrust23THRUST_200600_302600_NS4plusIiEEEE10hipError_tPvRmT2_T3_mT4_P12ihipStream_tbEUlmE_iEESD_NS0_8identityIvEEEESI_SL_SM_mSN_SP_bEUlT_E_NS1_11comp_targetILNS1_3genE10ELNS1_11target_archE1201ELNS1_3gpuE5ELNS1_3repE0EEENS1_30default_config_static_selectorELNS0_4arch9wavefront6targetE1EEEvT1_
    .private_segment_fixed_size: 0
    .sgpr_count:     4
    .sgpr_spill_count: 0
    .symbol:         _ZN7rocprim17ROCPRIM_400000_NS6detail17trampoline_kernelINS0_14default_configENS1_25transform_config_selectorIiLb0EEEZNS1_14transform_implILb0ES3_S5_NS0_18transform_iteratorINS0_17counting_iteratorImlEEZNS1_24adjacent_difference_implIS3_Lb1ELb0EPKiPiN6thrust23THRUST_200600_302600_NS4plusIiEEEE10hipError_tPvRmT2_T3_mT4_P12ihipStream_tbEUlmE_iEESD_NS0_8identityIvEEEESI_SL_SM_mSN_SP_bEUlT_E_NS1_11comp_targetILNS1_3genE10ELNS1_11target_archE1201ELNS1_3gpuE5ELNS1_3repE0EEENS1_30default_config_static_selectorELNS0_4arch9wavefront6targetE1EEEvT1_.kd
    .uniform_work_group_size: 1
    .uses_dynamic_stack: false
    .vgpr_count:     0
    .vgpr_spill_count: 0
    .wavefront_size: 64
  - .args:
      - .offset:         0
        .size:           56
        .value_kind:     by_value
    .group_segment_fixed_size: 0
    .kernarg_segment_align: 8
    .kernarg_segment_size: 56
    .language:       OpenCL C
    .language_version:
      - 2
      - 0
    .max_flat_workgroup_size: 512
    .name:           _ZN7rocprim17ROCPRIM_400000_NS6detail17trampoline_kernelINS0_14default_configENS1_25transform_config_selectorIiLb0EEEZNS1_14transform_implILb0ES3_S5_NS0_18transform_iteratorINS0_17counting_iteratorImlEEZNS1_24adjacent_difference_implIS3_Lb1ELb0EPKiPiN6thrust23THRUST_200600_302600_NS4plusIiEEEE10hipError_tPvRmT2_T3_mT4_P12ihipStream_tbEUlmE_iEESD_NS0_8identityIvEEEESI_SL_SM_mSN_SP_bEUlT_E_NS1_11comp_targetILNS1_3genE10ELNS1_11target_archE1200ELNS1_3gpuE4ELNS1_3repE0EEENS1_30default_config_static_selectorELNS0_4arch9wavefront6targetE1EEEvT1_
    .private_segment_fixed_size: 0
    .sgpr_count:     4
    .sgpr_spill_count: 0
    .symbol:         _ZN7rocprim17ROCPRIM_400000_NS6detail17trampoline_kernelINS0_14default_configENS1_25transform_config_selectorIiLb0EEEZNS1_14transform_implILb0ES3_S5_NS0_18transform_iteratorINS0_17counting_iteratorImlEEZNS1_24adjacent_difference_implIS3_Lb1ELb0EPKiPiN6thrust23THRUST_200600_302600_NS4plusIiEEEE10hipError_tPvRmT2_T3_mT4_P12ihipStream_tbEUlmE_iEESD_NS0_8identityIvEEEESI_SL_SM_mSN_SP_bEUlT_E_NS1_11comp_targetILNS1_3genE10ELNS1_11target_archE1200ELNS1_3gpuE4ELNS1_3repE0EEENS1_30default_config_static_selectorELNS0_4arch9wavefront6targetE1EEEvT1_.kd
    .uniform_work_group_size: 1
    .uses_dynamic_stack: false
    .vgpr_count:     0
    .vgpr_spill_count: 0
    .wavefront_size: 64
  - .args:
      - .offset:         0
        .size:           56
        .value_kind:     by_value
    .group_segment_fixed_size: 0
    .kernarg_segment_align: 8
    .kernarg_segment_size: 56
    .language:       OpenCL C
    .language_version:
      - 2
      - 0
    .max_flat_workgroup_size: 64
    .name:           _ZN7rocprim17ROCPRIM_400000_NS6detail17trampoline_kernelINS0_14default_configENS1_25transform_config_selectorIiLb0EEEZNS1_14transform_implILb0ES3_S5_NS0_18transform_iteratorINS0_17counting_iteratorImlEEZNS1_24adjacent_difference_implIS3_Lb1ELb0EPKiPiN6thrust23THRUST_200600_302600_NS4plusIiEEEE10hipError_tPvRmT2_T3_mT4_P12ihipStream_tbEUlmE_iEESD_NS0_8identityIvEEEESI_SL_SM_mSN_SP_bEUlT_E_NS1_11comp_targetILNS1_3genE9ELNS1_11target_archE1100ELNS1_3gpuE3ELNS1_3repE0EEENS1_30default_config_static_selectorELNS0_4arch9wavefront6targetE1EEEvT1_
    .private_segment_fixed_size: 0
    .sgpr_count:     4
    .sgpr_spill_count: 0
    .symbol:         _ZN7rocprim17ROCPRIM_400000_NS6detail17trampoline_kernelINS0_14default_configENS1_25transform_config_selectorIiLb0EEEZNS1_14transform_implILb0ES3_S5_NS0_18transform_iteratorINS0_17counting_iteratorImlEEZNS1_24adjacent_difference_implIS3_Lb1ELb0EPKiPiN6thrust23THRUST_200600_302600_NS4plusIiEEEE10hipError_tPvRmT2_T3_mT4_P12ihipStream_tbEUlmE_iEESD_NS0_8identityIvEEEESI_SL_SM_mSN_SP_bEUlT_E_NS1_11comp_targetILNS1_3genE9ELNS1_11target_archE1100ELNS1_3gpuE3ELNS1_3repE0EEENS1_30default_config_static_selectorELNS0_4arch9wavefront6targetE1EEEvT1_.kd
    .uniform_work_group_size: 1
    .uses_dynamic_stack: false
    .vgpr_count:     0
    .vgpr_spill_count: 0
    .wavefront_size: 64
  - .args:
      - .offset:         0
        .size:           56
        .value_kind:     by_value
    .group_segment_fixed_size: 0
    .kernarg_segment_align: 8
    .kernarg_segment_size: 56
    .language:       OpenCL C
    .language_version:
      - 2
      - 0
    .max_flat_workgroup_size: 256
    .name:           _ZN7rocprim17ROCPRIM_400000_NS6detail17trampoline_kernelINS0_14default_configENS1_25transform_config_selectorIiLb0EEEZNS1_14transform_implILb0ES3_S5_NS0_18transform_iteratorINS0_17counting_iteratorImlEEZNS1_24adjacent_difference_implIS3_Lb1ELb0EPKiPiN6thrust23THRUST_200600_302600_NS4plusIiEEEE10hipError_tPvRmT2_T3_mT4_P12ihipStream_tbEUlmE_iEESD_NS0_8identityIvEEEESI_SL_SM_mSN_SP_bEUlT_E_NS1_11comp_targetILNS1_3genE8ELNS1_11target_archE1030ELNS1_3gpuE2ELNS1_3repE0EEENS1_30default_config_static_selectorELNS0_4arch9wavefront6targetE1EEEvT1_
    .private_segment_fixed_size: 0
    .sgpr_count:     4
    .sgpr_spill_count: 0
    .symbol:         _ZN7rocprim17ROCPRIM_400000_NS6detail17trampoline_kernelINS0_14default_configENS1_25transform_config_selectorIiLb0EEEZNS1_14transform_implILb0ES3_S5_NS0_18transform_iteratorINS0_17counting_iteratorImlEEZNS1_24adjacent_difference_implIS3_Lb1ELb0EPKiPiN6thrust23THRUST_200600_302600_NS4plusIiEEEE10hipError_tPvRmT2_T3_mT4_P12ihipStream_tbEUlmE_iEESD_NS0_8identityIvEEEESI_SL_SM_mSN_SP_bEUlT_E_NS1_11comp_targetILNS1_3genE8ELNS1_11target_archE1030ELNS1_3gpuE2ELNS1_3repE0EEENS1_30default_config_static_selectorELNS0_4arch9wavefront6targetE1EEEvT1_.kd
    .uniform_work_group_size: 1
    .uses_dynamic_stack: false
    .vgpr_count:     0
    .vgpr_spill_count: 0
    .wavefront_size: 64
  - .args:
      - .offset:         0
        .size:           56
        .value_kind:     by_value
    .group_segment_fixed_size: 0
    .kernarg_segment_align: 8
    .kernarg_segment_size: 56
    .language:       OpenCL C
    .language_version:
      - 2
      - 0
    .max_flat_workgroup_size: 1024
    .name:           _ZN7rocprim17ROCPRIM_400000_NS6detail17trampoline_kernelINS0_14default_configENS1_35adjacent_difference_config_selectorILb1EiEEZNS1_24adjacent_difference_implIS3_Lb1ELb0EPKiPiN6thrust23THRUST_200600_302600_NS4plusIiEEEE10hipError_tPvRmT2_T3_mT4_P12ihipStream_tbEUlT_E_NS1_11comp_targetILNS1_3genE0ELNS1_11target_archE4294967295ELNS1_3gpuE0ELNS1_3repE0EEENS1_30default_config_static_selectorELNS0_4arch9wavefront6targetE1EEEvT1_
    .private_segment_fixed_size: 0
    .sgpr_count:     4
    .sgpr_spill_count: 0
    .symbol:         _ZN7rocprim17ROCPRIM_400000_NS6detail17trampoline_kernelINS0_14default_configENS1_35adjacent_difference_config_selectorILb1EiEEZNS1_24adjacent_difference_implIS3_Lb1ELb0EPKiPiN6thrust23THRUST_200600_302600_NS4plusIiEEEE10hipError_tPvRmT2_T3_mT4_P12ihipStream_tbEUlT_E_NS1_11comp_targetILNS1_3genE0ELNS1_11target_archE4294967295ELNS1_3gpuE0ELNS1_3repE0EEENS1_30default_config_static_selectorELNS0_4arch9wavefront6targetE1EEEvT1_.kd
    .uniform_work_group_size: 1
    .uses_dynamic_stack: false
    .vgpr_count:     0
    .vgpr_spill_count: 0
    .wavefront_size: 64
  - .args:
      - .offset:         0
        .size:           56
        .value_kind:     by_value
    .group_segment_fixed_size: 0
    .kernarg_segment_align: 8
    .kernarg_segment_size: 56
    .language:       OpenCL C
    .language_version:
      - 2
      - 0
    .max_flat_workgroup_size: 32
    .name:           _ZN7rocprim17ROCPRIM_400000_NS6detail17trampoline_kernelINS0_14default_configENS1_35adjacent_difference_config_selectorILb1EiEEZNS1_24adjacent_difference_implIS3_Lb1ELb0EPKiPiN6thrust23THRUST_200600_302600_NS4plusIiEEEE10hipError_tPvRmT2_T3_mT4_P12ihipStream_tbEUlT_E_NS1_11comp_targetILNS1_3genE10ELNS1_11target_archE1201ELNS1_3gpuE5ELNS1_3repE0EEENS1_30default_config_static_selectorELNS0_4arch9wavefront6targetE1EEEvT1_
    .private_segment_fixed_size: 0
    .sgpr_count:     4
    .sgpr_spill_count: 0
    .symbol:         _ZN7rocprim17ROCPRIM_400000_NS6detail17trampoline_kernelINS0_14default_configENS1_35adjacent_difference_config_selectorILb1EiEEZNS1_24adjacent_difference_implIS3_Lb1ELb0EPKiPiN6thrust23THRUST_200600_302600_NS4plusIiEEEE10hipError_tPvRmT2_T3_mT4_P12ihipStream_tbEUlT_E_NS1_11comp_targetILNS1_3genE10ELNS1_11target_archE1201ELNS1_3gpuE5ELNS1_3repE0EEENS1_30default_config_static_selectorELNS0_4arch9wavefront6targetE1EEEvT1_.kd
    .uniform_work_group_size: 1
    .uses_dynamic_stack: false
    .vgpr_count:     0
    .vgpr_spill_count: 0
    .wavefront_size: 64
  - .args:
      - .offset:         0
        .size:           56
        .value_kind:     by_value
    .group_segment_fixed_size: 0
    .kernarg_segment_align: 8
    .kernarg_segment_size: 56
    .language:       OpenCL C
    .language_version:
      - 2
      - 0
    .max_flat_workgroup_size: 512
    .name:           _ZN7rocprim17ROCPRIM_400000_NS6detail17trampoline_kernelINS0_14default_configENS1_35adjacent_difference_config_selectorILb1EiEEZNS1_24adjacent_difference_implIS3_Lb1ELb0EPKiPiN6thrust23THRUST_200600_302600_NS4plusIiEEEE10hipError_tPvRmT2_T3_mT4_P12ihipStream_tbEUlT_E_NS1_11comp_targetILNS1_3genE5ELNS1_11target_archE942ELNS1_3gpuE9ELNS1_3repE0EEENS1_30default_config_static_selectorELNS0_4arch9wavefront6targetE1EEEvT1_
    .private_segment_fixed_size: 0
    .sgpr_count:     4
    .sgpr_spill_count: 0
    .symbol:         _ZN7rocprim17ROCPRIM_400000_NS6detail17trampoline_kernelINS0_14default_configENS1_35adjacent_difference_config_selectorILb1EiEEZNS1_24adjacent_difference_implIS3_Lb1ELb0EPKiPiN6thrust23THRUST_200600_302600_NS4plusIiEEEE10hipError_tPvRmT2_T3_mT4_P12ihipStream_tbEUlT_E_NS1_11comp_targetILNS1_3genE5ELNS1_11target_archE942ELNS1_3gpuE9ELNS1_3repE0EEENS1_30default_config_static_selectorELNS0_4arch9wavefront6targetE1EEEvT1_.kd
    .uniform_work_group_size: 1
    .uses_dynamic_stack: false
    .vgpr_count:     0
    .vgpr_spill_count: 0
    .wavefront_size: 64
  - .args:
      - .offset:         0
        .size:           56
        .value_kind:     by_value
    .group_segment_fixed_size: 0
    .kernarg_segment_align: 8
    .kernarg_segment_size: 56
    .language:       OpenCL C
    .language_version:
      - 2
      - 0
    .max_flat_workgroup_size: 512
    .name:           _ZN7rocprim17ROCPRIM_400000_NS6detail17trampoline_kernelINS0_14default_configENS1_35adjacent_difference_config_selectorILb1EiEEZNS1_24adjacent_difference_implIS3_Lb1ELb0EPKiPiN6thrust23THRUST_200600_302600_NS4plusIiEEEE10hipError_tPvRmT2_T3_mT4_P12ihipStream_tbEUlT_E_NS1_11comp_targetILNS1_3genE4ELNS1_11target_archE910ELNS1_3gpuE8ELNS1_3repE0EEENS1_30default_config_static_selectorELNS0_4arch9wavefront6targetE1EEEvT1_
    .private_segment_fixed_size: 0
    .sgpr_count:     4
    .sgpr_spill_count: 0
    .symbol:         _ZN7rocprim17ROCPRIM_400000_NS6detail17trampoline_kernelINS0_14default_configENS1_35adjacent_difference_config_selectorILb1EiEEZNS1_24adjacent_difference_implIS3_Lb1ELb0EPKiPiN6thrust23THRUST_200600_302600_NS4plusIiEEEE10hipError_tPvRmT2_T3_mT4_P12ihipStream_tbEUlT_E_NS1_11comp_targetILNS1_3genE4ELNS1_11target_archE910ELNS1_3gpuE8ELNS1_3repE0EEENS1_30default_config_static_selectorELNS0_4arch9wavefront6targetE1EEEvT1_.kd
    .uniform_work_group_size: 1
    .uses_dynamic_stack: false
    .vgpr_count:     0
    .vgpr_spill_count: 0
    .wavefront_size: 64
  - .args:
      - .offset:         0
        .size:           56
        .value_kind:     by_value
    .group_segment_fixed_size: 0
    .kernarg_segment_align: 8
    .kernarg_segment_size: 56
    .language:       OpenCL C
    .language_version:
      - 2
      - 0
    .max_flat_workgroup_size: 1024
    .name:           _ZN7rocprim17ROCPRIM_400000_NS6detail17trampoline_kernelINS0_14default_configENS1_35adjacent_difference_config_selectorILb1EiEEZNS1_24adjacent_difference_implIS3_Lb1ELb0EPKiPiN6thrust23THRUST_200600_302600_NS4plusIiEEEE10hipError_tPvRmT2_T3_mT4_P12ihipStream_tbEUlT_E_NS1_11comp_targetILNS1_3genE3ELNS1_11target_archE908ELNS1_3gpuE7ELNS1_3repE0EEENS1_30default_config_static_selectorELNS0_4arch9wavefront6targetE1EEEvT1_
    .private_segment_fixed_size: 0
    .sgpr_count:     4
    .sgpr_spill_count: 0
    .symbol:         _ZN7rocprim17ROCPRIM_400000_NS6detail17trampoline_kernelINS0_14default_configENS1_35adjacent_difference_config_selectorILb1EiEEZNS1_24adjacent_difference_implIS3_Lb1ELb0EPKiPiN6thrust23THRUST_200600_302600_NS4plusIiEEEE10hipError_tPvRmT2_T3_mT4_P12ihipStream_tbEUlT_E_NS1_11comp_targetILNS1_3genE3ELNS1_11target_archE908ELNS1_3gpuE7ELNS1_3repE0EEENS1_30default_config_static_selectorELNS0_4arch9wavefront6targetE1EEEvT1_.kd
    .uniform_work_group_size: 1
    .uses_dynamic_stack: false
    .vgpr_count:     0
    .vgpr_spill_count: 0
    .wavefront_size: 64
  - .args:
      - .offset:         0
        .size:           56
        .value_kind:     by_value
    .group_segment_fixed_size: 11264
    .kernarg_segment_align: 8
    .kernarg_segment_size: 56
    .language:       OpenCL C
    .language_version:
      - 2
      - 0
    .max_flat_workgroup_size: 256
    .name:           _ZN7rocprim17ROCPRIM_400000_NS6detail17trampoline_kernelINS0_14default_configENS1_35adjacent_difference_config_selectorILb1EiEEZNS1_24adjacent_difference_implIS3_Lb1ELb0EPKiPiN6thrust23THRUST_200600_302600_NS4plusIiEEEE10hipError_tPvRmT2_T3_mT4_P12ihipStream_tbEUlT_E_NS1_11comp_targetILNS1_3genE2ELNS1_11target_archE906ELNS1_3gpuE6ELNS1_3repE0EEENS1_30default_config_static_selectorELNS0_4arch9wavefront6targetE1EEEvT1_
    .private_segment_fixed_size: 0
    .sgpr_count:     33
    .sgpr_spill_count: 0
    .symbol:         _ZN7rocprim17ROCPRIM_400000_NS6detail17trampoline_kernelINS0_14default_configENS1_35adjacent_difference_config_selectorILb1EiEEZNS1_24adjacent_difference_implIS3_Lb1ELb0EPKiPiN6thrust23THRUST_200600_302600_NS4plusIiEEEE10hipError_tPvRmT2_T3_mT4_P12ihipStream_tbEUlT_E_NS1_11comp_targetILNS1_3genE2ELNS1_11target_archE906ELNS1_3gpuE6ELNS1_3repE0EEENS1_30default_config_static_selectorELNS0_4arch9wavefront6targetE1EEEvT1_.kd
    .uniform_work_group_size: 1
    .uses_dynamic_stack: false
    .vgpr_count:     27
    .vgpr_spill_count: 0
    .wavefront_size: 64
  - .args:
      - .offset:         0
        .size:           56
        .value_kind:     by_value
    .group_segment_fixed_size: 0
    .kernarg_segment_align: 8
    .kernarg_segment_size: 56
    .language:       OpenCL C
    .language_version:
      - 2
      - 0
    .max_flat_workgroup_size: 128
    .name:           _ZN7rocprim17ROCPRIM_400000_NS6detail17trampoline_kernelINS0_14default_configENS1_35adjacent_difference_config_selectorILb1EiEEZNS1_24adjacent_difference_implIS3_Lb1ELb0EPKiPiN6thrust23THRUST_200600_302600_NS4plusIiEEEE10hipError_tPvRmT2_T3_mT4_P12ihipStream_tbEUlT_E_NS1_11comp_targetILNS1_3genE9ELNS1_11target_archE1100ELNS1_3gpuE3ELNS1_3repE0EEENS1_30default_config_static_selectorELNS0_4arch9wavefront6targetE1EEEvT1_
    .private_segment_fixed_size: 0
    .sgpr_count:     4
    .sgpr_spill_count: 0
    .symbol:         _ZN7rocprim17ROCPRIM_400000_NS6detail17trampoline_kernelINS0_14default_configENS1_35adjacent_difference_config_selectorILb1EiEEZNS1_24adjacent_difference_implIS3_Lb1ELb0EPKiPiN6thrust23THRUST_200600_302600_NS4plusIiEEEE10hipError_tPvRmT2_T3_mT4_P12ihipStream_tbEUlT_E_NS1_11comp_targetILNS1_3genE9ELNS1_11target_archE1100ELNS1_3gpuE3ELNS1_3repE0EEENS1_30default_config_static_selectorELNS0_4arch9wavefront6targetE1EEEvT1_.kd
    .uniform_work_group_size: 1
    .uses_dynamic_stack: false
    .vgpr_count:     0
    .vgpr_spill_count: 0
    .wavefront_size: 64
  - .args:
      - .offset:         0
        .size:           56
        .value_kind:     by_value
    .group_segment_fixed_size: 0
    .kernarg_segment_align: 8
    .kernarg_segment_size: 56
    .language:       OpenCL C
    .language_version:
      - 2
      - 0
    .max_flat_workgroup_size: 32
    .name:           _ZN7rocprim17ROCPRIM_400000_NS6detail17trampoline_kernelINS0_14default_configENS1_35adjacent_difference_config_selectorILb1EiEEZNS1_24adjacent_difference_implIS3_Lb1ELb0EPKiPiN6thrust23THRUST_200600_302600_NS4plusIiEEEE10hipError_tPvRmT2_T3_mT4_P12ihipStream_tbEUlT_E_NS1_11comp_targetILNS1_3genE8ELNS1_11target_archE1030ELNS1_3gpuE2ELNS1_3repE0EEENS1_30default_config_static_selectorELNS0_4arch9wavefront6targetE1EEEvT1_
    .private_segment_fixed_size: 0
    .sgpr_count:     4
    .sgpr_spill_count: 0
    .symbol:         _ZN7rocprim17ROCPRIM_400000_NS6detail17trampoline_kernelINS0_14default_configENS1_35adjacent_difference_config_selectorILb1EiEEZNS1_24adjacent_difference_implIS3_Lb1ELb0EPKiPiN6thrust23THRUST_200600_302600_NS4plusIiEEEE10hipError_tPvRmT2_T3_mT4_P12ihipStream_tbEUlT_E_NS1_11comp_targetILNS1_3genE8ELNS1_11target_archE1030ELNS1_3gpuE2ELNS1_3repE0EEENS1_30default_config_static_selectorELNS0_4arch9wavefront6targetE1EEEvT1_.kd
    .uniform_work_group_size: 1
    .uses_dynamic_stack: false
    .vgpr_count:     0
    .vgpr_spill_count: 0
    .wavefront_size: 64
  - .args:
      - .offset:         0
        .size:           56
        .value_kind:     by_value
    .group_segment_fixed_size: 0
    .kernarg_segment_align: 8
    .kernarg_segment_size: 56
    .language:       OpenCL C
    .language_version:
      - 2
      - 0
    .max_flat_workgroup_size: 64
    .name:           _ZN7rocprim17ROCPRIM_400000_NS6detail17trampoline_kernelINS0_14default_configENS1_35adjacent_difference_config_selectorILb0EsEEZNS1_24adjacent_difference_implIS3_Lb0ELb0EPKsPsN6thrust23THRUST_200600_302600_NS4plusIsEEEE10hipError_tPvRmT2_T3_mT4_P12ihipStream_tbEUlT_E_NS1_11comp_targetILNS1_3genE0ELNS1_11target_archE4294967295ELNS1_3gpuE0ELNS1_3repE0EEENS1_30default_config_static_selectorELNS0_4arch9wavefront6targetE1EEEvT1_
    .private_segment_fixed_size: 0
    .sgpr_count:     4
    .sgpr_spill_count: 0
    .symbol:         _ZN7rocprim17ROCPRIM_400000_NS6detail17trampoline_kernelINS0_14default_configENS1_35adjacent_difference_config_selectorILb0EsEEZNS1_24adjacent_difference_implIS3_Lb0ELb0EPKsPsN6thrust23THRUST_200600_302600_NS4plusIsEEEE10hipError_tPvRmT2_T3_mT4_P12ihipStream_tbEUlT_E_NS1_11comp_targetILNS1_3genE0ELNS1_11target_archE4294967295ELNS1_3gpuE0ELNS1_3repE0EEENS1_30default_config_static_selectorELNS0_4arch9wavefront6targetE1EEEvT1_.kd
    .uniform_work_group_size: 1
    .uses_dynamic_stack: false
    .vgpr_count:     0
    .vgpr_spill_count: 0
    .wavefront_size: 64
  - .args:
      - .offset:         0
        .size:           56
        .value_kind:     by_value
    .group_segment_fixed_size: 0
    .kernarg_segment_align: 8
    .kernarg_segment_size: 56
    .language:       OpenCL C
    .language_version:
      - 2
      - 0
    .max_flat_workgroup_size: 128
    .name:           _ZN7rocprim17ROCPRIM_400000_NS6detail17trampoline_kernelINS0_14default_configENS1_35adjacent_difference_config_selectorILb0EsEEZNS1_24adjacent_difference_implIS3_Lb0ELb0EPKsPsN6thrust23THRUST_200600_302600_NS4plusIsEEEE10hipError_tPvRmT2_T3_mT4_P12ihipStream_tbEUlT_E_NS1_11comp_targetILNS1_3genE10ELNS1_11target_archE1201ELNS1_3gpuE5ELNS1_3repE0EEENS1_30default_config_static_selectorELNS0_4arch9wavefront6targetE1EEEvT1_
    .private_segment_fixed_size: 0
    .sgpr_count:     4
    .sgpr_spill_count: 0
    .symbol:         _ZN7rocprim17ROCPRIM_400000_NS6detail17trampoline_kernelINS0_14default_configENS1_35adjacent_difference_config_selectorILb0EsEEZNS1_24adjacent_difference_implIS3_Lb0ELb0EPKsPsN6thrust23THRUST_200600_302600_NS4plusIsEEEE10hipError_tPvRmT2_T3_mT4_P12ihipStream_tbEUlT_E_NS1_11comp_targetILNS1_3genE10ELNS1_11target_archE1201ELNS1_3gpuE5ELNS1_3repE0EEENS1_30default_config_static_selectorELNS0_4arch9wavefront6targetE1EEEvT1_.kd
    .uniform_work_group_size: 1
    .uses_dynamic_stack: false
    .vgpr_count:     0
    .vgpr_spill_count: 0
    .wavefront_size: 64
  - .args:
      - .offset:         0
        .size:           56
        .value_kind:     by_value
    .group_segment_fixed_size: 0
    .kernarg_segment_align: 8
    .kernarg_segment_size: 56
    .language:       OpenCL C
    .language_version:
      - 2
      - 0
    .max_flat_workgroup_size: 256
    .name:           _ZN7rocprim17ROCPRIM_400000_NS6detail17trampoline_kernelINS0_14default_configENS1_35adjacent_difference_config_selectorILb0EsEEZNS1_24adjacent_difference_implIS3_Lb0ELb0EPKsPsN6thrust23THRUST_200600_302600_NS4plusIsEEEE10hipError_tPvRmT2_T3_mT4_P12ihipStream_tbEUlT_E_NS1_11comp_targetILNS1_3genE5ELNS1_11target_archE942ELNS1_3gpuE9ELNS1_3repE0EEENS1_30default_config_static_selectorELNS0_4arch9wavefront6targetE1EEEvT1_
    .private_segment_fixed_size: 0
    .sgpr_count:     4
    .sgpr_spill_count: 0
    .symbol:         _ZN7rocprim17ROCPRIM_400000_NS6detail17trampoline_kernelINS0_14default_configENS1_35adjacent_difference_config_selectorILb0EsEEZNS1_24adjacent_difference_implIS3_Lb0ELb0EPKsPsN6thrust23THRUST_200600_302600_NS4plusIsEEEE10hipError_tPvRmT2_T3_mT4_P12ihipStream_tbEUlT_E_NS1_11comp_targetILNS1_3genE5ELNS1_11target_archE942ELNS1_3gpuE9ELNS1_3repE0EEENS1_30default_config_static_selectorELNS0_4arch9wavefront6targetE1EEEvT1_.kd
    .uniform_work_group_size: 1
    .uses_dynamic_stack: false
    .vgpr_count:     0
    .vgpr_spill_count: 0
    .wavefront_size: 64
  - .args:
      - .offset:         0
        .size:           56
        .value_kind:     by_value
    .group_segment_fixed_size: 0
    .kernarg_segment_align: 8
    .kernarg_segment_size: 56
    .language:       OpenCL C
    .language_version:
      - 2
      - 0
    .max_flat_workgroup_size: 64
    .name:           _ZN7rocprim17ROCPRIM_400000_NS6detail17trampoline_kernelINS0_14default_configENS1_35adjacent_difference_config_selectorILb0EsEEZNS1_24adjacent_difference_implIS3_Lb0ELb0EPKsPsN6thrust23THRUST_200600_302600_NS4plusIsEEEE10hipError_tPvRmT2_T3_mT4_P12ihipStream_tbEUlT_E_NS1_11comp_targetILNS1_3genE4ELNS1_11target_archE910ELNS1_3gpuE8ELNS1_3repE0EEENS1_30default_config_static_selectorELNS0_4arch9wavefront6targetE1EEEvT1_
    .private_segment_fixed_size: 0
    .sgpr_count:     4
    .sgpr_spill_count: 0
    .symbol:         _ZN7rocprim17ROCPRIM_400000_NS6detail17trampoline_kernelINS0_14default_configENS1_35adjacent_difference_config_selectorILb0EsEEZNS1_24adjacent_difference_implIS3_Lb0ELb0EPKsPsN6thrust23THRUST_200600_302600_NS4plusIsEEEE10hipError_tPvRmT2_T3_mT4_P12ihipStream_tbEUlT_E_NS1_11comp_targetILNS1_3genE4ELNS1_11target_archE910ELNS1_3gpuE8ELNS1_3repE0EEENS1_30default_config_static_selectorELNS0_4arch9wavefront6targetE1EEEvT1_.kd
    .uniform_work_group_size: 1
    .uses_dynamic_stack: false
    .vgpr_count:     0
    .vgpr_spill_count: 0
    .wavefront_size: 64
  - .args:
      - .offset:         0
        .size:           56
        .value_kind:     by_value
    .group_segment_fixed_size: 0
    .kernarg_segment_align: 8
    .kernarg_segment_size: 56
    .language:       OpenCL C
    .language_version:
      - 2
      - 0
    .max_flat_workgroup_size: 64
    .name:           _ZN7rocprim17ROCPRIM_400000_NS6detail17trampoline_kernelINS0_14default_configENS1_35adjacent_difference_config_selectorILb0EsEEZNS1_24adjacent_difference_implIS3_Lb0ELb0EPKsPsN6thrust23THRUST_200600_302600_NS4plusIsEEEE10hipError_tPvRmT2_T3_mT4_P12ihipStream_tbEUlT_E_NS1_11comp_targetILNS1_3genE3ELNS1_11target_archE908ELNS1_3gpuE7ELNS1_3repE0EEENS1_30default_config_static_selectorELNS0_4arch9wavefront6targetE1EEEvT1_
    .private_segment_fixed_size: 0
    .sgpr_count:     4
    .sgpr_spill_count: 0
    .symbol:         _ZN7rocprim17ROCPRIM_400000_NS6detail17trampoline_kernelINS0_14default_configENS1_35adjacent_difference_config_selectorILb0EsEEZNS1_24adjacent_difference_implIS3_Lb0ELb0EPKsPsN6thrust23THRUST_200600_302600_NS4plusIsEEEE10hipError_tPvRmT2_T3_mT4_P12ihipStream_tbEUlT_E_NS1_11comp_targetILNS1_3genE3ELNS1_11target_archE908ELNS1_3gpuE7ELNS1_3repE0EEENS1_30default_config_static_selectorELNS0_4arch9wavefront6targetE1EEEvT1_.kd
    .uniform_work_group_size: 1
    .uses_dynamic_stack: false
    .vgpr_count:     0
    .vgpr_spill_count: 0
    .wavefront_size: 64
  - .args:
      - .offset:         0
        .size:           56
        .value_kind:     by_value
    .group_segment_fixed_size: 896
    .kernarg_segment_align: 8
    .kernarg_segment_size: 56
    .language:       OpenCL C
    .language_version:
      - 2
      - 0
    .max_flat_workgroup_size: 64
    .name:           _ZN7rocprim17ROCPRIM_400000_NS6detail17trampoline_kernelINS0_14default_configENS1_35adjacent_difference_config_selectorILb0EsEEZNS1_24adjacent_difference_implIS3_Lb0ELb0EPKsPsN6thrust23THRUST_200600_302600_NS4plusIsEEEE10hipError_tPvRmT2_T3_mT4_P12ihipStream_tbEUlT_E_NS1_11comp_targetILNS1_3genE2ELNS1_11target_archE906ELNS1_3gpuE6ELNS1_3repE0EEENS1_30default_config_static_selectorELNS0_4arch9wavefront6targetE1EEEvT1_
    .private_segment_fixed_size: 0
    .sgpr_count:     27
    .sgpr_spill_count: 0
    .symbol:         _ZN7rocprim17ROCPRIM_400000_NS6detail17trampoline_kernelINS0_14default_configENS1_35adjacent_difference_config_selectorILb0EsEEZNS1_24adjacent_difference_implIS3_Lb0ELb0EPKsPsN6thrust23THRUST_200600_302600_NS4plusIsEEEE10hipError_tPvRmT2_T3_mT4_P12ihipStream_tbEUlT_E_NS1_11comp_targetILNS1_3genE2ELNS1_11target_archE906ELNS1_3gpuE6ELNS1_3repE0EEENS1_30default_config_static_selectorELNS0_4arch9wavefront6targetE1EEEvT1_.kd
    .uniform_work_group_size: 1
    .uses_dynamic_stack: false
    .vgpr_count:     18
    .vgpr_spill_count: 0
    .wavefront_size: 64
  - .args:
      - .offset:         0
        .size:           56
        .value_kind:     by_value
    .group_segment_fixed_size: 0
    .kernarg_segment_align: 8
    .kernarg_segment_size: 56
    .language:       OpenCL C
    .language_version:
      - 2
      - 0
    .max_flat_workgroup_size: 64
    .name:           _ZN7rocprim17ROCPRIM_400000_NS6detail17trampoline_kernelINS0_14default_configENS1_35adjacent_difference_config_selectorILb0EsEEZNS1_24adjacent_difference_implIS3_Lb0ELb0EPKsPsN6thrust23THRUST_200600_302600_NS4plusIsEEEE10hipError_tPvRmT2_T3_mT4_P12ihipStream_tbEUlT_E_NS1_11comp_targetILNS1_3genE9ELNS1_11target_archE1100ELNS1_3gpuE3ELNS1_3repE0EEENS1_30default_config_static_selectorELNS0_4arch9wavefront6targetE1EEEvT1_
    .private_segment_fixed_size: 0
    .sgpr_count:     4
    .sgpr_spill_count: 0
    .symbol:         _ZN7rocprim17ROCPRIM_400000_NS6detail17trampoline_kernelINS0_14default_configENS1_35adjacent_difference_config_selectorILb0EsEEZNS1_24adjacent_difference_implIS3_Lb0ELb0EPKsPsN6thrust23THRUST_200600_302600_NS4plusIsEEEE10hipError_tPvRmT2_T3_mT4_P12ihipStream_tbEUlT_E_NS1_11comp_targetILNS1_3genE9ELNS1_11target_archE1100ELNS1_3gpuE3ELNS1_3repE0EEENS1_30default_config_static_selectorELNS0_4arch9wavefront6targetE1EEEvT1_.kd
    .uniform_work_group_size: 1
    .uses_dynamic_stack: false
    .vgpr_count:     0
    .vgpr_spill_count: 0
    .wavefront_size: 64
  - .args:
      - .offset:         0
        .size:           56
        .value_kind:     by_value
    .group_segment_fixed_size: 0
    .kernarg_segment_align: 8
    .kernarg_segment_size: 56
    .language:       OpenCL C
    .language_version:
      - 2
      - 0
    .max_flat_workgroup_size: 1024
    .name:           _ZN7rocprim17ROCPRIM_400000_NS6detail17trampoline_kernelINS0_14default_configENS1_35adjacent_difference_config_selectorILb0EsEEZNS1_24adjacent_difference_implIS3_Lb0ELb0EPKsPsN6thrust23THRUST_200600_302600_NS4plusIsEEEE10hipError_tPvRmT2_T3_mT4_P12ihipStream_tbEUlT_E_NS1_11comp_targetILNS1_3genE8ELNS1_11target_archE1030ELNS1_3gpuE2ELNS1_3repE0EEENS1_30default_config_static_selectorELNS0_4arch9wavefront6targetE1EEEvT1_
    .private_segment_fixed_size: 0
    .sgpr_count:     4
    .sgpr_spill_count: 0
    .symbol:         _ZN7rocprim17ROCPRIM_400000_NS6detail17trampoline_kernelINS0_14default_configENS1_35adjacent_difference_config_selectorILb0EsEEZNS1_24adjacent_difference_implIS3_Lb0ELb0EPKsPsN6thrust23THRUST_200600_302600_NS4plusIsEEEE10hipError_tPvRmT2_T3_mT4_P12ihipStream_tbEUlT_E_NS1_11comp_targetILNS1_3genE8ELNS1_11target_archE1030ELNS1_3gpuE2ELNS1_3repE0EEENS1_30default_config_static_selectorELNS0_4arch9wavefront6targetE1EEEvT1_.kd
    .uniform_work_group_size: 1
    .uses_dynamic_stack: false
    .vgpr_count:     0
    .vgpr_spill_count: 0
    .wavefront_size: 64
  - .args:
      - .offset:         0
        .size:           56
        .value_kind:     by_value
    .group_segment_fixed_size: 0
    .kernarg_segment_align: 8
    .kernarg_segment_size: 56
    .language:       OpenCL C
    .language_version:
      - 2
      - 0
    .max_flat_workgroup_size: 128
    .name:           _ZN7rocprim17ROCPRIM_400000_NS6detail17trampoline_kernelINS0_14default_configENS1_25transform_config_selectorIsLb0EEEZNS1_14transform_implILb0ES3_S5_NS0_18transform_iteratorINS0_17counting_iteratorImlEEZNS1_24adjacent_difference_implIS3_Lb1ELb0EPKsPsN6thrust23THRUST_200600_302600_NS4plusIsEEEE10hipError_tPvRmT2_T3_mT4_P12ihipStream_tbEUlmE_sEESD_NS0_8identityIvEEEESI_SL_SM_mSN_SP_bEUlT_E_NS1_11comp_targetILNS1_3genE0ELNS1_11target_archE4294967295ELNS1_3gpuE0ELNS1_3repE0EEENS1_30default_config_static_selectorELNS0_4arch9wavefront6targetE1EEEvT1_
    .private_segment_fixed_size: 0
    .sgpr_count:     4
    .sgpr_spill_count: 0
    .symbol:         _ZN7rocprim17ROCPRIM_400000_NS6detail17trampoline_kernelINS0_14default_configENS1_25transform_config_selectorIsLb0EEEZNS1_14transform_implILb0ES3_S5_NS0_18transform_iteratorINS0_17counting_iteratorImlEEZNS1_24adjacent_difference_implIS3_Lb1ELb0EPKsPsN6thrust23THRUST_200600_302600_NS4plusIsEEEE10hipError_tPvRmT2_T3_mT4_P12ihipStream_tbEUlmE_sEESD_NS0_8identityIvEEEESI_SL_SM_mSN_SP_bEUlT_E_NS1_11comp_targetILNS1_3genE0ELNS1_11target_archE4294967295ELNS1_3gpuE0ELNS1_3repE0EEENS1_30default_config_static_selectorELNS0_4arch9wavefront6targetE1EEEvT1_.kd
    .uniform_work_group_size: 1
    .uses_dynamic_stack: false
    .vgpr_count:     0
    .vgpr_spill_count: 0
    .wavefront_size: 64
  - .args:
      - .offset:         0
        .size:           56
        .value_kind:     by_value
    .group_segment_fixed_size: 0
    .kernarg_segment_align: 8
    .kernarg_segment_size: 56
    .language:       OpenCL C
    .language_version:
      - 2
      - 0
    .max_flat_workgroup_size: 256
    .name:           _ZN7rocprim17ROCPRIM_400000_NS6detail17trampoline_kernelINS0_14default_configENS1_25transform_config_selectorIsLb0EEEZNS1_14transform_implILb0ES3_S5_NS0_18transform_iteratorINS0_17counting_iteratorImlEEZNS1_24adjacent_difference_implIS3_Lb1ELb0EPKsPsN6thrust23THRUST_200600_302600_NS4plusIsEEEE10hipError_tPvRmT2_T3_mT4_P12ihipStream_tbEUlmE_sEESD_NS0_8identityIvEEEESI_SL_SM_mSN_SP_bEUlT_E_NS1_11comp_targetILNS1_3genE5ELNS1_11target_archE942ELNS1_3gpuE9ELNS1_3repE0EEENS1_30default_config_static_selectorELNS0_4arch9wavefront6targetE1EEEvT1_
    .private_segment_fixed_size: 0
    .sgpr_count:     4
    .sgpr_spill_count: 0
    .symbol:         _ZN7rocprim17ROCPRIM_400000_NS6detail17trampoline_kernelINS0_14default_configENS1_25transform_config_selectorIsLb0EEEZNS1_14transform_implILb0ES3_S5_NS0_18transform_iteratorINS0_17counting_iteratorImlEEZNS1_24adjacent_difference_implIS3_Lb1ELb0EPKsPsN6thrust23THRUST_200600_302600_NS4plusIsEEEE10hipError_tPvRmT2_T3_mT4_P12ihipStream_tbEUlmE_sEESD_NS0_8identityIvEEEESI_SL_SM_mSN_SP_bEUlT_E_NS1_11comp_targetILNS1_3genE5ELNS1_11target_archE942ELNS1_3gpuE9ELNS1_3repE0EEENS1_30default_config_static_selectorELNS0_4arch9wavefront6targetE1EEEvT1_.kd
    .uniform_work_group_size: 1
    .uses_dynamic_stack: false
    .vgpr_count:     0
    .vgpr_spill_count: 0
    .wavefront_size: 64
  - .args:
      - .offset:         0
        .size:           56
        .value_kind:     by_value
    .group_segment_fixed_size: 0
    .kernarg_segment_align: 8
    .kernarg_segment_size: 56
    .language:       OpenCL C
    .language_version:
      - 2
      - 0
    .max_flat_workgroup_size: 64
    .name:           _ZN7rocprim17ROCPRIM_400000_NS6detail17trampoline_kernelINS0_14default_configENS1_25transform_config_selectorIsLb0EEEZNS1_14transform_implILb0ES3_S5_NS0_18transform_iteratorINS0_17counting_iteratorImlEEZNS1_24adjacent_difference_implIS3_Lb1ELb0EPKsPsN6thrust23THRUST_200600_302600_NS4plusIsEEEE10hipError_tPvRmT2_T3_mT4_P12ihipStream_tbEUlmE_sEESD_NS0_8identityIvEEEESI_SL_SM_mSN_SP_bEUlT_E_NS1_11comp_targetILNS1_3genE4ELNS1_11target_archE910ELNS1_3gpuE8ELNS1_3repE0EEENS1_30default_config_static_selectorELNS0_4arch9wavefront6targetE1EEEvT1_
    .private_segment_fixed_size: 0
    .sgpr_count:     4
    .sgpr_spill_count: 0
    .symbol:         _ZN7rocprim17ROCPRIM_400000_NS6detail17trampoline_kernelINS0_14default_configENS1_25transform_config_selectorIsLb0EEEZNS1_14transform_implILb0ES3_S5_NS0_18transform_iteratorINS0_17counting_iteratorImlEEZNS1_24adjacent_difference_implIS3_Lb1ELb0EPKsPsN6thrust23THRUST_200600_302600_NS4plusIsEEEE10hipError_tPvRmT2_T3_mT4_P12ihipStream_tbEUlmE_sEESD_NS0_8identityIvEEEESI_SL_SM_mSN_SP_bEUlT_E_NS1_11comp_targetILNS1_3genE4ELNS1_11target_archE910ELNS1_3gpuE8ELNS1_3repE0EEENS1_30default_config_static_selectorELNS0_4arch9wavefront6targetE1EEEvT1_.kd
    .uniform_work_group_size: 1
    .uses_dynamic_stack: false
    .vgpr_count:     0
    .vgpr_spill_count: 0
    .wavefront_size: 64
  - .args:
      - .offset:         0
        .size:           56
        .value_kind:     by_value
    .group_segment_fixed_size: 0
    .kernarg_segment_align: 8
    .kernarg_segment_size: 56
    .language:       OpenCL C
    .language_version:
      - 2
      - 0
    .max_flat_workgroup_size: 128
    .name:           _ZN7rocprim17ROCPRIM_400000_NS6detail17trampoline_kernelINS0_14default_configENS1_25transform_config_selectorIsLb0EEEZNS1_14transform_implILb0ES3_S5_NS0_18transform_iteratorINS0_17counting_iteratorImlEEZNS1_24adjacent_difference_implIS3_Lb1ELb0EPKsPsN6thrust23THRUST_200600_302600_NS4plusIsEEEE10hipError_tPvRmT2_T3_mT4_P12ihipStream_tbEUlmE_sEESD_NS0_8identityIvEEEESI_SL_SM_mSN_SP_bEUlT_E_NS1_11comp_targetILNS1_3genE3ELNS1_11target_archE908ELNS1_3gpuE7ELNS1_3repE0EEENS1_30default_config_static_selectorELNS0_4arch9wavefront6targetE1EEEvT1_
    .private_segment_fixed_size: 0
    .sgpr_count:     4
    .sgpr_spill_count: 0
    .symbol:         _ZN7rocprim17ROCPRIM_400000_NS6detail17trampoline_kernelINS0_14default_configENS1_25transform_config_selectorIsLb0EEEZNS1_14transform_implILb0ES3_S5_NS0_18transform_iteratorINS0_17counting_iteratorImlEEZNS1_24adjacent_difference_implIS3_Lb1ELb0EPKsPsN6thrust23THRUST_200600_302600_NS4plusIsEEEE10hipError_tPvRmT2_T3_mT4_P12ihipStream_tbEUlmE_sEESD_NS0_8identityIvEEEESI_SL_SM_mSN_SP_bEUlT_E_NS1_11comp_targetILNS1_3genE3ELNS1_11target_archE908ELNS1_3gpuE7ELNS1_3repE0EEENS1_30default_config_static_selectorELNS0_4arch9wavefront6targetE1EEEvT1_.kd
    .uniform_work_group_size: 1
    .uses_dynamic_stack: false
    .vgpr_count:     0
    .vgpr_spill_count: 0
    .wavefront_size: 64
  - .args:
      - .offset:         0
        .size:           56
        .value_kind:     by_value
      - .offset:         56
        .size:           4
        .value_kind:     hidden_block_count_x
      - .offset:         60
        .size:           4
        .value_kind:     hidden_block_count_y
      - .offset:         64
        .size:           4
        .value_kind:     hidden_block_count_z
      - .offset:         68
        .size:           2
        .value_kind:     hidden_group_size_x
      - .offset:         70
        .size:           2
        .value_kind:     hidden_group_size_y
      - .offset:         72
        .size:           2
        .value_kind:     hidden_group_size_z
      - .offset:         74
        .size:           2
        .value_kind:     hidden_remainder_x
      - .offset:         76
        .size:           2
        .value_kind:     hidden_remainder_y
      - .offset:         78
        .size:           2
        .value_kind:     hidden_remainder_z
      - .offset:         96
        .size:           8
        .value_kind:     hidden_global_offset_x
      - .offset:         104
        .size:           8
        .value_kind:     hidden_global_offset_y
      - .offset:         112
        .size:           8
        .value_kind:     hidden_global_offset_z
      - .offset:         120
        .size:           2
        .value_kind:     hidden_grid_dims
    .group_segment_fixed_size: 0
    .kernarg_segment_align: 8
    .kernarg_segment_size: 312
    .language:       OpenCL C
    .language_version:
      - 2
      - 0
    .max_flat_workgroup_size: 512
    .name:           _ZN7rocprim17ROCPRIM_400000_NS6detail17trampoline_kernelINS0_14default_configENS1_25transform_config_selectorIsLb0EEEZNS1_14transform_implILb0ES3_S5_NS0_18transform_iteratorINS0_17counting_iteratorImlEEZNS1_24adjacent_difference_implIS3_Lb1ELb0EPKsPsN6thrust23THRUST_200600_302600_NS4plusIsEEEE10hipError_tPvRmT2_T3_mT4_P12ihipStream_tbEUlmE_sEESD_NS0_8identityIvEEEESI_SL_SM_mSN_SP_bEUlT_E_NS1_11comp_targetILNS1_3genE2ELNS1_11target_archE906ELNS1_3gpuE6ELNS1_3repE0EEENS1_30default_config_static_selectorELNS0_4arch9wavefront6targetE1EEEvT1_
    .private_segment_fixed_size: 0
    .sgpr_count:     26
    .sgpr_spill_count: 0
    .symbol:         _ZN7rocprim17ROCPRIM_400000_NS6detail17trampoline_kernelINS0_14default_configENS1_25transform_config_selectorIsLb0EEEZNS1_14transform_implILb0ES3_S5_NS0_18transform_iteratorINS0_17counting_iteratorImlEEZNS1_24adjacent_difference_implIS3_Lb1ELb0EPKsPsN6thrust23THRUST_200600_302600_NS4plusIsEEEE10hipError_tPvRmT2_T3_mT4_P12ihipStream_tbEUlmE_sEESD_NS0_8identityIvEEEESI_SL_SM_mSN_SP_bEUlT_E_NS1_11comp_targetILNS1_3genE2ELNS1_11target_archE906ELNS1_3gpuE6ELNS1_3repE0EEENS1_30default_config_static_selectorELNS0_4arch9wavefront6targetE1EEEvT1_.kd
    .uniform_work_group_size: 1
    .uses_dynamic_stack: false
    .vgpr_count:     12
    .vgpr_spill_count: 0
    .wavefront_size: 64
  - .args:
      - .offset:         0
        .size:           56
        .value_kind:     by_value
    .group_segment_fixed_size: 0
    .kernarg_segment_align: 8
    .kernarg_segment_size: 56
    .language:       OpenCL C
    .language_version:
      - 2
      - 0
    .max_flat_workgroup_size: 1024
    .name:           _ZN7rocprim17ROCPRIM_400000_NS6detail17trampoline_kernelINS0_14default_configENS1_25transform_config_selectorIsLb0EEEZNS1_14transform_implILb0ES3_S5_NS0_18transform_iteratorINS0_17counting_iteratorImlEEZNS1_24adjacent_difference_implIS3_Lb1ELb0EPKsPsN6thrust23THRUST_200600_302600_NS4plusIsEEEE10hipError_tPvRmT2_T3_mT4_P12ihipStream_tbEUlmE_sEESD_NS0_8identityIvEEEESI_SL_SM_mSN_SP_bEUlT_E_NS1_11comp_targetILNS1_3genE10ELNS1_11target_archE1201ELNS1_3gpuE5ELNS1_3repE0EEENS1_30default_config_static_selectorELNS0_4arch9wavefront6targetE1EEEvT1_
    .private_segment_fixed_size: 0
    .sgpr_count:     4
    .sgpr_spill_count: 0
    .symbol:         _ZN7rocprim17ROCPRIM_400000_NS6detail17trampoline_kernelINS0_14default_configENS1_25transform_config_selectorIsLb0EEEZNS1_14transform_implILb0ES3_S5_NS0_18transform_iteratorINS0_17counting_iteratorImlEEZNS1_24adjacent_difference_implIS3_Lb1ELb0EPKsPsN6thrust23THRUST_200600_302600_NS4plusIsEEEE10hipError_tPvRmT2_T3_mT4_P12ihipStream_tbEUlmE_sEESD_NS0_8identityIvEEEESI_SL_SM_mSN_SP_bEUlT_E_NS1_11comp_targetILNS1_3genE10ELNS1_11target_archE1201ELNS1_3gpuE5ELNS1_3repE0EEENS1_30default_config_static_selectorELNS0_4arch9wavefront6targetE1EEEvT1_.kd
    .uniform_work_group_size: 1
    .uses_dynamic_stack: false
    .vgpr_count:     0
    .vgpr_spill_count: 0
    .wavefront_size: 64
  - .args:
      - .offset:         0
        .size:           56
        .value_kind:     by_value
    .group_segment_fixed_size: 0
    .kernarg_segment_align: 8
    .kernarg_segment_size: 56
    .language:       OpenCL C
    .language_version:
      - 2
      - 0
    .max_flat_workgroup_size: 512
    .name:           _ZN7rocprim17ROCPRIM_400000_NS6detail17trampoline_kernelINS0_14default_configENS1_25transform_config_selectorIsLb0EEEZNS1_14transform_implILb0ES3_S5_NS0_18transform_iteratorINS0_17counting_iteratorImlEEZNS1_24adjacent_difference_implIS3_Lb1ELb0EPKsPsN6thrust23THRUST_200600_302600_NS4plusIsEEEE10hipError_tPvRmT2_T3_mT4_P12ihipStream_tbEUlmE_sEESD_NS0_8identityIvEEEESI_SL_SM_mSN_SP_bEUlT_E_NS1_11comp_targetILNS1_3genE10ELNS1_11target_archE1200ELNS1_3gpuE4ELNS1_3repE0EEENS1_30default_config_static_selectorELNS0_4arch9wavefront6targetE1EEEvT1_
    .private_segment_fixed_size: 0
    .sgpr_count:     4
    .sgpr_spill_count: 0
    .symbol:         _ZN7rocprim17ROCPRIM_400000_NS6detail17trampoline_kernelINS0_14default_configENS1_25transform_config_selectorIsLb0EEEZNS1_14transform_implILb0ES3_S5_NS0_18transform_iteratorINS0_17counting_iteratorImlEEZNS1_24adjacent_difference_implIS3_Lb1ELb0EPKsPsN6thrust23THRUST_200600_302600_NS4plusIsEEEE10hipError_tPvRmT2_T3_mT4_P12ihipStream_tbEUlmE_sEESD_NS0_8identityIvEEEESI_SL_SM_mSN_SP_bEUlT_E_NS1_11comp_targetILNS1_3genE10ELNS1_11target_archE1200ELNS1_3gpuE4ELNS1_3repE0EEENS1_30default_config_static_selectorELNS0_4arch9wavefront6targetE1EEEvT1_.kd
    .uniform_work_group_size: 1
    .uses_dynamic_stack: false
    .vgpr_count:     0
    .vgpr_spill_count: 0
    .wavefront_size: 64
  - .args:
      - .offset:         0
        .size:           56
        .value_kind:     by_value
    .group_segment_fixed_size: 0
    .kernarg_segment_align: 8
    .kernarg_segment_size: 56
    .language:       OpenCL C
    .language_version:
      - 2
      - 0
    .max_flat_workgroup_size: 1024
    .name:           _ZN7rocprim17ROCPRIM_400000_NS6detail17trampoline_kernelINS0_14default_configENS1_25transform_config_selectorIsLb0EEEZNS1_14transform_implILb0ES3_S5_NS0_18transform_iteratorINS0_17counting_iteratorImlEEZNS1_24adjacent_difference_implIS3_Lb1ELb0EPKsPsN6thrust23THRUST_200600_302600_NS4plusIsEEEE10hipError_tPvRmT2_T3_mT4_P12ihipStream_tbEUlmE_sEESD_NS0_8identityIvEEEESI_SL_SM_mSN_SP_bEUlT_E_NS1_11comp_targetILNS1_3genE9ELNS1_11target_archE1100ELNS1_3gpuE3ELNS1_3repE0EEENS1_30default_config_static_selectorELNS0_4arch9wavefront6targetE1EEEvT1_
    .private_segment_fixed_size: 0
    .sgpr_count:     4
    .sgpr_spill_count: 0
    .symbol:         _ZN7rocprim17ROCPRIM_400000_NS6detail17trampoline_kernelINS0_14default_configENS1_25transform_config_selectorIsLb0EEEZNS1_14transform_implILb0ES3_S5_NS0_18transform_iteratorINS0_17counting_iteratorImlEEZNS1_24adjacent_difference_implIS3_Lb1ELb0EPKsPsN6thrust23THRUST_200600_302600_NS4plusIsEEEE10hipError_tPvRmT2_T3_mT4_P12ihipStream_tbEUlmE_sEESD_NS0_8identityIvEEEESI_SL_SM_mSN_SP_bEUlT_E_NS1_11comp_targetILNS1_3genE9ELNS1_11target_archE1100ELNS1_3gpuE3ELNS1_3repE0EEENS1_30default_config_static_selectorELNS0_4arch9wavefront6targetE1EEEvT1_.kd
    .uniform_work_group_size: 1
    .uses_dynamic_stack: false
    .vgpr_count:     0
    .vgpr_spill_count: 0
    .wavefront_size: 64
  - .args:
      - .offset:         0
        .size:           56
        .value_kind:     by_value
    .group_segment_fixed_size: 0
    .kernarg_segment_align: 8
    .kernarg_segment_size: 56
    .language:       OpenCL C
    .language_version:
      - 2
      - 0
    .max_flat_workgroup_size: 1024
    .name:           _ZN7rocprim17ROCPRIM_400000_NS6detail17trampoline_kernelINS0_14default_configENS1_25transform_config_selectorIsLb0EEEZNS1_14transform_implILb0ES3_S5_NS0_18transform_iteratorINS0_17counting_iteratorImlEEZNS1_24adjacent_difference_implIS3_Lb1ELb0EPKsPsN6thrust23THRUST_200600_302600_NS4plusIsEEEE10hipError_tPvRmT2_T3_mT4_P12ihipStream_tbEUlmE_sEESD_NS0_8identityIvEEEESI_SL_SM_mSN_SP_bEUlT_E_NS1_11comp_targetILNS1_3genE8ELNS1_11target_archE1030ELNS1_3gpuE2ELNS1_3repE0EEENS1_30default_config_static_selectorELNS0_4arch9wavefront6targetE1EEEvT1_
    .private_segment_fixed_size: 0
    .sgpr_count:     4
    .sgpr_spill_count: 0
    .symbol:         _ZN7rocprim17ROCPRIM_400000_NS6detail17trampoline_kernelINS0_14default_configENS1_25transform_config_selectorIsLb0EEEZNS1_14transform_implILb0ES3_S5_NS0_18transform_iteratorINS0_17counting_iteratorImlEEZNS1_24adjacent_difference_implIS3_Lb1ELb0EPKsPsN6thrust23THRUST_200600_302600_NS4plusIsEEEE10hipError_tPvRmT2_T3_mT4_P12ihipStream_tbEUlmE_sEESD_NS0_8identityIvEEEESI_SL_SM_mSN_SP_bEUlT_E_NS1_11comp_targetILNS1_3genE8ELNS1_11target_archE1030ELNS1_3gpuE2ELNS1_3repE0EEENS1_30default_config_static_selectorELNS0_4arch9wavefront6targetE1EEEvT1_.kd
    .uniform_work_group_size: 1
    .uses_dynamic_stack: false
    .vgpr_count:     0
    .vgpr_spill_count: 0
    .wavefront_size: 64
  - .args:
      - .offset:         0
        .size:           56
        .value_kind:     by_value
    .group_segment_fixed_size: 0
    .kernarg_segment_align: 8
    .kernarg_segment_size: 56
    .language:       OpenCL C
    .language_version:
      - 2
      - 0
    .max_flat_workgroup_size: 32
    .name:           _ZN7rocprim17ROCPRIM_400000_NS6detail17trampoline_kernelINS0_14default_configENS1_35adjacent_difference_config_selectorILb1EsEEZNS1_24adjacent_difference_implIS3_Lb1ELb0EPKsPsN6thrust23THRUST_200600_302600_NS4plusIsEEEE10hipError_tPvRmT2_T3_mT4_P12ihipStream_tbEUlT_E_NS1_11comp_targetILNS1_3genE0ELNS1_11target_archE4294967295ELNS1_3gpuE0ELNS1_3repE0EEENS1_30default_config_static_selectorELNS0_4arch9wavefront6targetE1EEEvT1_
    .private_segment_fixed_size: 0
    .sgpr_count:     4
    .sgpr_spill_count: 0
    .symbol:         _ZN7rocprim17ROCPRIM_400000_NS6detail17trampoline_kernelINS0_14default_configENS1_35adjacent_difference_config_selectorILb1EsEEZNS1_24adjacent_difference_implIS3_Lb1ELb0EPKsPsN6thrust23THRUST_200600_302600_NS4plusIsEEEE10hipError_tPvRmT2_T3_mT4_P12ihipStream_tbEUlT_E_NS1_11comp_targetILNS1_3genE0ELNS1_11target_archE4294967295ELNS1_3gpuE0ELNS1_3repE0EEENS1_30default_config_static_selectorELNS0_4arch9wavefront6targetE1EEEvT1_.kd
    .uniform_work_group_size: 1
    .uses_dynamic_stack: false
    .vgpr_count:     0
    .vgpr_spill_count: 0
    .wavefront_size: 64
  - .args:
      - .offset:         0
        .size:           56
        .value_kind:     by_value
    .group_segment_fixed_size: 0
    .kernarg_segment_align: 8
    .kernarg_segment_size: 56
    .language:       OpenCL C
    .language_version:
      - 2
      - 0
    .max_flat_workgroup_size: 512
    .name:           _ZN7rocprim17ROCPRIM_400000_NS6detail17trampoline_kernelINS0_14default_configENS1_35adjacent_difference_config_selectorILb1EsEEZNS1_24adjacent_difference_implIS3_Lb1ELb0EPKsPsN6thrust23THRUST_200600_302600_NS4plusIsEEEE10hipError_tPvRmT2_T3_mT4_P12ihipStream_tbEUlT_E_NS1_11comp_targetILNS1_3genE10ELNS1_11target_archE1201ELNS1_3gpuE5ELNS1_3repE0EEENS1_30default_config_static_selectorELNS0_4arch9wavefront6targetE1EEEvT1_
    .private_segment_fixed_size: 0
    .sgpr_count:     4
    .sgpr_spill_count: 0
    .symbol:         _ZN7rocprim17ROCPRIM_400000_NS6detail17trampoline_kernelINS0_14default_configENS1_35adjacent_difference_config_selectorILb1EsEEZNS1_24adjacent_difference_implIS3_Lb1ELb0EPKsPsN6thrust23THRUST_200600_302600_NS4plusIsEEEE10hipError_tPvRmT2_T3_mT4_P12ihipStream_tbEUlT_E_NS1_11comp_targetILNS1_3genE10ELNS1_11target_archE1201ELNS1_3gpuE5ELNS1_3repE0EEENS1_30default_config_static_selectorELNS0_4arch9wavefront6targetE1EEEvT1_.kd
    .uniform_work_group_size: 1
    .uses_dynamic_stack: false
    .vgpr_count:     0
    .vgpr_spill_count: 0
    .wavefront_size: 64
  - .args:
      - .offset:         0
        .size:           56
        .value_kind:     by_value
    .group_segment_fixed_size: 0
    .kernarg_segment_align: 8
    .kernarg_segment_size: 56
    .language:       OpenCL C
    .language_version:
      - 2
      - 0
    .max_flat_workgroup_size: 64
    .name:           _ZN7rocprim17ROCPRIM_400000_NS6detail17trampoline_kernelINS0_14default_configENS1_35adjacent_difference_config_selectorILb1EsEEZNS1_24adjacent_difference_implIS3_Lb1ELb0EPKsPsN6thrust23THRUST_200600_302600_NS4plusIsEEEE10hipError_tPvRmT2_T3_mT4_P12ihipStream_tbEUlT_E_NS1_11comp_targetILNS1_3genE5ELNS1_11target_archE942ELNS1_3gpuE9ELNS1_3repE0EEENS1_30default_config_static_selectorELNS0_4arch9wavefront6targetE1EEEvT1_
    .private_segment_fixed_size: 0
    .sgpr_count:     4
    .sgpr_spill_count: 0
    .symbol:         _ZN7rocprim17ROCPRIM_400000_NS6detail17trampoline_kernelINS0_14default_configENS1_35adjacent_difference_config_selectorILb1EsEEZNS1_24adjacent_difference_implIS3_Lb1ELb0EPKsPsN6thrust23THRUST_200600_302600_NS4plusIsEEEE10hipError_tPvRmT2_T3_mT4_P12ihipStream_tbEUlT_E_NS1_11comp_targetILNS1_3genE5ELNS1_11target_archE942ELNS1_3gpuE9ELNS1_3repE0EEENS1_30default_config_static_selectorELNS0_4arch9wavefront6targetE1EEEvT1_.kd
    .uniform_work_group_size: 1
    .uses_dynamic_stack: false
    .vgpr_count:     0
    .vgpr_spill_count: 0
    .wavefront_size: 64
  - .args:
      - .offset:         0
        .size:           56
        .value_kind:     by_value
    .group_segment_fixed_size: 0
    .kernarg_segment_align: 8
    .kernarg_segment_size: 56
    .language:       OpenCL C
    .language_version:
      - 2
      - 0
    .max_flat_workgroup_size: 64
    .name:           _ZN7rocprim17ROCPRIM_400000_NS6detail17trampoline_kernelINS0_14default_configENS1_35adjacent_difference_config_selectorILb1EsEEZNS1_24adjacent_difference_implIS3_Lb1ELb0EPKsPsN6thrust23THRUST_200600_302600_NS4plusIsEEEE10hipError_tPvRmT2_T3_mT4_P12ihipStream_tbEUlT_E_NS1_11comp_targetILNS1_3genE4ELNS1_11target_archE910ELNS1_3gpuE8ELNS1_3repE0EEENS1_30default_config_static_selectorELNS0_4arch9wavefront6targetE1EEEvT1_
    .private_segment_fixed_size: 0
    .sgpr_count:     4
    .sgpr_spill_count: 0
    .symbol:         _ZN7rocprim17ROCPRIM_400000_NS6detail17trampoline_kernelINS0_14default_configENS1_35adjacent_difference_config_selectorILb1EsEEZNS1_24adjacent_difference_implIS3_Lb1ELb0EPKsPsN6thrust23THRUST_200600_302600_NS4plusIsEEEE10hipError_tPvRmT2_T3_mT4_P12ihipStream_tbEUlT_E_NS1_11comp_targetILNS1_3genE4ELNS1_11target_archE910ELNS1_3gpuE8ELNS1_3repE0EEENS1_30default_config_static_selectorELNS0_4arch9wavefront6targetE1EEEvT1_.kd
    .uniform_work_group_size: 1
    .uses_dynamic_stack: false
    .vgpr_count:     0
    .vgpr_spill_count: 0
    .wavefront_size: 64
  - .args:
      - .offset:         0
        .size:           56
        .value_kind:     by_value
    .group_segment_fixed_size: 0
    .kernarg_segment_align: 8
    .kernarg_segment_size: 56
    .language:       OpenCL C
    .language_version:
      - 2
      - 0
    .max_flat_workgroup_size: 32
    .name:           _ZN7rocprim17ROCPRIM_400000_NS6detail17trampoline_kernelINS0_14default_configENS1_35adjacent_difference_config_selectorILb1EsEEZNS1_24adjacent_difference_implIS3_Lb1ELb0EPKsPsN6thrust23THRUST_200600_302600_NS4plusIsEEEE10hipError_tPvRmT2_T3_mT4_P12ihipStream_tbEUlT_E_NS1_11comp_targetILNS1_3genE3ELNS1_11target_archE908ELNS1_3gpuE7ELNS1_3repE0EEENS1_30default_config_static_selectorELNS0_4arch9wavefront6targetE1EEEvT1_
    .private_segment_fixed_size: 0
    .sgpr_count:     4
    .sgpr_spill_count: 0
    .symbol:         _ZN7rocprim17ROCPRIM_400000_NS6detail17trampoline_kernelINS0_14default_configENS1_35adjacent_difference_config_selectorILb1EsEEZNS1_24adjacent_difference_implIS3_Lb1ELb0EPKsPsN6thrust23THRUST_200600_302600_NS4plusIsEEEE10hipError_tPvRmT2_T3_mT4_P12ihipStream_tbEUlT_E_NS1_11comp_targetILNS1_3genE3ELNS1_11target_archE908ELNS1_3gpuE7ELNS1_3repE0EEENS1_30default_config_static_selectorELNS0_4arch9wavefront6targetE1EEEvT1_.kd
    .uniform_work_group_size: 1
    .uses_dynamic_stack: false
    .vgpr_count:     0
    .vgpr_spill_count: 0
    .wavefront_size: 64
  - .args:
      - .offset:         0
        .size:           56
        .value_kind:     by_value
    .group_segment_fixed_size: 2176
    .kernarg_segment_align: 8
    .kernarg_segment_size: 56
    .language:       OpenCL C
    .language_version:
      - 2
      - 0
    .max_flat_workgroup_size: 64
    .name:           _ZN7rocprim17ROCPRIM_400000_NS6detail17trampoline_kernelINS0_14default_configENS1_35adjacent_difference_config_selectorILb1EsEEZNS1_24adjacent_difference_implIS3_Lb1ELb0EPKsPsN6thrust23THRUST_200600_302600_NS4plusIsEEEE10hipError_tPvRmT2_T3_mT4_P12ihipStream_tbEUlT_E_NS1_11comp_targetILNS1_3genE2ELNS1_11target_archE906ELNS1_3gpuE6ELNS1_3repE0EEENS1_30default_config_static_selectorELNS0_4arch9wavefront6targetE1EEEvT1_
    .private_segment_fixed_size: 0
    .sgpr_count:     33
    .sgpr_spill_count: 0
    .symbol:         _ZN7rocprim17ROCPRIM_400000_NS6detail17trampoline_kernelINS0_14default_configENS1_35adjacent_difference_config_selectorILb1EsEEZNS1_24adjacent_difference_implIS3_Lb1ELb0EPKsPsN6thrust23THRUST_200600_302600_NS4plusIsEEEE10hipError_tPvRmT2_T3_mT4_P12ihipStream_tbEUlT_E_NS1_11comp_targetILNS1_3genE2ELNS1_11target_archE906ELNS1_3gpuE6ELNS1_3repE0EEENS1_30default_config_static_selectorELNS0_4arch9wavefront6targetE1EEEvT1_.kd
    .uniform_work_group_size: 1
    .uses_dynamic_stack: false
    .vgpr_count:     33
    .vgpr_spill_count: 0
    .wavefront_size: 64
  - .args:
      - .offset:         0
        .size:           56
        .value_kind:     by_value
    .group_segment_fixed_size: 0
    .kernarg_segment_align: 8
    .kernarg_segment_size: 56
    .language:       OpenCL C
    .language_version:
      - 2
      - 0
    .max_flat_workgroup_size: 128
    .name:           _ZN7rocprim17ROCPRIM_400000_NS6detail17trampoline_kernelINS0_14default_configENS1_35adjacent_difference_config_selectorILb1EsEEZNS1_24adjacent_difference_implIS3_Lb1ELb0EPKsPsN6thrust23THRUST_200600_302600_NS4plusIsEEEE10hipError_tPvRmT2_T3_mT4_P12ihipStream_tbEUlT_E_NS1_11comp_targetILNS1_3genE9ELNS1_11target_archE1100ELNS1_3gpuE3ELNS1_3repE0EEENS1_30default_config_static_selectorELNS0_4arch9wavefront6targetE1EEEvT1_
    .private_segment_fixed_size: 0
    .sgpr_count:     4
    .sgpr_spill_count: 0
    .symbol:         _ZN7rocprim17ROCPRIM_400000_NS6detail17trampoline_kernelINS0_14default_configENS1_35adjacent_difference_config_selectorILb1EsEEZNS1_24adjacent_difference_implIS3_Lb1ELb0EPKsPsN6thrust23THRUST_200600_302600_NS4plusIsEEEE10hipError_tPvRmT2_T3_mT4_P12ihipStream_tbEUlT_E_NS1_11comp_targetILNS1_3genE9ELNS1_11target_archE1100ELNS1_3gpuE3ELNS1_3repE0EEENS1_30default_config_static_selectorELNS0_4arch9wavefront6targetE1EEEvT1_.kd
    .uniform_work_group_size: 1
    .uses_dynamic_stack: false
    .vgpr_count:     0
    .vgpr_spill_count: 0
    .wavefront_size: 64
  - .args:
      - .offset:         0
        .size:           56
        .value_kind:     by_value
    .group_segment_fixed_size: 0
    .kernarg_segment_align: 8
    .kernarg_segment_size: 56
    .language:       OpenCL C
    .language_version:
      - 2
      - 0
    .max_flat_workgroup_size: 512
    .name:           _ZN7rocprim17ROCPRIM_400000_NS6detail17trampoline_kernelINS0_14default_configENS1_35adjacent_difference_config_selectorILb1EsEEZNS1_24adjacent_difference_implIS3_Lb1ELb0EPKsPsN6thrust23THRUST_200600_302600_NS4plusIsEEEE10hipError_tPvRmT2_T3_mT4_P12ihipStream_tbEUlT_E_NS1_11comp_targetILNS1_3genE8ELNS1_11target_archE1030ELNS1_3gpuE2ELNS1_3repE0EEENS1_30default_config_static_selectorELNS0_4arch9wavefront6targetE1EEEvT1_
    .private_segment_fixed_size: 0
    .sgpr_count:     4
    .sgpr_spill_count: 0
    .symbol:         _ZN7rocprim17ROCPRIM_400000_NS6detail17trampoline_kernelINS0_14default_configENS1_35adjacent_difference_config_selectorILb1EsEEZNS1_24adjacent_difference_implIS3_Lb1ELb0EPKsPsN6thrust23THRUST_200600_302600_NS4plusIsEEEE10hipError_tPvRmT2_T3_mT4_P12ihipStream_tbEUlT_E_NS1_11comp_targetILNS1_3genE8ELNS1_11target_archE1030ELNS1_3gpuE2ELNS1_3repE0EEENS1_30default_config_static_selectorELNS0_4arch9wavefront6targetE1EEEvT1_.kd
    .uniform_work_group_size: 1
    .uses_dynamic_stack: false
    .vgpr_count:     0
    .vgpr_spill_count: 0
    .wavefront_size: 64
  - .args:
      - .offset:         0
        .size:           56
        .value_kind:     by_value
    .group_segment_fixed_size: 0
    .kernarg_segment_align: 8
    .kernarg_segment_size: 56
    .language:       OpenCL C
    .language_version:
      - 2
      - 0
    .max_flat_workgroup_size: 128
    .name:           _ZN7rocprim17ROCPRIM_400000_NS6detail17trampoline_kernelINS0_14default_configENS1_25transform_config_selectorIdLb0EEEZNS1_14transform_implILb0ES3_S5_NS0_18transform_iteratorINS0_17counting_iteratorImlEEZNS1_24adjacent_difference_implIS3_Lb1ELb0EPdN6thrust23THRUST_200600_302600_NS16discard_iteratorINSD_11use_defaultEEENSD_5minusIdEEEE10hipError_tPvRmT2_T3_mT4_P12ihipStream_tbEUlmE_dEESB_NS0_8identityIvEEEESJ_SM_SN_mSO_SQ_bEUlT_E_NS1_11comp_targetILNS1_3genE0ELNS1_11target_archE4294967295ELNS1_3gpuE0ELNS1_3repE0EEENS1_30default_config_static_selectorELNS0_4arch9wavefront6targetE1EEEvT1_
    .private_segment_fixed_size: 0
    .sgpr_count:     4
    .sgpr_spill_count: 0
    .symbol:         _ZN7rocprim17ROCPRIM_400000_NS6detail17trampoline_kernelINS0_14default_configENS1_25transform_config_selectorIdLb0EEEZNS1_14transform_implILb0ES3_S5_NS0_18transform_iteratorINS0_17counting_iteratorImlEEZNS1_24adjacent_difference_implIS3_Lb1ELb0EPdN6thrust23THRUST_200600_302600_NS16discard_iteratorINSD_11use_defaultEEENSD_5minusIdEEEE10hipError_tPvRmT2_T3_mT4_P12ihipStream_tbEUlmE_dEESB_NS0_8identityIvEEEESJ_SM_SN_mSO_SQ_bEUlT_E_NS1_11comp_targetILNS1_3genE0ELNS1_11target_archE4294967295ELNS1_3gpuE0ELNS1_3repE0EEENS1_30default_config_static_selectorELNS0_4arch9wavefront6targetE1EEEvT1_.kd
    .uniform_work_group_size: 1
    .uses_dynamic_stack: false
    .vgpr_count:     0
    .vgpr_spill_count: 0
    .wavefront_size: 64
  - .args:
      - .offset:         0
        .size:           56
        .value_kind:     by_value
    .group_segment_fixed_size: 0
    .kernarg_segment_align: 8
    .kernarg_segment_size: 56
    .language:       OpenCL C
    .language_version:
      - 2
      - 0
    .max_flat_workgroup_size: 512
    .name:           _ZN7rocprim17ROCPRIM_400000_NS6detail17trampoline_kernelINS0_14default_configENS1_25transform_config_selectorIdLb0EEEZNS1_14transform_implILb0ES3_S5_NS0_18transform_iteratorINS0_17counting_iteratorImlEEZNS1_24adjacent_difference_implIS3_Lb1ELb0EPdN6thrust23THRUST_200600_302600_NS16discard_iteratorINSD_11use_defaultEEENSD_5minusIdEEEE10hipError_tPvRmT2_T3_mT4_P12ihipStream_tbEUlmE_dEESB_NS0_8identityIvEEEESJ_SM_SN_mSO_SQ_bEUlT_E_NS1_11comp_targetILNS1_3genE5ELNS1_11target_archE942ELNS1_3gpuE9ELNS1_3repE0EEENS1_30default_config_static_selectorELNS0_4arch9wavefront6targetE1EEEvT1_
    .private_segment_fixed_size: 0
    .sgpr_count:     4
    .sgpr_spill_count: 0
    .symbol:         _ZN7rocprim17ROCPRIM_400000_NS6detail17trampoline_kernelINS0_14default_configENS1_25transform_config_selectorIdLb0EEEZNS1_14transform_implILb0ES3_S5_NS0_18transform_iteratorINS0_17counting_iteratorImlEEZNS1_24adjacent_difference_implIS3_Lb1ELb0EPdN6thrust23THRUST_200600_302600_NS16discard_iteratorINSD_11use_defaultEEENSD_5minusIdEEEE10hipError_tPvRmT2_T3_mT4_P12ihipStream_tbEUlmE_dEESB_NS0_8identityIvEEEESJ_SM_SN_mSO_SQ_bEUlT_E_NS1_11comp_targetILNS1_3genE5ELNS1_11target_archE942ELNS1_3gpuE9ELNS1_3repE0EEENS1_30default_config_static_selectorELNS0_4arch9wavefront6targetE1EEEvT1_.kd
    .uniform_work_group_size: 1
    .uses_dynamic_stack: false
    .vgpr_count:     0
    .vgpr_spill_count: 0
    .wavefront_size: 64
  - .args:
      - .offset:         0
        .size:           56
        .value_kind:     by_value
    .group_segment_fixed_size: 0
    .kernarg_segment_align: 8
    .kernarg_segment_size: 56
    .language:       OpenCL C
    .language_version:
      - 2
      - 0
    .max_flat_workgroup_size: 256
    .name:           _ZN7rocprim17ROCPRIM_400000_NS6detail17trampoline_kernelINS0_14default_configENS1_25transform_config_selectorIdLb0EEEZNS1_14transform_implILb0ES3_S5_NS0_18transform_iteratorINS0_17counting_iteratorImlEEZNS1_24adjacent_difference_implIS3_Lb1ELb0EPdN6thrust23THRUST_200600_302600_NS16discard_iteratorINSD_11use_defaultEEENSD_5minusIdEEEE10hipError_tPvRmT2_T3_mT4_P12ihipStream_tbEUlmE_dEESB_NS0_8identityIvEEEESJ_SM_SN_mSO_SQ_bEUlT_E_NS1_11comp_targetILNS1_3genE4ELNS1_11target_archE910ELNS1_3gpuE8ELNS1_3repE0EEENS1_30default_config_static_selectorELNS0_4arch9wavefront6targetE1EEEvT1_
    .private_segment_fixed_size: 0
    .sgpr_count:     4
    .sgpr_spill_count: 0
    .symbol:         _ZN7rocprim17ROCPRIM_400000_NS6detail17trampoline_kernelINS0_14default_configENS1_25transform_config_selectorIdLb0EEEZNS1_14transform_implILb0ES3_S5_NS0_18transform_iteratorINS0_17counting_iteratorImlEEZNS1_24adjacent_difference_implIS3_Lb1ELb0EPdN6thrust23THRUST_200600_302600_NS16discard_iteratorINSD_11use_defaultEEENSD_5minusIdEEEE10hipError_tPvRmT2_T3_mT4_P12ihipStream_tbEUlmE_dEESB_NS0_8identityIvEEEESJ_SM_SN_mSO_SQ_bEUlT_E_NS1_11comp_targetILNS1_3genE4ELNS1_11target_archE910ELNS1_3gpuE8ELNS1_3repE0EEENS1_30default_config_static_selectorELNS0_4arch9wavefront6targetE1EEEvT1_.kd
    .uniform_work_group_size: 1
    .uses_dynamic_stack: false
    .vgpr_count:     0
    .vgpr_spill_count: 0
    .wavefront_size: 64
  - .args:
      - .offset:         0
        .size:           56
        .value_kind:     by_value
    .group_segment_fixed_size: 0
    .kernarg_segment_align: 8
    .kernarg_segment_size: 56
    .language:       OpenCL C
    .language_version:
      - 2
      - 0
    .max_flat_workgroup_size: 128
    .name:           _ZN7rocprim17ROCPRIM_400000_NS6detail17trampoline_kernelINS0_14default_configENS1_25transform_config_selectorIdLb0EEEZNS1_14transform_implILb0ES3_S5_NS0_18transform_iteratorINS0_17counting_iteratorImlEEZNS1_24adjacent_difference_implIS3_Lb1ELb0EPdN6thrust23THRUST_200600_302600_NS16discard_iteratorINSD_11use_defaultEEENSD_5minusIdEEEE10hipError_tPvRmT2_T3_mT4_P12ihipStream_tbEUlmE_dEESB_NS0_8identityIvEEEESJ_SM_SN_mSO_SQ_bEUlT_E_NS1_11comp_targetILNS1_3genE3ELNS1_11target_archE908ELNS1_3gpuE7ELNS1_3repE0EEENS1_30default_config_static_selectorELNS0_4arch9wavefront6targetE1EEEvT1_
    .private_segment_fixed_size: 0
    .sgpr_count:     4
    .sgpr_spill_count: 0
    .symbol:         _ZN7rocprim17ROCPRIM_400000_NS6detail17trampoline_kernelINS0_14default_configENS1_25transform_config_selectorIdLb0EEEZNS1_14transform_implILb0ES3_S5_NS0_18transform_iteratorINS0_17counting_iteratorImlEEZNS1_24adjacent_difference_implIS3_Lb1ELb0EPdN6thrust23THRUST_200600_302600_NS16discard_iteratorINSD_11use_defaultEEENSD_5minusIdEEEE10hipError_tPvRmT2_T3_mT4_P12ihipStream_tbEUlmE_dEESB_NS0_8identityIvEEEESJ_SM_SN_mSO_SQ_bEUlT_E_NS1_11comp_targetILNS1_3genE3ELNS1_11target_archE908ELNS1_3gpuE7ELNS1_3repE0EEENS1_30default_config_static_selectorELNS0_4arch9wavefront6targetE1EEEvT1_.kd
    .uniform_work_group_size: 1
    .uses_dynamic_stack: false
    .vgpr_count:     0
    .vgpr_spill_count: 0
    .wavefront_size: 64
  - .args:
      - .offset:         0
        .size:           56
        .value_kind:     by_value
      - .offset:         56
        .size:           4
        .value_kind:     hidden_block_count_x
      - .offset:         60
        .size:           4
        .value_kind:     hidden_block_count_y
      - .offset:         64
        .size:           4
        .value_kind:     hidden_block_count_z
      - .offset:         68
        .size:           2
        .value_kind:     hidden_group_size_x
      - .offset:         70
        .size:           2
        .value_kind:     hidden_group_size_y
      - .offset:         72
        .size:           2
        .value_kind:     hidden_group_size_z
      - .offset:         74
        .size:           2
        .value_kind:     hidden_remainder_x
      - .offset:         76
        .size:           2
        .value_kind:     hidden_remainder_y
      - .offset:         78
        .size:           2
        .value_kind:     hidden_remainder_z
      - .offset:         96
        .size:           8
        .value_kind:     hidden_global_offset_x
      - .offset:         104
        .size:           8
        .value_kind:     hidden_global_offset_y
      - .offset:         112
        .size:           8
        .value_kind:     hidden_global_offset_z
      - .offset:         120
        .size:           2
        .value_kind:     hidden_grid_dims
    .group_segment_fixed_size: 0
    .kernarg_segment_align: 8
    .kernarg_segment_size: 312
    .language:       OpenCL C
    .language_version:
      - 2
      - 0
    .max_flat_workgroup_size: 1024
    .name:           _ZN7rocprim17ROCPRIM_400000_NS6detail17trampoline_kernelINS0_14default_configENS1_25transform_config_selectorIdLb0EEEZNS1_14transform_implILb0ES3_S5_NS0_18transform_iteratorINS0_17counting_iteratorImlEEZNS1_24adjacent_difference_implIS3_Lb1ELb0EPdN6thrust23THRUST_200600_302600_NS16discard_iteratorINSD_11use_defaultEEENSD_5minusIdEEEE10hipError_tPvRmT2_T3_mT4_P12ihipStream_tbEUlmE_dEESB_NS0_8identityIvEEEESJ_SM_SN_mSO_SQ_bEUlT_E_NS1_11comp_targetILNS1_3genE2ELNS1_11target_archE906ELNS1_3gpuE6ELNS1_3repE0EEENS1_30default_config_static_selectorELNS0_4arch9wavefront6targetE1EEEvT1_
    .private_segment_fixed_size: 0
    .sgpr_count:     16
    .sgpr_spill_count: 0
    .symbol:         _ZN7rocprim17ROCPRIM_400000_NS6detail17trampoline_kernelINS0_14default_configENS1_25transform_config_selectorIdLb0EEEZNS1_14transform_implILb0ES3_S5_NS0_18transform_iteratorINS0_17counting_iteratorImlEEZNS1_24adjacent_difference_implIS3_Lb1ELb0EPdN6thrust23THRUST_200600_302600_NS16discard_iteratorINSD_11use_defaultEEENSD_5minusIdEEEE10hipError_tPvRmT2_T3_mT4_P12ihipStream_tbEUlmE_dEESB_NS0_8identityIvEEEESJ_SM_SN_mSO_SQ_bEUlT_E_NS1_11comp_targetILNS1_3genE2ELNS1_11target_archE906ELNS1_3gpuE6ELNS1_3repE0EEENS1_30default_config_static_selectorELNS0_4arch9wavefront6targetE1EEEvT1_.kd
    .uniform_work_group_size: 1
    .uses_dynamic_stack: false
    .vgpr_count:     5
    .vgpr_spill_count: 0
    .wavefront_size: 64
  - .args:
      - .offset:         0
        .size:           56
        .value_kind:     by_value
    .group_segment_fixed_size: 0
    .kernarg_segment_align: 8
    .kernarg_segment_size: 56
    .language:       OpenCL C
    .language_version:
      - 2
      - 0
    .max_flat_workgroup_size: 64
    .name:           _ZN7rocprim17ROCPRIM_400000_NS6detail17trampoline_kernelINS0_14default_configENS1_25transform_config_selectorIdLb0EEEZNS1_14transform_implILb0ES3_S5_NS0_18transform_iteratorINS0_17counting_iteratorImlEEZNS1_24adjacent_difference_implIS3_Lb1ELb0EPdN6thrust23THRUST_200600_302600_NS16discard_iteratorINSD_11use_defaultEEENSD_5minusIdEEEE10hipError_tPvRmT2_T3_mT4_P12ihipStream_tbEUlmE_dEESB_NS0_8identityIvEEEESJ_SM_SN_mSO_SQ_bEUlT_E_NS1_11comp_targetILNS1_3genE10ELNS1_11target_archE1201ELNS1_3gpuE5ELNS1_3repE0EEENS1_30default_config_static_selectorELNS0_4arch9wavefront6targetE1EEEvT1_
    .private_segment_fixed_size: 0
    .sgpr_count:     4
    .sgpr_spill_count: 0
    .symbol:         _ZN7rocprim17ROCPRIM_400000_NS6detail17trampoline_kernelINS0_14default_configENS1_25transform_config_selectorIdLb0EEEZNS1_14transform_implILb0ES3_S5_NS0_18transform_iteratorINS0_17counting_iteratorImlEEZNS1_24adjacent_difference_implIS3_Lb1ELb0EPdN6thrust23THRUST_200600_302600_NS16discard_iteratorINSD_11use_defaultEEENSD_5minusIdEEEE10hipError_tPvRmT2_T3_mT4_P12ihipStream_tbEUlmE_dEESB_NS0_8identityIvEEEESJ_SM_SN_mSO_SQ_bEUlT_E_NS1_11comp_targetILNS1_3genE10ELNS1_11target_archE1201ELNS1_3gpuE5ELNS1_3repE0EEENS1_30default_config_static_selectorELNS0_4arch9wavefront6targetE1EEEvT1_.kd
    .uniform_work_group_size: 1
    .uses_dynamic_stack: false
    .vgpr_count:     0
    .vgpr_spill_count: 0
    .wavefront_size: 64
  - .args:
      - .offset:         0
        .size:           56
        .value_kind:     by_value
    .group_segment_fixed_size: 0
    .kernarg_segment_align: 8
    .kernarg_segment_size: 56
    .language:       OpenCL C
    .language_version:
      - 2
      - 0
    .max_flat_workgroup_size: 512
    .name:           _ZN7rocprim17ROCPRIM_400000_NS6detail17trampoline_kernelINS0_14default_configENS1_25transform_config_selectorIdLb0EEEZNS1_14transform_implILb0ES3_S5_NS0_18transform_iteratorINS0_17counting_iteratorImlEEZNS1_24adjacent_difference_implIS3_Lb1ELb0EPdN6thrust23THRUST_200600_302600_NS16discard_iteratorINSD_11use_defaultEEENSD_5minusIdEEEE10hipError_tPvRmT2_T3_mT4_P12ihipStream_tbEUlmE_dEESB_NS0_8identityIvEEEESJ_SM_SN_mSO_SQ_bEUlT_E_NS1_11comp_targetILNS1_3genE10ELNS1_11target_archE1200ELNS1_3gpuE4ELNS1_3repE0EEENS1_30default_config_static_selectorELNS0_4arch9wavefront6targetE1EEEvT1_
    .private_segment_fixed_size: 0
    .sgpr_count:     4
    .sgpr_spill_count: 0
    .symbol:         _ZN7rocprim17ROCPRIM_400000_NS6detail17trampoline_kernelINS0_14default_configENS1_25transform_config_selectorIdLb0EEEZNS1_14transform_implILb0ES3_S5_NS0_18transform_iteratorINS0_17counting_iteratorImlEEZNS1_24adjacent_difference_implIS3_Lb1ELb0EPdN6thrust23THRUST_200600_302600_NS16discard_iteratorINSD_11use_defaultEEENSD_5minusIdEEEE10hipError_tPvRmT2_T3_mT4_P12ihipStream_tbEUlmE_dEESB_NS0_8identityIvEEEESJ_SM_SN_mSO_SQ_bEUlT_E_NS1_11comp_targetILNS1_3genE10ELNS1_11target_archE1200ELNS1_3gpuE4ELNS1_3repE0EEENS1_30default_config_static_selectorELNS0_4arch9wavefront6targetE1EEEvT1_.kd
    .uniform_work_group_size: 1
    .uses_dynamic_stack: false
    .vgpr_count:     0
    .vgpr_spill_count: 0
    .wavefront_size: 64
  - .args:
      - .offset:         0
        .size:           56
        .value_kind:     by_value
    .group_segment_fixed_size: 0
    .kernarg_segment_align: 8
    .kernarg_segment_size: 56
    .language:       OpenCL C
    .language_version:
      - 2
      - 0
    .max_flat_workgroup_size: 512
    .name:           _ZN7rocprim17ROCPRIM_400000_NS6detail17trampoline_kernelINS0_14default_configENS1_25transform_config_selectorIdLb0EEEZNS1_14transform_implILb0ES3_S5_NS0_18transform_iteratorINS0_17counting_iteratorImlEEZNS1_24adjacent_difference_implIS3_Lb1ELb0EPdN6thrust23THRUST_200600_302600_NS16discard_iteratorINSD_11use_defaultEEENSD_5minusIdEEEE10hipError_tPvRmT2_T3_mT4_P12ihipStream_tbEUlmE_dEESB_NS0_8identityIvEEEESJ_SM_SN_mSO_SQ_bEUlT_E_NS1_11comp_targetILNS1_3genE9ELNS1_11target_archE1100ELNS1_3gpuE3ELNS1_3repE0EEENS1_30default_config_static_selectorELNS0_4arch9wavefront6targetE1EEEvT1_
    .private_segment_fixed_size: 0
    .sgpr_count:     4
    .sgpr_spill_count: 0
    .symbol:         _ZN7rocprim17ROCPRIM_400000_NS6detail17trampoline_kernelINS0_14default_configENS1_25transform_config_selectorIdLb0EEEZNS1_14transform_implILb0ES3_S5_NS0_18transform_iteratorINS0_17counting_iteratorImlEEZNS1_24adjacent_difference_implIS3_Lb1ELb0EPdN6thrust23THRUST_200600_302600_NS16discard_iteratorINSD_11use_defaultEEENSD_5minusIdEEEE10hipError_tPvRmT2_T3_mT4_P12ihipStream_tbEUlmE_dEESB_NS0_8identityIvEEEESJ_SM_SN_mSO_SQ_bEUlT_E_NS1_11comp_targetILNS1_3genE9ELNS1_11target_archE1100ELNS1_3gpuE3ELNS1_3repE0EEENS1_30default_config_static_selectorELNS0_4arch9wavefront6targetE1EEEvT1_.kd
    .uniform_work_group_size: 1
    .uses_dynamic_stack: false
    .vgpr_count:     0
    .vgpr_spill_count: 0
    .wavefront_size: 64
  - .args:
      - .offset:         0
        .size:           56
        .value_kind:     by_value
    .group_segment_fixed_size: 0
    .kernarg_segment_align: 8
    .kernarg_segment_size: 56
    .language:       OpenCL C
    .language_version:
      - 2
      - 0
    .max_flat_workgroup_size: 512
    .name:           _ZN7rocprim17ROCPRIM_400000_NS6detail17trampoline_kernelINS0_14default_configENS1_25transform_config_selectorIdLb0EEEZNS1_14transform_implILb0ES3_S5_NS0_18transform_iteratorINS0_17counting_iteratorImlEEZNS1_24adjacent_difference_implIS3_Lb1ELb0EPdN6thrust23THRUST_200600_302600_NS16discard_iteratorINSD_11use_defaultEEENSD_5minusIdEEEE10hipError_tPvRmT2_T3_mT4_P12ihipStream_tbEUlmE_dEESB_NS0_8identityIvEEEESJ_SM_SN_mSO_SQ_bEUlT_E_NS1_11comp_targetILNS1_3genE8ELNS1_11target_archE1030ELNS1_3gpuE2ELNS1_3repE0EEENS1_30default_config_static_selectorELNS0_4arch9wavefront6targetE1EEEvT1_
    .private_segment_fixed_size: 0
    .sgpr_count:     4
    .sgpr_spill_count: 0
    .symbol:         _ZN7rocprim17ROCPRIM_400000_NS6detail17trampoline_kernelINS0_14default_configENS1_25transform_config_selectorIdLb0EEEZNS1_14transform_implILb0ES3_S5_NS0_18transform_iteratorINS0_17counting_iteratorImlEEZNS1_24adjacent_difference_implIS3_Lb1ELb0EPdN6thrust23THRUST_200600_302600_NS16discard_iteratorINSD_11use_defaultEEENSD_5minusIdEEEE10hipError_tPvRmT2_T3_mT4_P12ihipStream_tbEUlmE_dEESB_NS0_8identityIvEEEESJ_SM_SN_mSO_SQ_bEUlT_E_NS1_11comp_targetILNS1_3genE8ELNS1_11target_archE1030ELNS1_3gpuE2ELNS1_3repE0EEENS1_30default_config_static_selectorELNS0_4arch9wavefront6targetE1EEEvT1_.kd
    .uniform_work_group_size: 1
    .uses_dynamic_stack: false
    .vgpr_count:     0
    .vgpr_spill_count: 0
    .wavefront_size: 64
  - .args:
      - .offset:         0
        .size:           64
        .value_kind:     by_value
    .group_segment_fixed_size: 0
    .kernarg_segment_align: 8
    .kernarg_segment_size: 64
    .language:       OpenCL C
    .language_version:
      - 2
      - 0
    .max_flat_workgroup_size: 512
    .name:           _ZN7rocprim17ROCPRIM_400000_NS6detail17trampoline_kernelINS0_14default_configENS1_35adjacent_difference_config_selectorILb1EdEEZNS1_24adjacent_difference_implIS3_Lb1ELb0EPdN6thrust23THRUST_200600_302600_NS16discard_iteratorINS9_11use_defaultEEENS9_5minusIdEEEE10hipError_tPvRmT2_T3_mT4_P12ihipStream_tbEUlT_E_NS1_11comp_targetILNS1_3genE0ELNS1_11target_archE4294967295ELNS1_3gpuE0ELNS1_3repE0EEENS1_30default_config_static_selectorELNS0_4arch9wavefront6targetE1EEEvT1_
    .private_segment_fixed_size: 0
    .sgpr_count:     4
    .sgpr_spill_count: 0
    .symbol:         _ZN7rocprim17ROCPRIM_400000_NS6detail17trampoline_kernelINS0_14default_configENS1_35adjacent_difference_config_selectorILb1EdEEZNS1_24adjacent_difference_implIS3_Lb1ELb0EPdN6thrust23THRUST_200600_302600_NS16discard_iteratorINS9_11use_defaultEEENS9_5minusIdEEEE10hipError_tPvRmT2_T3_mT4_P12ihipStream_tbEUlT_E_NS1_11comp_targetILNS1_3genE0ELNS1_11target_archE4294967295ELNS1_3gpuE0ELNS1_3repE0EEENS1_30default_config_static_selectorELNS0_4arch9wavefront6targetE1EEEvT1_.kd
    .uniform_work_group_size: 1
    .uses_dynamic_stack: false
    .vgpr_count:     0
    .vgpr_spill_count: 0
    .wavefront_size: 64
  - .args:
      - .offset:         0
        .size:           64
        .value_kind:     by_value
    .group_segment_fixed_size: 0
    .kernarg_segment_align: 8
    .kernarg_segment_size: 64
    .language:       OpenCL C
    .language_version:
      - 2
      - 0
    .max_flat_workgroup_size: 256
    .name:           _ZN7rocprim17ROCPRIM_400000_NS6detail17trampoline_kernelINS0_14default_configENS1_35adjacent_difference_config_selectorILb1EdEEZNS1_24adjacent_difference_implIS3_Lb1ELb0EPdN6thrust23THRUST_200600_302600_NS16discard_iteratorINS9_11use_defaultEEENS9_5minusIdEEEE10hipError_tPvRmT2_T3_mT4_P12ihipStream_tbEUlT_E_NS1_11comp_targetILNS1_3genE10ELNS1_11target_archE1201ELNS1_3gpuE5ELNS1_3repE0EEENS1_30default_config_static_selectorELNS0_4arch9wavefront6targetE1EEEvT1_
    .private_segment_fixed_size: 0
    .sgpr_count:     4
    .sgpr_spill_count: 0
    .symbol:         _ZN7rocprim17ROCPRIM_400000_NS6detail17trampoline_kernelINS0_14default_configENS1_35adjacent_difference_config_selectorILb1EdEEZNS1_24adjacent_difference_implIS3_Lb1ELb0EPdN6thrust23THRUST_200600_302600_NS16discard_iteratorINS9_11use_defaultEEENS9_5minusIdEEEE10hipError_tPvRmT2_T3_mT4_P12ihipStream_tbEUlT_E_NS1_11comp_targetILNS1_3genE10ELNS1_11target_archE1201ELNS1_3gpuE5ELNS1_3repE0EEENS1_30default_config_static_selectorELNS0_4arch9wavefront6targetE1EEEvT1_.kd
    .uniform_work_group_size: 1
    .uses_dynamic_stack: false
    .vgpr_count:     0
    .vgpr_spill_count: 0
    .wavefront_size: 64
  - .args:
      - .offset:         0
        .size:           64
        .value_kind:     by_value
    .group_segment_fixed_size: 0
    .kernarg_segment_align: 8
    .kernarg_segment_size: 64
    .language:       OpenCL C
    .language_version:
      - 2
      - 0
    .max_flat_workgroup_size: 128
    .name:           _ZN7rocprim17ROCPRIM_400000_NS6detail17trampoline_kernelINS0_14default_configENS1_35adjacent_difference_config_selectorILb1EdEEZNS1_24adjacent_difference_implIS3_Lb1ELb0EPdN6thrust23THRUST_200600_302600_NS16discard_iteratorINS9_11use_defaultEEENS9_5minusIdEEEE10hipError_tPvRmT2_T3_mT4_P12ihipStream_tbEUlT_E_NS1_11comp_targetILNS1_3genE5ELNS1_11target_archE942ELNS1_3gpuE9ELNS1_3repE0EEENS1_30default_config_static_selectorELNS0_4arch9wavefront6targetE1EEEvT1_
    .private_segment_fixed_size: 0
    .sgpr_count:     4
    .sgpr_spill_count: 0
    .symbol:         _ZN7rocprim17ROCPRIM_400000_NS6detail17trampoline_kernelINS0_14default_configENS1_35adjacent_difference_config_selectorILb1EdEEZNS1_24adjacent_difference_implIS3_Lb1ELb0EPdN6thrust23THRUST_200600_302600_NS16discard_iteratorINS9_11use_defaultEEENS9_5minusIdEEEE10hipError_tPvRmT2_T3_mT4_P12ihipStream_tbEUlT_E_NS1_11comp_targetILNS1_3genE5ELNS1_11target_archE942ELNS1_3gpuE9ELNS1_3repE0EEENS1_30default_config_static_selectorELNS0_4arch9wavefront6targetE1EEEvT1_.kd
    .uniform_work_group_size: 1
    .uses_dynamic_stack: false
    .vgpr_count:     0
    .vgpr_spill_count: 0
    .wavefront_size: 64
  - .args:
      - .offset:         0
        .size:           64
        .value_kind:     by_value
    .group_segment_fixed_size: 0
    .kernarg_segment_align: 8
    .kernarg_segment_size: 64
    .language:       OpenCL C
    .language_version:
      - 2
      - 0
    .max_flat_workgroup_size: 512
    .name:           _ZN7rocprim17ROCPRIM_400000_NS6detail17trampoline_kernelINS0_14default_configENS1_35adjacent_difference_config_selectorILb1EdEEZNS1_24adjacent_difference_implIS3_Lb1ELb0EPdN6thrust23THRUST_200600_302600_NS16discard_iteratorINS9_11use_defaultEEENS9_5minusIdEEEE10hipError_tPvRmT2_T3_mT4_P12ihipStream_tbEUlT_E_NS1_11comp_targetILNS1_3genE4ELNS1_11target_archE910ELNS1_3gpuE8ELNS1_3repE0EEENS1_30default_config_static_selectorELNS0_4arch9wavefront6targetE1EEEvT1_
    .private_segment_fixed_size: 0
    .sgpr_count:     4
    .sgpr_spill_count: 0
    .symbol:         _ZN7rocprim17ROCPRIM_400000_NS6detail17trampoline_kernelINS0_14default_configENS1_35adjacent_difference_config_selectorILb1EdEEZNS1_24adjacent_difference_implIS3_Lb1ELb0EPdN6thrust23THRUST_200600_302600_NS16discard_iteratorINS9_11use_defaultEEENS9_5minusIdEEEE10hipError_tPvRmT2_T3_mT4_P12ihipStream_tbEUlT_E_NS1_11comp_targetILNS1_3genE4ELNS1_11target_archE910ELNS1_3gpuE8ELNS1_3repE0EEENS1_30default_config_static_selectorELNS0_4arch9wavefront6targetE1EEEvT1_.kd
    .uniform_work_group_size: 1
    .uses_dynamic_stack: false
    .vgpr_count:     0
    .vgpr_spill_count: 0
    .wavefront_size: 64
  - .args:
      - .offset:         0
        .size:           64
        .value_kind:     by_value
    .group_segment_fixed_size: 0
    .kernarg_segment_align: 8
    .kernarg_segment_size: 64
    .language:       OpenCL C
    .language_version:
      - 2
      - 0
    .max_flat_workgroup_size: 512
    .name:           _ZN7rocprim17ROCPRIM_400000_NS6detail17trampoline_kernelINS0_14default_configENS1_35adjacent_difference_config_selectorILb1EdEEZNS1_24adjacent_difference_implIS3_Lb1ELb0EPdN6thrust23THRUST_200600_302600_NS16discard_iteratorINS9_11use_defaultEEENS9_5minusIdEEEE10hipError_tPvRmT2_T3_mT4_P12ihipStream_tbEUlT_E_NS1_11comp_targetILNS1_3genE3ELNS1_11target_archE908ELNS1_3gpuE7ELNS1_3repE0EEENS1_30default_config_static_selectorELNS0_4arch9wavefront6targetE1EEEvT1_
    .private_segment_fixed_size: 0
    .sgpr_count:     4
    .sgpr_spill_count: 0
    .symbol:         _ZN7rocprim17ROCPRIM_400000_NS6detail17trampoline_kernelINS0_14default_configENS1_35adjacent_difference_config_selectorILb1EdEEZNS1_24adjacent_difference_implIS3_Lb1ELb0EPdN6thrust23THRUST_200600_302600_NS16discard_iteratorINS9_11use_defaultEEENS9_5minusIdEEEE10hipError_tPvRmT2_T3_mT4_P12ihipStream_tbEUlT_E_NS1_11comp_targetILNS1_3genE3ELNS1_11target_archE908ELNS1_3gpuE7ELNS1_3repE0EEENS1_30default_config_static_selectorELNS0_4arch9wavefront6targetE1EEEvT1_.kd
    .uniform_work_group_size: 1
    .uses_dynamic_stack: false
    .vgpr_count:     0
    .vgpr_spill_count: 0
    .wavefront_size: 64
  - .args:
      - .offset:         0
        .size:           64
        .value_kind:     by_value
    .group_segment_fixed_size: 11264
    .kernarg_segment_align: 8
    .kernarg_segment_size: 64
    .language:       OpenCL C
    .language_version:
      - 2
      - 0
    .max_flat_workgroup_size: 128
    .name:           _ZN7rocprim17ROCPRIM_400000_NS6detail17trampoline_kernelINS0_14default_configENS1_35adjacent_difference_config_selectorILb1EdEEZNS1_24adjacent_difference_implIS3_Lb1ELb0EPdN6thrust23THRUST_200600_302600_NS16discard_iteratorINS9_11use_defaultEEENS9_5minusIdEEEE10hipError_tPvRmT2_T3_mT4_P12ihipStream_tbEUlT_E_NS1_11comp_targetILNS1_3genE2ELNS1_11target_archE906ELNS1_3gpuE6ELNS1_3repE0EEENS1_30default_config_static_selectorELNS0_4arch9wavefront6targetE1EEEvT1_
    .private_segment_fixed_size: 0
    .sgpr_count:     28
    .sgpr_spill_count: 0
    .symbol:         _ZN7rocprim17ROCPRIM_400000_NS6detail17trampoline_kernelINS0_14default_configENS1_35adjacent_difference_config_selectorILb1EdEEZNS1_24adjacent_difference_implIS3_Lb1ELb0EPdN6thrust23THRUST_200600_302600_NS16discard_iteratorINS9_11use_defaultEEENS9_5minusIdEEEE10hipError_tPvRmT2_T3_mT4_P12ihipStream_tbEUlT_E_NS1_11comp_targetILNS1_3genE2ELNS1_11target_archE906ELNS1_3gpuE6ELNS1_3repE0EEENS1_30default_config_static_selectorELNS0_4arch9wavefront6targetE1EEEvT1_.kd
    .uniform_work_group_size: 1
    .uses_dynamic_stack: false
    .vgpr_count:     50
    .vgpr_spill_count: 0
    .wavefront_size: 64
  - .args:
      - .offset:         0
        .size:           64
        .value_kind:     by_value
    .group_segment_fixed_size: 0
    .kernarg_segment_align: 8
    .kernarg_segment_size: 64
    .language:       OpenCL C
    .language_version:
      - 2
      - 0
    .max_flat_workgroup_size: 128
    .name:           _ZN7rocprim17ROCPRIM_400000_NS6detail17trampoline_kernelINS0_14default_configENS1_35adjacent_difference_config_selectorILb1EdEEZNS1_24adjacent_difference_implIS3_Lb1ELb0EPdN6thrust23THRUST_200600_302600_NS16discard_iteratorINS9_11use_defaultEEENS9_5minusIdEEEE10hipError_tPvRmT2_T3_mT4_P12ihipStream_tbEUlT_E_NS1_11comp_targetILNS1_3genE9ELNS1_11target_archE1100ELNS1_3gpuE3ELNS1_3repE0EEENS1_30default_config_static_selectorELNS0_4arch9wavefront6targetE1EEEvT1_
    .private_segment_fixed_size: 0
    .sgpr_count:     4
    .sgpr_spill_count: 0
    .symbol:         _ZN7rocprim17ROCPRIM_400000_NS6detail17trampoline_kernelINS0_14default_configENS1_35adjacent_difference_config_selectorILb1EdEEZNS1_24adjacent_difference_implIS3_Lb1ELb0EPdN6thrust23THRUST_200600_302600_NS16discard_iteratorINS9_11use_defaultEEENS9_5minusIdEEEE10hipError_tPvRmT2_T3_mT4_P12ihipStream_tbEUlT_E_NS1_11comp_targetILNS1_3genE9ELNS1_11target_archE1100ELNS1_3gpuE3ELNS1_3repE0EEENS1_30default_config_static_selectorELNS0_4arch9wavefront6targetE1EEEvT1_.kd
    .uniform_work_group_size: 1
    .uses_dynamic_stack: false
    .vgpr_count:     0
    .vgpr_spill_count: 0
    .wavefront_size: 64
  - .args:
      - .offset:         0
        .size:           64
        .value_kind:     by_value
    .group_segment_fixed_size: 0
    .kernarg_segment_align: 8
    .kernarg_segment_size: 64
    .language:       OpenCL C
    .language_version:
      - 2
      - 0
    .max_flat_workgroup_size: 32
    .name:           _ZN7rocprim17ROCPRIM_400000_NS6detail17trampoline_kernelINS0_14default_configENS1_35adjacent_difference_config_selectorILb1EdEEZNS1_24adjacent_difference_implIS3_Lb1ELb0EPdN6thrust23THRUST_200600_302600_NS16discard_iteratorINS9_11use_defaultEEENS9_5minusIdEEEE10hipError_tPvRmT2_T3_mT4_P12ihipStream_tbEUlT_E_NS1_11comp_targetILNS1_3genE8ELNS1_11target_archE1030ELNS1_3gpuE2ELNS1_3repE0EEENS1_30default_config_static_selectorELNS0_4arch9wavefront6targetE1EEEvT1_
    .private_segment_fixed_size: 0
    .sgpr_count:     4
    .sgpr_spill_count: 0
    .symbol:         _ZN7rocprim17ROCPRIM_400000_NS6detail17trampoline_kernelINS0_14default_configENS1_35adjacent_difference_config_selectorILb1EdEEZNS1_24adjacent_difference_implIS3_Lb1ELb0EPdN6thrust23THRUST_200600_302600_NS16discard_iteratorINS9_11use_defaultEEENS9_5minusIdEEEE10hipError_tPvRmT2_T3_mT4_P12ihipStream_tbEUlT_E_NS1_11comp_targetILNS1_3genE8ELNS1_11target_archE1030ELNS1_3gpuE2ELNS1_3repE0EEENS1_30default_config_static_selectorELNS0_4arch9wavefront6targetE1EEEvT1_.kd
    .uniform_work_group_size: 1
    .uses_dynamic_stack: false
    .vgpr_count:     0
    .vgpr_spill_count: 0
    .wavefront_size: 64
  - .args:
      - .offset:         0
        .size:           56
        .value_kind:     by_value
    .group_segment_fixed_size: 0
    .kernarg_segment_align: 8
    .kernarg_segment_size: 56
    .language:       OpenCL C
    .language_version:
      - 2
      - 0
    .max_flat_workgroup_size: 128
    .name:           _ZN7rocprim17ROCPRIM_400000_NS6detail17trampoline_kernelINS0_14default_configENS1_25transform_config_selectorIfLb0EEEZNS1_14transform_implILb0ES3_S5_NS0_18transform_iteratorINS0_17counting_iteratorImlEEZNS1_24adjacent_difference_implIS3_Lb1ELb0EPfN6thrust23THRUST_200600_302600_NS16discard_iteratorINSD_11use_defaultEEENSD_5minusIfEEEE10hipError_tPvRmT2_T3_mT4_P12ihipStream_tbEUlmE_fEESB_NS0_8identityIvEEEESJ_SM_SN_mSO_SQ_bEUlT_E_NS1_11comp_targetILNS1_3genE0ELNS1_11target_archE4294967295ELNS1_3gpuE0ELNS1_3repE0EEENS1_30default_config_static_selectorELNS0_4arch9wavefront6targetE1EEEvT1_
    .private_segment_fixed_size: 0
    .sgpr_count:     4
    .sgpr_spill_count: 0
    .symbol:         _ZN7rocprim17ROCPRIM_400000_NS6detail17trampoline_kernelINS0_14default_configENS1_25transform_config_selectorIfLb0EEEZNS1_14transform_implILb0ES3_S5_NS0_18transform_iteratorINS0_17counting_iteratorImlEEZNS1_24adjacent_difference_implIS3_Lb1ELb0EPfN6thrust23THRUST_200600_302600_NS16discard_iteratorINSD_11use_defaultEEENSD_5minusIfEEEE10hipError_tPvRmT2_T3_mT4_P12ihipStream_tbEUlmE_fEESB_NS0_8identityIvEEEESJ_SM_SN_mSO_SQ_bEUlT_E_NS1_11comp_targetILNS1_3genE0ELNS1_11target_archE4294967295ELNS1_3gpuE0ELNS1_3repE0EEENS1_30default_config_static_selectorELNS0_4arch9wavefront6targetE1EEEvT1_.kd
    .uniform_work_group_size: 1
    .uses_dynamic_stack: false
    .vgpr_count:     0
    .vgpr_spill_count: 0
    .wavefront_size: 64
  - .args:
      - .offset:         0
        .size:           56
        .value_kind:     by_value
    .group_segment_fixed_size: 0
    .kernarg_segment_align: 8
    .kernarg_segment_size: 56
    .language:       OpenCL C
    .language_version:
      - 2
      - 0
    .max_flat_workgroup_size: 256
    .name:           _ZN7rocprim17ROCPRIM_400000_NS6detail17trampoline_kernelINS0_14default_configENS1_25transform_config_selectorIfLb0EEEZNS1_14transform_implILb0ES3_S5_NS0_18transform_iteratorINS0_17counting_iteratorImlEEZNS1_24adjacent_difference_implIS3_Lb1ELb0EPfN6thrust23THRUST_200600_302600_NS16discard_iteratorINSD_11use_defaultEEENSD_5minusIfEEEE10hipError_tPvRmT2_T3_mT4_P12ihipStream_tbEUlmE_fEESB_NS0_8identityIvEEEESJ_SM_SN_mSO_SQ_bEUlT_E_NS1_11comp_targetILNS1_3genE5ELNS1_11target_archE942ELNS1_3gpuE9ELNS1_3repE0EEENS1_30default_config_static_selectorELNS0_4arch9wavefront6targetE1EEEvT1_
    .private_segment_fixed_size: 0
    .sgpr_count:     4
    .sgpr_spill_count: 0
    .symbol:         _ZN7rocprim17ROCPRIM_400000_NS6detail17trampoline_kernelINS0_14default_configENS1_25transform_config_selectorIfLb0EEEZNS1_14transform_implILb0ES3_S5_NS0_18transform_iteratorINS0_17counting_iteratorImlEEZNS1_24adjacent_difference_implIS3_Lb1ELb0EPfN6thrust23THRUST_200600_302600_NS16discard_iteratorINSD_11use_defaultEEENSD_5minusIfEEEE10hipError_tPvRmT2_T3_mT4_P12ihipStream_tbEUlmE_fEESB_NS0_8identityIvEEEESJ_SM_SN_mSO_SQ_bEUlT_E_NS1_11comp_targetILNS1_3genE5ELNS1_11target_archE942ELNS1_3gpuE9ELNS1_3repE0EEENS1_30default_config_static_selectorELNS0_4arch9wavefront6targetE1EEEvT1_.kd
    .uniform_work_group_size: 1
    .uses_dynamic_stack: false
    .vgpr_count:     0
    .vgpr_spill_count: 0
    .wavefront_size: 64
  - .args:
      - .offset:         0
        .size:           56
        .value_kind:     by_value
    .group_segment_fixed_size: 0
    .kernarg_segment_align: 8
    .kernarg_segment_size: 56
    .language:       OpenCL C
    .language_version:
      - 2
      - 0
    .max_flat_workgroup_size: 1024
    .name:           _ZN7rocprim17ROCPRIM_400000_NS6detail17trampoline_kernelINS0_14default_configENS1_25transform_config_selectorIfLb0EEEZNS1_14transform_implILb0ES3_S5_NS0_18transform_iteratorINS0_17counting_iteratorImlEEZNS1_24adjacent_difference_implIS3_Lb1ELb0EPfN6thrust23THRUST_200600_302600_NS16discard_iteratorINSD_11use_defaultEEENSD_5minusIfEEEE10hipError_tPvRmT2_T3_mT4_P12ihipStream_tbEUlmE_fEESB_NS0_8identityIvEEEESJ_SM_SN_mSO_SQ_bEUlT_E_NS1_11comp_targetILNS1_3genE4ELNS1_11target_archE910ELNS1_3gpuE8ELNS1_3repE0EEENS1_30default_config_static_selectorELNS0_4arch9wavefront6targetE1EEEvT1_
    .private_segment_fixed_size: 0
    .sgpr_count:     4
    .sgpr_spill_count: 0
    .symbol:         _ZN7rocprim17ROCPRIM_400000_NS6detail17trampoline_kernelINS0_14default_configENS1_25transform_config_selectorIfLb0EEEZNS1_14transform_implILb0ES3_S5_NS0_18transform_iteratorINS0_17counting_iteratorImlEEZNS1_24adjacent_difference_implIS3_Lb1ELb0EPfN6thrust23THRUST_200600_302600_NS16discard_iteratorINSD_11use_defaultEEENSD_5minusIfEEEE10hipError_tPvRmT2_T3_mT4_P12ihipStream_tbEUlmE_fEESB_NS0_8identityIvEEEESJ_SM_SN_mSO_SQ_bEUlT_E_NS1_11comp_targetILNS1_3genE4ELNS1_11target_archE910ELNS1_3gpuE8ELNS1_3repE0EEENS1_30default_config_static_selectorELNS0_4arch9wavefront6targetE1EEEvT1_.kd
    .uniform_work_group_size: 1
    .uses_dynamic_stack: false
    .vgpr_count:     0
    .vgpr_spill_count: 0
    .wavefront_size: 64
  - .args:
      - .offset:         0
        .size:           56
        .value_kind:     by_value
    .group_segment_fixed_size: 0
    .kernarg_segment_align: 8
    .kernarg_segment_size: 56
    .language:       OpenCL C
    .language_version:
      - 2
      - 0
    .max_flat_workgroup_size: 128
    .name:           _ZN7rocprim17ROCPRIM_400000_NS6detail17trampoline_kernelINS0_14default_configENS1_25transform_config_selectorIfLb0EEEZNS1_14transform_implILb0ES3_S5_NS0_18transform_iteratorINS0_17counting_iteratorImlEEZNS1_24adjacent_difference_implIS3_Lb1ELb0EPfN6thrust23THRUST_200600_302600_NS16discard_iteratorINSD_11use_defaultEEENSD_5minusIfEEEE10hipError_tPvRmT2_T3_mT4_P12ihipStream_tbEUlmE_fEESB_NS0_8identityIvEEEESJ_SM_SN_mSO_SQ_bEUlT_E_NS1_11comp_targetILNS1_3genE3ELNS1_11target_archE908ELNS1_3gpuE7ELNS1_3repE0EEENS1_30default_config_static_selectorELNS0_4arch9wavefront6targetE1EEEvT1_
    .private_segment_fixed_size: 0
    .sgpr_count:     4
    .sgpr_spill_count: 0
    .symbol:         _ZN7rocprim17ROCPRIM_400000_NS6detail17trampoline_kernelINS0_14default_configENS1_25transform_config_selectorIfLb0EEEZNS1_14transform_implILb0ES3_S5_NS0_18transform_iteratorINS0_17counting_iteratorImlEEZNS1_24adjacent_difference_implIS3_Lb1ELb0EPfN6thrust23THRUST_200600_302600_NS16discard_iteratorINSD_11use_defaultEEENSD_5minusIfEEEE10hipError_tPvRmT2_T3_mT4_P12ihipStream_tbEUlmE_fEESB_NS0_8identityIvEEEESJ_SM_SN_mSO_SQ_bEUlT_E_NS1_11comp_targetILNS1_3genE3ELNS1_11target_archE908ELNS1_3gpuE7ELNS1_3repE0EEENS1_30default_config_static_selectorELNS0_4arch9wavefront6targetE1EEEvT1_.kd
    .uniform_work_group_size: 1
    .uses_dynamic_stack: false
    .vgpr_count:     0
    .vgpr_spill_count: 0
    .wavefront_size: 64
  - .args:
      - .offset:         0
        .size:           56
        .value_kind:     by_value
      - .offset:         56
        .size:           4
        .value_kind:     hidden_block_count_x
      - .offset:         60
        .size:           4
        .value_kind:     hidden_block_count_y
      - .offset:         64
        .size:           4
        .value_kind:     hidden_block_count_z
      - .offset:         68
        .size:           2
        .value_kind:     hidden_group_size_x
      - .offset:         70
        .size:           2
        .value_kind:     hidden_group_size_y
      - .offset:         72
        .size:           2
        .value_kind:     hidden_group_size_z
      - .offset:         74
        .size:           2
        .value_kind:     hidden_remainder_x
      - .offset:         76
        .size:           2
        .value_kind:     hidden_remainder_y
      - .offset:         78
        .size:           2
        .value_kind:     hidden_remainder_z
      - .offset:         96
        .size:           8
        .value_kind:     hidden_global_offset_x
      - .offset:         104
        .size:           8
        .value_kind:     hidden_global_offset_y
      - .offset:         112
        .size:           8
        .value_kind:     hidden_global_offset_z
      - .offset:         120
        .size:           2
        .value_kind:     hidden_grid_dims
    .group_segment_fixed_size: 0
    .kernarg_segment_align: 8
    .kernarg_segment_size: 312
    .language:       OpenCL C
    .language_version:
      - 2
      - 0
    .max_flat_workgroup_size: 1024
    .name:           _ZN7rocprim17ROCPRIM_400000_NS6detail17trampoline_kernelINS0_14default_configENS1_25transform_config_selectorIfLb0EEEZNS1_14transform_implILb0ES3_S5_NS0_18transform_iteratorINS0_17counting_iteratorImlEEZNS1_24adjacent_difference_implIS3_Lb1ELb0EPfN6thrust23THRUST_200600_302600_NS16discard_iteratorINSD_11use_defaultEEENSD_5minusIfEEEE10hipError_tPvRmT2_T3_mT4_P12ihipStream_tbEUlmE_fEESB_NS0_8identityIvEEEESJ_SM_SN_mSO_SQ_bEUlT_E_NS1_11comp_targetILNS1_3genE2ELNS1_11target_archE906ELNS1_3gpuE6ELNS1_3repE0EEENS1_30default_config_static_selectorELNS0_4arch9wavefront6targetE1EEEvT1_
    .private_segment_fixed_size: 0
    .sgpr_count:     22
    .sgpr_spill_count: 0
    .symbol:         _ZN7rocprim17ROCPRIM_400000_NS6detail17trampoline_kernelINS0_14default_configENS1_25transform_config_selectorIfLb0EEEZNS1_14transform_implILb0ES3_S5_NS0_18transform_iteratorINS0_17counting_iteratorImlEEZNS1_24adjacent_difference_implIS3_Lb1ELb0EPfN6thrust23THRUST_200600_302600_NS16discard_iteratorINSD_11use_defaultEEENSD_5minusIfEEEE10hipError_tPvRmT2_T3_mT4_P12ihipStream_tbEUlmE_fEESB_NS0_8identityIvEEEESJ_SM_SN_mSO_SQ_bEUlT_E_NS1_11comp_targetILNS1_3genE2ELNS1_11target_archE906ELNS1_3gpuE6ELNS1_3repE0EEENS1_30default_config_static_selectorELNS0_4arch9wavefront6targetE1EEEvT1_.kd
    .uniform_work_group_size: 1
    .uses_dynamic_stack: false
    .vgpr_count:     7
    .vgpr_spill_count: 0
    .wavefront_size: 64
  - .args:
      - .offset:         0
        .size:           56
        .value_kind:     by_value
    .group_segment_fixed_size: 0
    .kernarg_segment_align: 8
    .kernarg_segment_size: 56
    .language:       OpenCL C
    .language_version:
      - 2
      - 0
    .max_flat_workgroup_size: 512
    .name:           _ZN7rocprim17ROCPRIM_400000_NS6detail17trampoline_kernelINS0_14default_configENS1_25transform_config_selectorIfLb0EEEZNS1_14transform_implILb0ES3_S5_NS0_18transform_iteratorINS0_17counting_iteratorImlEEZNS1_24adjacent_difference_implIS3_Lb1ELb0EPfN6thrust23THRUST_200600_302600_NS16discard_iteratorINSD_11use_defaultEEENSD_5minusIfEEEE10hipError_tPvRmT2_T3_mT4_P12ihipStream_tbEUlmE_fEESB_NS0_8identityIvEEEESJ_SM_SN_mSO_SQ_bEUlT_E_NS1_11comp_targetILNS1_3genE10ELNS1_11target_archE1201ELNS1_3gpuE5ELNS1_3repE0EEENS1_30default_config_static_selectorELNS0_4arch9wavefront6targetE1EEEvT1_
    .private_segment_fixed_size: 0
    .sgpr_count:     4
    .sgpr_spill_count: 0
    .symbol:         _ZN7rocprim17ROCPRIM_400000_NS6detail17trampoline_kernelINS0_14default_configENS1_25transform_config_selectorIfLb0EEEZNS1_14transform_implILb0ES3_S5_NS0_18transform_iteratorINS0_17counting_iteratorImlEEZNS1_24adjacent_difference_implIS3_Lb1ELb0EPfN6thrust23THRUST_200600_302600_NS16discard_iteratorINSD_11use_defaultEEENSD_5minusIfEEEE10hipError_tPvRmT2_T3_mT4_P12ihipStream_tbEUlmE_fEESB_NS0_8identityIvEEEESJ_SM_SN_mSO_SQ_bEUlT_E_NS1_11comp_targetILNS1_3genE10ELNS1_11target_archE1201ELNS1_3gpuE5ELNS1_3repE0EEENS1_30default_config_static_selectorELNS0_4arch9wavefront6targetE1EEEvT1_.kd
    .uniform_work_group_size: 1
    .uses_dynamic_stack: false
    .vgpr_count:     0
    .vgpr_spill_count: 0
    .wavefront_size: 64
  - .args:
      - .offset:         0
        .size:           56
        .value_kind:     by_value
    .group_segment_fixed_size: 0
    .kernarg_segment_align: 8
    .kernarg_segment_size: 56
    .language:       OpenCL C
    .language_version:
      - 2
      - 0
    .max_flat_workgroup_size: 512
    .name:           _ZN7rocprim17ROCPRIM_400000_NS6detail17trampoline_kernelINS0_14default_configENS1_25transform_config_selectorIfLb0EEEZNS1_14transform_implILb0ES3_S5_NS0_18transform_iteratorINS0_17counting_iteratorImlEEZNS1_24adjacent_difference_implIS3_Lb1ELb0EPfN6thrust23THRUST_200600_302600_NS16discard_iteratorINSD_11use_defaultEEENSD_5minusIfEEEE10hipError_tPvRmT2_T3_mT4_P12ihipStream_tbEUlmE_fEESB_NS0_8identityIvEEEESJ_SM_SN_mSO_SQ_bEUlT_E_NS1_11comp_targetILNS1_3genE10ELNS1_11target_archE1200ELNS1_3gpuE4ELNS1_3repE0EEENS1_30default_config_static_selectorELNS0_4arch9wavefront6targetE1EEEvT1_
    .private_segment_fixed_size: 0
    .sgpr_count:     4
    .sgpr_spill_count: 0
    .symbol:         _ZN7rocprim17ROCPRIM_400000_NS6detail17trampoline_kernelINS0_14default_configENS1_25transform_config_selectorIfLb0EEEZNS1_14transform_implILb0ES3_S5_NS0_18transform_iteratorINS0_17counting_iteratorImlEEZNS1_24adjacent_difference_implIS3_Lb1ELb0EPfN6thrust23THRUST_200600_302600_NS16discard_iteratorINSD_11use_defaultEEENSD_5minusIfEEEE10hipError_tPvRmT2_T3_mT4_P12ihipStream_tbEUlmE_fEESB_NS0_8identityIvEEEESJ_SM_SN_mSO_SQ_bEUlT_E_NS1_11comp_targetILNS1_3genE10ELNS1_11target_archE1200ELNS1_3gpuE4ELNS1_3repE0EEENS1_30default_config_static_selectorELNS0_4arch9wavefront6targetE1EEEvT1_.kd
    .uniform_work_group_size: 1
    .uses_dynamic_stack: false
    .vgpr_count:     0
    .vgpr_spill_count: 0
    .wavefront_size: 64
  - .args:
      - .offset:         0
        .size:           56
        .value_kind:     by_value
    .group_segment_fixed_size: 0
    .kernarg_segment_align: 8
    .kernarg_segment_size: 56
    .language:       OpenCL C
    .language_version:
      - 2
      - 0
    .max_flat_workgroup_size: 1024
    .name:           _ZN7rocprim17ROCPRIM_400000_NS6detail17trampoline_kernelINS0_14default_configENS1_25transform_config_selectorIfLb0EEEZNS1_14transform_implILb0ES3_S5_NS0_18transform_iteratorINS0_17counting_iteratorImlEEZNS1_24adjacent_difference_implIS3_Lb1ELb0EPfN6thrust23THRUST_200600_302600_NS16discard_iteratorINSD_11use_defaultEEENSD_5minusIfEEEE10hipError_tPvRmT2_T3_mT4_P12ihipStream_tbEUlmE_fEESB_NS0_8identityIvEEEESJ_SM_SN_mSO_SQ_bEUlT_E_NS1_11comp_targetILNS1_3genE9ELNS1_11target_archE1100ELNS1_3gpuE3ELNS1_3repE0EEENS1_30default_config_static_selectorELNS0_4arch9wavefront6targetE1EEEvT1_
    .private_segment_fixed_size: 0
    .sgpr_count:     4
    .sgpr_spill_count: 0
    .symbol:         _ZN7rocprim17ROCPRIM_400000_NS6detail17trampoline_kernelINS0_14default_configENS1_25transform_config_selectorIfLb0EEEZNS1_14transform_implILb0ES3_S5_NS0_18transform_iteratorINS0_17counting_iteratorImlEEZNS1_24adjacent_difference_implIS3_Lb1ELb0EPfN6thrust23THRUST_200600_302600_NS16discard_iteratorINSD_11use_defaultEEENSD_5minusIfEEEE10hipError_tPvRmT2_T3_mT4_P12ihipStream_tbEUlmE_fEESB_NS0_8identityIvEEEESJ_SM_SN_mSO_SQ_bEUlT_E_NS1_11comp_targetILNS1_3genE9ELNS1_11target_archE1100ELNS1_3gpuE3ELNS1_3repE0EEENS1_30default_config_static_selectorELNS0_4arch9wavefront6targetE1EEEvT1_.kd
    .uniform_work_group_size: 1
    .uses_dynamic_stack: false
    .vgpr_count:     0
    .vgpr_spill_count: 0
    .wavefront_size: 64
  - .args:
      - .offset:         0
        .size:           56
        .value_kind:     by_value
    .group_segment_fixed_size: 0
    .kernarg_segment_align: 8
    .kernarg_segment_size: 56
    .language:       OpenCL C
    .language_version:
      - 2
      - 0
    .max_flat_workgroup_size: 256
    .name:           _ZN7rocprim17ROCPRIM_400000_NS6detail17trampoline_kernelINS0_14default_configENS1_25transform_config_selectorIfLb0EEEZNS1_14transform_implILb0ES3_S5_NS0_18transform_iteratorINS0_17counting_iteratorImlEEZNS1_24adjacent_difference_implIS3_Lb1ELb0EPfN6thrust23THRUST_200600_302600_NS16discard_iteratorINSD_11use_defaultEEENSD_5minusIfEEEE10hipError_tPvRmT2_T3_mT4_P12ihipStream_tbEUlmE_fEESB_NS0_8identityIvEEEESJ_SM_SN_mSO_SQ_bEUlT_E_NS1_11comp_targetILNS1_3genE8ELNS1_11target_archE1030ELNS1_3gpuE2ELNS1_3repE0EEENS1_30default_config_static_selectorELNS0_4arch9wavefront6targetE1EEEvT1_
    .private_segment_fixed_size: 0
    .sgpr_count:     4
    .sgpr_spill_count: 0
    .symbol:         _ZN7rocprim17ROCPRIM_400000_NS6detail17trampoline_kernelINS0_14default_configENS1_25transform_config_selectorIfLb0EEEZNS1_14transform_implILb0ES3_S5_NS0_18transform_iteratorINS0_17counting_iteratorImlEEZNS1_24adjacent_difference_implIS3_Lb1ELb0EPfN6thrust23THRUST_200600_302600_NS16discard_iteratorINSD_11use_defaultEEENSD_5minusIfEEEE10hipError_tPvRmT2_T3_mT4_P12ihipStream_tbEUlmE_fEESB_NS0_8identityIvEEEESJ_SM_SN_mSO_SQ_bEUlT_E_NS1_11comp_targetILNS1_3genE8ELNS1_11target_archE1030ELNS1_3gpuE2ELNS1_3repE0EEENS1_30default_config_static_selectorELNS0_4arch9wavefront6targetE1EEEvT1_.kd
    .uniform_work_group_size: 1
    .uses_dynamic_stack: false
    .vgpr_count:     0
    .vgpr_spill_count: 0
    .wavefront_size: 64
  - .args:
      - .offset:         0
        .size:           64
        .value_kind:     by_value
    .group_segment_fixed_size: 0
    .kernarg_segment_align: 8
    .kernarg_segment_size: 64
    .language:       OpenCL C
    .language_version:
      - 2
      - 0
    .max_flat_workgroup_size: 1024
    .name:           _ZN7rocprim17ROCPRIM_400000_NS6detail17trampoline_kernelINS0_14default_configENS1_35adjacent_difference_config_selectorILb1EfEEZNS1_24adjacent_difference_implIS3_Lb1ELb0EPfN6thrust23THRUST_200600_302600_NS16discard_iteratorINS9_11use_defaultEEENS9_5minusIfEEEE10hipError_tPvRmT2_T3_mT4_P12ihipStream_tbEUlT_E_NS1_11comp_targetILNS1_3genE0ELNS1_11target_archE4294967295ELNS1_3gpuE0ELNS1_3repE0EEENS1_30default_config_static_selectorELNS0_4arch9wavefront6targetE1EEEvT1_
    .private_segment_fixed_size: 0
    .sgpr_count:     4
    .sgpr_spill_count: 0
    .symbol:         _ZN7rocprim17ROCPRIM_400000_NS6detail17trampoline_kernelINS0_14default_configENS1_35adjacent_difference_config_selectorILb1EfEEZNS1_24adjacent_difference_implIS3_Lb1ELb0EPfN6thrust23THRUST_200600_302600_NS16discard_iteratorINS9_11use_defaultEEENS9_5minusIfEEEE10hipError_tPvRmT2_T3_mT4_P12ihipStream_tbEUlT_E_NS1_11comp_targetILNS1_3genE0ELNS1_11target_archE4294967295ELNS1_3gpuE0ELNS1_3repE0EEENS1_30default_config_static_selectorELNS0_4arch9wavefront6targetE1EEEvT1_.kd
    .uniform_work_group_size: 1
    .uses_dynamic_stack: false
    .vgpr_count:     0
    .vgpr_spill_count: 0
    .wavefront_size: 64
  - .args:
      - .offset:         0
        .size:           64
        .value_kind:     by_value
    .group_segment_fixed_size: 0
    .kernarg_segment_align: 8
    .kernarg_segment_size: 64
    .language:       OpenCL C
    .language_version:
      - 2
      - 0
    .max_flat_workgroup_size: 128
    .name:           _ZN7rocprim17ROCPRIM_400000_NS6detail17trampoline_kernelINS0_14default_configENS1_35adjacent_difference_config_selectorILb1EfEEZNS1_24adjacent_difference_implIS3_Lb1ELb0EPfN6thrust23THRUST_200600_302600_NS16discard_iteratorINS9_11use_defaultEEENS9_5minusIfEEEE10hipError_tPvRmT2_T3_mT4_P12ihipStream_tbEUlT_E_NS1_11comp_targetILNS1_3genE10ELNS1_11target_archE1201ELNS1_3gpuE5ELNS1_3repE0EEENS1_30default_config_static_selectorELNS0_4arch9wavefront6targetE1EEEvT1_
    .private_segment_fixed_size: 0
    .sgpr_count:     4
    .sgpr_spill_count: 0
    .symbol:         _ZN7rocprim17ROCPRIM_400000_NS6detail17trampoline_kernelINS0_14default_configENS1_35adjacent_difference_config_selectorILb1EfEEZNS1_24adjacent_difference_implIS3_Lb1ELb0EPfN6thrust23THRUST_200600_302600_NS16discard_iteratorINS9_11use_defaultEEENS9_5minusIfEEEE10hipError_tPvRmT2_T3_mT4_P12ihipStream_tbEUlT_E_NS1_11comp_targetILNS1_3genE10ELNS1_11target_archE1201ELNS1_3gpuE5ELNS1_3repE0EEENS1_30default_config_static_selectorELNS0_4arch9wavefront6targetE1EEEvT1_.kd
    .uniform_work_group_size: 1
    .uses_dynamic_stack: false
    .vgpr_count:     0
    .vgpr_spill_count: 0
    .wavefront_size: 64
  - .args:
      - .offset:         0
        .size:           64
        .value_kind:     by_value
    .group_segment_fixed_size: 0
    .kernarg_segment_align: 8
    .kernarg_segment_size: 64
    .language:       OpenCL C
    .language_version:
      - 2
      - 0
    .max_flat_workgroup_size: 256
    .name:           _ZN7rocprim17ROCPRIM_400000_NS6detail17trampoline_kernelINS0_14default_configENS1_35adjacent_difference_config_selectorILb1EfEEZNS1_24adjacent_difference_implIS3_Lb1ELb0EPfN6thrust23THRUST_200600_302600_NS16discard_iteratorINS9_11use_defaultEEENS9_5minusIfEEEE10hipError_tPvRmT2_T3_mT4_P12ihipStream_tbEUlT_E_NS1_11comp_targetILNS1_3genE5ELNS1_11target_archE942ELNS1_3gpuE9ELNS1_3repE0EEENS1_30default_config_static_selectorELNS0_4arch9wavefront6targetE1EEEvT1_
    .private_segment_fixed_size: 0
    .sgpr_count:     4
    .sgpr_spill_count: 0
    .symbol:         _ZN7rocprim17ROCPRIM_400000_NS6detail17trampoline_kernelINS0_14default_configENS1_35adjacent_difference_config_selectorILb1EfEEZNS1_24adjacent_difference_implIS3_Lb1ELb0EPfN6thrust23THRUST_200600_302600_NS16discard_iteratorINS9_11use_defaultEEENS9_5minusIfEEEE10hipError_tPvRmT2_T3_mT4_P12ihipStream_tbEUlT_E_NS1_11comp_targetILNS1_3genE5ELNS1_11target_archE942ELNS1_3gpuE9ELNS1_3repE0EEENS1_30default_config_static_selectorELNS0_4arch9wavefront6targetE1EEEvT1_.kd
    .uniform_work_group_size: 1
    .uses_dynamic_stack: false
    .vgpr_count:     0
    .vgpr_spill_count: 0
    .wavefront_size: 64
  - .args:
      - .offset:         0
        .size:           64
        .value_kind:     by_value
    .group_segment_fixed_size: 0
    .kernarg_segment_align: 8
    .kernarg_segment_size: 64
    .language:       OpenCL C
    .language_version:
      - 2
      - 0
    .max_flat_workgroup_size: 512
    .name:           _ZN7rocprim17ROCPRIM_400000_NS6detail17trampoline_kernelINS0_14default_configENS1_35adjacent_difference_config_selectorILb1EfEEZNS1_24adjacent_difference_implIS3_Lb1ELb0EPfN6thrust23THRUST_200600_302600_NS16discard_iteratorINS9_11use_defaultEEENS9_5minusIfEEEE10hipError_tPvRmT2_T3_mT4_P12ihipStream_tbEUlT_E_NS1_11comp_targetILNS1_3genE4ELNS1_11target_archE910ELNS1_3gpuE8ELNS1_3repE0EEENS1_30default_config_static_selectorELNS0_4arch9wavefront6targetE1EEEvT1_
    .private_segment_fixed_size: 0
    .sgpr_count:     4
    .sgpr_spill_count: 0
    .symbol:         _ZN7rocprim17ROCPRIM_400000_NS6detail17trampoline_kernelINS0_14default_configENS1_35adjacent_difference_config_selectorILb1EfEEZNS1_24adjacent_difference_implIS3_Lb1ELb0EPfN6thrust23THRUST_200600_302600_NS16discard_iteratorINS9_11use_defaultEEENS9_5minusIfEEEE10hipError_tPvRmT2_T3_mT4_P12ihipStream_tbEUlT_E_NS1_11comp_targetILNS1_3genE4ELNS1_11target_archE910ELNS1_3gpuE8ELNS1_3repE0EEENS1_30default_config_static_selectorELNS0_4arch9wavefront6targetE1EEEvT1_.kd
    .uniform_work_group_size: 1
    .uses_dynamic_stack: false
    .vgpr_count:     0
    .vgpr_spill_count: 0
    .wavefront_size: 64
  - .args:
      - .offset:         0
        .size:           64
        .value_kind:     by_value
    .group_segment_fixed_size: 0
    .kernarg_segment_align: 8
    .kernarg_segment_size: 64
    .language:       OpenCL C
    .language_version:
      - 2
      - 0
    .max_flat_workgroup_size: 1024
    .name:           _ZN7rocprim17ROCPRIM_400000_NS6detail17trampoline_kernelINS0_14default_configENS1_35adjacent_difference_config_selectorILb1EfEEZNS1_24adjacent_difference_implIS3_Lb1ELb0EPfN6thrust23THRUST_200600_302600_NS16discard_iteratorINS9_11use_defaultEEENS9_5minusIfEEEE10hipError_tPvRmT2_T3_mT4_P12ihipStream_tbEUlT_E_NS1_11comp_targetILNS1_3genE3ELNS1_11target_archE908ELNS1_3gpuE7ELNS1_3repE0EEENS1_30default_config_static_selectorELNS0_4arch9wavefront6targetE1EEEvT1_
    .private_segment_fixed_size: 0
    .sgpr_count:     4
    .sgpr_spill_count: 0
    .symbol:         _ZN7rocprim17ROCPRIM_400000_NS6detail17trampoline_kernelINS0_14default_configENS1_35adjacent_difference_config_selectorILb1EfEEZNS1_24adjacent_difference_implIS3_Lb1ELb0EPfN6thrust23THRUST_200600_302600_NS16discard_iteratorINS9_11use_defaultEEENS9_5minusIfEEEE10hipError_tPvRmT2_T3_mT4_P12ihipStream_tbEUlT_E_NS1_11comp_targetILNS1_3genE3ELNS1_11target_archE908ELNS1_3gpuE7ELNS1_3repE0EEENS1_30default_config_static_selectorELNS0_4arch9wavefront6targetE1EEEvT1_.kd
    .uniform_work_group_size: 1
    .uses_dynamic_stack: false
    .vgpr_count:     0
    .vgpr_spill_count: 0
    .wavefront_size: 64
  - .args:
      - .offset:         0
        .size:           64
        .value_kind:     by_value
    .group_segment_fixed_size: 11264
    .kernarg_segment_align: 8
    .kernarg_segment_size: 64
    .language:       OpenCL C
    .language_version:
      - 2
      - 0
    .max_flat_workgroup_size: 256
    .name:           _ZN7rocprim17ROCPRIM_400000_NS6detail17trampoline_kernelINS0_14default_configENS1_35adjacent_difference_config_selectorILb1EfEEZNS1_24adjacent_difference_implIS3_Lb1ELb0EPfN6thrust23THRUST_200600_302600_NS16discard_iteratorINS9_11use_defaultEEENS9_5minusIfEEEE10hipError_tPvRmT2_T3_mT4_P12ihipStream_tbEUlT_E_NS1_11comp_targetILNS1_3genE2ELNS1_11target_archE906ELNS1_3gpuE6ELNS1_3repE0EEENS1_30default_config_static_selectorELNS0_4arch9wavefront6targetE1EEEvT1_
    .private_segment_fixed_size: 0
    .sgpr_count:     28
    .sgpr_spill_count: 0
    .symbol:         _ZN7rocprim17ROCPRIM_400000_NS6detail17trampoline_kernelINS0_14default_configENS1_35adjacent_difference_config_selectorILb1EfEEZNS1_24adjacent_difference_implIS3_Lb1ELb0EPfN6thrust23THRUST_200600_302600_NS16discard_iteratorINS9_11use_defaultEEENS9_5minusIfEEEE10hipError_tPvRmT2_T3_mT4_P12ihipStream_tbEUlT_E_NS1_11comp_targetILNS1_3genE2ELNS1_11target_archE906ELNS1_3gpuE6ELNS1_3repE0EEENS1_30default_config_static_selectorELNS0_4arch9wavefront6targetE1EEEvT1_.kd
    .uniform_work_group_size: 1
    .uses_dynamic_stack: false
    .vgpr_count:     26
    .vgpr_spill_count: 0
    .wavefront_size: 64
  - .args:
      - .offset:         0
        .size:           64
        .value_kind:     by_value
    .group_segment_fixed_size: 0
    .kernarg_segment_align: 8
    .kernarg_segment_size: 64
    .language:       OpenCL C
    .language_version:
      - 2
      - 0
    .max_flat_workgroup_size: 128
    .name:           _ZN7rocprim17ROCPRIM_400000_NS6detail17trampoline_kernelINS0_14default_configENS1_35adjacent_difference_config_selectorILb1EfEEZNS1_24adjacent_difference_implIS3_Lb1ELb0EPfN6thrust23THRUST_200600_302600_NS16discard_iteratorINS9_11use_defaultEEENS9_5minusIfEEEE10hipError_tPvRmT2_T3_mT4_P12ihipStream_tbEUlT_E_NS1_11comp_targetILNS1_3genE9ELNS1_11target_archE1100ELNS1_3gpuE3ELNS1_3repE0EEENS1_30default_config_static_selectorELNS0_4arch9wavefront6targetE1EEEvT1_
    .private_segment_fixed_size: 0
    .sgpr_count:     4
    .sgpr_spill_count: 0
    .symbol:         _ZN7rocprim17ROCPRIM_400000_NS6detail17trampoline_kernelINS0_14default_configENS1_35adjacent_difference_config_selectorILb1EfEEZNS1_24adjacent_difference_implIS3_Lb1ELb0EPfN6thrust23THRUST_200600_302600_NS16discard_iteratorINS9_11use_defaultEEENS9_5minusIfEEEE10hipError_tPvRmT2_T3_mT4_P12ihipStream_tbEUlT_E_NS1_11comp_targetILNS1_3genE9ELNS1_11target_archE1100ELNS1_3gpuE3ELNS1_3repE0EEENS1_30default_config_static_selectorELNS0_4arch9wavefront6targetE1EEEvT1_.kd
    .uniform_work_group_size: 1
    .uses_dynamic_stack: false
    .vgpr_count:     0
    .vgpr_spill_count: 0
    .wavefront_size: 64
  - .args:
      - .offset:         0
        .size:           64
        .value_kind:     by_value
    .group_segment_fixed_size: 0
    .kernarg_segment_align: 8
    .kernarg_segment_size: 64
    .language:       OpenCL C
    .language_version:
      - 2
      - 0
    .max_flat_workgroup_size: 32
    .name:           _ZN7rocprim17ROCPRIM_400000_NS6detail17trampoline_kernelINS0_14default_configENS1_35adjacent_difference_config_selectorILb1EfEEZNS1_24adjacent_difference_implIS3_Lb1ELb0EPfN6thrust23THRUST_200600_302600_NS16discard_iteratorINS9_11use_defaultEEENS9_5minusIfEEEE10hipError_tPvRmT2_T3_mT4_P12ihipStream_tbEUlT_E_NS1_11comp_targetILNS1_3genE8ELNS1_11target_archE1030ELNS1_3gpuE2ELNS1_3repE0EEENS1_30default_config_static_selectorELNS0_4arch9wavefront6targetE1EEEvT1_
    .private_segment_fixed_size: 0
    .sgpr_count:     4
    .sgpr_spill_count: 0
    .symbol:         _ZN7rocprim17ROCPRIM_400000_NS6detail17trampoline_kernelINS0_14default_configENS1_35adjacent_difference_config_selectorILb1EfEEZNS1_24adjacent_difference_implIS3_Lb1ELb0EPfN6thrust23THRUST_200600_302600_NS16discard_iteratorINS9_11use_defaultEEENS9_5minusIfEEEE10hipError_tPvRmT2_T3_mT4_P12ihipStream_tbEUlT_E_NS1_11comp_targetILNS1_3genE8ELNS1_11target_archE1030ELNS1_3gpuE2ELNS1_3repE0EEENS1_30default_config_static_selectorELNS0_4arch9wavefront6targetE1EEEvT1_.kd
    .uniform_work_group_size: 1
    .uses_dynamic_stack: false
    .vgpr_count:     0
    .vgpr_spill_count: 0
    .wavefront_size: 64
  - .args:
      - .offset:         0
        .size:           56
        .value_kind:     by_value
    .group_segment_fixed_size: 0
    .kernarg_segment_align: 8
    .kernarg_segment_size: 56
    .language:       OpenCL C
    .language_version:
      - 2
      - 0
    .max_flat_workgroup_size: 128
    .name:           _ZN7rocprim17ROCPRIM_400000_NS6detail17trampoline_kernelINS0_14default_configENS1_25transform_config_selectorIyLb0EEEZNS1_14transform_implILb0ES3_S5_NS0_18transform_iteratorINS0_17counting_iteratorImlEEZNS1_24adjacent_difference_implIS3_Lb1ELb0EPyN6thrust23THRUST_200600_302600_NS16discard_iteratorINSD_11use_defaultEEENSD_5minusIyEEEE10hipError_tPvRmT2_T3_mT4_P12ihipStream_tbEUlmE_yEESB_NS0_8identityIvEEEESJ_SM_SN_mSO_SQ_bEUlT_E_NS1_11comp_targetILNS1_3genE0ELNS1_11target_archE4294967295ELNS1_3gpuE0ELNS1_3repE0EEENS1_30default_config_static_selectorELNS0_4arch9wavefront6targetE1EEEvT1_
    .private_segment_fixed_size: 0
    .sgpr_count:     4
    .sgpr_spill_count: 0
    .symbol:         _ZN7rocprim17ROCPRIM_400000_NS6detail17trampoline_kernelINS0_14default_configENS1_25transform_config_selectorIyLb0EEEZNS1_14transform_implILb0ES3_S5_NS0_18transform_iteratorINS0_17counting_iteratorImlEEZNS1_24adjacent_difference_implIS3_Lb1ELb0EPyN6thrust23THRUST_200600_302600_NS16discard_iteratorINSD_11use_defaultEEENSD_5minusIyEEEE10hipError_tPvRmT2_T3_mT4_P12ihipStream_tbEUlmE_yEESB_NS0_8identityIvEEEESJ_SM_SN_mSO_SQ_bEUlT_E_NS1_11comp_targetILNS1_3genE0ELNS1_11target_archE4294967295ELNS1_3gpuE0ELNS1_3repE0EEENS1_30default_config_static_selectorELNS0_4arch9wavefront6targetE1EEEvT1_.kd
    .uniform_work_group_size: 1
    .uses_dynamic_stack: false
    .vgpr_count:     0
    .vgpr_spill_count: 0
    .wavefront_size: 64
  - .args:
      - .offset:         0
        .size:           56
        .value_kind:     by_value
    .group_segment_fixed_size: 0
    .kernarg_segment_align: 8
    .kernarg_segment_size: 56
    .language:       OpenCL C
    .language_version:
      - 2
      - 0
    .max_flat_workgroup_size: 512
    .name:           _ZN7rocprim17ROCPRIM_400000_NS6detail17trampoline_kernelINS0_14default_configENS1_25transform_config_selectorIyLb0EEEZNS1_14transform_implILb0ES3_S5_NS0_18transform_iteratorINS0_17counting_iteratorImlEEZNS1_24adjacent_difference_implIS3_Lb1ELb0EPyN6thrust23THRUST_200600_302600_NS16discard_iteratorINSD_11use_defaultEEENSD_5minusIyEEEE10hipError_tPvRmT2_T3_mT4_P12ihipStream_tbEUlmE_yEESB_NS0_8identityIvEEEESJ_SM_SN_mSO_SQ_bEUlT_E_NS1_11comp_targetILNS1_3genE5ELNS1_11target_archE942ELNS1_3gpuE9ELNS1_3repE0EEENS1_30default_config_static_selectorELNS0_4arch9wavefront6targetE1EEEvT1_
    .private_segment_fixed_size: 0
    .sgpr_count:     4
    .sgpr_spill_count: 0
    .symbol:         _ZN7rocprim17ROCPRIM_400000_NS6detail17trampoline_kernelINS0_14default_configENS1_25transform_config_selectorIyLb0EEEZNS1_14transform_implILb0ES3_S5_NS0_18transform_iteratorINS0_17counting_iteratorImlEEZNS1_24adjacent_difference_implIS3_Lb1ELb0EPyN6thrust23THRUST_200600_302600_NS16discard_iteratorINSD_11use_defaultEEENSD_5minusIyEEEE10hipError_tPvRmT2_T3_mT4_P12ihipStream_tbEUlmE_yEESB_NS0_8identityIvEEEESJ_SM_SN_mSO_SQ_bEUlT_E_NS1_11comp_targetILNS1_3genE5ELNS1_11target_archE942ELNS1_3gpuE9ELNS1_3repE0EEENS1_30default_config_static_selectorELNS0_4arch9wavefront6targetE1EEEvT1_.kd
    .uniform_work_group_size: 1
    .uses_dynamic_stack: false
    .vgpr_count:     0
    .vgpr_spill_count: 0
    .wavefront_size: 64
  - .args:
      - .offset:         0
        .size:           56
        .value_kind:     by_value
    .group_segment_fixed_size: 0
    .kernarg_segment_align: 8
    .kernarg_segment_size: 56
    .language:       OpenCL C
    .language_version:
      - 2
      - 0
    .max_flat_workgroup_size: 256
    .name:           _ZN7rocprim17ROCPRIM_400000_NS6detail17trampoline_kernelINS0_14default_configENS1_25transform_config_selectorIyLb0EEEZNS1_14transform_implILb0ES3_S5_NS0_18transform_iteratorINS0_17counting_iteratorImlEEZNS1_24adjacent_difference_implIS3_Lb1ELb0EPyN6thrust23THRUST_200600_302600_NS16discard_iteratorINSD_11use_defaultEEENSD_5minusIyEEEE10hipError_tPvRmT2_T3_mT4_P12ihipStream_tbEUlmE_yEESB_NS0_8identityIvEEEESJ_SM_SN_mSO_SQ_bEUlT_E_NS1_11comp_targetILNS1_3genE4ELNS1_11target_archE910ELNS1_3gpuE8ELNS1_3repE0EEENS1_30default_config_static_selectorELNS0_4arch9wavefront6targetE1EEEvT1_
    .private_segment_fixed_size: 0
    .sgpr_count:     4
    .sgpr_spill_count: 0
    .symbol:         _ZN7rocprim17ROCPRIM_400000_NS6detail17trampoline_kernelINS0_14default_configENS1_25transform_config_selectorIyLb0EEEZNS1_14transform_implILb0ES3_S5_NS0_18transform_iteratorINS0_17counting_iteratorImlEEZNS1_24adjacent_difference_implIS3_Lb1ELb0EPyN6thrust23THRUST_200600_302600_NS16discard_iteratorINSD_11use_defaultEEENSD_5minusIyEEEE10hipError_tPvRmT2_T3_mT4_P12ihipStream_tbEUlmE_yEESB_NS0_8identityIvEEEESJ_SM_SN_mSO_SQ_bEUlT_E_NS1_11comp_targetILNS1_3genE4ELNS1_11target_archE910ELNS1_3gpuE8ELNS1_3repE0EEENS1_30default_config_static_selectorELNS0_4arch9wavefront6targetE1EEEvT1_.kd
    .uniform_work_group_size: 1
    .uses_dynamic_stack: false
    .vgpr_count:     0
    .vgpr_spill_count: 0
    .wavefront_size: 64
  - .args:
      - .offset:         0
        .size:           56
        .value_kind:     by_value
    .group_segment_fixed_size: 0
    .kernarg_segment_align: 8
    .kernarg_segment_size: 56
    .language:       OpenCL C
    .language_version:
      - 2
      - 0
    .max_flat_workgroup_size: 128
    .name:           _ZN7rocprim17ROCPRIM_400000_NS6detail17trampoline_kernelINS0_14default_configENS1_25transform_config_selectorIyLb0EEEZNS1_14transform_implILb0ES3_S5_NS0_18transform_iteratorINS0_17counting_iteratorImlEEZNS1_24adjacent_difference_implIS3_Lb1ELb0EPyN6thrust23THRUST_200600_302600_NS16discard_iteratorINSD_11use_defaultEEENSD_5minusIyEEEE10hipError_tPvRmT2_T3_mT4_P12ihipStream_tbEUlmE_yEESB_NS0_8identityIvEEEESJ_SM_SN_mSO_SQ_bEUlT_E_NS1_11comp_targetILNS1_3genE3ELNS1_11target_archE908ELNS1_3gpuE7ELNS1_3repE0EEENS1_30default_config_static_selectorELNS0_4arch9wavefront6targetE1EEEvT1_
    .private_segment_fixed_size: 0
    .sgpr_count:     4
    .sgpr_spill_count: 0
    .symbol:         _ZN7rocprim17ROCPRIM_400000_NS6detail17trampoline_kernelINS0_14default_configENS1_25transform_config_selectorIyLb0EEEZNS1_14transform_implILb0ES3_S5_NS0_18transform_iteratorINS0_17counting_iteratorImlEEZNS1_24adjacent_difference_implIS3_Lb1ELb0EPyN6thrust23THRUST_200600_302600_NS16discard_iteratorINSD_11use_defaultEEENSD_5minusIyEEEE10hipError_tPvRmT2_T3_mT4_P12ihipStream_tbEUlmE_yEESB_NS0_8identityIvEEEESJ_SM_SN_mSO_SQ_bEUlT_E_NS1_11comp_targetILNS1_3genE3ELNS1_11target_archE908ELNS1_3gpuE7ELNS1_3repE0EEENS1_30default_config_static_selectorELNS0_4arch9wavefront6targetE1EEEvT1_.kd
    .uniform_work_group_size: 1
    .uses_dynamic_stack: false
    .vgpr_count:     0
    .vgpr_spill_count: 0
    .wavefront_size: 64
  - .args:
      - .offset:         0
        .size:           56
        .value_kind:     by_value
      - .offset:         56
        .size:           4
        .value_kind:     hidden_block_count_x
      - .offset:         60
        .size:           4
        .value_kind:     hidden_block_count_y
      - .offset:         64
        .size:           4
        .value_kind:     hidden_block_count_z
      - .offset:         68
        .size:           2
        .value_kind:     hidden_group_size_x
      - .offset:         70
        .size:           2
        .value_kind:     hidden_group_size_y
      - .offset:         72
        .size:           2
        .value_kind:     hidden_group_size_z
      - .offset:         74
        .size:           2
        .value_kind:     hidden_remainder_x
      - .offset:         76
        .size:           2
        .value_kind:     hidden_remainder_y
      - .offset:         78
        .size:           2
        .value_kind:     hidden_remainder_z
      - .offset:         96
        .size:           8
        .value_kind:     hidden_global_offset_x
      - .offset:         104
        .size:           8
        .value_kind:     hidden_global_offset_y
      - .offset:         112
        .size:           8
        .value_kind:     hidden_global_offset_z
      - .offset:         120
        .size:           2
        .value_kind:     hidden_grid_dims
    .group_segment_fixed_size: 0
    .kernarg_segment_align: 8
    .kernarg_segment_size: 312
    .language:       OpenCL C
    .language_version:
      - 2
      - 0
    .max_flat_workgroup_size: 512
    .name:           _ZN7rocprim17ROCPRIM_400000_NS6detail17trampoline_kernelINS0_14default_configENS1_25transform_config_selectorIyLb0EEEZNS1_14transform_implILb0ES3_S5_NS0_18transform_iteratorINS0_17counting_iteratorImlEEZNS1_24adjacent_difference_implIS3_Lb1ELb0EPyN6thrust23THRUST_200600_302600_NS16discard_iteratorINSD_11use_defaultEEENSD_5minusIyEEEE10hipError_tPvRmT2_T3_mT4_P12ihipStream_tbEUlmE_yEESB_NS0_8identityIvEEEESJ_SM_SN_mSO_SQ_bEUlT_E_NS1_11comp_targetILNS1_3genE2ELNS1_11target_archE906ELNS1_3gpuE6ELNS1_3repE0EEENS1_30default_config_static_selectorELNS0_4arch9wavefront6targetE1EEEvT1_
    .private_segment_fixed_size: 0
    .sgpr_count:     16
    .sgpr_spill_count: 0
    .symbol:         _ZN7rocprim17ROCPRIM_400000_NS6detail17trampoline_kernelINS0_14default_configENS1_25transform_config_selectorIyLb0EEEZNS1_14transform_implILb0ES3_S5_NS0_18transform_iteratorINS0_17counting_iteratorImlEEZNS1_24adjacent_difference_implIS3_Lb1ELb0EPyN6thrust23THRUST_200600_302600_NS16discard_iteratorINSD_11use_defaultEEENSD_5minusIyEEEE10hipError_tPvRmT2_T3_mT4_P12ihipStream_tbEUlmE_yEESB_NS0_8identityIvEEEESJ_SM_SN_mSO_SQ_bEUlT_E_NS1_11comp_targetILNS1_3genE2ELNS1_11target_archE906ELNS1_3gpuE6ELNS1_3repE0EEENS1_30default_config_static_selectorELNS0_4arch9wavefront6targetE1EEEvT1_.kd
    .uniform_work_group_size: 1
    .uses_dynamic_stack: false
    .vgpr_count:     5
    .vgpr_spill_count: 0
    .wavefront_size: 64
  - .args:
      - .offset:         0
        .size:           56
        .value_kind:     by_value
    .group_segment_fixed_size: 0
    .kernarg_segment_align: 8
    .kernarg_segment_size: 56
    .language:       OpenCL C
    .language_version:
      - 2
      - 0
    .max_flat_workgroup_size: 1024
    .name:           _ZN7rocprim17ROCPRIM_400000_NS6detail17trampoline_kernelINS0_14default_configENS1_25transform_config_selectorIyLb0EEEZNS1_14transform_implILb0ES3_S5_NS0_18transform_iteratorINS0_17counting_iteratorImlEEZNS1_24adjacent_difference_implIS3_Lb1ELb0EPyN6thrust23THRUST_200600_302600_NS16discard_iteratorINSD_11use_defaultEEENSD_5minusIyEEEE10hipError_tPvRmT2_T3_mT4_P12ihipStream_tbEUlmE_yEESB_NS0_8identityIvEEEESJ_SM_SN_mSO_SQ_bEUlT_E_NS1_11comp_targetILNS1_3genE10ELNS1_11target_archE1201ELNS1_3gpuE5ELNS1_3repE0EEENS1_30default_config_static_selectorELNS0_4arch9wavefront6targetE1EEEvT1_
    .private_segment_fixed_size: 0
    .sgpr_count:     4
    .sgpr_spill_count: 0
    .symbol:         _ZN7rocprim17ROCPRIM_400000_NS6detail17trampoline_kernelINS0_14default_configENS1_25transform_config_selectorIyLb0EEEZNS1_14transform_implILb0ES3_S5_NS0_18transform_iteratorINS0_17counting_iteratorImlEEZNS1_24adjacent_difference_implIS3_Lb1ELb0EPyN6thrust23THRUST_200600_302600_NS16discard_iteratorINSD_11use_defaultEEENSD_5minusIyEEEE10hipError_tPvRmT2_T3_mT4_P12ihipStream_tbEUlmE_yEESB_NS0_8identityIvEEEESJ_SM_SN_mSO_SQ_bEUlT_E_NS1_11comp_targetILNS1_3genE10ELNS1_11target_archE1201ELNS1_3gpuE5ELNS1_3repE0EEENS1_30default_config_static_selectorELNS0_4arch9wavefront6targetE1EEEvT1_.kd
    .uniform_work_group_size: 1
    .uses_dynamic_stack: false
    .vgpr_count:     0
    .vgpr_spill_count: 0
    .wavefront_size: 64
  - .args:
      - .offset:         0
        .size:           56
        .value_kind:     by_value
    .group_segment_fixed_size: 0
    .kernarg_segment_align: 8
    .kernarg_segment_size: 56
    .language:       OpenCL C
    .language_version:
      - 2
      - 0
    .max_flat_workgroup_size: 512
    .name:           _ZN7rocprim17ROCPRIM_400000_NS6detail17trampoline_kernelINS0_14default_configENS1_25transform_config_selectorIyLb0EEEZNS1_14transform_implILb0ES3_S5_NS0_18transform_iteratorINS0_17counting_iteratorImlEEZNS1_24adjacent_difference_implIS3_Lb1ELb0EPyN6thrust23THRUST_200600_302600_NS16discard_iteratorINSD_11use_defaultEEENSD_5minusIyEEEE10hipError_tPvRmT2_T3_mT4_P12ihipStream_tbEUlmE_yEESB_NS0_8identityIvEEEESJ_SM_SN_mSO_SQ_bEUlT_E_NS1_11comp_targetILNS1_3genE10ELNS1_11target_archE1200ELNS1_3gpuE4ELNS1_3repE0EEENS1_30default_config_static_selectorELNS0_4arch9wavefront6targetE1EEEvT1_
    .private_segment_fixed_size: 0
    .sgpr_count:     4
    .sgpr_spill_count: 0
    .symbol:         _ZN7rocprim17ROCPRIM_400000_NS6detail17trampoline_kernelINS0_14default_configENS1_25transform_config_selectorIyLb0EEEZNS1_14transform_implILb0ES3_S5_NS0_18transform_iteratorINS0_17counting_iteratorImlEEZNS1_24adjacent_difference_implIS3_Lb1ELb0EPyN6thrust23THRUST_200600_302600_NS16discard_iteratorINSD_11use_defaultEEENSD_5minusIyEEEE10hipError_tPvRmT2_T3_mT4_P12ihipStream_tbEUlmE_yEESB_NS0_8identityIvEEEESJ_SM_SN_mSO_SQ_bEUlT_E_NS1_11comp_targetILNS1_3genE10ELNS1_11target_archE1200ELNS1_3gpuE4ELNS1_3repE0EEENS1_30default_config_static_selectorELNS0_4arch9wavefront6targetE1EEEvT1_.kd
    .uniform_work_group_size: 1
    .uses_dynamic_stack: false
    .vgpr_count:     0
    .vgpr_spill_count: 0
    .wavefront_size: 64
  - .args:
      - .offset:         0
        .size:           56
        .value_kind:     by_value
    .group_segment_fixed_size: 0
    .kernarg_segment_align: 8
    .kernarg_segment_size: 56
    .language:       OpenCL C
    .language_version:
      - 2
      - 0
    .max_flat_workgroup_size: 512
    .name:           _ZN7rocprim17ROCPRIM_400000_NS6detail17trampoline_kernelINS0_14default_configENS1_25transform_config_selectorIyLb0EEEZNS1_14transform_implILb0ES3_S5_NS0_18transform_iteratorINS0_17counting_iteratorImlEEZNS1_24adjacent_difference_implIS3_Lb1ELb0EPyN6thrust23THRUST_200600_302600_NS16discard_iteratorINSD_11use_defaultEEENSD_5minusIyEEEE10hipError_tPvRmT2_T3_mT4_P12ihipStream_tbEUlmE_yEESB_NS0_8identityIvEEEESJ_SM_SN_mSO_SQ_bEUlT_E_NS1_11comp_targetILNS1_3genE9ELNS1_11target_archE1100ELNS1_3gpuE3ELNS1_3repE0EEENS1_30default_config_static_selectorELNS0_4arch9wavefront6targetE1EEEvT1_
    .private_segment_fixed_size: 0
    .sgpr_count:     4
    .sgpr_spill_count: 0
    .symbol:         _ZN7rocprim17ROCPRIM_400000_NS6detail17trampoline_kernelINS0_14default_configENS1_25transform_config_selectorIyLb0EEEZNS1_14transform_implILb0ES3_S5_NS0_18transform_iteratorINS0_17counting_iteratorImlEEZNS1_24adjacent_difference_implIS3_Lb1ELb0EPyN6thrust23THRUST_200600_302600_NS16discard_iteratorINSD_11use_defaultEEENSD_5minusIyEEEE10hipError_tPvRmT2_T3_mT4_P12ihipStream_tbEUlmE_yEESB_NS0_8identityIvEEEESJ_SM_SN_mSO_SQ_bEUlT_E_NS1_11comp_targetILNS1_3genE9ELNS1_11target_archE1100ELNS1_3gpuE3ELNS1_3repE0EEENS1_30default_config_static_selectorELNS0_4arch9wavefront6targetE1EEEvT1_.kd
    .uniform_work_group_size: 1
    .uses_dynamic_stack: false
    .vgpr_count:     0
    .vgpr_spill_count: 0
    .wavefront_size: 64
  - .args:
      - .offset:         0
        .size:           56
        .value_kind:     by_value
    .group_segment_fixed_size: 0
    .kernarg_segment_align: 8
    .kernarg_segment_size: 56
    .language:       OpenCL C
    .language_version:
      - 2
      - 0
    .max_flat_workgroup_size: 512
    .name:           _ZN7rocprim17ROCPRIM_400000_NS6detail17trampoline_kernelINS0_14default_configENS1_25transform_config_selectorIyLb0EEEZNS1_14transform_implILb0ES3_S5_NS0_18transform_iteratorINS0_17counting_iteratorImlEEZNS1_24adjacent_difference_implIS3_Lb1ELb0EPyN6thrust23THRUST_200600_302600_NS16discard_iteratorINSD_11use_defaultEEENSD_5minusIyEEEE10hipError_tPvRmT2_T3_mT4_P12ihipStream_tbEUlmE_yEESB_NS0_8identityIvEEEESJ_SM_SN_mSO_SQ_bEUlT_E_NS1_11comp_targetILNS1_3genE8ELNS1_11target_archE1030ELNS1_3gpuE2ELNS1_3repE0EEENS1_30default_config_static_selectorELNS0_4arch9wavefront6targetE1EEEvT1_
    .private_segment_fixed_size: 0
    .sgpr_count:     4
    .sgpr_spill_count: 0
    .symbol:         _ZN7rocprim17ROCPRIM_400000_NS6detail17trampoline_kernelINS0_14default_configENS1_25transform_config_selectorIyLb0EEEZNS1_14transform_implILb0ES3_S5_NS0_18transform_iteratorINS0_17counting_iteratorImlEEZNS1_24adjacent_difference_implIS3_Lb1ELb0EPyN6thrust23THRUST_200600_302600_NS16discard_iteratorINSD_11use_defaultEEENSD_5minusIyEEEE10hipError_tPvRmT2_T3_mT4_P12ihipStream_tbEUlmE_yEESB_NS0_8identityIvEEEESJ_SM_SN_mSO_SQ_bEUlT_E_NS1_11comp_targetILNS1_3genE8ELNS1_11target_archE1030ELNS1_3gpuE2ELNS1_3repE0EEENS1_30default_config_static_selectorELNS0_4arch9wavefront6targetE1EEEvT1_.kd
    .uniform_work_group_size: 1
    .uses_dynamic_stack: false
    .vgpr_count:     0
    .vgpr_spill_count: 0
    .wavefront_size: 64
  - .args:
      - .offset:         0
        .size:           64
        .value_kind:     by_value
    .group_segment_fixed_size: 0
    .kernarg_segment_align: 8
    .kernarg_segment_size: 64
    .language:       OpenCL C
    .language_version:
      - 2
      - 0
    .max_flat_workgroup_size: 512
    .name:           _ZN7rocprim17ROCPRIM_400000_NS6detail17trampoline_kernelINS0_14default_configENS1_35adjacent_difference_config_selectorILb1EyEEZNS1_24adjacent_difference_implIS3_Lb1ELb0EPyN6thrust23THRUST_200600_302600_NS16discard_iteratorINS9_11use_defaultEEENS9_5minusIyEEEE10hipError_tPvRmT2_T3_mT4_P12ihipStream_tbEUlT_E_NS1_11comp_targetILNS1_3genE0ELNS1_11target_archE4294967295ELNS1_3gpuE0ELNS1_3repE0EEENS1_30default_config_static_selectorELNS0_4arch9wavefront6targetE1EEEvT1_
    .private_segment_fixed_size: 0
    .sgpr_count:     4
    .sgpr_spill_count: 0
    .symbol:         _ZN7rocprim17ROCPRIM_400000_NS6detail17trampoline_kernelINS0_14default_configENS1_35adjacent_difference_config_selectorILb1EyEEZNS1_24adjacent_difference_implIS3_Lb1ELb0EPyN6thrust23THRUST_200600_302600_NS16discard_iteratorINS9_11use_defaultEEENS9_5minusIyEEEE10hipError_tPvRmT2_T3_mT4_P12ihipStream_tbEUlT_E_NS1_11comp_targetILNS1_3genE0ELNS1_11target_archE4294967295ELNS1_3gpuE0ELNS1_3repE0EEENS1_30default_config_static_selectorELNS0_4arch9wavefront6targetE1EEEvT1_.kd
    .uniform_work_group_size: 1
    .uses_dynamic_stack: false
    .vgpr_count:     0
    .vgpr_spill_count: 0
    .wavefront_size: 64
  - .args:
      - .offset:         0
        .size:           64
        .value_kind:     by_value
    .group_segment_fixed_size: 0
    .kernarg_segment_align: 8
    .kernarg_segment_size: 64
    .language:       OpenCL C
    .language_version:
      - 2
      - 0
    .max_flat_workgroup_size: 32
    .name:           _ZN7rocprim17ROCPRIM_400000_NS6detail17trampoline_kernelINS0_14default_configENS1_35adjacent_difference_config_selectorILb1EyEEZNS1_24adjacent_difference_implIS3_Lb1ELb0EPyN6thrust23THRUST_200600_302600_NS16discard_iteratorINS9_11use_defaultEEENS9_5minusIyEEEE10hipError_tPvRmT2_T3_mT4_P12ihipStream_tbEUlT_E_NS1_11comp_targetILNS1_3genE10ELNS1_11target_archE1201ELNS1_3gpuE5ELNS1_3repE0EEENS1_30default_config_static_selectorELNS0_4arch9wavefront6targetE1EEEvT1_
    .private_segment_fixed_size: 0
    .sgpr_count:     4
    .sgpr_spill_count: 0
    .symbol:         _ZN7rocprim17ROCPRIM_400000_NS6detail17trampoline_kernelINS0_14default_configENS1_35adjacent_difference_config_selectorILb1EyEEZNS1_24adjacent_difference_implIS3_Lb1ELb0EPyN6thrust23THRUST_200600_302600_NS16discard_iteratorINS9_11use_defaultEEENS9_5minusIyEEEE10hipError_tPvRmT2_T3_mT4_P12ihipStream_tbEUlT_E_NS1_11comp_targetILNS1_3genE10ELNS1_11target_archE1201ELNS1_3gpuE5ELNS1_3repE0EEENS1_30default_config_static_selectorELNS0_4arch9wavefront6targetE1EEEvT1_.kd
    .uniform_work_group_size: 1
    .uses_dynamic_stack: false
    .vgpr_count:     0
    .vgpr_spill_count: 0
    .wavefront_size: 64
  - .args:
      - .offset:         0
        .size:           64
        .value_kind:     by_value
    .group_segment_fixed_size: 0
    .kernarg_segment_align: 8
    .kernarg_segment_size: 64
    .language:       OpenCL C
    .language_version:
      - 2
      - 0
    .max_flat_workgroup_size: 256
    .name:           _ZN7rocprim17ROCPRIM_400000_NS6detail17trampoline_kernelINS0_14default_configENS1_35adjacent_difference_config_selectorILb1EyEEZNS1_24adjacent_difference_implIS3_Lb1ELb0EPyN6thrust23THRUST_200600_302600_NS16discard_iteratorINS9_11use_defaultEEENS9_5minusIyEEEE10hipError_tPvRmT2_T3_mT4_P12ihipStream_tbEUlT_E_NS1_11comp_targetILNS1_3genE5ELNS1_11target_archE942ELNS1_3gpuE9ELNS1_3repE0EEENS1_30default_config_static_selectorELNS0_4arch9wavefront6targetE1EEEvT1_
    .private_segment_fixed_size: 0
    .sgpr_count:     4
    .sgpr_spill_count: 0
    .symbol:         _ZN7rocprim17ROCPRIM_400000_NS6detail17trampoline_kernelINS0_14default_configENS1_35adjacent_difference_config_selectorILb1EyEEZNS1_24adjacent_difference_implIS3_Lb1ELb0EPyN6thrust23THRUST_200600_302600_NS16discard_iteratorINS9_11use_defaultEEENS9_5minusIyEEEE10hipError_tPvRmT2_T3_mT4_P12ihipStream_tbEUlT_E_NS1_11comp_targetILNS1_3genE5ELNS1_11target_archE942ELNS1_3gpuE9ELNS1_3repE0EEENS1_30default_config_static_selectorELNS0_4arch9wavefront6targetE1EEEvT1_.kd
    .uniform_work_group_size: 1
    .uses_dynamic_stack: false
    .vgpr_count:     0
    .vgpr_spill_count: 0
    .wavefront_size: 64
  - .args:
      - .offset:         0
        .size:           64
        .value_kind:     by_value
    .group_segment_fixed_size: 0
    .kernarg_segment_align: 8
    .kernarg_segment_size: 64
    .language:       OpenCL C
    .language_version:
      - 2
      - 0
    .max_flat_workgroup_size: 512
    .name:           _ZN7rocprim17ROCPRIM_400000_NS6detail17trampoline_kernelINS0_14default_configENS1_35adjacent_difference_config_selectorILb1EyEEZNS1_24adjacent_difference_implIS3_Lb1ELb0EPyN6thrust23THRUST_200600_302600_NS16discard_iteratorINS9_11use_defaultEEENS9_5minusIyEEEE10hipError_tPvRmT2_T3_mT4_P12ihipStream_tbEUlT_E_NS1_11comp_targetILNS1_3genE4ELNS1_11target_archE910ELNS1_3gpuE8ELNS1_3repE0EEENS1_30default_config_static_selectorELNS0_4arch9wavefront6targetE1EEEvT1_
    .private_segment_fixed_size: 0
    .sgpr_count:     4
    .sgpr_spill_count: 0
    .symbol:         _ZN7rocprim17ROCPRIM_400000_NS6detail17trampoline_kernelINS0_14default_configENS1_35adjacent_difference_config_selectorILb1EyEEZNS1_24adjacent_difference_implIS3_Lb1ELb0EPyN6thrust23THRUST_200600_302600_NS16discard_iteratorINS9_11use_defaultEEENS9_5minusIyEEEE10hipError_tPvRmT2_T3_mT4_P12ihipStream_tbEUlT_E_NS1_11comp_targetILNS1_3genE4ELNS1_11target_archE910ELNS1_3gpuE8ELNS1_3repE0EEENS1_30default_config_static_selectorELNS0_4arch9wavefront6targetE1EEEvT1_.kd
    .uniform_work_group_size: 1
    .uses_dynamic_stack: false
    .vgpr_count:     0
    .vgpr_spill_count: 0
    .wavefront_size: 64
  - .args:
      - .offset:         0
        .size:           64
        .value_kind:     by_value
    .group_segment_fixed_size: 0
    .kernarg_segment_align: 8
    .kernarg_segment_size: 64
    .language:       OpenCL C
    .language_version:
      - 2
      - 0
    .max_flat_workgroup_size: 512
    .name:           _ZN7rocprim17ROCPRIM_400000_NS6detail17trampoline_kernelINS0_14default_configENS1_35adjacent_difference_config_selectorILb1EyEEZNS1_24adjacent_difference_implIS3_Lb1ELb0EPyN6thrust23THRUST_200600_302600_NS16discard_iteratorINS9_11use_defaultEEENS9_5minusIyEEEE10hipError_tPvRmT2_T3_mT4_P12ihipStream_tbEUlT_E_NS1_11comp_targetILNS1_3genE3ELNS1_11target_archE908ELNS1_3gpuE7ELNS1_3repE0EEENS1_30default_config_static_selectorELNS0_4arch9wavefront6targetE1EEEvT1_
    .private_segment_fixed_size: 0
    .sgpr_count:     4
    .sgpr_spill_count: 0
    .symbol:         _ZN7rocprim17ROCPRIM_400000_NS6detail17trampoline_kernelINS0_14default_configENS1_35adjacent_difference_config_selectorILb1EyEEZNS1_24adjacent_difference_implIS3_Lb1ELb0EPyN6thrust23THRUST_200600_302600_NS16discard_iteratorINS9_11use_defaultEEENS9_5minusIyEEEE10hipError_tPvRmT2_T3_mT4_P12ihipStream_tbEUlT_E_NS1_11comp_targetILNS1_3genE3ELNS1_11target_archE908ELNS1_3gpuE7ELNS1_3repE0EEENS1_30default_config_static_selectorELNS0_4arch9wavefront6targetE1EEEvT1_.kd
    .uniform_work_group_size: 1
    .uses_dynamic_stack: false
    .vgpr_count:     0
    .vgpr_spill_count: 0
    .wavefront_size: 64
  - .args:
      - .offset:         0
        .size:           64
        .value_kind:     by_value
    .group_segment_fixed_size: 11264
    .kernarg_segment_align: 8
    .kernarg_segment_size: 64
    .language:       OpenCL C
    .language_version:
      - 2
      - 0
    .max_flat_workgroup_size: 128
    .name:           _ZN7rocprim17ROCPRIM_400000_NS6detail17trampoline_kernelINS0_14default_configENS1_35adjacent_difference_config_selectorILb1EyEEZNS1_24adjacent_difference_implIS3_Lb1ELb0EPyN6thrust23THRUST_200600_302600_NS16discard_iteratorINS9_11use_defaultEEENS9_5minusIyEEEE10hipError_tPvRmT2_T3_mT4_P12ihipStream_tbEUlT_E_NS1_11comp_targetILNS1_3genE2ELNS1_11target_archE906ELNS1_3gpuE6ELNS1_3repE0EEENS1_30default_config_static_selectorELNS0_4arch9wavefront6targetE1EEEvT1_
    .private_segment_fixed_size: 0
    .sgpr_count:     28
    .sgpr_spill_count: 0
    .symbol:         _ZN7rocprim17ROCPRIM_400000_NS6detail17trampoline_kernelINS0_14default_configENS1_35adjacent_difference_config_selectorILb1EyEEZNS1_24adjacent_difference_implIS3_Lb1ELb0EPyN6thrust23THRUST_200600_302600_NS16discard_iteratorINS9_11use_defaultEEENS9_5minusIyEEEE10hipError_tPvRmT2_T3_mT4_P12ihipStream_tbEUlT_E_NS1_11comp_targetILNS1_3genE2ELNS1_11target_archE906ELNS1_3gpuE6ELNS1_3repE0EEENS1_30default_config_static_selectorELNS0_4arch9wavefront6targetE1EEEvT1_.kd
    .uniform_work_group_size: 1
    .uses_dynamic_stack: false
    .vgpr_count:     47
    .vgpr_spill_count: 0
    .wavefront_size: 64
  - .args:
      - .offset:         0
        .size:           64
        .value_kind:     by_value
    .group_segment_fixed_size: 0
    .kernarg_segment_align: 8
    .kernarg_segment_size: 64
    .language:       OpenCL C
    .language_version:
      - 2
      - 0
    .max_flat_workgroup_size: 128
    .name:           _ZN7rocprim17ROCPRIM_400000_NS6detail17trampoline_kernelINS0_14default_configENS1_35adjacent_difference_config_selectorILb1EyEEZNS1_24adjacent_difference_implIS3_Lb1ELb0EPyN6thrust23THRUST_200600_302600_NS16discard_iteratorINS9_11use_defaultEEENS9_5minusIyEEEE10hipError_tPvRmT2_T3_mT4_P12ihipStream_tbEUlT_E_NS1_11comp_targetILNS1_3genE9ELNS1_11target_archE1100ELNS1_3gpuE3ELNS1_3repE0EEENS1_30default_config_static_selectorELNS0_4arch9wavefront6targetE1EEEvT1_
    .private_segment_fixed_size: 0
    .sgpr_count:     4
    .sgpr_spill_count: 0
    .symbol:         _ZN7rocprim17ROCPRIM_400000_NS6detail17trampoline_kernelINS0_14default_configENS1_35adjacent_difference_config_selectorILb1EyEEZNS1_24adjacent_difference_implIS3_Lb1ELb0EPyN6thrust23THRUST_200600_302600_NS16discard_iteratorINS9_11use_defaultEEENS9_5minusIyEEEE10hipError_tPvRmT2_T3_mT4_P12ihipStream_tbEUlT_E_NS1_11comp_targetILNS1_3genE9ELNS1_11target_archE1100ELNS1_3gpuE3ELNS1_3repE0EEENS1_30default_config_static_selectorELNS0_4arch9wavefront6targetE1EEEvT1_.kd
    .uniform_work_group_size: 1
    .uses_dynamic_stack: false
    .vgpr_count:     0
    .vgpr_spill_count: 0
    .wavefront_size: 64
  - .args:
      - .offset:         0
        .size:           64
        .value_kind:     by_value
    .group_segment_fixed_size: 0
    .kernarg_segment_align: 8
    .kernarg_segment_size: 64
    .language:       OpenCL C
    .language_version:
      - 2
      - 0
    .max_flat_workgroup_size: 32
    .name:           _ZN7rocprim17ROCPRIM_400000_NS6detail17trampoline_kernelINS0_14default_configENS1_35adjacent_difference_config_selectorILb1EyEEZNS1_24adjacent_difference_implIS3_Lb1ELb0EPyN6thrust23THRUST_200600_302600_NS16discard_iteratorINS9_11use_defaultEEENS9_5minusIyEEEE10hipError_tPvRmT2_T3_mT4_P12ihipStream_tbEUlT_E_NS1_11comp_targetILNS1_3genE8ELNS1_11target_archE1030ELNS1_3gpuE2ELNS1_3repE0EEENS1_30default_config_static_selectorELNS0_4arch9wavefront6targetE1EEEvT1_
    .private_segment_fixed_size: 0
    .sgpr_count:     4
    .sgpr_spill_count: 0
    .symbol:         _ZN7rocprim17ROCPRIM_400000_NS6detail17trampoline_kernelINS0_14default_configENS1_35adjacent_difference_config_selectorILb1EyEEZNS1_24adjacent_difference_implIS3_Lb1ELb0EPyN6thrust23THRUST_200600_302600_NS16discard_iteratorINS9_11use_defaultEEENS9_5minusIyEEEE10hipError_tPvRmT2_T3_mT4_P12ihipStream_tbEUlT_E_NS1_11comp_targetILNS1_3genE8ELNS1_11target_archE1030ELNS1_3gpuE2ELNS1_3repE0EEENS1_30default_config_static_selectorELNS0_4arch9wavefront6targetE1EEEvT1_.kd
    .uniform_work_group_size: 1
    .uses_dynamic_stack: false
    .vgpr_count:     0
    .vgpr_spill_count: 0
    .wavefront_size: 64
  - .args:
      - .offset:         0
        .size:           56
        .value_kind:     by_value
    .group_segment_fixed_size: 0
    .kernarg_segment_align: 8
    .kernarg_segment_size: 56
    .language:       OpenCL C
    .language_version:
      - 2
      - 0
    .max_flat_workgroup_size: 128
    .name:           _ZN7rocprim17ROCPRIM_400000_NS6detail17trampoline_kernelINS0_14default_configENS1_25transform_config_selectorIjLb0EEEZNS1_14transform_implILb0ES3_S5_NS0_18transform_iteratorINS0_17counting_iteratorImlEEZNS1_24adjacent_difference_implIS3_Lb1ELb0EPjN6thrust23THRUST_200600_302600_NS16discard_iteratorINSD_11use_defaultEEENSD_5minusIjEEEE10hipError_tPvRmT2_T3_mT4_P12ihipStream_tbEUlmE_jEESB_NS0_8identityIvEEEESJ_SM_SN_mSO_SQ_bEUlT_E_NS1_11comp_targetILNS1_3genE0ELNS1_11target_archE4294967295ELNS1_3gpuE0ELNS1_3repE0EEENS1_30default_config_static_selectorELNS0_4arch9wavefront6targetE1EEEvT1_
    .private_segment_fixed_size: 0
    .sgpr_count:     4
    .sgpr_spill_count: 0
    .symbol:         _ZN7rocprim17ROCPRIM_400000_NS6detail17trampoline_kernelINS0_14default_configENS1_25transform_config_selectorIjLb0EEEZNS1_14transform_implILb0ES3_S5_NS0_18transform_iteratorINS0_17counting_iteratorImlEEZNS1_24adjacent_difference_implIS3_Lb1ELb0EPjN6thrust23THRUST_200600_302600_NS16discard_iteratorINSD_11use_defaultEEENSD_5minusIjEEEE10hipError_tPvRmT2_T3_mT4_P12ihipStream_tbEUlmE_jEESB_NS0_8identityIvEEEESJ_SM_SN_mSO_SQ_bEUlT_E_NS1_11comp_targetILNS1_3genE0ELNS1_11target_archE4294967295ELNS1_3gpuE0ELNS1_3repE0EEENS1_30default_config_static_selectorELNS0_4arch9wavefront6targetE1EEEvT1_.kd
    .uniform_work_group_size: 1
    .uses_dynamic_stack: false
    .vgpr_count:     0
    .vgpr_spill_count: 0
    .wavefront_size: 64
  - .args:
      - .offset:         0
        .size:           56
        .value_kind:     by_value
    .group_segment_fixed_size: 0
    .kernarg_segment_align: 8
    .kernarg_segment_size: 56
    .language:       OpenCL C
    .language_version:
      - 2
      - 0
    .max_flat_workgroup_size: 512
    .name:           _ZN7rocprim17ROCPRIM_400000_NS6detail17trampoline_kernelINS0_14default_configENS1_25transform_config_selectorIjLb0EEEZNS1_14transform_implILb0ES3_S5_NS0_18transform_iteratorINS0_17counting_iteratorImlEEZNS1_24adjacent_difference_implIS3_Lb1ELb0EPjN6thrust23THRUST_200600_302600_NS16discard_iteratorINSD_11use_defaultEEENSD_5minusIjEEEE10hipError_tPvRmT2_T3_mT4_P12ihipStream_tbEUlmE_jEESB_NS0_8identityIvEEEESJ_SM_SN_mSO_SQ_bEUlT_E_NS1_11comp_targetILNS1_3genE5ELNS1_11target_archE942ELNS1_3gpuE9ELNS1_3repE0EEENS1_30default_config_static_selectorELNS0_4arch9wavefront6targetE1EEEvT1_
    .private_segment_fixed_size: 0
    .sgpr_count:     4
    .sgpr_spill_count: 0
    .symbol:         _ZN7rocprim17ROCPRIM_400000_NS6detail17trampoline_kernelINS0_14default_configENS1_25transform_config_selectorIjLb0EEEZNS1_14transform_implILb0ES3_S5_NS0_18transform_iteratorINS0_17counting_iteratorImlEEZNS1_24adjacent_difference_implIS3_Lb1ELb0EPjN6thrust23THRUST_200600_302600_NS16discard_iteratorINSD_11use_defaultEEENSD_5minusIjEEEE10hipError_tPvRmT2_T3_mT4_P12ihipStream_tbEUlmE_jEESB_NS0_8identityIvEEEESJ_SM_SN_mSO_SQ_bEUlT_E_NS1_11comp_targetILNS1_3genE5ELNS1_11target_archE942ELNS1_3gpuE9ELNS1_3repE0EEENS1_30default_config_static_selectorELNS0_4arch9wavefront6targetE1EEEvT1_.kd
    .uniform_work_group_size: 1
    .uses_dynamic_stack: false
    .vgpr_count:     0
    .vgpr_spill_count: 0
    .wavefront_size: 64
  - .args:
      - .offset:         0
        .size:           56
        .value_kind:     by_value
    .group_segment_fixed_size: 0
    .kernarg_segment_align: 8
    .kernarg_segment_size: 56
    .language:       OpenCL C
    .language_version:
      - 2
      - 0
    .max_flat_workgroup_size: 1024
    .name:           _ZN7rocprim17ROCPRIM_400000_NS6detail17trampoline_kernelINS0_14default_configENS1_25transform_config_selectorIjLb0EEEZNS1_14transform_implILb0ES3_S5_NS0_18transform_iteratorINS0_17counting_iteratorImlEEZNS1_24adjacent_difference_implIS3_Lb1ELb0EPjN6thrust23THRUST_200600_302600_NS16discard_iteratorINSD_11use_defaultEEENSD_5minusIjEEEE10hipError_tPvRmT2_T3_mT4_P12ihipStream_tbEUlmE_jEESB_NS0_8identityIvEEEESJ_SM_SN_mSO_SQ_bEUlT_E_NS1_11comp_targetILNS1_3genE4ELNS1_11target_archE910ELNS1_3gpuE8ELNS1_3repE0EEENS1_30default_config_static_selectorELNS0_4arch9wavefront6targetE1EEEvT1_
    .private_segment_fixed_size: 0
    .sgpr_count:     4
    .sgpr_spill_count: 0
    .symbol:         _ZN7rocprim17ROCPRIM_400000_NS6detail17trampoline_kernelINS0_14default_configENS1_25transform_config_selectorIjLb0EEEZNS1_14transform_implILb0ES3_S5_NS0_18transform_iteratorINS0_17counting_iteratorImlEEZNS1_24adjacent_difference_implIS3_Lb1ELb0EPjN6thrust23THRUST_200600_302600_NS16discard_iteratorINSD_11use_defaultEEENSD_5minusIjEEEE10hipError_tPvRmT2_T3_mT4_P12ihipStream_tbEUlmE_jEESB_NS0_8identityIvEEEESJ_SM_SN_mSO_SQ_bEUlT_E_NS1_11comp_targetILNS1_3genE4ELNS1_11target_archE910ELNS1_3gpuE8ELNS1_3repE0EEENS1_30default_config_static_selectorELNS0_4arch9wavefront6targetE1EEEvT1_.kd
    .uniform_work_group_size: 1
    .uses_dynamic_stack: false
    .vgpr_count:     0
    .vgpr_spill_count: 0
    .wavefront_size: 64
  - .args:
      - .offset:         0
        .size:           56
        .value_kind:     by_value
    .group_segment_fixed_size: 0
    .kernarg_segment_align: 8
    .kernarg_segment_size: 56
    .language:       OpenCL C
    .language_version:
      - 2
      - 0
    .max_flat_workgroup_size: 128
    .name:           _ZN7rocprim17ROCPRIM_400000_NS6detail17trampoline_kernelINS0_14default_configENS1_25transform_config_selectorIjLb0EEEZNS1_14transform_implILb0ES3_S5_NS0_18transform_iteratorINS0_17counting_iteratorImlEEZNS1_24adjacent_difference_implIS3_Lb1ELb0EPjN6thrust23THRUST_200600_302600_NS16discard_iteratorINSD_11use_defaultEEENSD_5minusIjEEEE10hipError_tPvRmT2_T3_mT4_P12ihipStream_tbEUlmE_jEESB_NS0_8identityIvEEEESJ_SM_SN_mSO_SQ_bEUlT_E_NS1_11comp_targetILNS1_3genE3ELNS1_11target_archE908ELNS1_3gpuE7ELNS1_3repE0EEENS1_30default_config_static_selectorELNS0_4arch9wavefront6targetE1EEEvT1_
    .private_segment_fixed_size: 0
    .sgpr_count:     4
    .sgpr_spill_count: 0
    .symbol:         _ZN7rocprim17ROCPRIM_400000_NS6detail17trampoline_kernelINS0_14default_configENS1_25transform_config_selectorIjLb0EEEZNS1_14transform_implILb0ES3_S5_NS0_18transform_iteratorINS0_17counting_iteratorImlEEZNS1_24adjacent_difference_implIS3_Lb1ELb0EPjN6thrust23THRUST_200600_302600_NS16discard_iteratorINSD_11use_defaultEEENSD_5minusIjEEEE10hipError_tPvRmT2_T3_mT4_P12ihipStream_tbEUlmE_jEESB_NS0_8identityIvEEEESJ_SM_SN_mSO_SQ_bEUlT_E_NS1_11comp_targetILNS1_3genE3ELNS1_11target_archE908ELNS1_3gpuE7ELNS1_3repE0EEENS1_30default_config_static_selectorELNS0_4arch9wavefront6targetE1EEEvT1_.kd
    .uniform_work_group_size: 1
    .uses_dynamic_stack: false
    .vgpr_count:     0
    .vgpr_spill_count: 0
    .wavefront_size: 64
  - .args:
      - .offset:         0
        .size:           56
        .value_kind:     by_value
      - .offset:         56
        .size:           4
        .value_kind:     hidden_block_count_x
      - .offset:         60
        .size:           4
        .value_kind:     hidden_block_count_y
      - .offset:         64
        .size:           4
        .value_kind:     hidden_block_count_z
      - .offset:         68
        .size:           2
        .value_kind:     hidden_group_size_x
      - .offset:         70
        .size:           2
        .value_kind:     hidden_group_size_y
      - .offset:         72
        .size:           2
        .value_kind:     hidden_group_size_z
      - .offset:         74
        .size:           2
        .value_kind:     hidden_remainder_x
      - .offset:         76
        .size:           2
        .value_kind:     hidden_remainder_y
      - .offset:         78
        .size:           2
        .value_kind:     hidden_remainder_z
      - .offset:         96
        .size:           8
        .value_kind:     hidden_global_offset_x
      - .offset:         104
        .size:           8
        .value_kind:     hidden_global_offset_y
      - .offset:         112
        .size:           8
        .value_kind:     hidden_global_offset_z
      - .offset:         120
        .size:           2
        .value_kind:     hidden_grid_dims
    .group_segment_fixed_size: 0
    .kernarg_segment_align: 8
    .kernarg_segment_size: 312
    .language:       OpenCL C
    .language_version:
      - 2
      - 0
    .max_flat_workgroup_size: 1024
    .name:           _ZN7rocprim17ROCPRIM_400000_NS6detail17trampoline_kernelINS0_14default_configENS1_25transform_config_selectorIjLb0EEEZNS1_14transform_implILb0ES3_S5_NS0_18transform_iteratorINS0_17counting_iteratorImlEEZNS1_24adjacent_difference_implIS3_Lb1ELb0EPjN6thrust23THRUST_200600_302600_NS16discard_iteratorINSD_11use_defaultEEENSD_5minusIjEEEE10hipError_tPvRmT2_T3_mT4_P12ihipStream_tbEUlmE_jEESB_NS0_8identityIvEEEESJ_SM_SN_mSO_SQ_bEUlT_E_NS1_11comp_targetILNS1_3genE2ELNS1_11target_archE906ELNS1_3gpuE6ELNS1_3repE0EEENS1_30default_config_static_selectorELNS0_4arch9wavefront6targetE1EEEvT1_
    .private_segment_fixed_size: 0
    .sgpr_count:     22
    .sgpr_spill_count: 0
    .symbol:         _ZN7rocprim17ROCPRIM_400000_NS6detail17trampoline_kernelINS0_14default_configENS1_25transform_config_selectorIjLb0EEEZNS1_14transform_implILb0ES3_S5_NS0_18transform_iteratorINS0_17counting_iteratorImlEEZNS1_24adjacent_difference_implIS3_Lb1ELb0EPjN6thrust23THRUST_200600_302600_NS16discard_iteratorINSD_11use_defaultEEENSD_5minusIjEEEE10hipError_tPvRmT2_T3_mT4_P12ihipStream_tbEUlmE_jEESB_NS0_8identityIvEEEESJ_SM_SN_mSO_SQ_bEUlT_E_NS1_11comp_targetILNS1_3genE2ELNS1_11target_archE906ELNS1_3gpuE6ELNS1_3repE0EEENS1_30default_config_static_selectorELNS0_4arch9wavefront6targetE1EEEvT1_.kd
    .uniform_work_group_size: 1
    .uses_dynamic_stack: false
    .vgpr_count:     7
    .vgpr_spill_count: 0
    .wavefront_size: 64
  - .args:
      - .offset:         0
        .size:           56
        .value_kind:     by_value
    .group_segment_fixed_size: 0
    .kernarg_segment_align: 8
    .kernarg_segment_size: 56
    .language:       OpenCL C
    .language_version:
      - 2
      - 0
    .max_flat_workgroup_size: 1024
    .name:           _ZN7rocprim17ROCPRIM_400000_NS6detail17trampoline_kernelINS0_14default_configENS1_25transform_config_selectorIjLb0EEEZNS1_14transform_implILb0ES3_S5_NS0_18transform_iteratorINS0_17counting_iteratorImlEEZNS1_24adjacent_difference_implIS3_Lb1ELb0EPjN6thrust23THRUST_200600_302600_NS16discard_iteratorINSD_11use_defaultEEENSD_5minusIjEEEE10hipError_tPvRmT2_T3_mT4_P12ihipStream_tbEUlmE_jEESB_NS0_8identityIvEEEESJ_SM_SN_mSO_SQ_bEUlT_E_NS1_11comp_targetILNS1_3genE10ELNS1_11target_archE1201ELNS1_3gpuE5ELNS1_3repE0EEENS1_30default_config_static_selectorELNS0_4arch9wavefront6targetE1EEEvT1_
    .private_segment_fixed_size: 0
    .sgpr_count:     4
    .sgpr_spill_count: 0
    .symbol:         _ZN7rocprim17ROCPRIM_400000_NS6detail17trampoline_kernelINS0_14default_configENS1_25transform_config_selectorIjLb0EEEZNS1_14transform_implILb0ES3_S5_NS0_18transform_iteratorINS0_17counting_iteratorImlEEZNS1_24adjacent_difference_implIS3_Lb1ELb0EPjN6thrust23THRUST_200600_302600_NS16discard_iteratorINSD_11use_defaultEEENSD_5minusIjEEEE10hipError_tPvRmT2_T3_mT4_P12ihipStream_tbEUlmE_jEESB_NS0_8identityIvEEEESJ_SM_SN_mSO_SQ_bEUlT_E_NS1_11comp_targetILNS1_3genE10ELNS1_11target_archE1201ELNS1_3gpuE5ELNS1_3repE0EEENS1_30default_config_static_selectorELNS0_4arch9wavefront6targetE1EEEvT1_.kd
    .uniform_work_group_size: 1
    .uses_dynamic_stack: false
    .vgpr_count:     0
    .vgpr_spill_count: 0
    .wavefront_size: 64
  - .args:
      - .offset:         0
        .size:           56
        .value_kind:     by_value
    .group_segment_fixed_size: 0
    .kernarg_segment_align: 8
    .kernarg_segment_size: 56
    .language:       OpenCL C
    .language_version:
      - 2
      - 0
    .max_flat_workgroup_size: 512
    .name:           _ZN7rocprim17ROCPRIM_400000_NS6detail17trampoline_kernelINS0_14default_configENS1_25transform_config_selectorIjLb0EEEZNS1_14transform_implILb0ES3_S5_NS0_18transform_iteratorINS0_17counting_iteratorImlEEZNS1_24adjacent_difference_implIS3_Lb1ELb0EPjN6thrust23THRUST_200600_302600_NS16discard_iteratorINSD_11use_defaultEEENSD_5minusIjEEEE10hipError_tPvRmT2_T3_mT4_P12ihipStream_tbEUlmE_jEESB_NS0_8identityIvEEEESJ_SM_SN_mSO_SQ_bEUlT_E_NS1_11comp_targetILNS1_3genE10ELNS1_11target_archE1200ELNS1_3gpuE4ELNS1_3repE0EEENS1_30default_config_static_selectorELNS0_4arch9wavefront6targetE1EEEvT1_
    .private_segment_fixed_size: 0
    .sgpr_count:     4
    .sgpr_spill_count: 0
    .symbol:         _ZN7rocprim17ROCPRIM_400000_NS6detail17trampoline_kernelINS0_14default_configENS1_25transform_config_selectorIjLb0EEEZNS1_14transform_implILb0ES3_S5_NS0_18transform_iteratorINS0_17counting_iteratorImlEEZNS1_24adjacent_difference_implIS3_Lb1ELb0EPjN6thrust23THRUST_200600_302600_NS16discard_iteratorINSD_11use_defaultEEENSD_5minusIjEEEE10hipError_tPvRmT2_T3_mT4_P12ihipStream_tbEUlmE_jEESB_NS0_8identityIvEEEESJ_SM_SN_mSO_SQ_bEUlT_E_NS1_11comp_targetILNS1_3genE10ELNS1_11target_archE1200ELNS1_3gpuE4ELNS1_3repE0EEENS1_30default_config_static_selectorELNS0_4arch9wavefront6targetE1EEEvT1_.kd
    .uniform_work_group_size: 1
    .uses_dynamic_stack: false
    .vgpr_count:     0
    .vgpr_spill_count: 0
    .wavefront_size: 64
  - .args:
      - .offset:         0
        .size:           56
        .value_kind:     by_value
    .group_segment_fixed_size: 0
    .kernarg_segment_align: 8
    .kernarg_segment_size: 56
    .language:       OpenCL C
    .language_version:
      - 2
      - 0
    .max_flat_workgroup_size: 64
    .name:           _ZN7rocprim17ROCPRIM_400000_NS6detail17trampoline_kernelINS0_14default_configENS1_25transform_config_selectorIjLb0EEEZNS1_14transform_implILb0ES3_S5_NS0_18transform_iteratorINS0_17counting_iteratorImlEEZNS1_24adjacent_difference_implIS3_Lb1ELb0EPjN6thrust23THRUST_200600_302600_NS16discard_iteratorINSD_11use_defaultEEENSD_5minusIjEEEE10hipError_tPvRmT2_T3_mT4_P12ihipStream_tbEUlmE_jEESB_NS0_8identityIvEEEESJ_SM_SN_mSO_SQ_bEUlT_E_NS1_11comp_targetILNS1_3genE9ELNS1_11target_archE1100ELNS1_3gpuE3ELNS1_3repE0EEENS1_30default_config_static_selectorELNS0_4arch9wavefront6targetE1EEEvT1_
    .private_segment_fixed_size: 0
    .sgpr_count:     4
    .sgpr_spill_count: 0
    .symbol:         _ZN7rocprim17ROCPRIM_400000_NS6detail17trampoline_kernelINS0_14default_configENS1_25transform_config_selectorIjLb0EEEZNS1_14transform_implILb0ES3_S5_NS0_18transform_iteratorINS0_17counting_iteratorImlEEZNS1_24adjacent_difference_implIS3_Lb1ELb0EPjN6thrust23THRUST_200600_302600_NS16discard_iteratorINSD_11use_defaultEEENSD_5minusIjEEEE10hipError_tPvRmT2_T3_mT4_P12ihipStream_tbEUlmE_jEESB_NS0_8identityIvEEEESJ_SM_SN_mSO_SQ_bEUlT_E_NS1_11comp_targetILNS1_3genE9ELNS1_11target_archE1100ELNS1_3gpuE3ELNS1_3repE0EEENS1_30default_config_static_selectorELNS0_4arch9wavefront6targetE1EEEvT1_.kd
    .uniform_work_group_size: 1
    .uses_dynamic_stack: false
    .vgpr_count:     0
    .vgpr_spill_count: 0
    .wavefront_size: 64
  - .args:
      - .offset:         0
        .size:           56
        .value_kind:     by_value
    .group_segment_fixed_size: 0
    .kernarg_segment_align: 8
    .kernarg_segment_size: 56
    .language:       OpenCL C
    .language_version:
      - 2
      - 0
    .max_flat_workgroup_size: 256
    .name:           _ZN7rocprim17ROCPRIM_400000_NS6detail17trampoline_kernelINS0_14default_configENS1_25transform_config_selectorIjLb0EEEZNS1_14transform_implILb0ES3_S5_NS0_18transform_iteratorINS0_17counting_iteratorImlEEZNS1_24adjacent_difference_implIS3_Lb1ELb0EPjN6thrust23THRUST_200600_302600_NS16discard_iteratorINSD_11use_defaultEEENSD_5minusIjEEEE10hipError_tPvRmT2_T3_mT4_P12ihipStream_tbEUlmE_jEESB_NS0_8identityIvEEEESJ_SM_SN_mSO_SQ_bEUlT_E_NS1_11comp_targetILNS1_3genE8ELNS1_11target_archE1030ELNS1_3gpuE2ELNS1_3repE0EEENS1_30default_config_static_selectorELNS0_4arch9wavefront6targetE1EEEvT1_
    .private_segment_fixed_size: 0
    .sgpr_count:     4
    .sgpr_spill_count: 0
    .symbol:         _ZN7rocprim17ROCPRIM_400000_NS6detail17trampoline_kernelINS0_14default_configENS1_25transform_config_selectorIjLb0EEEZNS1_14transform_implILb0ES3_S5_NS0_18transform_iteratorINS0_17counting_iteratorImlEEZNS1_24adjacent_difference_implIS3_Lb1ELb0EPjN6thrust23THRUST_200600_302600_NS16discard_iteratorINSD_11use_defaultEEENSD_5minusIjEEEE10hipError_tPvRmT2_T3_mT4_P12ihipStream_tbEUlmE_jEESB_NS0_8identityIvEEEESJ_SM_SN_mSO_SQ_bEUlT_E_NS1_11comp_targetILNS1_3genE8ELNS1_11target_archE1030ELNS1_3gpuE2ELNS1_3repE0EEENS1_30default_config_static_selectorELNS0_4arch9wavefront6targetE1EEEvT1_.kd
    .uniform_work_group_size: 1
    .uses_dynamic_stack: false
    .vgpr_count:     0
    .vgpr_spill_count: 0
    .wavefront_size: 64
  - .args:
      - .offset:         0
        .size:           64
        .value_kind:     by_value
    .group_segment_fixed_size: 0
    .kernarg_segment_align: 8
    .kernarg_segment_size: 64
    .language:       OpenCL C
    .language_version:
      - 2
      - 0
    .max_flat_workgroup_size: 1024
    .name:           _ZN7rocprim17ROCPRIM_400000_NS6detail17trampoline_kernelINS0_14default_configENS1_35adjacent_difference_config_selectorILb1EjEEZNS1_24adjacent_difference_implIS3_Lb1ELb0EPjN6thrust23THRUST_200600_302600_NS16discard_iteratorINS9_11use_defaultEEENS9_5minusIjEEEE10hipError_tPvRmT2_T3_mT4_P12ihipStream_tbEUlT_E_NS1_11comp_targetILNS1_3genE0ELNS1_11target_archE4294967295ELNS1_3gpuE0ELNS1_3repE0EEENS1_30default_config_static_selectorELNS0_4arch9wavefront6targetE1EEEvT1_
    .private_segment_fixed_size: 0
    .sgpr_count:     4
    .sgpr_spill_count: 0
    .symbol:         _ZN7rocprim17ROCPRIM_400000_NS6detail17trampoline_kernelINS0_14default_configENS1_35adjacent_difference_config_selectorILb1EjEEZNS1_24adjacent_difference_implIS3_Lb1ELb0EPjN6thrust23THRUST_200600_302600_NS16discard_iteratorINS9_11use_defaultEEENS9_5minusIjEEEE10hipError_tPvRmT2_T3_mT4_P12ihipStream_tbEUlT_E_NS1_11comp_targetILNS1_3genE0ELNS1_11target_archE4294967295ELNS1_3gpuE0ELNS1_3repE0EEENS1_30default_config_static_selectorELNS0_4arch9wavefront6targetE1EEEvT1_.kd
    .uniform_work_group_size: 1
    .uses_dynamic_stack: false
    .vgpr_count:     0
    .vgpr_spill_count: 0
    .wavefront_size: 64
  - .args:
      - .offset:         0
        .size:           64
        .value_kind:     by_value
    .group_segment_fixed_size: 0
    .kernarg_segment_align: 8
    .kernarg_segment_size: 64
    .language:       OpenCL C
    .language_version:
      - 2
      - 0
    .max_flat_workgroup_size: 32
    .name:           _ZN7rocprim17ROCPRIM_400000_NS6detail17trampoline_kernelINS0_14default_configENS1_35adjacent_difference_config_selectorILb1EjEEZNS1_24adjacent_difference_implIS3_Lb1ELb0EPjN6thrust23THRUST_200600_302600_NS16discard_iteratorINS9_11use_defaultEEENS9_5minusIjEEEE10hipError_tPvRmT2_T3_mT4_P12ihipStream_tbEUlT_E_NS1_11comp_targetILNS1_3genE10ELNS1_11target_archE1201ELNS1_3gpuE5ELNS1_3repE0EEENS1_30default_config_static_selectorELNS0_4arch9wavefront6targetE1EEEvT1_
    .private_segment_fixed_size: 0
    .sgpr_count:     4
    .sgpr_spill_count: 0
    .symbol:         _ZN7rocprim17ROCPRIM_400000_NS6detail17trampoline_kernelINS0_14default_configENS1_35adjacent_difference_config_selectorILb1EjEEZNS1_24adjacent_difference_implIS3_Lb1ELb0EPjN6thrust23THRUST_200600_302600_NS16discard_iteratorINS9_11use_defaultEEENS9_5minusIjEEEE10hipError_tPvRmT2_T3_mT4_P12ihipStream_tbEUlT_E_NS1_11comp_targetILNS1_3genE10ELNS1_11target_archE1201ELNS1_3gpuE5ELNS1_3repE0EEENS1_30default_config_static_selectorELNS0_4arch9wavefront6targetE1EEEvT1_.kd
    .uniform_work_group_size: 1
    .uses_dynamic_stack: false
    .vgpr_count:     0
    .vgpr_spill_count: 0
    .wavefront_size: 64
  - .args:
      - .offset:         0
        .size:           64
        .value_kind:     by_value
    .group_segment_fixed_size: 0
    .kernarg_segment_align: 8
    .kernarg_segment_size: 64
    .language:       OpenCL C
    .language_version:
      - 2
      - 0
    .max_flat_workgroup_size: 512
    .name:           _ZN7rocprim17ROCPRIM_400000_NS6detail17trampoline_kernelINS0_14default_configENS1_35adjacent_difference_config_selectorILb1EjEEZNS1_24adjacent_difference_implIS3_Lb1ELb0EPjN6thrust23THRUST_200600_302600_NS16discard_iteratorINS9_11use_defaultEEENS9_5minusIjEEEE10hipError_tPvRmT2_T3_mT4_P12ihipStream_tbEUlT_E_NS1_11comp_targetILNS1_3genE5ELNS1_11target_archE942ELNS1_3gpuE9ELNS1_3repE0EEENS1_30default_config_static_selectorELNS0_4arch9wavefront6targetE1EEEvT1_
    .private_segment_fixed_size: 0
    .sgpr_count:     4
    .sgpr_spill_count: 0
    .symbol:         _ZN7rocprim17ROCPRIM_400000_NS6detail17trampoline_kernelINS0_14default_configENS1_35adjacent_difference_config_selectorILb1EjEEZNS1_24adjacent_difference_implIS3_Lb1ELb0EPjN6thrust23THRUST_200600_302600_NS16discard_iteratorINS9_11use_defaultEEENS9_5minusIjEEEE10hipError_tPvRmT2_T3_mT4_P12ihipStream_tbEUlT_E_NS1_11comp_targetILNS1_3genE5ELNS1_11target_archE942ELNS1_3gpuE9ELNS1_3repE0EEENS1_30default_config_static_selectorELNS0_4arch9wavefront6targetE1EEEvT1_.kd
    .uniform_work_group_size: 1
    .uses_dynamic_stack: false
    .vgpr_count:     0
    .vgpr_spill_count: 0
    .wavefront_size: 64
  - .args:
      - .offset:         0
        .size:           64
        .value_kind:     by_value
    .group_segment_fixed_size: 0
    .kernarg_segment_align: 8
    .kernarg_segment_size: 64
    .language:       OpenCL C
    .language_version:
      - 2
      - 0
    .max_flat_workgroup_size: 512
    .name:           _ZN7rocprim17ROCPRIM_400000_NS6detail17trampoline_kernelINS0_14default_configENS1_35adjacent_difference_config_selectorILb1EjEEZNS1_24adjacent_difference_implIS3_Lb1ELb0EPjN6thrust23THRUST_200600_302600_NS16discard_iteratorINS9_11use_defaultEEENS9_5minusIjEEEE10hipError_tPvRmT2_T3_mT4_P12ihipStream_tbEUlT_E_NS1_11comp_targetILNS1_3genE4ELNS1_11target_archE910ELNS1_3gpuE8ELNS1_3repE0EEENS1_30default_config_static_selectorELNS0_4arch9wavefront6targetE1EEEvT1_
    .private_segment_fixed_size: 0
    .sgpr_count:     4
    .sgpr_spill_count: 0
    .symbol:         _ZN7rocprim17ROCPRIM_400000_NS6detail17trampoline_kernelINS0_14default_configENS1_35adjacent_difference_config_selectorILb1EjEEZNS1_24adjacent_difference_implIS3_Lb1ELb0EPjN6thrust23THRUST_200600_302600_NS16discard_iteratorINS9_11use_defaultEEENS9_5minusIjEEEE10hipError_tPvRmT2_T3_mT4_P12ihipStream_tbEUlT_E_NS1_11comp_targetILNS1_3genE4ELNS1_11target_archE910ELNS1_3gpuE8ELNS1_3repE0EEENS1_30default_config_static_selectorELNS0_4arch9wavefront6targetE1EEEvT1_.kd
    .uniform_work_group_size: 1
    .uses_dynamic_stack: false
    .vgpr_count:     0
    .vgpr_spill_count: 0
    .wavefront_size: 64
  - .args:
      - .offset:         0
        .size:           64
        .value_kind:     by_value
    .group_segment_fixed_size: 0
    .kernarg_segment_align: 8
    .kernarg_segment_size: 64
    .language:       OpenCL C
    .language_version:
      - 2
      - 0
    .max_flat_workgroup_size: 1024
    .name:           _ZN7rocprim17ROCPRIM_400000_NS6detail17trampoline_kernelINS0_14default_configENS1_35adjacent_difference_config_selectorILb1EjEEZNS1_24adjacent_difference_implIS3_Lb1ELb0EPjN6thrust23THRUST_200600_302600_NS16discard_iteratorINS9_11use_defaultEEENS9_5minusIjEEEE10hipError_tPvRmT2_T3_mT4_P12ihipStream_tbEUlT_E_NS1_11comp_targetILNS1_3genE3ELNS1_11target_archE908ELNS1_3gpuE7ELNS1_3repE0EEENS1_30default_config_static_selectorELNS0_4arch9wavefront6targetE1EEEvT1_
    .private_segment_fixed_size: 0
    .sgpr_count:     4
    .sgpr_spill_count: 0
    .symbol:         _ZN7rocprim17ROCPRIM_400000_NS6detail17trampoline_kernelINS0_14default_configENS1_35adjacent_difference_config_selectorILb1EjEEZNS1_24adjacent_difference_implIS3_Lb1ELb0EPjN6thrust23THRUST_200600_302600_NS16discard_iteratorINS9_11use_defaultEEENS9_5minusIjEEEE10hipError_tPvRmT2_T3_mT4_P12ihipStream_tbEUlT_E_NS1_11comp_targetILNS1_3genE3ELNS1_11target_archE908ELNS1_3gpuE7ELNS1_3repE0EEENS1_30default_config_static_selectorELNS0_4arch9wavefront6targetE1EEEvT1_.kd
    .uniform_work_group_size: 1
    .uses_dynamic_stack: false
    .vgpr_count:     0
    .vgpr_spill_count: 0
    .wavefront_size: 64
  - .args:
      - .offset:         0
        .size:           64
        .value_kind:     by_value
    .group_segment_fixed_size: 11264
    .kernarg_segment_align: 8
    .kernarg_segment_size: 64
    .language:       OpenCL C
    .language_version:
      - 2
      - 0
    .max_flat_workgroup_size: 256
    .name:           _ZN7rocprim17ROCPRIM_400000_NS6detail17trampoline_kernelINS0_14default_configENS1_35adjacent_difference_config_selectorILb1EjEEZNS1_24adjacent_difference_implIS3_Lb1ELb0EPjN6thrust23THRUST_200600_302600_NS16discard_iteratorINS9_11use_defaultEEENS9_5minusIjEEEE10hipError_tPvRmT2_T3_mT4_P12ihipStream_tbEUlT_E_NS1_11comp_targetILNS1_3genE2ELNS1_11target_archE906ELNS1_3gpuE6ELNS1_3repE0EEENS1_30default_config_static_selectorELNS0_4arch9wavefront6targetE1EEEvT1_
    .private_segment_fixed_size: 0
    .sgpr_count:     28
    .sgpr_spill_count: 0
    .symbol:         _ZN7rocprim17ROCPRIM_400000_NS6detail17trampoline_kernelINS0_14default_configENS1_35adjacent_difference_config_selectorILb1EjEEZNS1_24adjacent_difference_implIS3_Lb1ELb0EPjN6thrust23THRUST_200600_302600_NS16discard_iteratorINS9_11use_defaultEEENS9_5minusIjEEEE10hipError_tPvRmT2_T3_mT4_P12ihipStream_tbEUlT_E_NS1_11comp_targetILNS1_3genE2ELNS1_11target_archE906ELNS1_3gpuE6ELNS1_3repE0EEENS1_30default_config_static_selectorELNS0_4arch9wavefront6targetE1EEEvT1_.kd
    .uniform_work_group_size: 1
    .uses_dynamic_stack: false
    .vgpr_count:     25
    .vgpr_spill_count: 0
    .wavefront_size: 64
  - .args:
      - .offset:         0
        .size:           64
        .value_kind:     by_value
    .group_segment_fixed_size: 0
    .kernarg_segment_align: 8
    .kernarg_segment_size: 64
    .language:       OpenCL C
    .language_version:
      - 2
      - 0
    .max_flat_workgroup_size: 128
    .name:           _ZN7rocprim17ROCPRIM_400000_NS6detail17trampoline_kernelINS0_14default_configENS1_35adjacent_difference_config_selectorILb1EjEEZNS1_24adjacent_difference_implIS3_Lb1ELb0EPjN6thrust23THRUST_200600_302600_NS16discard_iteratorINS9_11use_defaultEEENS9_5minusIjEEEE10hipError_tPvRmT2_T3_mT4_P12ihipStream_tbEUlT_E_NS1_11comp_targetILNS1_3genE9ELNS1_11target_archE1100ELNS1_3gpuE3ELNS1_3repE0EEENS1_30default_config_static_selectorELNS0_4arch9wavefront6targetE1EEEvT1_
    .private_segment_fixed_size: 0
    .sgpr_count:     4
    .sgpr_spill_count: 0
    .symbol:         _ZN7rocprim17ROCPRIM_400000_NS6detail17trampoline_kernelINS0_14default_configENS1_35adjacent_difference_config_selectorILb1EjEEZNS1_24adjacent_difference_implIS3_Lb1ELb0EPjN6thrust23THRUST_200600_302600_NS16discard_iteratorINS9_11use_defaultEEENS9_5minusIjEEEE10hipError_tPvRmT2_T3_mT4_P12ihipStream_tbEUlT_E_NS1_11comp_targetILNS1_3genE9ELNS1_11target_archE1100ELNS1_3gpuE3ELNS1_3repE0EEENS1_30default_config_static_selectorELNS0_4arch9wavefront6targetE1EEEvT1_.kd
    .uniform_work_group_size: 1
    .uses_dynamic_stack: false
    .vgpr_count:     0
    .vgpr_spill_count: 0
    .wavefront_size: 64
  - .args:
      - .offset:         0
        .size:           64
        .value_kind:     by_value
    .group_segment_fixed_size: 0
    .kernarg_segment_align: 8
    .kernarg_segment_size: 64
    .language:       OpenCL C
    .language_version:
      - 2
      - 0
    .max_flat_workgroup_size: 32
    .name:           _ZN7rocprim17ROCPRIM_400000_NS6detail17trampoline_kernelINS0_14default_configENS1_35adjacent_difference_config_selectorILb1EjEEZNS1_24adjacent_difference_implIS3_Lb1ELb0EPjN6thrust23THRUST_200600_302600_NS16discard_iteratorINS9_11use_defaultEEENS9_5minusIjEEEE10hipError_tPvRmT2_T3_mT4_P12ihipStream_tbEUlT_E_NS1_11comp_targetILNS1_3genE8ELNS1_11target_archE1030ELNS1_3gpuE2ELNS1_3repE0EEENS1_30default_config_static_selectorELNS0_4arch9wavefront6targetE1EEEvT1_
    .private_segment_fixed_size: 0
    .sgpr_count:     4
    .sgpr_spill_count: 0
    .symbol:         _ZN7rocprim17ROCPRIM_400000_NS6detail17trampoline_kernelINS0_14default_configENS1_35adjacent_difference_config_selectorILb1EjEEZNS1_24adjacent_difference_implIS3_Lb1ELb0EPjN6thrust23THRUST_200600_302600_NS16discard_iteratorINS9_11use_defaultEEENS9_5minusIjEEEE10hipError_tPvRmT2_T3_mT4_P12ihipStream_tbEUlT_E_NS1_11comp_targetILNS1_3genE8ELNS1_11target_archE1030ELNS1_3gpuE2ELNS1_3repE0EEENS1_30default_config_static_selectorELNS0_4arch9wavefront6targetE1EEEvT1_.kd
    .uniform_work_group_size: 1
    .uses_dynamic_stack: false
    .vgpr_count:     0
    .vgpr_spill_count: 0
    .wavefront_size: 64
  - .args:
      - .offset:         0
        .size:           56
        .value_kind:     by_value
    .group_segment_fixed_size: 0
    .kernarg_segment_align: 8
    .kernarg_segment_size: 56
    .language:       OpenCL C
    .language_version:
      - 2
      - 0
    .max_flat_workgroup_size: 128
    .name:           _ZN7rocprim17ROCPRIM_400000_NS6detail17trampoline_kernelINS0_14default_configENS1_25transform_config_selectorItLb0EEEZNS1_14transform_implILb0ES3_S5_NS0_18transform_iteratorINS0_17counting_iteratorImlEEZNS1_24adjacent_difference_implIS3_Lb1ELb0EPtN6thrust23THRUST_200600_302600_NS16discard_iteratorINSD_11use_defaultEEENSD_5minusItEEEE10hipError_tPvRmT2_T3_mT4_P12ihipStream_tbEUlmE_tEESB_NS0_8identityIvEEEESJ_SM_SN_mSO_SQ_bEUlT_E_NS1_11comp_targetILNS1_3genE0ELNS1_11target_archE4294967295ELNS1_3gpuE0ELNS1_3repE0EEENS1_30default_config_static_selectorELNS0_4arch9wavefront6targetE1EEEvT1_
    .private_segment_fixed_size: 0
    .sgpr_count:     4
    .sgpr_spill_count: 0
    .symbol:         _ZN7rocprim17ROCPRIM_400000_NS6detail17trampoline_kernelINS0_14default_configENS1_25transform_config_selectorItLb0EEEZNS1_14transform_implILb0ES3_S5_NS0_18transform_iteratorINS0_17counting_iteratorImlEEZNS1_24adjacent_difference_implIS3_Lb1ELb0EPtN6thrust23THRUST_200600_302600_NS16discard_iteratorINSD_11use_defaultEEENSD_5minusItEEEE10hipError_tPvRmT2_T3_mT4_P12ihipStream_tbEUlmE_tEESB_NS0_8identityIvEEEESJ_SM_SN_mSO_SQ_bEUlT_E_NS1_11comp_targetILNS1_3genE0ELNS1_11target_archE4294967295ELNS1_3gpuE0ELNS1_3repE0EEENS1_30default_config_static_selectorELNS0_4arch9wavefront6targetE1EEEvT1_.kd
    .uniform_work_group_size: 1
    .uses_dynamic_stack: false
    .vgpr_count:     0
    .vgpr_spill_count: 0
    .wavefront_size: 64
  - .args:
      - .offset:         0
        .size:           56
        .value_kind:     by_value
    .group_segment_fixed_size: 0
    .kernarg_segment_align: 8
    .kernarg_segment_size: 56
    .language:       OpenCL C
    .language_version:
      - 2
      - 0
    .max_flat_workgroup_size: 256
    .name:           _ZN7rocprim17ROCPRIM_400000_NS6detail17trampoline_kernelINS0_14default_configENS1_25transform_config_selectorItLb0EEEZNS1_14transform_implILb0ES3_S5_NS0_18transform_iteratorINS0_17counting_iteratorImlEEZNS1_24adjacent_difference_implIS3_Lb1ELb0EPtN6thrust23THRUST_200600_302600_NS16discard_iteratorINSD_11use_defaultEEENSD_5minusItEEEE10hipError_tPvRmT2_T3_mT4_P12ihipStream_tbEUlmE_tEESB_NS0_8identityIvEEEESJ_SM_SN_mSO_SQ_bEUlT_E_NS1_11comp_targetILNS1_3genE5ELNS1_11target_archE942ELNS1_3gpuE9ELNS1_3repE0EEENS1_30default_config_static_selectorELNS0_4arch9wavefront6targetE1EEEvT1_
    .private_segment_fixed_size: 0
    .sgpr_count:     4
    .sgpr_spill_count: 0
    .symbol:         _ZN7rocprim17ROCPRIM_400000_NS6detail17trampoline_kernelINS0_14default_configENS1_25transform_config_selectorItLb0EEEZNS1_14transform_implILb0ES3_S5_NS0_18transform_iteratorINS0_17counting_iteratorImlEEZNS1_24adjacent_difference_implIS3_Lb1ELb0EPtN6thrust23THRUST_200600_302600_NS16discard_iteratorINSD_11use_defaultEEENSD_5minusItEEEE10hipError_tPvRmT2_T3_mT4_P12ihipStream_tbEUlmE_tEESB_NS0_8identityIvEEEESJ_SM_SN_mSO_SQ_bEUlT_E_NS1_11comp_targetILNS1_3genE5ELNS1_11target_archE942ELNS1_3gpuE9ELNS1_3repE0EEENS1_30default_config_static_selectorELNS0_4arch9wavefront6targetE1EEEvT1_.kd
    .uniform_work_group_size: 1
    .uses_dynamic_stack: false
    .vgpr_count:     0
    .vgpr_spill_count: 0
    .wavefront_size: 64
  - .args:
      - .offset:         0
        .size:           56
        .value_kind:     by_value
    .group_segment_fixed_size: 0
    .kernarg_segment_align: 8
    .kernarg_segment_size: 56
    .language:       OpenCL C
    .language_version:
      - 2
      - 0
    .max_flat_workgroup_size: 64
    .name:           _ZN7rocprim17ROCPRIM_400000_NS6detail17trampoline_kernelINS0_14default_configENS1_25transform_config_selectorItLb0EEEZNS1_14transform_implILb0ES3_S5_NS0_18transform_iteratorINS0_17counting_iteratorImlEEZNS1_24adjacent_difference_implIS3_Lb1ELb0EPtN6thrust23THRUST_200600_302600_NS16discard_iteratorINSD_11use_defaultEEENSD_5minusItEEEE10hipError_tPvRmT2_T3_mT4_P12ihipStream_tbEUlmE_tEESB_NS0_8identityIvEEEESJ_SM_SN_mSO_SQ_bEUlT_E_NS1_11comp_targetILNS1_3genE4ELNS1_11target_archE910ELNS1_3gpuE8ELNS1_3repE0EEENS1_30default_config_static_selectorELNS0_4arch9wavefront6targetE1EEEvT1_
    .private_segment_fixed_size: 0
    .sgpr_count:     4
    .sgpr_spill_count: 0
    .symbol:         _ZN7rocprim17ROCPRIM_400000_NS6detail17trampoline_kernelINS0_14default_configENS1_25transform_config_selectorItLb0EEEZNS1_14transform_implILb0ES3_S5_NS0_18transform_iteratorINS0_17counting_iteratorImlEEZNS1_24adjacent_difference_implIS3_Lb1ELb0EPtN6thrust23THRUST_200600_302600_NS16discard_iteratorINSD_11use_defaultEEENSD_5minusItEEEE10hipError_tPvRmT2_T3_mT4_P12ihipStream_tbEUlmE_tEESB_NS0_8identityIvEEEESJ_SM_SN_mSO_SQ_bEUlT_E_NS1_11comp_targetILNS1_3genE4ELNS1_11target_archE910ELNS1_3gpuE8ELNS1_3repE0EEENS1_30default_config_static_selectorELNS0_4arch9wavefront6targetE1EEEvT1_.kd
    .uniform_work_group_size: 1
    .uses_dynamic_stack: false
    .vgpr_count:     0
    .vgpr_spill_count: 0
    .wavefront_size: 64
  - .args:
      - .offset:         0
        .size:           56
        .value_kind:     by_value
    .group_segment_fixed_size: 0
    .kernarg_segment_align: 8
    .kernarg_segment_size: 56
    .language:       OpenCL C
    .language_version:
      - 2
      - 0
    .max_flat_workgroup_size: 128
    .name:           _ZN7rocprim17ROCPRIM_400000_NS6detail17trampoline_kernelINS0_14default_configENS1_25transform_config_selectorItLb0EEEZNS1_14transform_implILb0ES3_S5_NS0_18transform_iteratorINS0_17counting_iteratorImlEEZNS1_24adjacent_difference_implIS3_Lb1ELb0EPtN6thrust23THRUST_200600_302600_NS16discard_iteratorINSD_11use_defaultEEENSD_5minusItEEEE10hipError_tPvRmT2_T3_mT4_P12ihipStream_tbEUlmE_tEESB_NS0_8identityIvEEEESJ_SM_SN_mSO_SQ_bEUlT_E_NS1_11comp_targetILNS1_3genE3ELNS1_11target_archE908ELNS1_3gpuE7ELNS1_3repE0EEENS1_30default_config_static_selectorELNS0_4arch9wavefront6targetE1EEEvT1_
    .private_segment_fixed_size: 0
    .sgpr_count:     4
    .sgpr_spill_count: 0
    .symbol:         _ZN7rocprim17ROCPRIM_400000_NS6detail17trampoline_kernelINS0_14default_configENS1_25transform_config_selectorItLb0EEEZNS1_14transform_implILb0ES3_S5_NS0_18transform_iteratorINS0_17counting_iteratorImlEEZNS1_24adjacent_difference_implIS3_Lb1ELb0EPtN6thrust23THRUST_200600_302600_NS16discard_iteratorINSD_11use_defaultEEENSD_5minusItEEEE10hipError_tPvRmT2_T3_mT4_P12ihipStream_tbEUlmE_tEESB_NS0_8identityIvEEEESJ_SM_SN_mSO_SQ_bEUlT_E_NS1_11comp_targetILNS1_3genE3ELNS1_11target_archE908ELNS1_3gpuE7ELNS1_3repE0EEENS1_30default_config_static_selectorELNS0_4arch9wavefront6targetE1EEEvT1_.kd
    .uniform_work_group_size: 1
    .uses_dynamic_stack: false
    .vgpr_count:     0
    .vgpr_spill_count: 0
    .wavefront_size: 64
  - .args:
      - .offset:         0
        .size:           56
        .value_kind:     by_value
      - .offset:         56
        .size:           4
        .value_kind:     hidden_block_count_x
      - .offset:         60
        .size:           4
        .value_kind:     hidden_block_count_y
      - .offset:         64
        .size:           4
        .value_kind:     hidden_block_count_z
      - .offset:         68
        .size:           2
        .value_kind:     hidden_group_size_x
      - .offset:         70
        .size:           2
        .value_kind:     hidden_group_size_y
      - .offset:         72
        .size:           2
        .value_kind:     hidden_group_size_z
      - .offset:         74
        .size:           2
        .value_kind:     hidden_remainder_x
      - .offset:         76
        .size:           2
        .value_kind:     hidden_remainder_y
      - .offset:         78
        .size:           2
        .value_kind:     hidden_remainder_z
      - .offset:         96
        .size:           8
        .value_kind:     hidden_global_offset_x
      - .offset:         104
        .size:           8
        .value_kind:     hidden_global_offset_y
      - .offset:         112
        .size:           8
        .value_kind:     hidden_global_offset_z
      - .offset:         120
        .size:           2
        .value_kind:     hidden_grid_dims
    .group_segment_fixed_size: 0
    .kernarg_segment_align: 8
    .kernarg_segment_size: 312
    .language:       OpenCL C
    .language_version:
      - 2
      - 0
    .max_flat_workgroup_size: 512
    .name:           _ZN7rocprim17ROCPRIM_400000_NS6detail17trampoline_kernelINS0_14default_configENS1_25transform_config_selectorItLb0EEEZNS1_14transform_implILb0ES3_S5_NS0_18transform_iteratorINS0_17counting_iteratorImlEEZNS1_24adjacent_difference_implIS3_Lb1ELb0EPtN6thrust23THRUST_200600_302600_NS16discard_iteratorINSD_11use_defaultEEENSD_5minusItEEEE10hipError_tPvRmT2_T3_mT4_P12ihipStream_tbEUlmE_tEESB_NS0_8identityIvEEEESJ_SM_SN_mSO_SQ_bEUlT_E_NS1_11comp_targetILNS1_3genE2ELNS1_11target_archE906ELNS1_3gpuE6ELNS1_3repE0EEENS1_30default_config_static_selectorELNS0_4arch9wavefront6targetE1EEEvT1_
    .private_segment_fixed_size: 0
    .sgpr_count:     26
    .sgpr_spill_count: 0
    .symbol:         _ZN7rocprim17ROCPRIM_400000_NS6detail17trampoline_kernelINS0_14default_configENS1_25transform_config_selectorItLb0EEEZNS1_14transform_implILb0ES3_S5_NS0_18transform_iteratorINS0_17counting_iteratorImlEEZNS1_24adjacent_difference_implIS3_Lb1ELb0EPtN6thrust23THRUST_200600_302600_NS16discard_iteratorINSD_11use_defaultEEENSD_5minusItEEEE10hipError_tPvRmT2_T3_mT4_P12ihipStream_tbEUlmE_tEESB_NS0_8identityIvEEEESJ_SM_SN_mSO_SQ_bEUlT_E_NS1_11comp_targetILNS1_3genE2ELNS1_11target_archE906ELNS1_3gpuE6ELNS1_3repE0EEENS1_30default_config_static_selectorELNS0_4arch9wavefront6targetE1EEEvT1_.kd
    .uniform_work_group_size: 1
    .uses_dynamic_stack: false
    .vgpr_count:     12
    .vgpr_spill_count: 0
    .wavefront_size: 64
  - .args:
      - .offset:         0
        .size:           56
        .value_kind:     by_value
    .group_segment_fixed_size: 0
    .kernarg_segment_align: 8
    .kernarg_segment_size: 56
    .language:       OpenCL C
    .language_version:
      - 2
      - 0
    .max_flat_workgroup_size: 1024
    .name:           _ZN7rocprim17ROCPRIM_400000_NS6detail17trampoline_kernelINS0_14default_configENS1_25transform_config_selectorItLb0EEEZNS1_14transform_implILb0ES3_S5_NS0_18transform_iteratorINS0_17counting_iteratorImlEEZNS1_24adjacent_difference_implIS3_Lb1ELb0EPtN6thrust23THRUST_200600_302600_NS16discard_iteratorINSD_11use_defaultEEENSD_5minusItEEEE10hipError_tPvRmT2_T3_mT4_P12ihipStream_tbEUlmE_tEESB_NS0_8identityIvEEEESJ_SM_SN_mSO_SQ_bEUlT_E_NS1_11comp_targetILNS1_3genE10ELNS1_11target_archE1201ELNS1_3gpuE5ELNS1_3repE0EEENS1_30default_config_static_selectorELNS0_4arch9wavefront6targetE1EEEvT1_
    .private_segment_fixed_size: 0
    .sgpr_count:     4
    .sgpr_spill_count: 0
    .symbol:         _ZN7rocprim17ROCPRIM_400000_NS6detail17trampoline_kernelINS0_14default_configENS1_25transform_config_selectorItLb0EEEZNS1_14transform_implILb0ES3_S5_NS0_18transform_iteratorINS0_17counting_iteratorImlEEZNS1_24adjacent_difference_implIS3_Lb1ELb0EPtN6thrust23THRUST_200600_302600_NS16discard_iteratorINSD_11use_defaultEEENSD_5minusItEEEE10hipError_tPvRmT2_T3_mT4_P12ihipStream_tbEUlmE_tEESB_NS0_8identityIvEEEESJ_SM_SN_mSO_SQ_bEUlT_E_NS1_11comp_targetILNS1_3genE10ELNS1_11target_archE1201ELNS1_3gpuE5ELNS1_3repE0EEENS1_30default_config_static_selectorELNS0_4arch9wavefront6targetE1EEEvT1_.kd
    .uniform_work_group_size: 1
    .uses_dynamic_stack: false
    .vgpr_count:     0
    .vgpr_spill_count: 0
    .wavefront_size: 64
  - .args:
      - .offset:         0
        .size:           56
        .value_kind:     by_value
    .group_segment_fixed_size: 0
    .kernarg_segment_align: 8
    .kernarg_segment_size: 56
    .language:       OpenCL C
    .language_version:
      - 2
      - 0
    .max_flat_workgroup_size: 512
    .name:           _ZN7rocprim17ROCPRIM_400000_NS6detail17trampoline_kernelINS0_14default_configENS1_25transform_config_selectorItLb0EEEZNS1_14transform_implILb0ES3_S5_NS0_18transform_iteratorINS0_17counting_iteratorImlEEZNS1_24adjacent_difference_implIS3_Lb1ELb0EPtN6thrust23THRUST_200600_302600_NS16discard_iteratorINSD_11use_defaultEEENSD_5minusItEEEE10hipError_tPvRmT2_T3_mT4_P12ihipStream_tbEUlmE_tEESB_NS0_8identityIvEEEESJ_SM_SN_mSO_SQ_bEUlT_E_NS1_11comp_targetILNS1_3genE10ELNS1_11target_archE1200ELNS1_3gpuE4ELNS1_3repE0EEENS1_30default_config_static_selectorELNS0_4arch9wavefront6targetE1EEEvT1_
    .private_segment_fixed_size: 0
    .sgpr_count:     4
    .sgpr_spill_count: 0
    .symbol:         _ZN7rocprim17ROCPRIM_400000_NS6detail17trampoline_kernelINS0_14default_configENS1_25transform_config_selectorItLb0EEEZNS1_14transform_implILb0ES3_S5_NS0_18transform_iteratorINS0_17counting_iteratorImlEEZNS1_24adjacent_difference_implIS3_Lb1ELb0EPtN6thrust23THRUST_200600_302600_NS16discard_iteratorINSD_11use_defaultEEENSD_5minusItEEEE10hipError_tPvRmT2_T3_mT4_P12ihipStream_tbEUlmE_tEESB_NS0_8identityIvEEEESJ_SM_SN_mSO_SQ_bEUlT_E_NS1_11comp_targetILNS1_3genE10ELNS1_11target_archE1200ELNS1_3gpuE4ELNS1_3repE0EEENS1_30default_config_static_selectorELNS0_4arch9wavefront6targetE1EEEvT1_.kd
    .uniform_work_group_size: 1
    .uses_dynamic_stack: false
    .vgpr_count:     0
    .vgpr_spill_count: 0
    .wavefront_size: 64
  - .args:
      - .offset:         0
        .size:           56
        .value_kind:     by_value
    .group_segment_fixed_size: 0
    .kernarg_segment_align: 8
    .kernarg_segment_size: 56
    .language:       OpenCL C
    .language_version:
      - 2
      - 0
    .max_flat_workgroup_size: 1024
    .name:           _ZN7rocprim17ROCPRIM_400000_NS6detail17trampoline_kernelINS0_14default_configENS1_25transform_config_selectorItLb0EEEZNS1_14transform_implILb0ES3_S5_NS0_18transform_iteratorINS0_17counting_iteratorImlEEZNS1_24adjacent_difference_implIS3_Lb1ELb0EPtN6thrust23THRUST_200600_302600_NS16discard_iteratorINSD_11use_defaultEEENSD_5minusItEEEE10hipError_tPvRmT2_T3_mT4_P12ihipStream_tbEUlmE_tEESB_NS0_8identityIvEEEESJ_SM_SN_mSO_SQ_bEUlT_E_NS1_11comp_targetILNS1_3genE9ELNS1_11target_archE1100ELNS1_3gpuE3ELNS1_3repE0EEENS1_30default_config_static_selectorELNS0_4arch9wavefront6targetE1EEEvT1_
    .private_segment_fixed_size: 0
    .sgpr_count:     4
    .sgpr_spill_count: 0
    .symbol:         _ZN7rocprim17ROCPRIM_400000_NS6detail17trampoline_kernelINS0_14default_configENS1_25transform_config_selectorItLb0EEEZNS1_14transform_implILb0ES3_S5_NS0_18transform_iteratorINS0_17counting_iteratorImlEEZNS1_24adjacent_difference_implIS3_Lb1ELb0EPtN6thrust23THRUST_200600_302600_NS16discard_iteratorINSD_11use_defaultEEENSD_5minusItEEEE10hipError_tPvRmT2_T3_mT4_P12ihipStream_tbEUlmE_tEESB_NS0_8identityIvEEEESJ_SM_SN_mSO_SQ_bEUlT_E_NS1_11comp_targetILNS1_3genE9ELNS1_11target_archE1100ELNS1_3gpuE3ELNS1_3repE0EEENS1_30default_config_static_selectorELNS0_4arch9wavefront6targetE1EEEvT1_.kd
    .uniform_work_group_size: 1
    .uses_dynamic_stack: false
    .vgpr_count:     0
    .vgpr_spill_count: 0
    .wavefront_size: 64
  - .args:
      - .offset:         0
        .size:           56
        .value_kind:     by_value
    .group_segment_fixed_size: 0
    .kernarg_segment_align: 8
    .kernarg_segment_size: 56
    .language:       OpenCL C
    .language_version:
      - 2
      - 0
    .max_flat_workgroup_size: 1024
    .name:           _ZN7rocprim17ROCPRIM_400000_NS6detail17trampoline_kernelINS0_14default_configENS1_25transform_config_selectorItLb0EEEZNS1_14transform_implILb0ES3_S5_NS0_18transform_iteratorINS0_17counting_iteratorImlEEZNS1_24adjacent_difference_implIS3_Lb1ELb0EPtN6thrust23THRUST_200600_302600_NS16discard_iteratorINSD_11use_defaultEEENSD_5minusItEEEE10hipError_tPvRmT2_T3_mT4_P12ihipStream_tbEUlmE_tEESB_NS0_8identityIvEEEESJ_SM_SN_mSO_SQ_bEUlT_E_NS1_11comp_targetILNS1_3genE8ELNS1_11target_archE1030ELNS1_3gpuE2ELNS1_3repE0EEENS1_30default_config_static_selectorELNS0_4arch9wavefront6targetE1EEEvT1_
    .private_segment_fixed_size: 0
    .sgpr_count:     4
    .sgpr_spill_count: 0
    .symbol:         _ZN7rocprim17ROCPRIM_400000_NS6detail17trampoline_kernelINS0_14default_configENS1_25transform_config_selectorItLb0EEEZNS1_14transform_implILb0ES3_S5_NS0_18transform_iteratorINS0_17counting_iteratorImlEEZNS1_24adjacent_difference_implIS3_Lb1ELb0EPtN6thrust23THRUST_200600_302600_NS16discard_iteratorINSD_11use_defaultEEENSD_5minusItEEEE10hipError_tPvRmT2_T3_mT4_P12ihipStream_tbEUlmE_tEESB_NS0_8identityIvEEEESJ_SM_SN_mSO_SQ_bEUlT_E_NS1_11comp_targetILNS1_3genE8ELNS1_11target_archE1030ELNS1_3gpuE2ELNS1_3repE0EEENS1_30default_config_static_selectorELNS0_4arch9wavefront6targetE1EEEvT1_.kd
    .uniform_work_group_size: 1
    .uses_dynamic_stack: false
    .vgpr_count:     0
    .vgpr_spill_count: 0
    .wavefront_size: 64
  - .args:
      - .offset:         0
        .size:           64
        .value_kind:     by_value
    .group_segment_fixed_size: 0
    .kernarg_segment_align: 8
    .kernarg_segment_size: 64
    .language:       OpenCL C
    .language_version:
      - 2
      - 0
    .max_flat_workgroup_size: 32
    .name:           _ZN7rocprim17ROCPRIM_400000_NS6detail17trampoline_kernelINS0_14default_configENS1_35adjacent_difference_config_selectorILb1EtEEZNS1_24adjacent_difference_implIS3_Lb1ELb0EPtN6thrust23THRUST_200600_302600_NS16discard_iteratorINS9_11use_defaultEEENS9_5minusItEEEE10hipError_tPvRmT2_T3_mT4_P12ihipStream_tbEUlT_E_NS1_11comp_targetILNS1_3genE0ELNS1_11target_archE4294967295ELNS1_3gpuE0ELNS1_3repE0EEENS1_30default_config_static_selectorELNS0_4arch9wavefront6targetE1EEEvT1_
    .private_segment_fixed_size: 0
    .sgpr_count:     4
    .sgpr_spill_count: 0
    .symbol:         _ZN7rocprim17ROCPRIM_400000_NS6detail17trampoline_kernelINS0_14default_configENS1_35adjacent_difference_config_selectorILb1EtEEZNS1_24adjacent_difference_implIS3_Lb1ELb0EPtN6thrust23THRUST_200600_302600_NS16discard_iteratorINS9_11use_defaultEEENS9_5minusItEEEE10hipError_tPvRmT2_T3_mT4_P12ihipStream_tbEUlT_E_NS1_11comp_targetILNS1_3genE0ELNS1_11target_archE4294967295ELNS1_3gpuE0ELNS1_3repE0EEENS1_30default_config_static_selectorELNS0_4arch9wavefront6targetE1EEEvT1_.kd
    .uniform_work_group_size: 1
    .uses_dynamic_stack: false
    .vgpr_count:     0
    .vgpr_spill_count: 0
    .wavefront_size: 64
  - .args:
      - .offset:         0
        .size:           64
        .value_kind:     by_value
    .group_segment_fixed_size: 0
    .kernarg_segment_align: 8
    .kernarg_segment_size: 64
    .language:       OpenCL C
    .language_version:
      - 2
      - 0
    .max_flat_workgroup_size: 512
    .name:           _ZN7rocprim17ROCPRIM_400000_NS6detail17trampoline_kernelINS0_14default_configENS1_35adjacent_difference_config_selectorILb1EtEEZNS1_24adjacent_difference_implIS3_Lb1ELb0EPtN6thrust23THRUST_200600_302600_NS16discard_iteratorINS9_11use_defaultEEENS9_5minusItEEEE10hipError_tPvRmT2_T3_mT4_P12ihipStream_tbEUlT_E_NS1_11comp_targetILNS1_3genE10ELNS1_11target_archE1201ELNS1_3gpuE5ELNS1_3repE0EEENS1_30default_config_static_selectorELNS0_4arch9wavefront6targetE1EEEvT1_
    .private_segment_fixed_size: 0
    .sgpr_count:     4
    .sgpr_spill_count: 0
    .symbol:         _ZN7rocprim17ROCPRIM_400000_NS6detail17trampoline_kernelINS0_14default_configENS1_35adjacent_difference_config_selectorILb1EtEEZNS1_24adjacent_difference_implIS3_Lb1ELb0EPtN6thrust23THRUST_200600_302600_NS16discard_iteratorINS9_11use_defaultEEENS9_5minusItEEEE10hipError_tPvRmT2_T3_mT4_P12ihipStream_tbEUlT_E_NS1_11comp_targetILNS1_3genE10ELNS1_11target_archE1201ELNS1_3gpuE5ELNS1_3repE0EEENS1_30default_config_static_selectorELNS0_4arch9wavefront6targetE1EEEvT1_.kd
    .uniform_work_group_size: 1
    .uses_dynamic_stack: false
    .vgpr_count:     0
    .vgpr_spill_count: 0
    .wavefront_size: 64
  - .args:
      - .offset:         0
        .size:           64
        .value_kind:     by_value
    .group_segment_fixed_size: 0
    .kernarg_segment_align: 8
    .kernarg_segment_size: 64
    .language:       OpenCL C
    .language_version:
      - 2
      - 0
    .max_flat_workgroup_size: 64
    .name:           _ZN7rocprim17ROCPRIM_400000_NS6detail17trampoline_kernelINS0_14default_configENS1_35adjacent_difference_config_selectorILb1EtEEZNS1_24adjacent_difference_implIS3_Lb1ELb0EPtN6thrust23THRUST_200600_302600_NS16discard_iteratorINS9_11use_defaultEEENS9_5minusItEEEE10hipError_tPvRmT2_T3_mT4_P12ihipStream_tbEUlT_E_NS1_11comp_targetILNS1_3genE5ELNS1_11target_archE942ELNS1_3gpuE9ELNS1_3repE0EEENS1_30default_config_static_selectorELNS0_4arch9wavefront6targetE1EEEvT1_
    .private_segment_fixed_size: 0
    .sgpr_count:     4
    .sgpr_spill_count: 0
    .symbol:         _ZN7rocprim17ROCPRIM_400000_NS6detail17trampoline_kernelINS0_14default_configENS1_35adjacent_difference_config_selectorILb1EtEEZNS1_24adjacent_difference_implIS3_Lb1ELb0EPtN6thrust23THRUST_200600_302600_NS16discard_iteratorINS9_11use_defaultEEENS9_5minusItEEEE10hipError_tPvRmT2_T3_mT4_P12ihipStream_tbEUlT_E_NS1_11comp_targetILNS1_3genE5ELNS1_11target_archE942ELNS1_3gpuE9ELNS1_3repE0EEENS1_30default_config_static_selectorELNS0_4arch9wavefront6targetE1EEEvT1_.kd
    .uniform_work_group_size: 1
    .uses_dynamic_stack: false
    .vgpr_count:     0
    .vgpr_spill_count: 0
    .wavefront_size: 64
  - .args:
      - .offset:         0
        .size:           64
        .value_kind:     by_value
    .group_segment_fixed_size: 0
    .kernarg_segment_align: 8
    .kernarg_segment_size: 64
    .language:       OpenCL C
    .language_version:
      - 2
      - 0
    .max_flat_workgroup_size: 64
    .name:           _ZN7rocprim17ROCPRIM_400000_NS6detail17trampoline_kernelINS0_14default_configENS1_35adjacent_difference_config_selectorILb1EtEEZNS1_24adjacent_difference_implIS3_Lb1ELb0EPtN6thrust23THRUST_200600_302600_NS16discard_iteratorINS9_11use_defaultEEENS9_5minusItEEEE10hipError_tPvRmT2_T3_mT4_P12ihipStream_tbEUlT_E_NS1_11comp_targetILNS1_3genE4ELNS1_11target_archE910ELNS1_3gpuE8ELNS1_3repE0EEENS1_30default_config_static_selectorELNS0_4arch9wavefront6targetE1EEEvT1_
    .private_segment_fixed_size: 0
    .sgpr_count:     4
    .sgpr_spill_count: 0
    .symbol:         _ZN7rocprim17ROCPRIM_400000_NS6detail17trampoline_kernelINS0_14default_configENS1_35adjacent_difference_config_selectorILb1EtEEZNS1_24adjacent_difference_implIS3_Lb1ELb0EPtN6thrust23THRUST_200600_302600_NS16discard_iteratorINS9_11use_defaultEEENS9_5minusItEEEE10hipError_tPvRmT2_T3_mT4_P12ihipStream_tbEUlT_E_NS1_11comp_targetILNS1_3genE4ELNS1_11target_archE910ELNS1_3gpuE8ELNS1_3repE0EEENS1_30default_config_static_selectorELNS0_4arch9wavefront6targetE1EEEvT1_.kd
    .uniform_work_group_size: 1
    .uses_dynamic_stack: false
    .vgpr_count:     0
    .vgpr_spill_count: 0
    .wavefront_size: 64
  - .args:
      - .offset:         0
        .size:           64
        .value_kind:     by_value
    .group_segment_fixed_size: 0
    .kernarg_segment_align: 8
    .kernarg_segment_size: 64
    .language:       OpenCL C
    .language_version:
      - 2
      - 0
    .max_flat_workgroup_size: 32
    .name:           _ZN7rocprim17ROCPRIM_400000_NS6detail17trampoline_kernelINS0_14default_configENS1_35adjacent_difference_config_selectorILb1EtEEZNS1_24adjacent_difference_implIS3_Lb1ELb0EPtN6thrust23THRUST_200600_302600_NS16discard_iteratorINS9_11use_defaultEEENS9_5minusItEEEE10hipError_tPvRmT2_T3_mT4_P12ihipStream_tbEUlT_E_NS1_11comp_targetILNS1_3genE3ELNS1_11target_archE908ELNS1_3gpuE7ELNS1_3repE0EEENS1_30default_config_static_selectorELNS0_4arch9wavefront6targetE1EEEvT1_
    .private_segment_fixed_size: 0
    .sgpr_count:     4
    .sgpr_spill_count: 0
    .symbol:         _ZN7rocprim17ROCPRIM_400000_NS6detail17trampoline_kernelINS0_14default_configENS1_35adjacent_difference_config_selectorILb1EtEEZNS1_24adjacent_difference_implIS3_Lb1ELb0EPtN6thrust23THRUST_200600_302600_NS16discard_iteratorINS9_11use_defaultEEENS9_5minusItEEEE10hipError_tPvRmT2_T3_mT4_P12ihipStream_tbEUlT_E_NS1_11comp_targetILNS1_3genE3ELNS1_11target_archE908ELNS1_3gpuE7ELNS1_3repE0EEENS1_30default_config_static_selectorELNS0_4arch9wavefront6targetE1EEEvT1_.kd
    .uniform_work_group_size: 1
    .uses_dynamic_stack: false
    .vgpr_count:     0
    .vgpr_spill_count: 0
    .wavefront_size: 64
  - .args:
      - .offset:         0
        .size:           64
        .value_kind:     by_value
    .group_segment_fixed_size: 2176
    .kernarg_segment_align: 8
    .kernarg_segment_size: 64
    .language:       OpenCL C
    .language_version:
      - 2
      - 0
    .max_flat_workgroup_size: 64
    .name:           _ZN7rocprim17ROCPRIM_400000_NS6detail17trampoline_kernelINS0_14default_configENS1_35adjacent_difference_config_selectorILb1EtEEZNS1_24adjacent_difference_implIS3_Lb1ELb0EPtN6thrust23THRUST_200600_302600_NS16discard_iteratorINS9_11use_defaultEEENS9_5minusItEEEE10hipError_tPvRmT2_T3_mT4_P12ihipStream_tbEUlT_E_NS1_11comp_targetILNS1_3genE2ELNS1_11target_archE906ELNS1_3gpuE6ELNS1_3repE0EEENS1_30default_config_static_selectorELNS0_4arch9wavefront6targetE1EEEvT1_
    .private_segment_fixed_size: 0
    .sgpr_count:     28
    .sgpr_spill_count: 0
    .symbol:         _ZN7rocprim17ROCPRIM_400000_NS6detail17trampoline_kernelINS0_14default_configENS1_35adjacent_difference_config_selectorILb1EtEEZNS1_24adjacent_difference_implIS3_Lb1ELb0EPtN6thrust23THRUST_200600_302600_NS16discard_iteratorINS9_11use_defaultEEENS9_5minusItEEEE10hipError_tPvRmT2_T3_mT4_P12ihipStream_tbEUlT_E_NS1_11comp_targetILNS1_3genE2ELNS1_11target_archE906ELNS1_3gpuE6ELNS1_3repE0EEENS1_30default_config_static_selectorELNS0_4arch9wavefront6targetE1EEEvT1_.kd
    .uniform_work_group_size: 1
    .uses_dynamic_stack: false
    .vgpr_count:     31
    .vgpr_spill_count: 0
    .wavefront_size: 64
  - .args:
      - .offset:         0
        .size:           64
        .value_kind:     by_value
    .group_segment_fixed_size: 0
    .kernarg_segment_align: 8
    .kernarg_segment_size: 64
    .language:       OpenCL C
    .language_version:
      - 2
      - 0
    .max_flat_workgroup_size: 128
    .name:           _ZN7rocprim17ROCPRIM_400000_NS6detail17trampoline_kernelINS0_14default_configENS1_35adjacent_difference_config_selectorILb1EtEEZNS1_24adjacent_difference_implIS3_Lb1ELb0EPtN6thrust23THRUST_200600_302600_NS16discard_iteratorINS9_11use_defaultEEENS9_5minusItEEEE10hipError_tPvRmT2_T3_mT4_P12ihipStream_tbEUlT_E_NS1_11comp_targetILNS1_3genE9ELNS1_11target_archE1100ELNS1_3gpuE3ELNS1_3repE0EEENS1_30default_config_static_selectorELNS0_4arch9wavefront6targetE1EEEvT1_
    .private_segment_fixed_size: 0
    .sgpr_count:     4
    .sgpr_spill_count: 0
    .symbol:         _ZN7rocprim17ROCPRIM_400000_NS6detail17trampoline_kernelINS0_14default_configENS1_35adjacent_difference_config_selectorILb1EtEEZNS1_24adjacent_difference_implIS3_Lb1ELb0EPtN6thrust23THRUST_200600_302600_NS16discard_iteratorINS9_11use_defaultEEENS9_5minusItEEEE10hipError_tPvRmT2_T3_mT4_P12ihipStream_tbEUlT_E_NS1_11comp_targetILNS1_3genE9ELNS1_11target_archE1100ELNS1_3gpuE3ELNS1_3repE0EEENS1_30default_config_static_selectorELNS0_4arch9wavefront6targetE1EEEvT1_.kd
    .uniform_work_group_size: 1
    .uses_dynamic_stack: false
    .vgpr_count:     0
    .vgpr_spill_count: 0
    .wavefront_size: 64
  - .args:
      - .offset:         0
        .size:           64
        .value_kind:     by_value
    .group_segment_fixed_size: 0
    .kernarg_segment_align: 8
    .kernarg_segment_size: 64
    .language:       OpenCL C
    .language_version:
      - 2
      - 0
    .max_flat_workgroup_size: 512
    .name:           _ZN7rocprim17ROCPRIM_400000_NS6detail17trampoline_kernelINS0_14default_configENS1_35adjacent_difference_config_selectorILb1EtEEZNS1_24adjacent_difference_implIS3_Lb1ELb0EPtN6thrust23THRUST_200600_302600_NS16discard_iteratorINS9_11use_defaultEEENS9_5minusItEEEE10hipError_tPvRmT2_T3_mT4_P12ihipStream_tbEUlT_E_NS1_11comp_targetILNS1_3genE8ELNS1_11target_archE1030ELNS1_3gpuE2ELNS1_3repE0EEENS1_30default_config_static_selectorELNS0_4arch9wavefront6targetE1EEEvT1_
    .private_segment_fixed_size: 0
    .sgpr_count:     4
    .sgpr_spill_count: 0
    .symbol:         _ZN7rocprim17ROCPRIM_400000_NS6detail17trampoline_kernelINS0_14default_configENS1_35adjacent_difference_config_selectorILb1EtEEZNS1_24adjacent_difference_implIS3_Lb1ELb0EPtN6thrust23THRUST_200600_302600_NS16discard_iteratorINS9_11use_defaultEEENS9_5minusItEEEE10hipError_tPvRmT2_T3_mT4_P12ihipStream_tbEUlT_E_NS1_11comp_targetILNS1_3genE8ELNS1_11target_archE1030ELNS1_3gpuE2ELNS1_3repE0EEENS1_30default_config_static_selectorELNS0_4arch9wavefront6targetE1EEEvT1_.kd
    .uniform_work_group_size: 1
    .uses_dynamic_stack: false
    .vgpr_count:     0
    .vgpr_spill_count: 0
    .wavefront_size: 64
  - .args:
      - .offset:         0
        .size:           56
        .value_kind:     by_value
    .group_segment_fixed_size: 0
    .kernarg_segment_align: 8
    .kernarg_segment_size: 56
    .language:       OpenCL C
    .language_version:
      - 2
      - 0
    .max_flat_workgroup_size: 128
    .name:           _ZN7rocprim17ROCPRIM_400000_NS6detail17trampoline_kernelINS0_14default_configENS1_25transform_config_selectorIxLb0EEEZNS1_14transform_implILb0ES3_S5_NS0_18transform_iteratorINS0_17counting_iteratorImlEEZNS1_24adjacent_difference_implIS3_Lb1ELb0EPxN6thrust23THRUST_200600_302600_NS16discard_iteratorINSD_11use_defaultEEENSD_5minusIxEEEE10hipError_tPvRmT2_T3_mT4_P12ihipStream_tbEUlmE_xEESB_NS0_8identityIvEEEESJ_SM_SN_mSO_SQ_bEUlT_E_NS1_11comp_targetILNS1_3genE0ELNS1_11target_archE4294967295ELNS1_3gpuE0ELNS1_3repE0EEENS1_30default_config_static_selectorELNS0_4arch9wavefront6targetE1EEEvT1_
    .private_segment_fixed_size: 0
    .sgpr_count:     4
    .sgpr_spill_count: 0
    .symbol:         _ZN7rocprim17ROCPRIM_400000_NS6detail17trampoline_kernelINS0_14default_configENS1_25transform_config_selectorIxLb0EEEZNS1_14transform_implILb0ES3_S5_NS0_18transform_iteratorINS0_17counting_iteratorImlEEZNS1_24adjacent_difference_implIS3_Lb1ELb0EPxN6thrust23THRUST_200600_302600_NS16discard_iteratorINSD_11use_defaultEEENSD_5minusIxEEEE10hipError_tPvRmT2_T3_mT4_P12ihipStream_tbEUlmE_xEESB_NS0_8identityIvEEEESJ_SM_SN_mSO_SQ_bEUlT_E_NS1_11comp_targetILNS1_3genE0ELNS1_11target_archE4294967295ELNS1_3gpuE0ELNS1_3repE0EEENS1_30default_config_static_selectorELNS0_4arch9wavefront6targetE1EEEvT1_.kd
    .uniform_work_group_size: 1
    .uses_dynamic_stack: false
    .vgpr_count:     0
    .vgpr_spill_count: 0
    .wavefront_size: 64
  - .args:
      - .offset:         0
        .size:           56
        .value_kind:     by_value
    .group_segment_fixed_size: 0
    .kernarg_segment_align: 8
    .kernarg_segment_size: 56
    .language:       OpenCL C
    .language_version:
      - 2
      - 0
    .max_flat_workgroup_size: 512
    .name:           _ZN7rocprim17ROCPRIM_400000_NS6detail17trampoline_kernelINS0_14default_configENS1_25transform_config_selectorIxLb0EEEZNS1_14transform_implILb0ES3_S5_NS0_18transform_iteratorINS0_17counting_iteratorImlEEZNS1_24adjacent_difference_implIS3_Lb1ELb0EPxN6thrust23THRUST_200600_302600_NS16discard_iteratorINSD_11use_defaultEEENSD_5minusIxEEEE10hipError_tPvRmT2_T3_mT4_P12ihipStream_tbEUlmE_xEESB_NS0_8identityIvEEEESJ_SM_SN_mSO_SQ_bEUlT_E_NS1_11comp_targetILNS1_3genE5ELNS1_11target_archE942ELNS1_3gpuE9ELNS1_3repE0EEENS1_30default_config_static_selectorELNS0_4arch9wavefront6targetE1EEEvT1_
    .private_segment_fixed_size: 0
    .sgpr_count:     4
    .sgpr_spill_count: 0
    .symbol:         _ZN7rocprim17ROCPRIM_400000_NS6detail17trampoline_kernelINS0_14default_configENS1_25transform_config_selectorIxLb0EEEZNS1_14transform_implILb0ES3_S5_NS0_18transform_iteratorINS0_17counting_iteratorImlEEZNS1_24adjacent_difference_implIS3_Lb1ELb0EPxN6thrust23THRUST_200600_302600_NS16discard_iteratorINSD_11use_defaultEEENSD_5minusIxEEEE10hipError_tPvRmT2_T3_mT4_P12ihipStream_tbEUlmE_xEESB_NS0_8identityIvEEEESJ_SM_SN_mSO_SQ_bEUlT_E_NS1_11comp_targetILNS1_3genE5ELNS1_11target_archE942ELNS1_3gpuE9ELNS1_3repE0EEENS1_30default_config_static_selectorELNS0_4arch9wavefront6targetE1EEEvT1_.kd
    .uniform_work_group_size: 1
    .uses_dynamic_stack: false
    .vgpr_count:     0
    .vgpr_spill_count: 0
    .wavefront_size: 64
  - .args:
      - .offset:         0
        .size:           56
        .value_kind:     by_value
    .group_segment_fixed_size: 0
    .kernarg_segment_align: 8
    .kernarg_segment_size: 56
    .language:       OpenCL C
    .language_version:
      - 2
      - 0
    .max_flat_workgroup_size: 256
    .name:           _ZN7rocprim17ROCPRIM_400000_NS6detail17trampoline_kernelINS0_14default_configENS1_25transform_config_selectorIxLb0EEEZNS1_14transform_implILb0ES3_S5_NS0_18transform_iteratorINS0_17counting_iteratorImlEEZNS1_24adjacent_difference_implIS3_Lb1ELb0EPxN6thrust23THRUST_200600_302600_NS16discard_iteratorINSD_11use_defaultEEENSD_5minusIxEEEE10hipError_tPvRmT2_T3_mT4_P12ihipStream_tbEUlmE_xEESB_NS0_8identityIvEEEESJ_SM_SN_mSO_SQ_bEUlT_E_NS1_11comp_targetILNS1_3genE4ELNS1_11target_archE910ELNS1_3gpuE8ELNS1_3repE0EEENS1_30default_config_static_selectorELNS0_4arch9wavefront6targetE1EEEvT1_
    .private_segment_fixed_size: 0
    .sgpr_count:     4
    .sgpr_spill_count: 0
    .symbol:         _ZN7rocprim17ROCPRIM_400000_NS6detail17trampoline_kernelINS0_14default_configENS1_25transform_config_selectorIxLb0EEEZNS1_14transform_implILb0ES3_S5_NS0_18transform_iteratorINS0_17counting_iteratorImlEEZNS1_24adjacent_difference_implIS3_Lb1ELb0EPxN6thrust23THRUST_200600_302600_NS16discard_iteratorINSD_11use_defaultEEENSD_5minusIxEEEE10hipError_tPvRmT2_T3_mT4_P12ihipStream_tbEUlmE_xEESB_NS0_8identityIvEEEESJ_SM_SN_mSO_SQ_bEUlT_E_NS1_11comp_targetILNS1_3genE4ELNS1_11target_archE910ELNS1_3gpuE8ELNS1_3repE0EEENS1_30default_config_static_selectorELNS0_4arch9wavefront6targetE1EEEvT1_.kd
    .uniform_work_group_size: 1
    .uses_dynamic_stack: false
    .vgpr_count:     0
    .vgpr_spill_count: 0
    .wavefront_size: 64
  - .args:
      - .offset:         0
        .size:           56
        .value_kind:     by_value
    .group_segment_fixed_size: 0
    .kernarg_segment_align: 8
    .kernarg_segment_size: 56
    .language:       OpenCL C
    .language_version:
      - 2
      - 0
    .max_flat_workgroup_size: 128
    .name:           _ZN7rocprim17ROCPRIM_400000_NS6detail17trampoline_kernelINS0_14default_configENS1_25transform_config_selectorIxLb0EEEZNS1_14transform_implILb0ES3_S5_NS0_18transform_iteratorINS0_17counting_iteratorImlEEZNS1_24adjacent_difference_implIS3_Lb1ELb0EPxN6thrust23THRUST_200600_302600_NS16discard_iteratorINSD_11use_defaultEEENSD_5minusIxEEEE10hipError_tPvRmT2_T3_mT4_P12ihipStream_tbEUlmE_xEESB_NS0_8identityIvEEEESJ_SM_SN_mSO_SQ_bEUlT_E_NS1_11comp_targetILNS1_3genE3ELNS1_11target_archE908ELNS1_3gpuE7ELNS1_3repE0EEENS1_30default_config_static_selectorELNS0_4arch9wavefront6targetE1EEEvT1_
    .private_segment_fixed_size: 0
    .sgpr_count:     4
    .sgpr_spill_count: 0
    .symbol:         _ZN7rocprim17ROCPRIM_400000_NS6detail17trampoline_kernelINS0_14default_configENS1_25transform_config_selectorIxLb0EEEZNS1_14transform_implILb0ES3_S5_NS0_18transform_iteratorINS0_17counting_iteratorImlEEZNS1_24adjacent_difference_implIS3_Lb1ELb0EPxN6thrust23THRUST_200600_302600_NS16discard_iteratorINSD_11use_defaultEEENSD_5minusIxEEEE10hipError_tPvRmT2_T3_mT4_P12ihipStream_tbEUlmE_xEESB_NS0_8identityIvEEEESJ_SM_SN_mSO_SQ_bEUlT_E_NS1_11comp_targetILNS1_3genE3ELNS1_11target_archE908ELNS1_3gpuE7ELNS1_3repE0EEENS1_30default_config_static_selectorELNS0_4arch9wavefront6targetE1EEEvT1_.kd
    .uniform_work_group_size: 1
    .uses_dynamic_stack: false
    .vgpr_count:     0
    .vgpr_spill_count: 0
    .wavefront_size: 64
  - .args:
      - .offset:         0
        .size:           56
        .value_kind:     by_value
      - .offset:         56
        .size:           4
        .value_kind:     hidden_block_count_x
      - .offset:         60
        .size:           4
        .value_kind:     hidden_block_count_y
      - .offset:         64
        .size:           4
        .value_kind:     hidden_block_count_z
      - .offset:         68
        .size:           2
        .value_kind:     hidden_group_size_x
      - .offset:         70
        .size:           2
        .value_kind:     hidden_group_size_y
      - .offset:         72
        .size:           2
        .value_kind:     hidden_group_size_z
      - .offset:         74
        .size:           2
        .value_kind:     hidden_remainder_x
      - .offset:         76
        .size:           2
        .value_kind:     hidden_remainder_y
      - .offset:         78
        .size:           2
        .value_kind:     hidden_remainder_z
      - .offset:         96
        .size:           8
        .value_kind:     hidden_global_offset_x
      - .offset:         104
        .size:           8
        .value_kind:     hidden_global_offset_y
      - .offset:         112
        .size:           8
        .value_kind:     hidden_global_offset_z
      - .offset:         120
        .size:           2
        .value_kind:     hidden_grid_dims
    .group_segment_fixed_size: 0
    .kernarg_segment_align: 8
    .kernarg_segment_size: 312
    .language:       OpenCL C
    .language_version:
      - 2
      - 0
    .max_flat_workgroup_size: 512
    .name:           _ZN7rocprim17ROCPRIM_400000_NS6detail17trampoline_kernelINS0_14default_configENS1_25transform_config_selectorIxLb0EEEZNS1_14transform_implILb0ES3_S5_NS0_18transform_iteratorINS0_17counting_iteratorImlEEZNS1_24adjacent_difference_implIS3_Lb1ELb0EPxN6thrust23THRUST_200600_302600_NS16discard_iteratorINSD_11use_defaultEEENSD_5minusIxEEEE10hipError_tPvRmT2_T3_mT4_P12ihipStream_tbEUlmE_xEESB_NS0_8identityIvEEEESJ_SM_SN_mSO_SQ_bEUlT_E_NS1_11comp_targetILNS1_3genE2ELNS1_11target_archE906ELNS1_3gpuE6ELNS1_3repE0EEENS1_30default_config_static_selectorELNS0_4arch9wavefront6targetE1EEEvT1_
    .private_segment_fixed_size: 0
    .sgpr_count:     16
    .sgpr_spill_count: 0
    .symbol:         _ZN7rocprim17ROCPRIM_400000_NS6detail17trampoline_kernelINS0_14default_configENS1_25transform_config_selectorIxLb0EEEZNS1_14transform_implILb0ES3_S5_NS0_18transform_iteratorINS0_17counting_iteratorImlEEZNS1_24adjacent_difference_implIS3_Lb1ELb0EPxN6thrust23THRUST_200600_302600_NS16discard_iteratorINSD_11use_defaultEEENSD_5minusIxEEEE10hipError_tPvRmT2_T3_mT4_P12ihipStream_tbEUlmE_xEESB_NS0_8identityIvEEEESJ_SM_SN_mSO_SQ_bEUlT_E_NS1_11comp_targetILNS1_3genE2ELNS1_11target_archE906ELNS1_3gpuE6ELNS1_3repE0EEENS1_30default_config_static_selectorELNS0_4arch9wavefront6targetE1EEEvT1_.kd
    .uniform_work_group_size: 1
    .uses_dynamic_stack: false
    .vgpr_count:     5
    .vgpr_spill_count: 0
    .wavefront_size: 64
  - .args:
      - .offset:         0
        .size:           56
        .value_kind:     by_value
    .group_segment_fixed_size: 0
    .kernarg_segment_align: 8
    .kernarg_segment_size: 56
    .language:       OpenCL C
    .language_version:
      - 2
      - 0
    .max_flat_workgroup_size: 1024
    .name:           _ZN7rocprim17ROCPRIM_400000_NS6detail17trampoline_kernelINS0_14default_configENS1_25transform_config_selectorIxLb0EEEZNS1_14transform_implILb0ES3_S5_NS0_18transform_iteratorINS0_17counting_iteratorImlEEZNS1_24adjacent_difference_implIS3_Lb1ELb0EPxN6thrust23THRUST_200600_302600_NS16discard_iteratorINSD_11use_defaultEEENSD_5minusIxEEEE10hipError_tPvRmT2_T3_mT4_P12ihipStream_tbEUlmE_xEESB_NS0_8identityIvEEEESJ_SM_SN_mSO_SQ_bEUlT_E_NS1_11comp_targetILNS1_3genE10ELNS1_11target_archE1201ELNS1_3gpuE5ELNS1_3repE0EEENS1_30default_config_static_selectorELNS0_4arch9wavefront6targetE1EEEvT1_
    .private_segment_fixed_size: 0
    .sgpr_count:     4
    .sgpr_spill_count: 0
    .symbol:         _ZN7rocprim17ROCPRIM_400000_NS6detail17trampoline_kernelINS0_14default_configENS1_25transform_config_selectorIxLb0EEEZNS1_14transform_implILb0ES3_S5_NS0_18transform_iteratorINS0_17counting_iteratorImlEEZNS1_24adjacent_difference_implIS3_Lb1ELb0EPxN6thrust23THRUST_200600_302600_NS16discard_iteratorINSD_11use_defaultEEENSD_5minusIxEEEE10hipError_tPvRmT2_T3_mT4_P12ihipStream_tbEUlmE_xEESB_NS0_8identityIvEEEESJ_SM_SN_mSO_SQ_bEUlT_E_NS1_11comp_targetILNS1_3genE10ELNS1_11target_archE1201ELNS1_3gpuE5ELNS1_3repE0EEENS1_30default_config_static_selectorELNS0_4arch9wavefront6targetE1EEEvT1_.kd
    .uniform_work_group_size: 1
    .uses_dynamic_stack: false
    .vgpr_count:     0
    .vgpr_spill_count: 0
    .wavefront_size: 64
  - .args:
      - .offset:         0
        .size:           56
        .value_kind:     by_value
    .group_segment_fixed_size: 0
    .kernarg_segment_align: 8
    .kernarg_segment_size: 56
    .language:       OpenCL C
    .language_version:
      - 2
      - 0
    .max_flat_workgroup_size: 512
    .name:           _ZN7rocprim17ROCPRIM_400000_NS6detail17trampoline_kernelINS0_14default_configENS1_25transform_config_selectorIxLb0EEEZNS1_14transform_implILb0ES3_S5_NS0_18transform_iteratorINS0_17counting_iteratorImlEEZNS1_24adjacent_difference_implIS3_Lb1ELb0EPxN6thrust23THRUST_200600_302600_NS16discard_iteratorINSD_11use_defaultEEENSD_5minusIxEEEE10hipError_tPvRmT2_T3_mT4_P12ihipStream_tbEUlmE_xEESB_NS0_8identityIvEEEESJ_SM_SN_mSO_SQ_bEUlT_E_NS1_11comp_targetILNS1_3genE10ELNS1_11target_archE1200ELNS1_3gpuE4ELNS1_3repE0EEENS1_30default_config_static_selectorELNS0_4arch9wavefront6targetE1EEEvT1_
    .private_segment_fixed_size: 0
    .sgpr_count:     4
    .sgpr_spill_count: 0
    .symbol:         _ZN7rocprim17ROCPRIM_400000_NS6detail17trampoline_kernelINS0_14default_configENS1_25transform_config_selectorIxLb0EEEZNS1_14transform_implILb0ES3_S5_NS0_18transform_iteratorINS0_17counting_iteratorImlEEZNS1_24adjacent_difference_implIS3_Lb1ELb0EPxN6thrust23THRUST_200600_302600_NS16discard_iteratorINSD_11use_defaultEEENSD_5minusIxEEEE10hipError_tPvRmT2_T3_mT4_P12ihipStream_tbEUlmE_xEESB_NS0_8identityIvEEEESJ_SM_SN_mSO_SQ_bEUlT_E_NS1_11comp_targetILNS1_3genE10ELNS1_11target_archE1200ELNS1_3gpuE4ELNS1_3repE0EEENS1_30default_config_static_selectorELNS0_4arch9wavefront6targetE1EEEvT1_.kd
    .uniform_work_group_size: 1
    .uses_dynamic_stack: false
    .vgpr_count:     0
    .vgpr_spill_count: 0
    .wavefront_size: 64
  - .args:
      - .offset:         0
        .size:           56
        .value_kind:     by_value
    .group_segment_fixed_size: 0
    .kernarg_segment_align: 8
    .kernarg_segment_size: 56
    .language:       OpenCL C
    .language_version:
      - 2
      - 0
    .max_flat_workgroup_size: 512
    .name:           _ZN7rocprim17ROCPRIM_400000_NS6detail17trampoline_kernelINS0_14default_configENS1_25transform_config_selectorIxLb0EEEZNS1_14transform_implILb0ES3_S5_NS0_18transform_iteratorINS0_17counting_iteratorImlEEZNS1_24adjacent_difference_implIS3_Lb1ELb0EPxN6thrust23THRUST_200600_302600_NS16discard_iteratorINSD_11use_defaultEEENSD_5minusIxEEEE10hipError_tPvRmT2_T3_mT4_P12ihipStream_tbEUlmE_xEESB_NS0_8identityIvEEEESJ_SM_SN_mSO_SQ_bEUlT_E_NS1_11comp_targetILNS1_3genE9ELNS1_11target_archE1100ELNS1_3gpuE3ELNS1_3repE0EEENS1_30default_config_static_selectorELNS0_4arch9wavefront6targetE1EEEvT1_
    .private_segment_fixed_size: 0
    .sgpr_count:     4
    .sgpr_spill_count: 0
    .symbol:         _ZN7rocprim17ROCPRIM_400000_NS6detail17trampoline_kernelINS0_14default_configENS1_25transform_config_selectorIxLb0EEEZNS1_14transform_implILb0ES3_S5_NS0_18transform_iteratorINS0_17counting_iteratorImlEEZNS1_24adjacent_difference_implIS3_Lb1ELb0EPxN6thrust23THRUST_200600_302600_NS16discard_iteratorINSD_11use_defaultEEENSD_5minusIxEEEE10hipError_tPvRmT2_T3_mT4_P12ihipStream_tbEUlmE_xEESB_NS0_8identityIvEEEESJ_SM_SN_mSO_SQ_bEUlT_E_NS1_11comp_targetILNS1_3genE9ELNS1_11target_archE1100ELNS1_3gpuE3ELNS1_3repE0EEENS1_30default_config_static_selectorELNS0_4arch9wavefront6targetE1EEEvT1_.kd
    .uniform_work_group_size: 1
    .uses_dynamic_stack: false
    .vgpr_count:     0
    .vgpr_spill_count: 0
    .wavefront_size: 64
  - .args:
      - .offset:         0
        .size:           56
        .value_kind:     by_value
    .group_segment_fixed_size: 0
    .kernarg_segment_align: 8
    .kernarg_segment_size: 56
    .language:       OpenCL C
    .language_version:
      - 2
      - 0
    .max_flat_workgroup_size: 512
    .name:           _ZN7rocprim17ROCPRIM_400000_NS6detail17trampoline_kernelINS0_14default_configENS1_25transform_config_selectorIxLb0EEEZNS1_14transform_implILb0ES3_S5_NS0_18transform_iteratorINS0_17counting_iteratorImlEEZNS1_24adjacent_difference_implIS3_Lb1ELb0EPxN6thrust23THRUST_200600_302600_NS16discard_iteratorINSD_11use_defaultEEENSD_5minusIxEEEE10hipError_tPvRmT2_T3_mT4_P12ihipStream_tbEUlmE_xEESB_NS0_8identityIvEEEESJ_SM_SN_mSO_SQ_bEUlT_E_NS1_11comp_targetILNS1_3genE8ELNS1_11target_archE1030ELNS1_3gpuE2ELNS1_3repE0EEENS1_30default_config_static_selectorELNS0_4arch9wavefront6targetE1EEEvT1_
    .private_segment_fixed_size: 0
    .sgpr_count:     4
    .sgpr_spill_count: 0
    .symbol:         _ZN7rocprim17ROCPRIM_400000_NS6detail17trampoline_kernelINS0_14default_configENS1_25transform_config_selectorIxLb0EEEZNS1_14transform_implILb0ES3_S5_NS0_18transform_iteratorINS0_17counting_iteratorImlEEZNS1_24adjacent_difference_implIS3_Lb1ELb0EPxN6thrust23THRUST_200600_302600_NS16discard_iteratorINSD_11use_defaultEEENSD_5minusIxEEEE10hipError_tPvRmT2_T3_mT4_P12ihipStream_tbEUlmE_xEESB_NS0_8identityIvEEEESJ_SM_SN_mSO_SQ_bEUlT_E_NS1_11comp_targetILNS1_3genE8ELNS1_11target_archE1030ELNS1_3gpuE2ELNS1_3repE0EEENS1_30default_config_static_selectorELNS0_4arch9wavefront6targetE1EEEvT1_.kd
    .uniform_work_group_size: 1
    .uses_dynamic_stack: false
    .vgpr_count:     0
    .vgpr_spill_count: 0
    .wavefront_size: 64
  - .args:
      - .offset:         0
        .size:           64
        .value_kind:     by_value
    .group_segment_fixed_size: 0
    .kernarg_segment_align: 8
    .kernarg_segment_size: 64
    .language:       OpenCL C
    .language_version:
      - 2
      - 0
    .max_flat_workgroup_size: 512
    .name:           _ZN7rocprim17ROCPRIM_400000_NS6detail17trampoline_kernelINS0_14default_configENS1_35adjacent_difference_config_selectorILb1ExEEZNS1_24adjacent_difference_implIS3_Lb1ELb0EPxN6thrust23THRUST_200600_302600_NS16discard_iteratorINS9_11use_defaultEEENS9_5minusIxEEEE10hipError_tPvRmT2_T3_mT4_P12ihipStream_tbEUlT_E_NS1_11comp_targetILNS1_3genE0ELNS1_11target_archE4294967295ELNS1_3gpuE0ELNS1_3repE0EEENS1_30default_config_static_selectorELNS0_4arch9wavefront6targetE1EEEvT1_
    .private_segment_fixed_size: 0
    .sgpr_count:     4
    .sgpr_spill_count: 0
    .symbol:         _ZN7rocprim17ROCPRIM_400000_NS6detail17trampoline_kernelINS0_14default_configENS1_35adjacent_difference_config_selectorILb1ExEEZNS1_24adjacent_difference_implIS3_Lb1ELb0EPxN6thrust23THRUST_200600_302600_NS16discard_iteratorINS9_11use_defaultEEENS9_5minusIxEEEE10hipError_tPvRmT2_T3_mT4_P12ihipStream_tbEUlT_E_NS1_11comp_targetILNS1_3genE0ELNS1_11target_archE4294967295ELNS1_3gpuE0ELNS1_3repE0EEENS1_30default_config_static_selectorELNS0_4arch9wavefront6targetE1EEEvT1_.kd
    .uniform_work_group_size: 1
    .uses_dynamic_stack: false
    .vgpr_count:     0
    .vgpr_spill_count: 0
    .wavefront_size: 64
  - .args:
      - .offset:         0
        .size:           64
        .value_kind:     by_value
    .group_segment_fixed_size: 0
    .kernarg_segment_align: 8
    .kernarg_segment_size: 64
    .language:       OpenCL C
    .language_version:
      - 2
      - 0
    .max_flat_workgroup_size: 32
    .name:           _ZN7rocprim17ROCPRIM_400000_NS6detail17trampoline_kernelINS0_14default_configENS1_35adjacent_difference_config_selectorILb1ExEEZNS1_24adjacent_difference_implIS3_Lb1ELb0EPxN6thrust23THRUST_200600_302600_NS16discard_iteratorINS9_11use_defaultEEENS9_5minusIxEEEE10hipError_tPvRmT2_T3_mT4_P12ihipStream_tbEUlT_E_NS1_11comp_targetILNS1_3genE10ELNS1_11target_archE1201ELNS1_3gpuE5ELNS1_3repE0EEENS1_30default_config_static_selectorELNS0_4arch9wavefront6targetE1EEEvT1_
    .private_segment_fixed_size: 0
    .sgpr_count:     4
    .sgpr_spill_count: 0
    .symbol:         _ZN7rocprim17ROCPRIM_400000_NS6detail17trampoline_kernelINS0_14default_configENS1_35adjacent_difference_config_selectorILb1ExEEZNS1_24adjacent_difference_implIS3_Lb1ELb0EPxN6thrust23THRUST_200600_302600_NS16discard_iteratorINS9_11use_defaultEEENS9_5minusIxEEEE10hipError_tPvRmT2_T3_mT4_P12ihipStream_tbEUlT_E_NS1_11comp_targetILNS1_3genE10ELNS1_11target_archE1201ELNS1_3gpuE5ELNS1_3repE0EEENS1_30default_config_static_selectorELNS0_4arch9wavefront6targetE1EEEvT1_.kd
    .uniform_work_group_size: 1
    .uses_dynamic_stack: false
    .vgpr_count:     0
    .vgpr_spill_count: 0
    .wavefront_size: 64
  - .args:
      - .offset:         0
        .size:           64
        .value_kind:     by_value
    .group_segment_fixed_size: 0
    .kernarg_segment_align: 8
    .kernarg_segment_size: 64
    .language:       OpenCL C
    .language_version:
      - 2
      - 0
    .max_flat_workgroup_size: 256
    .name:           _ZN7rocprim17ROCPRIM_400000_NS6detail17trampoline_kernelINS0_14default_configENS1_35adjacent_difference_config_selectorILb1ExEEZNS1_24adjacent_difference_implIS3_Lb1ELb0EPxN6thrust23THRUST_200600_302600_NS16discard_iteratorINS9_11use_defaultEEENS9_5minusIxEEEE10hipError_tPvRmT2_T3_mT4_P12ihipStream_tbEUlT_E_NS1_11comp_targetILNS1_3genE5ELNS1_11target_archE942ELNS1_3gpuE9ELNS1_3repE0EEENS1_30default_config_static_selectorELNS0_4arch9wavefront6targetE1EEEvT1_
    .private_segment_fixed_size: 0
    .sgpr_count:     4
    .sgpr_spill_count: 0
    .symbol:         _ZN7rocprim17ROCPRIM_400000_NS6detail17trampoline_kernelINS0_14default_configENS1_35adjacent_difference_config_selectorILb1ExEEZNS1_24adjacent_difference_implIS3_Lb1ELb0EPxN6thrust23THRUST_200600_302600_NS16discard_iteratorINS9_11use_defaultEEENS9_5minusIxEEEE10hipError_tPvRmT2_T3_mT4_P12ihipStream_tbEUlT_E_NS1_11comp_targetILNS1_3genE5ELNS1_11target_archE942ELNS1_3gpuE9ELNS1_3repE0EEENS1_30default_config_static_selectorELNS0_4arch9wavefront6targetE1EEEvT1_.kd
    .uniform_work_group_size: 1
    .uses_dynamic_stack: false
    .vgpr_count:     0
    .vgpr_spill_count: 0
    .wavefront_size: 64
  - .args:
      - .offset:         0
        .size:           64
        .value_kind:     by_value
    .group_segment_fixed_size: 0
    .kernarg_segment_align: 8
    .kernarg_segment_size: 64
    .language:       OpenCL C
    .language_version:
      - 2
      - 0
    .max_flat_workgroup_size: 512
    .name:           _ZN7rocprim17ROCPRIM_400000_NS6detail17trampoline_kernelINS0_14default_configENS1_35adjacent_difference_config_selectorILb1ExEEZNS1_24adjacent_difference_implIS3_Lb1ELb0EPxN6thrust23THRUST_200600_302600_NS16discard_iteratorINS9_11use_defaultEEENS9_5minusIxEEEE10hipError_tPvRmT2_T3_mT4_P12ihipStream_tbEUlT_E_NS1_11comp_targetILNS1_3genE4ELNS1_11target_archE910ELNS1_3gpuE8ELNS1_3repE0EEENS1_30default_config_static_selectorELNS0_4arch9wavefront6targetE1EEEvT1_
    .private_segment_fixed_size: 0
    .sgpr_count:     4
    .sgpr_spill_count: 0
    .symbol:         _ZN7rocprim17ROCPRIM_400000_NS6detail17trampoline_kernelINS0_14default_configENS1_35adjacent_difference_config_selectorILb1ExEEZNS1_24adjacent_difference_implIS3_Lb1ELb0EPxN6thrust23THRUST_200600_302600_NS16discard_iteratorINS9_11use_defaultEEENS9_5minusIxEEEE10hipError_tPvRmT2_T3_mT4_P12ihipStream_tbEUlT_E_NS1_11comp_targetILNS1_3genE4ELNS1_11target_archE910ELNS1_3gpuE8ELNS1_3repE0EEENS1_30default_config_static_selectorELNS0_4arch9wavefront6targetE1EEEvT1_.kd
    .uniform_work_group_size: 1
    .uses_dynamic_stack: false
    .vgpr_count:     0
    .vgpr_spill_count: 0
    .wavefront_size: 64
  - .args:
      - .offset:         0
        .size:           64
        .value_kind:     by_value
    .group_segment_fixed_size: 0
    .kernarg_segment_align: 8
    .kernarg_segment_size: 64
    .language:       OpenCL C
    .language_version:
      - 2
      - 0
    .max_flat_workgroup_size: 512
    .name:           _ZN7rocprim17ROCPRIM_400000_NS6detail17trampoline_kernelINS0_14default_configENS1_35adjacent_difference_config_selectorILb1ExEEZNS1_24adjacent_difference_implIS3_Lb1ELb0EPxN6thrust23THRUST_200600_302600_NS16discard_iteratorINS9_11use_defaultEEENS9_5minusIxEEEE10hipError_tPvRmT2_T3_mT4_P12ihipStream_tbEUlT_E_NS1_11comp_targetILNS1_3genE3ELNS1_11target_archE908ELNS1_3gpuE7ELNS1_3repE0EEENS1_30default_config_static_selectorELNS0_4arch9wavefront6targetE1EEEvT1_
    .private_segment_fixed_size: 0
    .sgpr_count:     4
    .sgpr_spill_count: 0
    .symbol:         _ZN7rocprim17ROCPRIM_400000_NS6detail17trampoline_kernelINS0_14default_configENS1_35adjacent_difference_config_selectorILb1ExEEZNS1_24adjacent_difference_implIS3_Lb1ELb0EPxN6thrust23THRUST_200600_302600_NS16discard_iteratorINS9_11use_defaultEEENS9_5minusIxEEEE10hipError_tPvRmT2_T3_mT4_P12ihipStream_tbEUlT_E_NS1_11comp_targetILNS1_3genE3ELNS1_11target_archE908ELNS1_3gpuE7ELNS1_3repE0EEENS1_30default_config_static_selectorELNS0_4arch9wavefront6targetE1EEEvT1_.kd
    .uniform_work_group_size: 1
    .uses_dynamic_stack: false
    .vgpr_count:     0
    .vgpr_spill_count: 0
    .wavefront_size: 64
  - .args:
      - .offset:         0
        .size:           64
        .value_kind:     by_value
    .group_segment_fixed_size: 11264
    .kernarg_segment_align: 8
    .kernarg_segment_size: 64
    .language:       OpenCL C
    .language_version:
      - 2
      - 0
    .max_flat_workgroup_size: 128
    .name:           _ZN7rocprim17ROCPRIM_400000_NS6detail17trampoline_kernelINS0_14default_configENS1_35adjacent_difference_config_selectorILb1ExEEZNS1_24adjacent_difference_implIS3_Lb1ELb0EPxN6thrust23THRUST_200600_302600_NS16discard_iteratorINS9_11use_defaultEEENS9_5minusIxEEEE10hipError_tPvRmT2_T3_mT4_P12ihipStream_tbEUlT_E_NS1_11comp_targetILNS1_3genE2ELNS1_11target_archE906ELNS1_3gpuE6ELNS1_3repE0EEENS1_30default_config_static_selectorELNS0_4arch9wavefront6targetE1EEEvT1_
    .private_segment_fixed_size: 0
    .sgpr_count:     28
    .sgpr_spill_count: 0
    .symbol:         _ZN7rocprim17ROCPRIM_400000_NS6detail17trampoline_kernelINS0_14default_configENS1_35adjacent_difference_config_selectorILb1ExEEZNS1_24adjacent_difference_implIS3_Lb1ELb0EPxN6thrust23THRUST_200600_302600_NS16discard_iteratorINS9_11use_defaultEEENS9_5minusIxEEEE10hipError_tPvRmT2_T3_mT4_P12ihipStream_tbEUlT_E_NS1_11comp_targetILNS1_3genE2ELNS1_11target_archE906ELNS1_3gpuE6ELNS1_3repE0EEENS1_30default_config_static_selectorELNS0_4arch9wavefront6targetE1EEEvT1_.kd
    .uniform_work_group_size: 1
    .uses_dynamic_stack: false
    .vgpr_count:     47
    .vgpr_spill_count: 0
    .wavefront_size: 64
  - .args:
      - .offset:         0
        .size:           64
        .value_kind:     by_value
    .group_segment_fixed_size: 0
    .kernarg_segment_align: 8
    .kernarg_segment_size: 64
    .language:       OpenCL C
    .language_version:
      - 2
      - 0
    .max_flat_workgroup_size: 128
    .name:           _ZN7rocprim17ROCPRIM_400000_NS6detail17trampoline_kernelINS0_14default_configENS1_35adjacent_difference_config_selectorILb1ExEEZNS1_24adjacent_difference_implIS3_Lb1ELb0EPxN6thrust23THRUST_200600_302600_NS16discard_iteratorINS9_11use_defaultEEENS9_5minusIxEEEE10hipError_tPvRmT2_T3_mT4_P12ihipStream_tbEUlT_E_NS1_11comp_targetILNS1_3genE9ELNS1_11target_archE1100ELNS1_3gpuE3ELNS1_3repE0EEENS1_30default_config_static_selectorELNS0_4arch9wavefront6targetE1EEEvT1_
    .private_segment_fixed_size: 0
    .sgpr_count:     4
    .sgpr_spill_count: 0
    .symbol:         _ZN7rocprim17ROCPRIM_400000_NS6detail17trampoline_kernelINS0_14default_configENS1_35adjacent_difference_config_selectorILb1ExEEZNS1_24adjacent_difference_implIS3_Lb1ELb0EPxN6thrust23THRUST_200600_302600_NS16discard_iteratorINS9_11use_defaultEEENS9_5minusIxEEEE10hipError_tPvRmT2_T3_mT4_P12ihipStream_tbEUlT_E_NS1_11comp_targetILNS1_3genE9ELNS1_11target_archE1100ELNS1_3gpuE3ELNS1_3repE0EEENS1_30default_config_static_selectorELNS0_4arch9wavefront6targetE1EEEvT1_.kd
    .uniform_work_group_size: 1
    .uses_dynamic_stack: false
    .vgpr_count:     0
    .vgpr_spill_count: 0
    .wavefront_size: 64
  - .args:
      - .offset:         0
        .size:           64
        .value_kind:     by_value
    .group_segment_fixed_size: 0
    .kernarg_segment_align: 8
    .kernarg_segment_size: 64
    .language:       OpenCL C
    .language_version:
      - 2
      - 0
    .max_flat_workgroup_size: 32
    .name:           _ZN7rocprim17ROCPRIM_400000_NS6detail17trampoline_kernelINS0_14default_configENS1_35adjacent_difference_config_selectorILb1ExEEZNS1_24adjacent_difference_implIS3_Lb1ELb0EPxN6thrust23THRUST_200600_302600_NS16discard_iteratorINS9_11use_defaultEEENS9_5minusIxEEEE10hipError_tPvRmT2_T3_mT4_P12ihipStream_tbEUlT_E_NS1_11comp_targetILNS1_3genE8ELNS1_11target_archE1030ELNS1_3gpuE2ELNS1_3repE0EEENS1_30default_config_static_selectorELNS0_4arch9wavefront6targetE1EEEvT1_
    .private_segment_fixed_size: 0
    .sgpr_count:     4
    .sgpr_spill_count: 0
    .symbol:         _ZN7rocprim17ROCPRIM_400000_NS6detail17trampoline_kernelINS0_14default_configENS1_35adjacent_difference_config_selectorILb1ExEEZNS1_24adjacent_difference_implIS3_Lb1ELb0EPxN6thrust23THRUST_200600_302600_NS16discard_iteratorINS9_11use_defaultEEENS9_5minusIxEEEE10hipError_tPvRmT2_T3_mT4_P12ihipStream_tbEUlT_E_NS1_11comp_targetILNS1_3genE8ELNS1_11target_archE1030ELNS1_3gpuE2ELNS1_3repE0EEENS1_30default_config_static_selectorELNS0_4arch9wavefront6targetE1EEEvT1_.kd
    .uniform_work_group_size: 1
    .uses_dynamic_stack: false
    .vgpr_count:     0
    .vgpr_spill_count: 0
    .wavefront_size: 64
  - .args:
      - .offset:         0
        .size:           56
        .value_kind:     by_value
    .group_segment_fixed_size: 0
    .kernarg_segment_align: 8
    .kernarg_segment_size: 56
    .language:       OpenCL C
    .language_version:
      - 2
      - 0
    .max_flat_workgroup_size: 128
    .name:           _ZN7rocprim17ROCPRIM_400000_NS6detail17trampoline_kernelINS0_14default_configENS1_25transform_config_selectorIiLb0EEEZNS1_14transform_implILb0ES3_S5_NS0_18transform_iteratorINS0_17counting_iteratorImlEEZNS1_24adjacent_difference_implIS3_Lb1ELb0EPiN6thrust23THRUST_200600_302600_NS16discard_iteratorINSD_11use_defaultEEENSD_5minusIiEEEE10hipError_tPvRmT2_T3_mT4_P12ihipStream_tbEUlmE_iEESB_NS0_8identityIvEEEESJ_SM_SN_mSO_SQ_bEUlT_E_NS1_11comp_targetILNS1_3genE0ELNS1_11target_archE4294967295ELNS1_3gpuE0ELNS1_3repE0EEENS1_30default_config_static_selectorELNS0_4arch9wavefront6targetE1EEEvT1_
    .private_segment_fixed_size: 0
    .sgpr_count:     4
    .sgpr_spill_count: 0
    .symbol:         _ZN7rocprim17ROCPRIM_400000_NS6detail17trampoline_kernelINS0_14default_configENS1_25transform_config_selectorIiLb0EEEZNS1_14transform_implILb0ES3_S5_NS0_18transform_iteratorINS0_17counting_iteratorImlEEZNS1_24adjacent_difference_implIS3_Lb1ELb0EPiN6thrust23THRUST_200600_302600_NS16discard_iteratorINSD_11use_defaultEEENSD_5minusIiEEEE10hipError_tPvRmT2_T3_mT4_P12ihipStream_tbEUlmE_iEESB_NS0_8identityIvEEEESJ_SM_SN_mSO_SQ_bEUlT_E_NS1_11comp_targetILNS1_3genE0ELNS1_11target_archE4294967295ELNS1_3gpuE0ELNS1_3repE0EEENS1_30default_config_static_selectorELNS0_4arch9wavefront6targetE1EEEvT1_.kd
    .uniform_work_group_size: 1
    .uses_dynamic_stack: false
    .vgpr_count:     0
    .vgpr_spill_count: 0
    .wavefront_size: 64
  - .args:
      - .offset:         0
        .size:           56
        .value_kind:     by_value
    .group_segment_fixed_size: 0
    .kernarg_segment_align: 8
    .kernarg_segment_size: 56
    .language:       OpenCL C
    .language_version:
      - 2
      - 0
    .max_flat_workgroup_size: 512
    .name:           _ZN7rocprim17ROCPRIM_400000_NS6detail17trampoline_kernelINS0_14default_configENS1_25transform_config_selectorIiLb0EEEZNS1_14transform_implILb0ES3_S5_NS0_18transform_iteratorINS0_17counting_iteratorImlEEZNS1_24adjacent_difference_implIS3_Lb1ELb0EPiN6thrust23THRUST_200600_302600_NS16discard_iteratorINSD_11use_defaultEEENSD_5minusIiEEEE10hipError_tPvRmT2_T3_mT4_P12ihipStream_tbEUlmE_iEESB_NS0_8identityIvEEEESJ_SM_SN_mSO_SQ_bEUlT_E_NS1_11comp_targetILNS1_3genE5ELNS1_11target_archE942ELNS1_3gpuE9ELNS1_3repE0EEENS1_30default_config_static_selectorELNS0_4arch9wavefront6targetE1EEEvT1_
    .private_segment_fixed_size: 0
    .sgpr_count:     4
    .sgpr_spill_count: 0
    .symbol:         _ZN7rocprim17ROCPRIM_400000_NS6detail17trampoline_kernelINS0_14default_configENS1_25transform_config_selectorIiLb0EEEZNS1_14transform_implILb0ES3_S5_NS0_18transform_iteratorINS0_17counting_iteratorImlEEZNS1_24adjacent_difference_implIS3_Lb1ELb0EPiN6thrust23THRUST_200600_302600_NS16discard_iteratorINSD_11use_defaultEEENSD_5minusIiEEEE10hipError_tPvRmT2_T3_mT4_P12ihipStream_tbEUlmE_iEESB_NS0_8identityIvEEEESJ_SM_SN_mSO_SQ_bEUlT_E_NS1_11comp_targetILNS1_3genE5ELNS1_11target_archE942ELNS1_3gpuE9ELNS1_3repE0EEENS1_30default_config_static_selectorELNS0_4arch9wavefront6targetE1EEEvT1_.kd
    .uniform_work_group_size: 1
    .uses_dynamic_stack: false
    .vgpr_count:     0
    .vgpr_spill_count: 0
    .wavefront_size: 64
  - .args:
      - .offset:         0
        .size:           56
        .value_kind:     by_value
    .group_segment_fixed_size: 0
    .kernarg_segment_align: 8
    .kernarg_segment_size: 56
    .language:       OpenCL C
    .language_version:
      - 2
      - 0
    .max_flat_workgroup_size: 1024
    .name:           _ZN7rocprim17ROCPRIM_400000_NS6detail17trampoline_kernelINS0_14default_configENS1_25transform_config_selectorIiLb0EEEZNS1_14transform_implILb0ES3_S5_NS0_18transform_iteratorINS0_17counting_iteratorImlEEZNS1_24adjacent_difference_implIS3_Lb1ELb0EPiN6thrust23THRUST_200600_302600_NS16discard_iteratorINSD_11use_defaultEEENSD_5minusIiEEEE10hipError_tPvRmT2_T3_mT4_P12ihipStream_tbEUlmE_iEESB_NS0_8identityIvEEEESJ_SM_SN_mSO_SQ_bEUlT_E_NS1_11comp_targetILNS1_3genE4ELNS1_11target_archE910ELNS1_3gpuE8ELNS1_3repE0EEENS1_30default_config_static_selectorELNS0_4arch9wavefront6targetE1EEEvT1_
    .private_segment_fixed_size: 0
    .sgpr_count:     4
    .sgpr_spill_count: 0
    .symbol:         _ZN7rocprim17ROCPRIM_400000_NS6detail17trampoline_kernelINS0_14default_configENS1_25transform_config_selectorIiLb0EEEZNS1_14transform_implILb0ES3_S5_NS0_18transform_iteratorINS0_17counting_iteratorImlEEZNS1_24adjacent_difference_implIS3_Lb1ELb0EPiN6thrust23THRUST_200600_302600_NS16discard_iteratorINSD_11use_defaultEEENSD_5minusIiEEEE10hipError_tPvRmT2_T3_mT4_P12ihipStream_tbEUlmE_iEESB_NS0_8identityIvEEEESJ_SM_SN_mSO_SQ_bEUlT_E_NS1_11comp_targetILNS1_3genE4ELNS1_11target_archE910ELNS1_3gpuE8ELNS1_3repE0EEENS1_30default_config_static_selectorELNS0_4arch9wavefront6targetE1EEEvT1_.kd
    .uniform_work_group_size: 1
    .uses_dynamic_stack: false
    .vgpr_count:     0
    .vgpr_spill_count: 0
    .wavefront_size: 64
  - .args:
      - .offset:         0
        .size:           56
        .value_kind:     by_value
    .group_segment_fixed_size: 0
    .kernarg_segment_align: 8
    .kernarg_segment_size: 56
    .language:       OpenCL C
    .language_version:
      - 2
      - 0
    .max_flat_workgroup_size: 128
    .name:           _ZN7rocprim17ROCPRIM_400000_NS6detail17trampoline_kernelINS0_14default_configENS1_25transform_config_selectorIiLb0EEEZNS1_14transform_implILb0ES3_S5_NS0_18transform_iteratorINS0_17counting_iteratorImlEEZNS1_24adjacent_difference_implIS3_Lb1ELb0EPiN6thrust23THRUST_200600_302600_NS16discard_iteratorINSD_11use_defaultEEENSD_5minusIiEEEE10hipError_tPvRmT2_T3_mT4_P12ihipStream_tbEUlmE_iEESB_NS0_8identityIvEEEESJ_SM_SN_mSO_SQ_bEUlT_E_NS1_11comp_targetILNS1_3genE3ELNS1_11target_archE908ELNS1_3gpuE7ELNS1_3repE0EEENS1_30default_config_static_selectorELNS0_4arch9wavefront6targetE1EEEvT1_
    .private_segment_fixed_size: 0
    .sgpr_count:     4
    .sgpr_spill_count: 0
    .symbol:         _ZN7rocprim17ROCPRIM_400000_NS6detail17trampoline_kernelINS0_14default_configENS1_25transform_config_selectorIiLb0EEEZNS1_14transform_implILb0ES3_S5_NS0_18transform_iteratorINS0_17counting_iteratorImlEEZNS1_24adjacent_difference_implIS3_Lb1ELb0EPiN6thrust23THRUST_200600_302600_NS16discard_iteratorINSD_11use_defaultEEENSD_5minusIiEEEE10hipError_tPvRmT2_T3_mT4_P12ihipStream_tbEUlmE_iEESB_NS0_8identityIvEEEESJ_SM_SN_mSO_SQ_bEUlT_E_NS1_11comp_targetILNS1_3genE3ELNS1_11target_archE908ELNS1_3gpuE7ELNS1_3repE0EEENS1_30default_config_static_selectorELNS0_4arch9wavefront6targetE1EEEvT1_.kd
    .uniform_work_group_size: 1
    .uses_dynamic_stack: false
    .vgpr_count:     0
    .vgpr_spill_count: 0
    .wavefront_size: 64
  - .args:
      - .offset:         0
        .size:           56
        .value_kind:     by_value
      - .offset:         56
        .size:           4
        .value_kind:     hidden_block_count_x
      - .offset:         60
        .size:           4
        .value_kind:     hidden_block_count_y
      - .offset:         64
        .size:           4
        .value_kind:     hidden_block_count_z
      - .offset:         68
        .size:           2
        .value_kind:     hidden_group_size_x
      - .offset:         70
        .size:           2
        .value_kind:     hidden_group_size_y
      - .offset:         72
        .size:           2
        .value_kind:     hidden_group_size_z
      - .offset:         74
        .size:           2
        .value_kind:     hidden_remainder_x
      - .offset:         76
        .size:           2
        .value_kind:     hidden_remainder_y
      - .offset:         78
        .size:           2
        .value_kind:     hidden_remainder_z
      - .offset:         96
        .size:           8
        .value_kind:     hidden_global_offset_x
      - .offset:         104
        .size:           8
        .value_kind:     hidden_global_offset_y
      - .offset:         112
        .size:           8
        .value_kind:     hidden_global_offset_z
      - .offset:         120
        .size:           2
        .value_kind:     hidden_grid_dims
    .group_segment_fixed_size: 0
    .kernarg_segment_align: 8
    .kernarg_segment_size: 312
    .language:       OpenCL C
    .language_version:
      - 2
      - 0
    .max_flat_workgroup_size: 1024
    .name:           _ZN7rocprim17ROCPRIM_400000_NS6detail17trampoline_kernelINS0_14default_configENS1_25transform_config_selectorIiLb0EEEZNS1_14transform_implILb0ES3_S5_NS0_18transform_iteratorINS0_17counting_iteratorImlEEZNS1_24adjacent_difference_implIS3_Lb1ELb0EPiN6thrust23THRUST_200600_302600_NS16discard_iteratorINSD_11use_defaultEEENSD_5minusIiEEEE10hipError_tPvRmT2_T3_mT4_P12ihipStream_tbEUlmE_iEESB_NS0_8identityIvEEEESJ_SM_SN_mSO_SQ_bEUlT_E_NS1_11comp_targetILNS1_3genE2ELNS1_11target_archE906ELNS1_3gpuE6ELNS1_3repE0EEENS1_30default_config_static_selectorELNS0_4arch9wavefront6targetE1EEEvT1_
    .private_segment_fixed_size: 0
    .sgpr_count:     22
    .sgpr_spill_count: 0
    .symbol:         _ZN7rocprim17ROCPRIM_400000_NS6detail17trampoline_kernelINS0_14default_configENS1_25transform_config_selectorIiLb0EEEZNS1_14transform_implILb0ES3_S5_NS0_18transform_iteratorINS0_17counting_iteratorImlEEZNS1_24adjacent_difference_implIS3_Lb1ELb0EPiN6thrust23THRUST_200600_302600_NS16discard_iteratorINSD_11use_defaultEEENSD_5minusIiEEEE10hipError_tPvRmT2_T3_mT4_P12ihipStream_tbEUlmE_iEESB_NS0_8identityIvEEEESJ_SM_SN_mSO_SQ_bEUlT_E_NS1_11comp_targetILNS1_3genE2ELNS1_11target_archE906ELNS1_3gpuE6ELNS1_3repE0EEENS1_30default_config_static_selectorELNS0_4arch9wavefront6targetE1EEEvT1_.kd
    .uniform_work_group_size: 1
    .uses_dynamic_stack: false
    .vgpr_count:     7
    .vgpr_spill_count: 0
    .wavefront_size: 64
  - .args:
      - .offset:         0
        .size:           56
        .value_kind:     by_value
    .group_segment_fixed_size: 0
    .kernarg_segment_align: 8
    .kernarg_segment_size: 56
    .language:       OpenCL C
    .language_version:
      - 2
      - 0
    .max_flat_workgroup_size: 1024
    .name:           _ZN7rocprim17ROCPRIM_400000_NS6detail17trampoline_kernelINS0_14default_configENS1_25transform_config_selectorIiLb0EEEZNS1_14transform_implILb0ES3_S5_NS0_18transform_iteratorINS0_17counting_iteratorImlEEZNS1_24adjacent_difference_implIS3_Lb1ELb0EPiN6thrust23THRUST_200600_302600_NS16discard_iteratorINSD_11use_defaultEEENSD_5minusIiEEEE10hipError_tPvRmT2_T3_mT4_P12ihipStream_tbEUlmE_iEESB_NS0_8identityIvEEEESJ_SM_SN_mSO_SQ_bEUlT_E_NS1_11comp_targetILNS1_3genE10ELNS1_11target_archE1201ELNS1_3gpuE5ELNS1_3repE0EEENS1_30default_config_static_selectorELNS0_4arch9wavefront6targetE1EEEvT1_
    .private_segment_fixed_size: 0
    .sgpr_count:     4
    .sgpr_spill_count: 0
    .symbol:         _ZN7rocprim17ROCPRIM_400000_NS6detail17trampoline_kernelINS0_14default_configENS1_25transform_config_selectorIiLb0EEEZNS1_14transform_implILb0ES3_S5_NS0_18transform_iteratorINS0_17counting_iteratorImlEEZNS1_24adjacent_difference_implIS3_Lb1ELb0EPiN6thrust23THRUST_200600_302600_NS16discard_iteratorINSD_11use_defaultEEENSD_5minusIiEEEE10hipError_tPvRmT2_T3_mT4_P12ihipStream_tbEUlmE_iEESB_NS0_8identityIvEEEESJ_SM_SN_mSO_SQ_bEUlT_E_NS1_11comp_targetILNS1_3genE10ELNS1_11target_archE1201ELNS1_3gpuE5ELNS1_3repE0EEENS1_30default_config_static_selectorELNS0_4arch9wavefront6targetE1EEEvT1_.kd
    .uniform_work_group_size: 1
    .uses_dynamic_stack: false
    .vgpr_count:     0
    .vgpr_spill_count: 0
    .wavefront_size: 64
  - .args:
      - .offset:         0
        .size:           56
        .value_kind:     by_value
    .group_segment_fixed_size: 0
    .kernarg_segment_align: 8
    .kernarg_segment_size: 56
    .language:       OpenCL C
    .language_version:
      - 2
      - 0
    .max_flat_workgroup_size: 512
    .name:           _ZN7rocprim17ROCPRIM_400000_NS6detail17trampoline_kernelINS0_14default_configENS1_25transform_config_selectorIiLb0EEEZNS1_14transform_implILb0ES3_S5_NS0_18transform_iteratorINS0_17counting_iteratorImlEEZNS1_24adjacent_difference_implIS3_Lb1ELb0EPiN6thrust23THRUST_200600_302600_NS16discard_iteratorINSD_11use_defaultEEENSD_5minusIiEEEE10hipError_tPvRmT2_T3_mT4_P12ihipStream_tbEUlmE_iEESB_NS0_8identityIvEEEESJ_SM_SN_mSO_SQ_bEUlT_E_NS1_11comp_targetILNS1_3genE10ELNS1_11target_archE1200ELNS1_3gpuE4ELNS1_3repE0EEENS1_30default_config_static_selectorELNS0_4arch9wavefront6targetE1EEEvT1_
    .private_segment_fixed_size: 0
    .sgpr_count:     4
    .sgpr_spill_count: 0
    .symbol:         _ZN7rocprim17ROCPRIM_400000_NS6detail17trampoline_kernelINS0_14default_configENS1_25transform_config_selectorIiLb0EEEZNS1_14transform_implILb0ES3_S5_NS0_18transform_iteratorINS0_17counting_iteratorImlEEZNS1_24adjacent_difference_implIS3_Lb1ELb0EPiN6thrust23THRUST_200600_302600_NS16discard_iteratorINSD_11use_defaultEEENSD_5minusIiEEEE10hipError_tPvRmT2_T3_mT4_P12ihipStream_tbEUlmE_iEESB_NS0_8identityIvEEEESJ_SM_SN_mSO_SQ_bEUlT_E_NS1_11comp_targetILNS1_3genE10ELNS1_11target_archE1200ELNS1_3gpuE4ELNS1_3repE0EEENS1_30default_config_static_selectorELNS0_4arch9wavefront6targetE1EEEvT1_.kd
    .uniform_work_group_size: 1
    .uses_dynamic_stack: false
    .vgpr_count:     0
    .vgpr_spill_count: 0
    .wavefront_size: 64
  - .args:
      - .offset:         0
        .size:           56
        .value_kind:     by_value
    .group_segment_fixed_size: 0
    .kernarg_segment_align: 8
    .kernarg_segment_size: 56
    .language:       OpenCL C
    .language_version:
      - 2
      - 0
    .max_flat_workgroup_size: 64
    .name:           _ZN7rocprim17ROCPRIM_400000_NS6detail17trampoline_kernelINS0_14default_configENS1_25transform_config_selectorIiLb0EEEZNS1_14transform_implILb0ES3_S5_NS0_18transform_iteratorINS0_17counting_iteratorImlEEZNS1_24adjacent_difference_implIS3_Lb1ELb0EPiN6thrust23THRUST_200600_302600_NS16discard_iteratorINSD_11use_defaultEEENSD_5minusIiEEEE10hipError_tPvRmT2_T3_mT4_P12ihipStream_tbEUlmE_iEESB_NS0_8identityIvEEEESJ_SM_SN_mSO_SQ_bEUlT_E_NS1_11comp_targetILNS1_3genE9ELNS1_11target_archE1100ELNS1_3gpuE3ELNS1_3repE0EEENS1_30default_config_static_selectorELNS0_4arch9wavefront6targetE1EEEvT1_
    .private_segment_fixed_size: 0
    .sgpr_count:     4
    .sgpr_spill_count: 0
    .symbol:         _ZN7rocprim17ROCPRIM_400000_NS6detail17trampoline_kernelINS0_14default_configENS1_25transform_config_selectorIiLb0EEEZNS1_14transform_implILb0ES3_S5_NS0_18transform_iteratorINS0_17counting_iteratorImlEEZNS1_24adjacent_difference_implIS3_Lb1ELb0EPiN6thrust23THRUST_200600_302600_NS16discard_iteratorINSD_11use_defaultEEENSD_5minusIiEEEE10hipError_tPvRmT2_T3_mT4_P12ihipStream_tbEUlmE_iEESB_NS0_8identityIvEEEESJ_SM_SN_mSO_SQ_bEUlT_E_NS1_11comp_targetILNS1_3genE9ELNS1_11target_archE1100ELNS1_3gpuE3ELNS1_3repE0EEENS1_30default_config_static_selectorELNS0_4arch9wavefront6targetE1EEEvT1_.kd
    .uniform_work_group_size: 1
    .uses_dynamic_stack: false
    .vgpr_count:     0
    .vgpr_spill_count: 0
    .wavefront_size: 64
  - .args:
      - .offset:         0
        .size:           56
        .value_kind:     by_value
    .group_segment_fixed_size: 0
    .kernarg_segment_align: 8
    .kernarg_segment_size: 56
    .language:       OpenCL C
    .language_version:
      - 2
      - 0
    .max_flat_workgroup_size: 256
    .name:           _ZN7rocprim17ROCPRIM_400000_NS6detail17trampoline_kernelINS0_14default_configENS1_25transform_config_selectorIiLb0EEEZNS1_14transform_implILb0ES3_S5_NS0_18transform_iteratorINS0_17counting_iteratorImlEEZNS1_24adjacent_difference_implIS3_Lb1ELb0EPiN6thrust23THRUST_200600_302600_NS16discard_iteratorINSD_11use_defaultEEENSD_5minusIiEEEE10hipError_tPvRmT2_T3_mT4_P12ihipStream_tbEUlmE_iEESB_NS0_8identityIvEEEESJ_SM_SN_mSO_SQ_bEUlT_E_NS1_11comp_targetILNS1_3genE8ELNS1_11target_archE1030ELNS1_3gpuE2ELNS1_3repE0EEENS1_30default_config_static_selectorELNS0_4arch9wavefront6targetE1EEEvT1_
    .private_segment_fixed_size: 0
    .sgpr_count:     4
    .sgpr_spill_count: 0
    .symbol:         _ZN7rocprim17ROCPRIM_400000_NS6detail17trampoline_kernelINS0_14default_configENS1_25transform_config_selectorIiLb0EEEZNS1_14transform_implILb0ES3_S5_NS0_18transform_iteratorINS0_17counting_iteratorImlEEZNS1_24adjacent_difference_implIS3_Lb1ELb0EPiN6thrust23THRUST_200600_302600_NS16discard_iteratorINSD_11use_defaultEEENSD_5minusIiEEEE10hipError_tPvRmT2_T3_mT4_P12ihipStream_tbEUlmE_iEESB_NS0_8identityIvEEEESJ_SM_SN_mSO_SQ_bEUlT_E_NS1_11comp_targetILNS1_3genE8ELNS1_11target_archE1030ELNS1_3gpuE2ELNS1_3repE0EEENS1_30default_config_static_selectorELNS0_4arch9wavefront6targetE1EEEvT1_.kd
    .uniform_work_group_size: 1
    .uses_dynamic_stack: false
    .vgpr_count:     0
    .vgpr_spill_count: 0
    .wavefront_size: 64
  - .args:
      - .offset:         0
        .size:           64
        .value_kind:     by_value
    .group_segment_fixed_size: 0
    .kernarg_segment_align: 8
    .kernarg_segment_size: 64
    .language:       OpenCL C
    .language_version:
      - 2
      - 0
    .max_flat_workgroup_size: 1024
    .name:           _ZN7rocprim17ROCPRIM_400000_NS6detail17trampoline_kernelINS0_14default_configENS1_35adjacent_difference_config_selectorILb1EiEEZNS1_24adjacent_difference_implIS3_Lb1ELb0EPiN6thrust23THRUST_200600_302600_NS16discard_iteratorINS9_11use_defaultEEENS9_5minusIiEEEE10hipError_tPvRmT2_T3_mT4_P12ihipStream_tbEUlT_E_NS1_11comp_targetILNS1_3genE0ELNS1_11target_archE4294967295ELNS1_3gpuE0ELNS1_3repE0EEENS1_30default_config_static_selectorELNS0_4arch9wavefront6targetE1EEEvT1_
    .private_segment_fixed_size: 0
    .sgpr_count:     4
    .sgpr_spill_count: 0
    .symbol:         _ZN7rocprim17ROCPRIM_400000_NS6detail17trampoline_kernelINS0_14default_configENS1_35adjacent_difference_config_selectorILb1EiEEZNS1_24adjacent_difference_implIS3_Lb1ELb0EPiN6thrust23THRUST_200600_302600_NS16discard_iteratorINS9_11use_defaultEEENS9_5minusIiEEEE10hipError_tPvRmT2_T3_mT4_P12ihipStream_tbEUlT_E_NS1_11comp_targetILNS1_3genE0ELNS1_11target_archE4294967295ELNS1_3gpuE0ELNS1_3repE0EEENS1_30default_config_static_selectorELNS0_4arch9wavefront6targetE1EEEvT1_.kd
    .uniform_work_group_size: 1
    .uses_dynamic_stack: false
    .vgpr_count:     0
    .vgpr_spill_count: 0
    .wavefront_size: 64
  - .args:
      - .offset:         0
        .size:           64
        .value_kind:     by_value
    .group_segment_fixed_size: 0
    .kernarg_segment_align: 8
    .kernarg_segment_size: 64
    .language:       OpenCL C
    .language_version:
      - 2
      - 0
    .max_flat_workgroup_size: 32
    .name:           _ZN7rocprim17ROCPRIM_400000_NS6detail17trampoline_kernelINS0_14default_configENS1_35adjacent_difference_config_selectorILb1EiEEZNS1_24adjacent_difference_implIS3_Lb1ELb0EPiN6thrust23THRUST_200600_302600_NS16discard_iteratorINS9_11use_defaultEEENS9_5minusIiEEEE10hipError_tPvRmT2_T3_mT4_P12ihipStream_tbEUlT_E_NS1_11comp_targetILNS1_3genE10ELNS1_11target_archE1201ELNS1_3gpuE5ELNS1_3repE0EEENS1_30default_config_static_selectorELNS0_4arch9wavefront6targetE1EEEvT1_
    .private_segment_fixed_size: 0
    .sgpr_count:     4
    .sgpr_spill_count: 0
    .symbol:         _ZN7rocprim17ROCPRIM_400000_NS6detail17trampoline_kernelINS0_14default_configENS1_35adjacent_difference_config_selectorILb1EiEEZNS1_24adjacent_difference_implIS3_Lb1ELb0EPiN6thrust23THRUST_200600_302600_NS16discard_iteratorINS9_11use_defaultEEENS9_5minusIiEEEE10hipError_tPvRmT2_T3_mT4_P12ihipStream_tbEUlT_E_NS1_11comp_targetILNS1_3genE10ELNS1_11target_archE1201ELNS1_3gpuE5ELNS1_3repE0EEENS1_30default_config_static_selectorELNS0_4arch9wavefront6targetE1EEEvT1_.kd
    .uniform_work_group_size: 1
    .uses_dynamic_stack: false
    .vgpr_count:     0
    .vgpr_spill_count: 0
    .wavefront_size: 64
  - .args:
      - .offset:         0
        .size:           64
        .value_kind:     by_value
    .group_segment_fixed_size: 0
    .kernarg_segment_align: 8
    .kernarg_segment_size: 64
    .language:       OpenCL C
    .language_version:
      - 2
      - 0
    .max_flat_workgroup_size: 512
    .name:           _ZN7rocprim17ROCPRIM_400000_NS6detail17trampoline_kernelINS0_14default_configENS1_35adjacent_difference_config_selectorILb1EiEEZNS1_24adjacent_difference_implIS3_Lb1ELb0EPiN6thrust23THRUST_200600_302600_NS16discard_iteratorINS9_11use_defaultEEENS9_5minusIiEEEE10hipError_tPvRmT2_T3_mT4_P12ihipStream_tbEUlT_E_NS1_11comp_targetILNS1_3genE5ELNS1_11target_archE942ELNS1_3gpuE9ELNS1_3repE0EEENS1_30default_config_static_selectorELNS0_4arch9wavefront6targetE1EEEvT1_
    .private_segment_fixed_size: 0
    .sgpr_count:     4
    .sgpr_spill_count: 0
    .symbol:         _ZN7rocprim17ROCPRIM_400000_NS6detail17trampoline_kernelINS0_14default_configENS1_35adjacent_difference_config_selectorILb1EiEEZNS1_24adjacent_difference_implIS3_Lb1ELb0EPiN6thrust23THRUST_200600_302600_NS16discard_iteratorINS9_11use_defaultEEENS9_5minusIiEEEE10hipError_tPvRmT2_T3_mT4_P12ihipStream_tbEUlT_E_NS1_11comp_targetILNS1_3genE5ELNS1_11target_archE942ELNS1_3gpuE9ELNS1_3repE0EEENS1_30default_config_static_selectorELNS0_4arch9wavefront6targetE1EEEvT1_.kd
    .uniform_work_group_size: 1
    .uses_dynamic_stack: false
    .vgpr_count:     0
    .vgpr_spill_count: 0
    .wavefront_size: 64
  - .args:
      - .offset:         0
        .size:           64
        .value_kind:     by_value
    .group_segment_fixed_size: 0
    .kernarg_segment_align: 8
    .kernarg_segment_size: 64
    .language:       OpenCL C
    .language_version:
      - 2
      - 0
    .max_flat_workgroup_size: 512
    .name:           _ZN7rocprim17ROCPRIM_400000_NS6detail17trampoline_kernelINS0_14default_configENS1_35adjacent_difference_config_selectorILb1EiEEZNS1_24adjacent_difference_implIS3_Lb1ELb0EPiN6thrust23THRUST_200600_302600_NS16discard_iteratorINS9_11use_defaultEEENS9_5minusIiEEEE10hipError_tPvRmT2_T3_mT4_P12ihipStream_tbEUlT_E_NS1_11comp_targetILNS1_3genE4ELNS1_11target_archE910ELNS1_3gpuE8ELNS1_3repE0EEENS1_30default_config_static_selectorELNS0_4arch9wavefront6targetE1EEEvT1_
    .private_segment_fixed_size: 0
    .sgpr_count:     4
    .sgpr_spill_count: 0
    .symbol:         _ZN7rocprim17ROCPRIM_400000_NS6detail17trampoline_kernelINS0_14default_configENS1_35adjacent_difference_config_selectorILb1EiEEZNS1_24adjacent_difference_implIS3_Lb1ELb0EPiN6thrust23THRUST_200600_302600_NS16discard_iteratorINS9_11use_defaultEEENS9_5minusIiEEEE10hipError_tPvRmT2_T3_mT4_P12ihipStream_tbEUlT_E_NS1_11comp_targetILNS1_3genE4ELNS1_11target_archE910ELNS1_3gpuE8ELNS1_3repE0EEENS1_30default_config_static_selectorELNS0_4arch9wavefront6targetE1EEEvT1_.kd
    .uniform_work_group_size: 1
    .uses_dynamic_stack: false
    .vgpr_count:     0
    .vgpr_spill_count: 0
    .wavefront_size: 64
  - .args:
      - .offset:         0
        .size:           64
        .value_kind:     by_value
    .group_segment_fixed_size: 0
    .kernarg_segment_align: 8
    .kernarg_segment_size: 64
    .language:       OpenCL C
    .language_version:
      - 2
      - 0
    .max_flat_workgroup_size: 1024
    .name:           _ZN7rocprim17ROCPRIM_400000_NS6detail17trampoline_kernelINS0_14default_configENS1_35adjacent_difference_config_selectorILb1EiEEZNS1_24adjacent_difference_implIS3_Lb1ELb0EPiN6thrust23THRUST_200600_302600_NS16discard_iteratorINS9_11use_defaultEEENS9_5minusIiEEEE10hipError_tPvRmT2_T3_mT4_P12ihipStream_tbEUlT_E_NS1_11comp_targetILNS1_3genE3ELNS1_11target_archE908ELNS1_3gpuE7ELNS1_3repE0EEENS1_30default_config_static_selectorELNS0_4arch9wavefront6targetE1EEEvT1_
    .private_segment_fixed_size: 0
    .sgpr_count:     4
    .sgpr_spill_count: 0
    .symbol:         _ZN7rocprim17ROCPRIM_400000_NS6detail17trampoline_kernelINS0_14default_configENS1_35adjacent_difference_config_selectorILb1EiEEZNS1_24adjacent_difference_implIS3_Lb1ELb0EPiN6thrust23THRUST_200600_302600_NS16discard_iteratorINS9_11use_defaultEEENS9_5minusIiEEEE10hipError_tPvRmT2_T3_mT4_P12ihipStream_tbEUlT_E_NS1_11comp_targetILNS1_3genE3ELNS1_11target_archE908ELNS1_3gpuE7ELNS1_3repE0EEENS1_30default_config_static_selectorELNS0_4arch9wavefront6targetE1EEEvT1_.kd
    .uniform_work_group_size: 1
    .uses_dynamic_stack: false
    .vgpr_count:     0
    .vgpr_spill_count: 0
    .wavefront_size: 64
  - .args:
      - .offset:         0
        .size:           64
        .value_kind:     by_value
    .group_segment_fixed_size: 11264
    .kernarg_segment_align: 8
    .kernarg_segment_size: 64
    .language:       OpenCL C
    .language_version:
      - 2
      - 0
    .max_flat_workgroup_size: 256
    .name:           _ZN7rocprim17ROCPRIM_400000_NS6detail17trampoline_kernelINS0_14default_configENS1_35adjacent_difference_config_selectorILb1EiEEZNS1_24adjacent_difference_implIS3_Lb1ELb0EPiN6thrust23THRUST_200600_302600_NS16discard_iteratorINS9_11use_defaultEEENS9_5minusIiEEEE10hipError_tPvRmT2_T3_mT4_P12ihipStream_tbEUlT_E_NS1_11comp_targetILNS1_3genE2ELNS1_11target_archE906ELNS1_3gpuE6ELNS1_3repE0EEENS1_30default_config_static_selectorELNS0_4arch9wavefront6targetE1EEEvT1_
    .private_segment_fixed_size: 0
    .sgpr_count:     28
    .sgpr_spill_count: 0
    .symbol:         _ZN7rocprim17ROCPRIM_400000_NS6detail17trampoline_kernelINS0_14default_configENS1_35adjacent_difference_config_selectorILb1EiEEZNS1_24adjacent_difference_implIS3_Lb1ELb0EPiN6thrust23THRUST_200600_302600_NS16discard_iteratorINS9_11use_defaultEEENS9_5minusIiEEEE10hipError_tPvRmT2_T3_mT4_P12ihipStream_tbEUlT_E_NS1_11comp_targetILNS1_3genE2ELNS1_11target_archE906ELNS1_3gpuE6ELNS1_3repE0EEENS1_30default_config_static_selectorELNS0_4arch9wavefront6targetE1EEEvT1_.kd
    .uniform_work_group_size: 1
    .uses_dynamic_stack: false
    .vgpr_count:     25
    .vgpr_spill_count: 0
    .wavefront_size: 64
  - .args:
      - .offset:         0
        .size:           64
        .value_kind:     by_value
    .group_segment_fixed_size: 0
    .kernarg_segment_align: 8
    .kernarg_segment_size: 64
    .language:       OpenCL C
    .language_version:
      - 2
      - 0
    .max_flat_workgroup_size: 128
    .name:           _ZN7rocprim17ROCPRIM_400000_NS6detail17trampoline_kernelINS0_14default_configENS1_35adjacent_difference_config_selectorILb1EiEEZNS1_24adjacent_difference_implIS3_Lb1ELb0EPiN6thrust23THRUST_200600_302600_NS16discard_iteratorINS9_11use_defaultEEENS9_5minusIiEEEE10hipError_tPvRmT2_T3_mT4_P12ihipStream_tbEUlT_E_NS1_11comp_targetILNS1_3genE9ELNS1_11target_archE1100ELNS1_3gpuE3ELNS1_3repE0EEENS1_30default_config_static_selectorELNS0_4arch9wavefront6targetE1EEEvT1_
    .private_segment_fixed_size: 0
    .sgpr_count:     4
    .sgpr_spill_count: 0
    .symbol:         _ZN7rocprim17ROCPRIM_400000_NS6detail17trampoline_kernelINS0_14default_configENS1_35adjacent_difference_config_selectorILb1EiEEZNS1_24adjacent_difference_implIS3_Lb1ELb0EPiN6thrust23THRUST_200600_302600_NS16discard_iteratorINS9_11use_defaultEEENS9_5minusIiEEEE10hipError_tPvRmT2_T3_mT4_P12ihipStream_tbEUlT_E_NS1_11comp_targetILNS1_3genE9ELNS1_11target_archE1100ELNS1_3gpuE3ELNS1_3repE0EEENS1_30default_config_static_selectorELNS0_4arch9wavefront6targetE1EEEvT1_.kd
    .uniform_work_group_size: 1
    .uses_dynamic_stack: false
    .vgpr_count:     0
    .vgpr_spill_count: 0
    .wavefront_size: 64
  - .args:
      - .offset:         0
        .size:           64
        .value_kind:     by_value
    .group_segment_fixed_size: 0
    .kernarg_segment_align: 8
    .kernarg_segment_size: 64
    .language:       OpenCL C
    .language_version:
      - 2
      - 0
    .max_flat_workgroup_size: 32
    .name:           _ZN7rocprim17ROCPRIM_400000_NS6detail17trampoline_kernelINS0_14default_configENS1_35adjacent_difference_config_selectorILb1EiEEZNS1_24adjacent_difference_implIS3_Lb1ELb0EPiN6thrust23THRUST_200600_302600_NS16discard_iteratorINS9_11use_defaultEEENS9_5minusIiEEEE10hipError_tPvRmT2_T3_mT4_P12ihipStream_tbEUlT_E_NS1_11comp_targetILNS1_3genE8ELNS1_11target_archE1030ELNS1_3gpuE2ELNS1_3repE0EEENS1_30default_config_static_selectorELNS0_4arch9wavefront6targetE1EEEvT1_
    .private_segment_fixed_size: 0
    .sgpr_count:     4
    .sgpr_spill_count: 0
    .symbol:         _ZN7rocprim17ROCPRIM_400000_NS6detail17trampoline_kernelINS0_14default_configENS1_35adjacent_difference_config_selectorILb1EiEEZNS1_24adjacent_difference_implIS3_Lb1ELb0EPiN6thrust23THRUST_200600_302600_NS16discard_iteratorINS9_11use_defaultEEENS9_5minusIiEEEE10hipError_tPvRmT2_T3_mT4_P12ihipStream_tbEUlT_E_NS1_11comp_targetILNS1_3genE8ELNS1_11target_archE1030ELNS1_3gpuE2ELNS1_3repE0EEENS1_30default_config_static_selectorELNS0_4arch9wavefront6targetE1EEEvT1_.kd
    .uniform_work_group_size: 1
    .uses_dynamic_stack: false
    .vgpr_count:     0
    .vgpr_spill_count: 0
    .wavefront_size: 64
  - .args:
      - .offset:         0
        .size:           56
        .value_kind:     by_value
    .group_segment_fixed_size: 0
    .kernarg_segment_align: 8
    .kernarg_segment_size: 56
    .language:       OpenCL C
    .language_version:
      - 2
      - 0
    .max_flat_workgroup_size: 128
    .name:           _ZN7rocprim17ROCPRIM_400000_NS6detail17trampoline_kernelINS0_14default_configENS1_25transform_config_selectorIsLb0EEEZNS1_14transform_implILb0ES3_S5_NS0_18transform_iteratorINS0_17counting_iteratorImlEEZNS1_24adjacent_difference_implIS3_Lb1ELb0EPsN6thrust23THRUST_200600_302600_NS16discard_iteratorINSD_11use_defaultEEENSD_5minusIsEEEE10hipError_tPvRmT2_T3_mT4_P12ihipStream_tbEUlmE_sEESB_NS0_8identityIvEEEESJ_SM_SN_mSO_SQ_bEUlT_E_NS1_11comp_targetILNS1_3genE0ELNS1_11target_archE4294967295ELNS1_3gpuE0ELNS1_3repE0EEENS1_30default_config_static_selectorELNS0_4arch9wavefront6targetE1EEEvT1_
    .private_segment_fixed_size: 0
    .sgpr_count:     4
    .sgpr_spill_count: 0
    .symbol:         _ZN7rocprim17ROCPRIM_400000_NS6detail17trampoline_kernelINS0_14default_configENS1_25transform_config_selectorIsLb0EEEZNS1_14transform_implILb0ES3_S5_NS0_18transform_iteratorINS0_17counting_iteratorImlEEZNS1_24adjacent_difference_implIS3_Lb1ELb0EPsN6thrust23THRUST_200600_302600_NS16discard_iteratorINSD_11use_defaultEEENSD_5minusIsEEEE10hipError_tPvRmT2_T3_mT4_P12ihipStream_tbEUlmE_sEESB_NS0_8identityIvEEEESJ_SM_SN_mSO_SQ_bEUlT_E_NS1_11comp_targetILNS1_3genE0ELNS1_11target_archE4294967295ELNS1_3gpuE0ELNS1_3repE0EEENS1_30default_config_static_selectorELNS0_4arch9wavefront6targetE1EEEvT1_.kd
    .uniform_work_group_size: 1
    .uses_dynamic_stack: false
    .vgpr_count:     0
    .vgpr_spill_count: 0
    .wavefront_size: 64
  - .args:
      - .offset:         0
        .size:           56
        .value_kind:     by_value
    .group_segment_fixed_size: 0
    .kernarg_segment_align: 8
    .kernarg_segment_size: 56
    .language:       OpenCL C
    .language_version:
      - 2
      - 0
    .max_flat_workgroup_size: 256
    .name:           _ZN7rocprim17ROCPRIM_400000_NS6detail17trampoline_kernelINS0_14default_configENS1_25transform_config_selectorIsLb0EEEZNS1_14transform_implILb0ES3_S5_NS0_18transform_iteratorINS0_17counting_iteratorImlEEZNS1_24adjacent_difference_implIS3_Lb1ELb0EPsN6thrust23THRUST_200600_302600_NS16discard_iteratorINSD_11use_defaultEEENSD_5minusIsEEEE10hipError_tPvRmT2_T3_mT4_P12ihipStream_tbEUlmE_sEESB_NS0_8identityIvEEEESJ_SM_SN_mSO_SQ_bEUlT_E_NS1_11comp_targetILNS1_3genE5ELNS1_11target_archE942ELNS1_3gpuE9ELNS1_3repE0EEENS1_30default_config_static_selectorELNS0_4arch9wavefront6targetE1EEEvT1_
    .private_segment_fixed_size: 0
    .sgpr_count:     4
    .sgpr_spill_count: 0
    .symbol:         _ZN7rocprim17ROCPRIM_400000_NS6detail17trampoline_kernelINS0_14default_configENS1_25transform_config_selectorIsLb0EEEZNS1_14transform_implILb0ES3_S5_NS0_18transform_iteratorINS0_17counting_iteratorImlEEZNS1_24adjacent_difference_implIS3_Lb1ELb0EPsN6thrust23THRUST_200600_302600_NS16discard_iteratorINSD_11use_defaultEEENSD_5minusIsEEEE10hipError_tPvRmT2_T3_mT4_P12ihipStream_tbEUlmE_sEESB_NS0_8identityIvEEEESJ_SM_SN_mSO_SQ_bEUlT_E_NS1_11comp_targetILNS1_3genE5ELNS1_11target_archE942ELNS1_3gpuE9ELNS1_3repE0EEENS1_30default_config_static_selectorELNS0_4arch9wavefront6targetE1EEEvT1_.kd
    .uniform_work_group_size: 1
    .uses_dynamic_stack: false
    .vgpr_count:     0
    .vgpr_spill_count: 0
    .wavefront_size: 64
  - .args:
      - .offset:         0
        .size:           56
        .value_kind:     by_value
    .group_segment_fixed_size: 0
    .kernarg_segment_align: 8
    .kernarg_segment_size: 56
    .language:       OpenCL C
    .language_version:
      - 2
      - 0
    .max_flat_workgroup_size: 64
    .name:           _ZN7rocprim17ROCPRIM_400000_NS6detail17trampoline_kernelINS0_14default_configENS1_25transform_config_selectorIsLb0EEEZNS1_14transform_implILb0ES3_S5_NS0_18transform_iteratorINS0_17counting_iteratorImlEEZNS1_24adjacent_difference_implIS3_Lb1ELb0EPsN6thrust23THRUST_200600_302600_NS16discard_iteratorINSD_11use_defaultEEENSD_5minusIsEEEE10hipError_tPvRmT2_T3_mT4_P12ihipStream_tbEUlmE_sEESB_NS0_8identityIvEEEESJ_SM_SN_mSO_SQ_bEUlT_E_NS1_11comp_targetILNS1_3genE4ELNS1_11target_archE910ELNS1_3gpuE8ELNS1_3repE0EEENS1_30default_config_static_selectorELNS0_4arch9wavefront6targetE1EEEvT1_
    .private_segment_fixed_size: 0
    .sgpr_count:     4
    .sgpr_spill_count: 0
    .symbol:         _ZN7rocprim17ROCPRIM_400000_NS6detail17trampoline_kernelINS0_14default_configENS1_25transform_config_selectorIsLb0EEEZNS1_14transform_implILb0ES3_S5_NS0_18transform_iteratorINS0_17counting_iteratorImlEEZNS1_24adjacent_difference_implIS3_Lb1ELb0EPsN6thrust23THRUST_200600_302600_NS16discard_iteratorINSD_11use_defaultEEENSD_5minusIsEEEE10hipError_tPvRmT2_T3_mT4_P12ihipStream_tbEUlmE_sEESB_NS0_8identityIvEEEESJ_SM_SN_mSO_SQ_bEUlT_E_NS1_11comp_targetILNS1_3genE4ELNS1_11target_archE910ELNS1_3gpuE8ELNS1_3repE0EEENS1_30default_config_static_selectorELNS0_4arch9wavefront6targetE1EEEvT1_.kd
    .uniform_work_group_size: 1
    .uses_dynamic_stack: false
    .vgpr_count:     0
    .vgpr_spill_count: 0
    .wavefront_size: 64
  - .args:
      - .offset:         0
        .size:           56
        .value_kind:     by_value
    .group_segment_fixed_size: 0
    .kernarg_segment_align: 8
    .kernarg_segment_size: 56
    .language:       OpenCL C
    .language_version:
      - 2
      - 0
    .max_flat_workgroup_size: 128
    .name:           _ZN7rocprim17ROCPRIM_400000_NS6detail17trampoline_kernelINS0_14default_configENS1_25transform_config_selectorIsLb0EEEZNS1_14transform_implILb0ES3_S5_NS0_18transform_iteratorINS0_17counting_iteratorImlEEZNS1_24adjacent_difference_implIS3_Lb1ELb0EPsN6thrust23THRUST_200600_302600_NS16discard_iteratorINSD_11use_defaultEEENSD_5minusIsEEEE10hipError_tPvRmT2_T3_mT4_P12ihipStream_tbEUlmE_sEESB_NS0_8identityIvEEEESJ_SM_SN_mSO_SQ_bEUlT_E_NS1_11comp_targetILNS1_3genE3ELNS1_11target_archE908ELNS1_3gpuE7ELNS1_3repE0EEENS1_30default_config_static_selectorELNS0_4arch9wavefront6targetE1EEEvT1_
    .private_segment_fixed_size: 0
    .sgpr_count:     4
    .sgpr_spill_count: 0
    .symbol:         _ZN7rocprim17ROCPRIM_400000_NS6detail17trampoline_kernelINS0_14default_configENS1_25transform_config_selectorIsLb0EEEZNS1_14transform_implILb0ES3_S5_NS0_18transform_iteratorINS0_17counting_iteratorImlEEZNS1_24adjacent_difference_implIS3_Lb1ELb0EPsN6thrust23THRUST_200600_302600_NS16discard_iteratorINSD_11use_defaultEEENSD_5minusIsEEEE10hipError_tPvRmT2_T3_mT4_P12ihipStream_tbEUlmE_sEESB_NS0_8identityIvEEEESJ_SM_SN_mSO_SQ_bEUlT_E_NS1_11comp_targetILNS1_3genE3ELNS1_11target_archE908ELNS1_3gpuE7ELNS1_3repE0EEENS1_30default_config_static_selectorELNS0_4arch9wavefront6targetE1EEEvT1_.kd
    .uniform_work_group_size: 1
    .uses_dynamic_stack: false
    .vgpr_count:     0
    .vgpr_spill_count: 0
    .wavefront_size: 64
  - .args:
      - .offset:         0
        .size:           56
        .value_kind:     by_value
      - .offset:         56
        .size:           4
        .value_kind:     hidden_block_count_x
      - .offset:         60
        .size:           4
        .value_kind:     hidden_block_count_y
      - .offset:         64
        .size:           4
        .value_kind:     hidden_block_count_z
      - .offset:         68
        .size:           2
        .value_kind:     hidden_group_size_x
      - .offset:         70
        .size:           2
        .value_kind:     hidden_group_size_y
      - .offset:         72
        .size:           2
        .value_kind:     hidden_group_size_z
      - .offset:         74
        .size:           2
        .value_kind:     hidden_remainder_x
      - .offset:         76
        .size:           2
        .value_kind:     hidden_remainder_y
      - .offset:         78
        .size:           2
        .value_kind:     hidden_remainder_z
      - .offset:         96
        .size:           8
        .value_kind:     hidden_global_offset_x
      - .offset:         104
        .size:           8
        .value_kind:     hidden_global_offset_y
      - .offset:         112
        .size:           8
        .value_kind:     hidden_global_offset_z
      - .offset:         120
        .size:           2
        .value_kind:     hidden_grid_dims
    .group_segment_fixed_size: 0
    .kernarg_segment_align: 8
    .kernarg_segment_size: 312
    .language:       OpenCL C
    .language_version:
      - 2
      - 0
    .max_flat_workgroup_size: 512
    .name:           _ZN7rocprim17ROCPRIM_400000_NS6detail17trampoline_kernelINS0_14default_configENS1_25transform_config_selectorIsLb0EEEZNS1_14transform_implILb0ES3_S5_NS0_18transform_iteratorINS0_17counting_iteratorImlEEZNS1_24adjacent_difference_implIS3_Lb1ELb0EPsN6thrust23THRUST_200600_302600_NS16discard_iteratorINSD_11use_defaultEEENSD_5minusIsEEEE10hipError_tPvRmT2_T3_mT4_P12ihipStream_tbEUlmE_sEESB_NS0_8identityIvEEEESJ_SM_SN_mSO_SQ_bEUlT_E_NS1_11comp_targetILNS1_3genE2ELNS1_11target_archE906ELNS1_3gpuE6ELNS1_3repE0EEENS1_30default_config_static_selectorELNS0_4arch9wavefront6targetE1EEEvT1_
    .private_segment_fixed_size: 0
    .sgpr_count:     26
    .sgpr_spill_count: 0
    .symbol:         _ZN7rocprim17ROCPRIM_400000_NS6detail17trampoline_kernelINS0_14default_configENS1_25transform_config_selectorIsLb0EEEZNS1_14transform_implILb0ES3_S5_NS0_18transform_iteratorINS0_17counting_iteratorImlEEZNS1_24adjacent_difference_implIS3_Lb1ELb0EPsN6thrust23THRUST_200600_302600_NS16discard_iteratorINSD_11use_defaultEEENSD_5minusIsEEEE10hipError_tPvRmT2_T3_mT4_P12ihipStream_tbEUlmE_sEESB_NS0_8identityIvEEEESJ_SM_SN_mSO_SQ_bEUlT_E_NS1_11comp_targetILNS1_3genE2ELNS1_11target_archE906ELNS1_3gpuE6ELNS1_3repE0EEENS1_30default_config_static_selectorELNS0_4arch9wavefront6targetE1EEEvT1_.kd
    .uniform_work_group_size: 1
    .uses_dynamic_stack: false
    .vgpr_count:     12
    .vgpr_spill_count: 0
    .wavefront_size: 64
  - .args:
      - .offset:         0
        .size:           56
        .value_kind:     by_value
    .group_segment_fixed_size: 0
    .kernarg_segment_align: 8
    .kernarg_segment_size: 56
    .language:       OpenCL C
    .language_version:
      - 2
      - 0
    .max_flat_workgroup_size: 1024
    .name:           _ZN7rocprim17ROCPRIM_400000_NS6detail17trampoline_kernelINS0_14default_configENS1_25transform_config_selectorIsLb0EEEZNS1_14transform_implILb0ES3_S5_NS0_18transform_iteratorINS0_17counting_iteratorImlEEZNS1_24adjacent_difference_implIS3_Lb1ELb0EPsN6thrust23THRUST_200600_302600_NS16discard_iteratorINSD_11use_defaultEEENSD_5minusIsEEEE10hipError_tPvRmT2_T3_mT4_P12ihipStream_tbEUlmE_sEESB_NS0_8identityIvEEEESJ_SM_SN_mSO_SQ_bEUlT_E_NS1_11comp_targetILNS1_3genE10ELNS1_11target_archE1201ELNS1_3gpuE5ELNS1_3repE0EEENS1_30default_config_static_selectorELNS0_4arch9wavefront6targetE1EEEvT1_
    .private_segment_fixed_size: 0
    .sgpr_count:     4
    .sgpr_spill_count: 0
    .symbol:         _ZN7rocprim17ROCPRIM_400000_NS6detail17trampoline_kernelINS0_14default_configENS1_25transform_config_selectorIsLb0EEEZNS1_14transform_implILb0ES3_S5_NS0_18transform_iteratorINS0_17counting_iteratorImlEEZNS1_24adjacent_difference_implIS3_Lb1ELb0EPsN6thrust23THRUST_200600_302600_NS16discard_iteratorINSD_11use_defaultEEENSD_5minusIsEEEE10hipError_tPvRmT2_T3_mT4_P12ihipStream_tbEUlmE_sEESB_NS0_8identityIvEEEESJ_SM_SN_mSO_SQ_bEUlT_E_NS1_11comp_targetILNS1_3genE10ELNS1_11target_archE1201ELNS1_3gpuE5ELNS1_3repE0EEENS1_30default_config_static_selectorELNS0_4arch9wavefront6targetE1EEEvT1_.kd
    .uniform_work_group_size: 1
    .uses_dynamic_stack: false
    .vgpr_count:     0
    .vgpr_spill_count: 0
    .wavefront_size: 64
  - .args:
      - .offset:         0
        .size:           56
        .value_kind:     by_value
    .group_segment_fixed_size: 0
    .kernarg_segment_align: 8
    .kernarg_segment_size: 56
    .language:       OpenCL C
    .language_version:
      - 2
      - 0
    .max_flat_workgroup_size: 512
    .name:           _ZN7rocprim17ROCPRIM_400000_NS6detail17trampoline_kernelINS0_14default_configENS1_25transform_config_selectorIsLb0EEEZNS1_14transform_implILb0ES3_S5_NS0_18transform_iteratorINS0_17counting_iteratorImlEEZNS1_24adjacent_difference_implIS3_Lb1ELb0EPsN6thrust23THRUST_200600_302600_NS16discard_iteratorINSD_11use_defaultEEENSD_5minusIsEEEE10hipError_tPvRmT2_T3_mT4_P12ihipStream_tbEUlmE_sEESB_NS0_8identityIvEEEESJ_SM_SN_mSO_SQ_bEUlT_E_NS1_11comp_targetILNS1_3genE10ELNS1_11target_archE1200ELNS1_3gpuE4ELNS1_3repE0EEENS1_30default_config_static_selectorELNS0_4arch9wavefront6targetE1EEEvT1_
    .private_segment_fixed_size: 0
    .sgpr_count:     4
    .sgpr_spill_count: 0
    .symbol:         _ZN7rocprim17ROCPRIM_400000_NS6detail17trampoline_kernelINS0_14default_configENS1_25transform_config_selectorIsLb0EEEZNS1_14transform_implILb0ES3_S5_NS0_18transform_iteratorINS0_17counting_iteratorImlEEZNS1_24adjacent_difference_implIS3_Lb1ELb0EPsN6thrust23THRUST_200600_302600_NS16discard_iteratorINSD_11use_defaultEEENSD_5minusIsEEEE10hipError_tPvRmT2_T3_mT4_P12ihipStream_tbEUlmE_sEESB_NS0_8identityIvEEEESJ_SM_SN_mSO_SQ_bEUlT_E_NS1_11comp_targetILNS1_3genE10ELNS1_11target_archE1200ELNS1_3gpuE4ELNS1_3repE0EEENS1_30default_config_static_selectorELNS0_4arch9wavefront6targetE1EEEvT1_.kd
    .uniform_work_group_size: 1
    .uses_dynamic_stack: false
    .vgpr_count:     0
    .vgpr_spill_count: 0
    .wavefront_size: 64
  - .args:
      - .offset:         0
        .size:           56
        .value_kind:     by_value
    .group_segment_fixed_size: 0
    .kernarg_segment_align: 8
    .kernarg_segment_size: 56
    .language:       OpenCL C
    .language_version:
      - 2
      - 0
    .max_flat_workgroup_size: 1024
    .name:           _ZN7rocprim17ROCPRIM_400000_NS6detail17trampoline_kernelINS0_14default_configENS1_25transform_config_selectorIsLb0EEEZNS1_14transform_implILb0ES3_S5_NS0_18transform_iteratorINS0_17counting_iteratorImlEEZNS1_24adjacent_difference_implIS3_Lb1ELb0EPsN6thrust23THRUST_200600_302600_NS16discard_iteratorINSD_11use_defaultEEENSD_5minusIsEEEE10hipError_tPvRmT2_T3_mT4_P12ihipStream_tbEUlmE_sEESB_NS0_8identityIvEEEESJ_SM_SN_mSO_SQ_bEUlT_E_NS1_11comp_targetILNS1_3genE9ELNS1_11target_archE1100ELNS1_3gpuE3ELNS1_3repE0EEENS1_30default_config_static_selectorELNS0_4arch9wavefront6targetE1EEEvT1_
    .private_segment_fixed_size: 0
    .sgpr_count:     4
    .sgpr_spill_count: 0
    .symbol:         _ZN7rocprim17ROCPRIM_400000_NS6detail17trampoline_kernelINS0_14default_configENS1_25transform_config_selectorIsLb0EEEZNS1_14transform_implILb0ES3_S5_NS0_18transform_iteratorINS0_17counting_iteratorImlEEZNS1_24adjacent_difference_implIS3_Lb1ELb0EPsN6thrust23THRUST_200600_302600_NS16discard_iteratorINSD_11use_defaultEEENSD_5minusIsEEEE10hipError_tPvRmT2_T3_mT4_P12ihipStream_tbEUlmE_sEESB_NS0_8identityIvEEEESJ_SM_SN_mSO_SQ_bEUlT_E_NS1_11comp_targetILNS1_3genE9ELNS1_11target_archE1100ELNS1_3gpuE3ELNS1_3repE0EEENS1_30default_config_static_selectorELNS0_4arch9wavefront6targetE1EEEvT1_.kd
    .uniform_work_group_size: 1
    .uses_dynamic_stack: false
    .vgpr_count:     0
    .vgpr_spill_count: 0
    .wavefront_size: 64
  - .args:
      - .offset:         0
        .size:           56
        .value_kind:     by_value
    .group_segment_fixed_size: 0
    .kernarg_segment_align: 8
    .kernarg_segment_size: 56
    .language:       OpenCL C
    .language_version:
      - 2
      - 0
    .max_flat_workgroup_size: 1024
    .name:           _ZN7rocprim17ROCPRIM_400000_NS6detail17trampoline_kernelINS0_14default_configENS1_25transform_config_selectorIsLb0EEEZNS1_14transform_implILb0ES3_S5_NS0_18transform_iteratorINS0_17counting_iteratorImlEEZNS1_24adjacent_difference_implIS3_Lb1ELb0EPsN6thrust23THRUST_200600_302600_NS16discard_iteratorINSD_11use_defaultEEENSD_5minusIsEEEE10hipError_tPvRmT2_T3_mT4_P12ihipStream_tbEUlmE_sEESB_NS0_8identityIvEEEESJ_SM_SN_mSO_SQ_bEUlT_E_NS1_11comp_targetILNS1_3genE8ELNS1_11target_archE1030ELNS1_3gpuE2ELNS1_3repE0EEENS1_30default_config_static_selectorELNS0_4arch9wavefront6targetE1EEEvT1_
    .private_segment_fixed_size: 0
    .sgpr_count:     4
    .sgpr_spill_count: 0
    .symbol:         _ZN7rocprim17ROCPRIM_400000_NS6detail17trampoline_kernelINS0_14default_configENS1_25transform_config_selectorIsLb0EEEZNS1_14transform_implILb0ES3_S5_NS0_18transform_iteratorINS0_17counting_iteratorImlEEZNS1_24adjacent_difference_implIS3_Lb1ELb0EPsN6thrust23THRUST_200600_302600_NS16discard_iteratorINSD_11use_defaultEEENSD_5minusIsEEEE10hipError_tPvRmT2_T3_mT4_P12ihipStream_tbEUlmE_sEESB_NS0_8identityIvEEEESJ_SM_SN_mSO_SQ_bEUlT_E_NS1_11comp_targetILNS1_3genE8ELNS1_11target_archE1030ELNS1_3gpuE2ELNS1_3repE0EEENS1_30default_config_static_selectorELNS0_4arch9wavefront6targetE1EEEvT1_.kd
    .uniform_work_group_size: 1
    .uses_dynamic_stack: false
    .vgpr_count:     0
    .vgpr_spill_count: 0
    .wavefront_size: 64
  - .args:
      - .offset:         0
        .size:           64
        .value_kind:     by_value
    .group_segment_fixed_size: 0
    .kernarg_segment_align: 8
    .kernarg_segment_size: 64
    .language:       OpenCL C
    .language_version:
      - 2
      - 0
    .max_flat_workgroup_size: 32
    .name:           _ZN7rocprim17ROCPRIM_400000_NS6detail17trampoline_kernelINS0_14default_configENS1_35adjacent_difference_config_selectorILb1EsEEZNS1_24adjacent_difference_implIS3_Lb1ELb0EPsN6thrust23THRUST_200600_302600_NS16discard_iteratorINS9_11use_defaultEEENS9_5minusIsEEEE10hipError_tPvRmT2_T3_mT4_P12ihipStream_tbEUlT_E_NS1_11comp_targetILNS1_3genE0ELNS1_11target_archE4294967295ELNS1_3gpuE0ELNS1_3repE0EEENS1_30default_config_static_selectorELNS0_4arch9wavefront6targetE1EEEvT1_
    .private_segment_fixed_size: 0
    .sgpr_count:     4
    .sgpr_spill_count: 0
    .symbol:         _ZN7rocprim17ROCPRIM_400000_NS6detail17trampoline_kernelINS0_14default_configENS1_35adjacent_difference_config_selectorILb1EsEEZNS1_24adjacent_difference_implIS3_Lb1ELb0EPsN6thrust23THRUST_200600_302600_NS16discard_iteratorINS9_11use_defaultEEENS9_5minusIsEEEE10hipError_tPvRmT2_T3_mT4_P12ihipStream_tbEUlT_E_NS1_11comp_targetILNS1_3genE0ELNS1_11target_archE4294967295ELNS1_3gpuE0ELNS1_3repE0EEENS1_30default_config_static_selectorELNS0_4arch9wavefront6targetE1EEEvT1_.kd
    .uniform_work_group_size: 1
    .uses_dynamic_stack: false
    .vgpr_count:     0
    .vgpr_spill_count: 0
    .wavefront_size: 64
  - .args:
      - .offset:         0
        .size:           64
        .value_kind:     by_value
    .group_segment_fixed_size: 0
    .kernarg_segment_align: 8
    .kernarg_segment_size: 64
    .language:       OpenCL C
    .language_version:
      - 2
      - 0
    .max_flat_workgroup_size: 512
    .name:           _ZN7rocprim17ROCPRIM_400000_NS6detail17trampoline_kernelINS0_14default_configENS1_35adjacent_difference_config_selectorILb1EsEEZNS1_24adjacent_difference_implIS3_Lb1ELb0EPsN6thrust23THRUST_200600_302600_NS16discard_iteratorINS9_11use_defaultEEENS9_5minusIsEEEE10hipError_tPvRmT2_T3_mT4_P12ihipStream_tbEUlT_E_NS1_11comp_targetILNS1_3genE10ELNS1_11target_archE1201ELNS1_3gpuE5ELNS1_3repE0EEENS1_30default_config_static_selectorELNS0_4arch9wavefront6targetE1EEEvT1_
    .private_segment_fixed_size: 0
    .sgpr_count:     4
    .sgpr_spill_count: 0
    .symbol:         _ZN7rocprim17ROCPRIM_400000_NS6detail17trampoline_kernelINS0_14default_configENS1_35adjacent_difference_config_selectorILb1EsEEZNS1_24adjacent_difference_implIS3_Lb1ELb0EPsN6thrust23THRUST_200600_302600_NS16discard_iteratorINS9_11use_defaultEEENS9_5minusIsEEEE10hipError_tPvRmT2_T3_mT4_P12ihipStream_tbEUlT_E_NS1_11comp_targetILNS1_3genE10ELNS1_11target_archE1201ELNS1_3gpuE5ELNS1_3repE0EEENS1_30default_config_static_selectorELNS0_4arch9wavefront6targetE1EEEvT1_.kd
    .uniform_work_group_size: 1
    .uses_dynamic_stack: false
    .vgpr_count:     0
    .vgpr_spill_count: 0
    .wavefront_size: 64
  - .args:
      - .offset:         0
        .size:           64
        .value_kind:     by_value
    .group_segment_fixed_size: 0
    .kernarg_segment_align: 8
    .kernarg_segment_size: 64
    .language:       OpenCL C
    .language_version:
      - 2
      - 0
    .max_flat_workgroup_size: 64
    .name:           _ZN7rocprim17ROCPRIM_400000_NS6detail17trampoline_kernelINS0_14default_configENS1_35adjacent_difference_config_selectorILb1EsEEZNS1_24adjacent_difference_implIS3_Lb1ELb0EPsN6thrust23THRUST_200600_302600_NS16discard_iteratorINS9_11use_defaultEEENS9_5minusIsEEEE10hipError_tPvRmT2_T3_mT4_P12ihipStream_tbEUlT_E_NS1_11comp_targetILNS1_3genE5ELNS1_11target_archE942ELNS1_3gpuE9ELNS1_3repE0EEENS1_30default_config_static_selectorELNS0_4arch9wavefront6targetE1EEEvT1_
    .private_segment_fixed_size: 0
    .sgpr_count:     4
    .sgpr_spill_count: 0
    .symbol:         _ZN7rocprim17ROCPRIM_400000_NS6detail17trampoline_kernelINS0_14default_configENS1_35adjacent_difference_config_selectorILb1EsEEZNS1_24adjacent_difference_implIS3_Lb1ELb0EPsN6thrust23THRUST_200600_302600_NS16discard_iteratorINS9_11use_defaultEEENS9_5minusIsEEEE10hipError_tPvRmT2_T3_mT4_P12ihipStream_tbEUlT_E_NS1_11comp_targetILNS1_3genE5ELNS1_11target_archE942ELNS1_3gpuE9ELNS1_3repE0EEENS1_30default_config_static_selectorELNS0_4arch9wavefront6targetE1EEEvT1_.kd
    .uniform_work_group_size: 1
    .uses_dynamic_stack: false
    .vgpr_count:     0
    .vgpr_spill_count: 0
    .wavefront_size: 64
  - .args:
      - .offset:         0
        .size:           64
        .value_kind:     by_value
    .group_segment_fixed_size: 0
    .kernarg_segment_align: 8
    .kernarg_segment_size: 64
    .language:       OpenCL C
    .language_version:
      - 2
      - 0
    .max_flat_workgroup_size: 64
    .name:           _ZN7rocprim17ROCPRIM_400000_NS6detail17trampoline_kernelINS0_14default_configENS1_35adjacent_difference_config_selectorILb1EsEEZNS1_24adjacent_difference_implIS3_Lb1ELb0EPsN6thrust23THRUST_200600_302600_NS16discard_iteratorINS9_11use_defaultEEENS9_5minusIsEEEE10hipError_tPvRmT2_T3_mT4_P12ihipStream_tbEUlT_E_NS1_11comp_targetILNS1_3genE4ELNS1_11target_archE910ELNS1_3gpuE8ELNS1_3repE0EEENS1_30default_config_static_selectorELNS0_4arch9wavefront6targetE1EEEvT1_
    .private_segment_fixed_size: 0
    .sgpr_count:     4
    .sgpr_spill_count: 0
    .symbol:         _ZN7rocprim17ROCPRIM_400000_NS6detail17trampoline_kernelINS0_14default_configENS1_35adjacent_difference_config_selectorILb1EsEEZNS1_24adjacent_difference_implIS3_Lb1ELb0EPsN6thrust23THRUST_200600_302600_NS16discard_iteratorINS9_11use_defaultEEENS9_5minusIsEEEE10hipError_tPvRmT2_T3_mT4_P12ihipStream_tbEUlT_E_NS1_11comp_targetILNS1_3genE4ELNS1_11target_archE910ELNS1_3gpuE8ELNS1_3repE0EEENS1_30default_config_static_selectorELNS0_4arch9wavefront6targetE1EEEvT1_.kd
    .uniform_work_group_size: 1
    .uses_dynamic_stack: false
    .vgpr_count:     0
    .vgpr_spill_count: 0
    .wavefront_size: 64
  - .args:
      - .offset:         0
        .size:           64
        .value_kind:     by_value
    .group_segment_fixed_size: 0
    .kernarg_segment_align: 8
    .kernarg_segment_size: 64
    .language:       OpenCL C
    .language_version:
      - 2
      - 0
    .max_flat_workgroup_size: 32
    .name:           _ZN7rocprim17ROCPRIM_400000_NS6detail17trampoline_kernelINS0_14default_configENS1_35adjacent_difference_config_selectorILb1EsEEZNS1_24adjacent_difference_implIS3_Lb1ELb0EPsN6thrust23THRUST_200600_302600_NS16discard_iteratorINS9_11use_defaultEEENS9_5minusIsEEEE10hipError_tPvRmT2_T3_mT4_P12ihipStream_tbEUlT_E_NS1_11comp_targetILNS1_3genE3ELNS1_11target_archE908ELNS1_3gpuE7ELNS1_3repE0EEENS1_30default_config_static_selectorELNS0_4arch9wavefront6targetE1EEEvT1_
    .private_segment_fixed_size: 0
    .sgpr_count:     4
    .sgpr_spill_count: 0
    .symbol:         _ZN7rocprim17ROCPRIM_400000_NS6detail17trampoline_kernelINS0_14default_configENS1_35adjacent_difference_config_selectorILb1EsEEZNS1_24adjacent_difference_implIS3_Lb1ELb0EPsN6thrust23THRUST_200600_302600_NS16discard_iteratorINS9_11use_defaultEEENS9_5minusIsEEEE10hipError_tPvRmT2_T3_mT4_P12ihipStream_tbEUlT_E_NS1_11comp_targetILNS1_3genE3ELNS1_11target_archE908ELNS1_3gpuE7ELNS1_3repE0EEENS1_30default_config_static_selectorELNS0_4arch9wavefront6targetE1EEEvT1_.kd
    .uniform_work_group_size: 1
    .uses_dynamic_stack: false
    .vgpr_count:     0
    .vgpr_spill_count: 0
    .wavefront_size: 64
  - .args:
      - .offset:         0
        .size:           64
        .value_kind:     by_value
    .group_segment_fixed_size: 2176
    .kernarg_segment_align: 8
    .kernarg_segment_size: 64
    .language:       OpenCL C
    .language_version:
      - 2
      - 0
    .max_flat_workgroup_size: 64
    .name:           _ZN7rocprim17ROCPRIM_400000_NS6detail17trampoline_kernelINS0_14default_configENS1_35adjacent_difference_config_selectorILb1EsEEZNS1_24adjacent_difference_implIS3_Lb1ELb0EPsN6thrust23THRUST_200600_302600_NS16discard_iteratorINS9_11use_defaultEEENS9_5minusIsEEEE10hipError_tPvRmT2_T3_mT4_P12ihipStream_tbEUlT_E_NS1_11comp_targetILNS1_3genE2ELNS1_11target_archE906ELNS1_3gpuE6ELNS1_3repE0EEENS1_30default_config_static_selectorELNS0_4arch9wavefront6targetE1EEEvT1_
    .private_segment_fixed_size: 0
    .sgpr_count:     28
    .sgpr_spill_count: 0
    .symbol:         _ZN7rocprim17ROCPRIM_400000_NS6detail17trampoline_kernelINS0_14default_configENS1_35adjacent_difference_config_selectorILb1EsEEZNS1_24adjacent_difference_implIS3_Lb1ELb0EPsN6thrust23THRUST_200600_302600_NS16discard_iteratorINS9_11use_defaultEEENS9_5minusIsEEEE10hipError_tPvRmT2_T3_mT4_P12ihipStream_tbEUlT_E_NS1_11comp_targetILNS1_3genE2ELNS1_11target_archE906ELNS1_3gpuE6ELNS1_3repE0EEENS1_30default_config_static_selectorELNS0_4arch9wavefront6targetE1EEEvT1_.kd
    .uniform_work_group_size: 1
    .uses_dynamic_stack: false
    .vgpr_count:     31
    .vgpr_spill_count: 0
    .wavefront_size: 64
  - .args:
      - .offset:         0
        .size:           64
        .value_kind:     by_value
    .group_segment_fixed_size: 0
    .kernarg_segment_align: 8
    .kernarg_segment_size: 64
    .language:       OpenCL C
    .language_version:
      - 2
      - 0
    .max_flat_workgroup_size: 128
    .name:           _ZN7rocprim17ROCPRIM_400000_NS6detail17trampoline_kernelINS0_14default_configENS1_35adjacent_difference_config_selectorILb1EsEEZNS1_24adjacent_difference_implIS3_Lb1ELb0EPsN6thrust23THRUST_200600_302600_NS16discard_iteratorINS9_11use_defaultEEENS9_5minusIsEEEE10hipError_tPvRmT2_T3_mT4_P12ihipStream_tbEUlT_E_NS1_11comp_targetILNS1_3genE9ELNS1_11target_archE1100ELNS1_3gpuE3ELNS1_3repE0EEENS1_30default_config_static_selectorELNS0_4arch9wavefront6targetE1EEEvT1_
    .private_segment_fixed_size: 0
    .sgpr_count:     4
    .sgpr_spill_count: 0
    .symbol:         _ZN7rocprim17ROCPRIM_400000_NS6detail17trampoline_kernelINS0_14default_configENS1_35adjacent_difference_config_selectorILb1EsEEZNS1_24adjacent_difference_implIS3_Lb1ELb0EPsN6thrust23THRUST_200600_302600_NS16discard_iteratorINS9_11use_defaultEEENS9_5minusIsEEEE10hipError_tPvRmT2_T3_mT4_P12ihipStream_tbEUlT_E_NS1_11comp_targetILNS1_3genE9ELNS1_11target_archE1100ELNS1_3gpuE3ELNS1_3repE0EEENS1_30default_config_static_selectorELNS0_4arch9wavefront6targetE1EEEvT1_.kd
    .uniform_work_group_size: 1
    .uses_dynamic_stack: false
    .vgpr_count:     0
    .vgpr_spill_count: 0
    .wavefront_size: 64
  - .args:
      - .offset:         0
        .size:           64
        .value_kind:     by_value
    .group_segment_fixed_size: 0
    .kernarg_segment_align: 8
    .kernarg_segment_size: 64
    .language:       OpenCL C
    .language_version:
      - 2
      - 0
    .max_flat_workgroup_size: 512
    .name:           _ZN7rocprim17ROCPRIM_400000_NS6detail17trampoline_kernelINS0_14default_configENS1_35adjacent_difference_config_selectorILb1EsEEZNS1_24adjacent_difference_implIS3_Lb1ELb0EPsN6thrust23THRUST_200600_302600_NS16discard_iteratorINS9_11use_defaultEEENS9_5minusIsEEEE10hipError_tPvRmT2_T3_mT4_P12ihipStream_tbEUlT_E_NS1_11comp_targetILNS1_3genE8ELNS1_11target_archE1030ELNS1_3gpuE2ELNS1_3repE0EEENS1_30default_config_static_selectorELNS0_4arch9wavefront6targetE1EEEvT1_
    .private_segment_fixed_size: 0
    .sgpr_count:     4
    .sgpr_spill_count: 0
    .symbol:         _ZN7rocprim17ROCPRIM_400000_NS6detail17trampoline_kernelINS0_14default_configENS1_35adjacent_difference_config_selectorILb1EsEEZNS1_24adjacent_difference_implIS3_Lb1ELb0EPsN6thrust23THRUST_200600_302600_NS16discard_iteratorINS9_11use_defaultEEENS9_5minusIsEEEE10hipError_tPvRmT2_T3_mT4_P12ihipStream_tbEUlT_E_NS1_11comp_targetILNS1_3genE8ELNS1_11target_archE1030ELNS1_3gpuE2ELNS1_3repE0EEENS1_30default_config_static_selectorELNS0_4arch9wavefront6targetE1EEEvT1_.kd
    .uniform_work_group_size: 1
    .uses_dynamic_stack: false
    .vgpr_count:     0
    .vgpr_spill_count: 0
    .wavefront_size: 64
  - .args:
      - .offset:         0
        .size:           16
        .value_kind:     by_value
      - .offset:         16
        .size:           8
        .value_kind:     by_value
      - .offset:         24
        .size:           8
        .value_kind:     by_value
    .group_segment_fixed_size: 0
    .kernarg_segment_align: 8
    .kernarg_segment_size: 32
    .language:       OpenCL C
    .language_version:
      - 2
      - 0
    .max_flat_workgroup_size: 256
    .name:           _ZN6thrust23THRUST_200600_302600_NS11hip_rocprim14__parallel_for6kernelILj256ENS1_20__uninitialized_fill7functorINS0_10device_ptrIiEEiEEmLj1EEEvT0_T1_SA_
    .private_segment_fixed_size: 0
    .sgpr_count:     20
    .sgpr_spill_count: 0
    .symbol:         _ZN6thrust23THRUST_200600_302600_NS11hip_rocprim14__parallel_for6kernelILj256ENS1_20__uninitialized_fill7functorINS0_10device_ptrIiEEiEEmLj1EEEvT0_T1_SA_.kd
    .uniform_work_group_size: 1
    .uses_dynamic_stack: false
    .vgpr_count:     4
    .vgpr_spill_count: 0
    .wavefront_size: 64
amdhsa.target:   amdgcn-amd-amdhsa--gfx906
amdhsa.version:
  - 1
  - 2
...

	.end_amdgpu_metadata
